;; amdgpu-corpus repo=ROCm/rocBLAS kind=compiled arch=gfx1201 opt=O3
	.amdgcn_target "amdgcn-amd-amdhsa--gfx1201"
	.amdhsa_code_object_version 6
	.section	.text._ZL29rocblas_internal_gemmt_kernelIiLi16ELi32ELi8ELc78ELc78ELc85ELb0ELb0EfPKfS1_PfEviT_T9_T10_S3_lS5_S3_lS4_T11_S3_li,"axG",@progbits,_ZL29rocblas_internal_gemmt_kernelIiLi16ELi32ELi8ELc78ELc78ELc85ELb0ELb0EfPKfS1_PfEviT_T9_T10_S3_lS5_S3_lS4_T11_S3_li,comdat
	.globl	_ZL29rocblas_internal_gemmt_kernelIiLi16ELi32ELi8ELc78ELc78ELc85ELb0ELb0EfPKfS1_PfEviT_T9_T10_S3_lS5_S3_lS4_T11_S3_li ; -- Begin function _ZL29rocblas_internal_gemmt_kernelIiLi16ELi32ELi8ELc78ELc78ELc85ELb0ELb0EfPKfS1_PfEviT_T9_T10_S3_lS5_S3_lS4_T11_S3_li
	.p2align	8
	.type	_ZL29rocblas_internal_gemmt_kernelIiLi16ELi32ELi8ELc78ELc78ELc85ELb0ELb0EfPKfS1_PfEviT_T9_T10_S3_lS5_S3_lS4_T11_S3_li,@function
_ZL29rocblas_internal_gemmt_kernelIiLi16ELi32ELi8ELc78ELc78ELc85ELb0ELb0EfPKfS1_PfEviT_T9_T10_S3_lS5_S3_lS4_T11_S3_li: ; @_ZL29rocblas_internal_gemmt_kernelIiLi16ELi32ELi8ELc78ELc78ELc85ELb0ELb0EfPKfS1_PfEviT_T9_T10_S3_lS5_S3_lS4_T11_S3_li
; %bb.0:
	s_clause 0x1
	s_load_b128 s[4:7], s[0:1], 0x38
	s_load_b128 s[8:11], s[0:1], 0x8
	s_wait_kmcnt 0x0
	s_load_b32 s19, s[6:7], 0x0
	s_load_b64 s[6:7], s[0:1], 0x0
	s_load_b32 s24, s[8:9], 0x0
	s_wait_kmcnt 0x0
	s_cmp_neq_f32 s19, 1.0
	s_cselect_b32 s2, -1, 0
	s_delay_alu instid0(SALU_CYCLE_1)
	s_and_b32 vcc_lo, exec_lo, s2
	s_cbranch_vccnz .LBB0_2
; %bb.1:
	s_cmp_lg_u32 s7, 0
	s_cselect_b32 s2, -1, 0
	s_cmp_neq_f32 s24, 0
	s_cselect_b32 s3, -1, 0
	s_delay_alu instid0(SALU_CYCLE_1)
	s_and_b32 s2, s2, s3
.LBB0_2:
	s_delay_alu instid0(SALU_CYCLE_1)
	s_and_not1_b32 vcc_lo, exec_lo, s2
	s_cbranch_vccnz .LBB0_33
; %bb.3:
	s_load_b32 s25, s[0:1], 0x60
	s_lshr_b32 s8, ttmp7, 16
	s_wait_kmcnt 0x0
	s_cmp_ge_u32 s8, s25
	s_cbranch_scc1 .LBB0_33
; %bb.4:
	v_and_b32_e32 v1, 0x3ff, v0
	v_bfe_u32 v3, v0, 10, 10
	s_load_b32 s22, s[0:1], 0x18
	v_and_b32_e32 v16, 7, v0
	s_clause 0x3
	s_load_b128 s[12:15], s[0:1], 0x20
	s_load_b32 s29, s[0:1], 0x30
	s_load_b96 s[16:18], s[0:1], 0x48
	s_load_b64 s[20:21], s[0:1], 0x58
	v_lshl_add_u32 v0, v3, 4, v1
	s_lshl_b32 s2, ttmp9, 5
	v_lshlrev_b32_e32 v14, 2, v16
	s_lshl_b32 s0, ttmp7, 5
	v_lshlrev_b32_e32 v20, 2, v1
	v_and_b32_e32 v2, 31, v0
	v_lshrrev_b32_e32 v5, 3, v0
	v_lshrrev_b32_e32 v17, 5, v0
	s_and_b32 s3, s0, 0x1fffe0
	v_lshl_add_u32 v21, v3, 5, 0x400
	v_lshlrev_b32_e32 v0, 2, v2
	v_or_b32_e32 v4, s2, v2
	v_lshl_or_b32 v2, v5, 5, v14
	v_add_nc_u32_e32 v10, s3, v5
	v_add_nc_u32_e32 v5, s3, v3
	v_lshl_or_b32 v18, v17, 7, v0
	v_add_nc_u32_e32 v0, s2, v1
	s_wait_kmcnt 0x0
	s_ashr_i32 s23, s22, 31
	v_add_nc_u32_e32 v19, 0x400, v2
	s_cmp_neq_f32 s24, 0
	v_mad_co_i64_i32 v[6:7], null, v17, s22, 0
	v_add_nc_u32_e32 v2, 16, v0
	v_cmp_gt_i32_e64 s1, s6, v10
	v_mad_co_i64_i32 v[10:11], null, s29, v10, 0
	s_cselect_b32 s30, -1, 0
	s_cmp_gt_i32 s7, 0
	v_cmp_gt_i32_e32 vcc_lo, s6, v5
	v_cmp_le_i32_e64 s2, v0, v5
	v_cmp_le_i32_e64 s3, v2, v5
	v_mad_co_i64_i32 v[8:9], null, v5, s18, 0
	v_add_nc_u32_e32 v12, 16, v5
	v_ashrrev_i32_e32 v5, 31, v4
	s_cselect_b32 s31, -1, 0
	s_cmp_neq_f32 s19, 0
	v_cmp_gt_i32_e64 s0, s6, v4
	v_lshlrev_b64_e32 v[6:7], 2, v[6:7]
	v_lshlrev_b64_e32 v[4:5], 2, v[4:5]
	s_cselect_b32 s26, -1, 0
	s_and_b32 s27, vcc_lo, s2
	s_and_b32 s28, vcc_lo, s3
	v_cmp_gt_i32_e32 vcc_lo, s6, v12
	v_cmp_le_i32_e64 s2, v0, v12
	v_cmp_le_i32_e64 s3, v2, v12
	v_lshlrev_b64_e32 v[10:11], 2, v[10:11]
	v_mad_co_i64_i32 v[12:13], null, v12, s18, 0
	s_and_b32 s6, vcc_lo, s2
	s_and_b32 s18, vcc_lo, s3
	v_add_co_u32 v4, vcc_lo, v6, v4
	s_delay_alu instid0(VALU_DEP_1)
	v_add_co_ci_u32_e64 v5, null, v7, v5, vcc_lo
	v_add_co_u32 v6, vcc_lo, v10, v14
	s_wait_alu 0xfffd
	v_add_co_ci_u32_e64 v7, null, 0, v11, vcc_lo
	v_add_co_u32 v4, vcc_lo, s10, v4
	s_wait_alu 0xfffd
	v_add_co_ci_u32_e64 v5, null, s11, v5, vcc_lo
	v_add_co_u32 v6, vcc_lo, s14, v6
	v_lshlrev_b64_e32 v[8:9], 2, v[8:9]
	v_lshlrev_b64_e32 v[10:11], 2, v[12:13]
	v_ashrrev_i32_e32 v1, 31, v0
	v_ashrrev_i32_e32 v3, 31, v2
	s_wait_alu 0xfffd
	v_add_co_ci_u32_e64 v7, null, s15, v7, vcc_lo
	s_mov_b32 s9, 0
	s_and_b32 s14, s30, s31
	s_lshl_b64 s[2:3], s[12:13], 2
	s_lshl_b64 s[10:11], s[22:23], 5
	;; [unrolled: 1-line block ×3, first 2 shown]
	s_branch .LBB0_6
.LBB0_5:                                ;   in Loop: Header=BB0_6 Depth=1
	s_wait_alu 0xfffe
	s_or_b32 exec_lo, exec_lo, s12
	s_add_co_i32 s8, s8, 0x10000
	s_wait_alu 0xfffe
	s_cmp_lt_u32 s8, s25
	s_cbranch_scc0 .LBB0_33
.LBB0_6:                                ; =>This Loop Header: Depth=1
                                        ;     Child Loop BB0_9 Depth 2
	v_dual_mov_b32 v25, 0 :: v_dual_mov_b32 v24, 0
	v_dual_mov_b32 v23, 0 :: v_dual_mov_b32 v22, 0
	s_wait_alu 0xfffe
	s_and_not1_b32 vcc_lo, exec_lo, s14
	s_wait_alu 0xfffe
	s_cbranch_vccnz .LBB0_13
; %bb.7:                                ;   in Loop: Header=BB0_6 Depth=1
	v_mad_co_u64_u32 v[12:13], null, s2, s8, v[4:5]
	v_mad_co_u64_u32 v[14:15], null, s4, s8, v[6:7]
	v_dual_mov_b32 v22, 0 :: v_dual_mov_b32 v23, 0
	s_mov_b32 s12, 0
	s_delay_alu instid0(VALU_DEP_2) | instskip(NEXT) | instid1(VALU_DEP_3)
	v_mad_co_u64_u32 v[25:26], null, s3, s8, v[13:14]
	v_mad_co_u64_u32 v[26:27], null, s5, s8, v[15:16]
	s_delay_alu instid0(VALU_DEP_2) | instskip(SKIP_1) | instid1(VALU_DEP_3)
	v_dual_mov_b32 v24, 0 :: v_dual_mov_b32 v13, v25
	v_mov_b32_e32 v25, 0
	v_mov_b32_e32 v15, v26
	s_branch .LBB0_9
.LBB0_8:                                ;   in Loop: Header=BB0_9 Depth=2
	s_wait_alu 0xfffe
	s_or_b32 exec_lo, exec_lo, s13
	s_wait_loadcnt 0x0
	ds_store_b32 v19, v27
	s_wait_dscnt 0x0
	s_barrier_signal -1
	s_barrier_wait -1
	global_inv scope:SCOPE_SE
	ds_load_b128 v[26:29], v21
	ds_load_2addr_b32 v[42:43], v20 offset1:16
	ds_load_b128 v[30:33], v21 offset:512
	ds_load_2addr_b32 v[44:45], v20 offset0:32 offset1:48
	ds_load_2addr_b32 v[46:47], v20 offset0:64 offset1:80
	;; [unrolled: 1-line block ×3, first 2 shown]
	ds_load_b128 v[34:37], v21 offset:16
	ds_load_2addr_b32 v[50:51], v20 offset0:128 offset1:144
	ds_load_b128 v[38:41], v21 offset:528
	v_add_co_u32 v12, vcc_lo, v12, s10
	s_wait_alu 0xfffd
	v_add_co_ci_u32_e64 v13, null, s11, v13, vcc_lo
	v_add_co_u32 v14, vcc_lo, v14, 32
	s_wait_alu 0xfffd
	v_add_co_ci_u32_e64 v15, null, 0, v15, vcc_lo
	s_add_co_i32 s12, s12, 8
	s_wait_alu 0xfffe
	s_cmp_lt_i32 s12, s7
	s_wait_dscnt 0x7
	v_fmac_f32_e32 v24, v43, v26
	v_fmac_f32_e32 v25, v42, v26
	s_wait_dscnt 0x6
	v_fmac_f32_e32 v22, v43, v30
	v_fmac_f32_e32 v23, v42, v30
	ds_load_2addr_b32 v[42:43], v20 offset0:160 offset1:176
	s_wait_dscnt 0x6
	v_fmac_f32_e32 v24, v45, v27
	v_fmac_f32_e32 v25, v44, v27
	v_fmac_f32_e32 v22, v45, v31
	v_fmac_f32_e32 v23, v44, v31
	ds_load_2addr_b32 v[26:27], v20 offset0:192 offset1:208
	s_wait_dscnt 0x6
	v_fmac_f32_e32 v24, v47, v28
	v_fmac_f32_e32 v25, v46, v28
	;; [unrolled: 6-line block ×3, first 2 shown]
	v_fmac_f32_e32 v22, v49, v33
	v_fmac_f32_e32 v23, v48, v33
	s_wait_loadcnt_dscnt 0x0
	v_fmac_f32_e32 v24, v51, v34
	v_fmac_f32_e32 v25, v50, v34
	;; [unrolled: 1-line block ×4, first 2 shown]
	s_barrier_signal -1
	v_fmac_f32_e32 v24, v43, v35
	v_fmac_f32_e32 v25, v42, v35
	;; [unrolled: 1-line block ×4, first 2 shown]
	s_barrier_wait -1
	v_fmac_f32_e32 v24, v27, v36
	v_fmac_f32_e32 v25, v26, v36
	;; [unrolled: 1-line block ×4, first 2 shown]
	global_inv scope:SCOPE_SE
	v_fmac_f32_e32 v24, v31, v37
	v_fmac_f32_e32 v25, v30, v37
	;; [unrolled: 1-line block ×4, first 2 shown]
	s_cbranch_scc0 .LBB0_13
.LBB0_9:                                ;   Parent Loop BB0_6 Depth=1
                                        ; =>  This Inner Loop Header: Depth=2
	s_wait_alu 0xfffe
	v_add_nc_u32_e32 v26, s12, v17
	s_delay_alu instid0(VALU_DEP_1)
	v_cmp_gt_i32_e32 vcc_lo, s7, v26
	v_mov_b32_e32 v26, 0
	s_and_b32 s15, s0, vcc_lo
	s_wait_alu 0xfffe
	s_and_saveexec_b32 s13, s15
	s_cbranch_execz .LBB0_11
; %bb.10:                               ;   in Loop: Header=BB0_9 Depth=2
	global_load_b32 v26, v[12:13], off
.LBB0_11:                               ;   in Loop: Header=BB0_9 Depth=2
	s_wait_alu 0xfffe
	s_or_b32 exec_lo, exec_lo, s13
	v_add_nc_u32_e32 v27, s12, v16
	s_wait_loadcnt 0x0
	ds_store_b32 v18, v26
	v_cmp_gt_i32_e32 vcc_lo, s7, v27
	v_mov_b32_e32 v27, 0
	s_and_b32 s15, vcc_lo, s1
	s_wait_alu 0xfffe
	s_and_saveexec_b32 s13, s15
	s_cbranch_execz .LBB0_8
; %bb.12:                               ;   in Loop: Header=BB0_9 Depth=2
	global_load_b32 v27, v[14:15], off
	s_branch .LBB0_8
.LBB0_13:                               ;   in Loop: Header=BB0_6 Depth=1
	s_mul_u64 s[12:13], s[20:21], s[8:9]
	s_wait_alu 0xfffe
	s_lshl_b64 s[12:13], s[12:13], 2
	s_wait_alu 0xfffe
	s_add_nc_u64 s[12:13], s[16:17], s[12:13]
	s_wait_alu 0xfffe
	v_add_co_u32 v12, vcc_lo, s12, v8
	s_wait_alu 0xfffd
	v_add_co_ci_u32_e64 v13, null, s13, v9, vcc_lo
	s_and_saveexec_b32 s15, s27
	s_cbranch_execz .LBB0_17
; %bb.14:                               ;   in Loop: Header=BB0_6 Depth=1
	v_mul_f32_e32 v14, s24, v25
	s_and_b32 vcc_lo, exec_lo, s26
	s_wait_alu 0xfffe
	s_cbranch_vccz .LBB0_28
; %bb.15:                               ;   in Loop: Header=BB0_6 Depth=1
	v_lshlrev_b64_e32 v[25:26], 2, v[0:1]
	s_delay_alu instid0(VALU_DEP_1) | instskip(SKIP_1) | instid1(VALU_DEP_2)
	v_add_co_u32 v25, vcc_lo, v12, v25
	s_wait_alu 0xfffd
	v_add_co_ci_u32_e64 v26, null, v13, v26, vcc_lo
	global_load_b32 v15, v[25:26], off
	s_wait_loadcnt 0x0
	v_fma_f32 v15, s19, v15, v14
	global_store_b32 v[25:26], v15, off
	s_cbranch_execnz .LBB0_17
.LBB0_16:                               ;   in Loop: Header=BB0_6 Depth=1
	v_lshlrev_b64_e32 v[25:26], 2, v[0:1]
	s_delay_alu instid0(VALU_DEP_1) | instskip(SKIP_1) | instid1(VALU_DEP_2)
	v_add_co_u32 v25, vcc_lo, v12, v25
	s_wait_alu 0xfffd
	v_add_co_ci_u32_e64 v26, null, v13, v26, vcc_lo
	global_store_b32 v[25:26], v14, off
.LBB0_17:                               ;   in Loop: Header=BB0_6 Depth=1
	s_wait_alu 0xfffe
	s_or_b32 exec_lo, exec_lo, s15
	s_and_saveexec_b32 s15, s28
	s_cbranch_execz .LBB0_21
; %bb.18:                               ;   in Loop: Header=BB0_6 Depth=1
	v_mul_f32_e32 v14, s24, v24
	s_and_not1_b32 vcc_lo, exec_lo, s26
	s_wait_alu 0xfffe
	s_cbranch_vccnz .LBB0_29
; %bb.19:                               ;   in Loop: Header=BB0_6 Depth=1
	v_lshlrev_b64_e32 v[24:25], 2, v[2:3]
	s_delay_alu instid0(VALU_DEP_1) | instskip(SKIP_1) | instid1(VALU_DEP_2)
	v_add_co_u32 v24, vcc_lo, v12, v24
	s_wait_alu 0xfffd
	v_add_co_ci_u32_e64 v25, null, v13, v25, vcc_lo
	global_load_b32 v15, v[24:25], off
	s_wait_loadcnt 0x0
	v_fma_f32 v15, s19, v15, v14
	global_store_b32 v[24:25], v15, off
	s_cbranch_execnz .LBB0_21
.LBB0_20:                               ;   in Loop: Header=BB0_6 Depth=1
	v_lshlrev_b64_e32 v[24:25], 2, v[2:3]
	s_delay_alu instid0(VALU_DEP_1) | instskip(SKIP_1) | instid1(VALU_DEP_2)
	v_add_co_u32 v12, vcc_lo, v12, v24
	s_wait_alu 0xfffd
	v_add_co_ci_u32_e64 v13, null, v13, v25, vcc_lo
	global_store_b32 v[12:13], v14, off
.LBB0_21:                               ;   in Loop: Header=BB0_6 Depth=1
	s_wait_alu 0xfffe
	s_or_b32 exec_lo, exec_lo, s15
	v_add_co_u32 v14, vcc_lo, s12, v10
	s_wait_alu 0xfffd
	v_add_co_ci_u32_e64 v15, null, s13, v11, vcc_lo
	s_and_saveexec_b32 s12, s6
	s_cbranch_execz .LBB0_25
; %bb.22:                               ;   in Loop: Header=BB0_6 Depth=1
	v_lshlrev_b64_e32 v[12:13], 2, v[0:1]
	v_mul_f32_e32 v23, s24, v23
	s_and_not1_b32 vcc_lo, exec_lo, s26
	s_wait_alu 0xfffe
	s_cbranch_vccnz .LBB0_30
; %bb.23:                               ;   in Loop: Header=BB0_6 Depth=1
	s_delay_alu instid0(VALU_DEP_2)
	v_add_co_u32 v24, vcc_lo, v14, v12
	s_wait_alu 0xfffd
	v_add_co_ci_u32_e64 v25, null, v15, v13, vcc_lo
	global_load_b32 v26, v[24:25], off
	s_wait_loadcnt 0x0
	v_fma_f32 v26, s19, v26, v23
	global_store_b32 v[24:25], v26, off
	s_cbranch_execnz .LBB0_25
.LBB0_24:                               ;   in Loop: Header=BB0_6 Depth=1
	v_add_co_u32 v12, vcc_lo, v14, v12
	s_wait_alu 0xfffd
	v_add_co_ci_u32_e64 v13, null, v15, v13, vcc_lo
	global_store_b32 v[12:13], v23, off
.LBB0_25:                               ;   in Loop: Header=BB0_6 Depth=1
	s_wait_alu 0xfffe
	s_or_b32 exec_lo, exec_lo, s12
	s_and_saveexec_b32 s12, s18
	s_cbranch_execz .LBB0_5
; %bb.26:                               ;   in Loop: Header=BB0_6 Depth=1
	v_lshlrev_b64_e32 v[12:13], 2, v[2:3]
	v_mul_f32_e32 v22, s24, v22
	s_and_not1_b32 vcc_lo, exec_lo, s26
	s_wait_alu 0xfffe
	s_cbranch_vccnz .LBB0_31
; %bb.27:                               ;   in Loop: Header=BB0_6 Depth=1
	s_delay_alu instid0(VALU_DEP_2)
	v_add_co_u32 v23, vcc_lo, v14, v12
	s_wait_alu 0xfffd
	v_add_co_ci_u32_e64 v24, null, v15, v13, vcc_lo
	global_load_b32 v25, v[23:24], off
	s_wait_loadcnt 0x0
	v_fma_f32 v25, s19, v25, v22
	global_store_b32 v[23:24], v25, off
	s_cbranch_execnz .LBB0_5
	s_branch .LBB0_32
.LBB0_28:                               ;   in Loop: Header=BB0_6 Depth=1
	s_branch .LBB0_16
.LBB0_29:                               ;   in Loop: Header=BB0_6 Depth=1
	s_branch .LBB0_20
.LBB0_30:                               ;   in Loop: Header=BB0_6 Depth=1
	s_branch .LBB0_24
.LBB0_31:                               ;   in Loop: Header=BB0_6 Depth=1
.LBB0_32:                               ;   in Loop: Header=BB0_6 Depth=1
	s_delay_alu instid0(VALU_DEP_2)
	v_add_co_u32 v12, vcc_lo, v14, v12
	s_wait_alu 0xfffd
	v_add_co_ci_u32_e64 v13, null, v15, v13, vcc_lo
	global_store_b32 v[12:13], v22, off
	s_branch .LBB0_5
.LBB0_33:
	s_endpgm
	.section	.rodata,"a",@progbits
	.p2align	6, 0x0
	.amdhsa_kernel _ZL29rocblas_internal_gemmt_kernelIiLi16ELi32ELi8ELc78ELc78ELc85ELb0ELb0EfPKfS1_PfEviT_T9_T10_S3_lS5_S3_lS4_T11_S3_li
		.amdhsa_group_segment_fixed_size 2048
		.amdhsa_private_segment_fixed_size 0
		.amdhsa_kernarg_size 100
		.amdhsa_user_sgpr_count 2
		.amdhsa_user_sgpr_dispatch_ptr 0
		.amdhsa_user_sgpr_queue_ptr 0
		.amdhsa_user_sgpr_kernarg_segment_ptr 1
		.amdhsa_user_sgpr_dispatch_id 0
		.amdhsa_user_sgpr_private_segment_size 0
		.amdhsa_wavefront_size32 1
		.amdhsa_uses_dynamic_stack 0
		.amdhsa_enable_private_segment 0
		.amdhsa_system_sgpr_workgroup_id_x 1
		.amdhsa_system_sgpr_workgroup_id_y 1
		.amdhsa_system_sgpr_workgroup_id_z 1
		.amdhsa_system_sgpr_workgroup_info 0
		.amdhsa_system_vgpr_workitem_id 1
		.amdhsa_next_free_vgpr 52
		.amdhsa_next_free_sgpr 32
		.amdhsa_reserve_vcc 1
		.amdhsa_float_round_mode_32 0
		.amdhsa_float_round_mode_16_64 0
		.amdhsa_float_denorm_mode_32 3
		.amdhsa_float_denorm_mode_16_64 3
		.amdhsa_fp16_overflow 0
		.amdhsa_workgroup_processor_mode 1
		.amdhsa_memory_ordered 1
		.amdhsa_forward_progress 1
		.amdhsa_inst_pref_size 15
		.amdhsa_round_robin_scheduling 0
		.amdhsa_exception_fp_ieee_invalid_op 0
		.amdhsa_exception_fp_denorm_src 0
		.amdhsa_exception_fp_ieee_div_zero 0
		.amdhsa_exception_fp_ieee_overflow 0
		.amdhsa_exception_fp_ieee_underflow 0
		.amdhsa_exception_fp_ieee_inexact 0
		.amdhsa_exception_int_div_zero 0
	.end_amdhsa_kernel
	.section	.text._ZL29rocblas_internal_gemmt_kernelIiLi16ELi32ELi8ELc78ELc78ELc85ELb0ELb0EfPKfS1_PfEviT_T9_T10_S3_lS5_S3_lS4_T11_S3_li,"axG",@progbits,_ZL29rocblas_internal_gemmt_kernelIiLi16ELi32ELi8ELc78ELc78ELc85ELb0ELb0EfPKfS1_PfEviT_T9_T10_S3_lS5_S3_lS4_T11_S3_li,comdat
.Lfunc_end0:
	.size	_ZL29rocblas_internal_gemmt_kernelIiLi16ELi32ELi8ELc78ELc78ELc85ELb0ELb0EfPKfS1_PfEviT_T9_T10_S3_lS5_S3_lS4_T11_S3_li, .Lfunc_end0-_ZL29rocblas_internal_gemmt_kernelIiLi16ELi32ELi8ELc78ELc78ELc85ELb0ELb0EfPKfS1_PfEviT_T9_T10_S3_lS5_S3_lS4_T11_S3_li
                                        ; -- End function
	.set _ZL29rocblas_internal_gemmt_kernelIiLi16ELi32ELi8ELc78ELc78ELc85ELb0ELb0EfPKfS1_PfEviT_T9_T10_S3_lS5_S3_lS4_T11_S3_li.num_vgpr, 52
	.set _ZL29rocblas_internal_gemmt_kernelIiLi16ELi32ELi8ELc78ELc78ELc85ELb0ELb0EfPKfS1_PfEviT_T9_T10_S3_lS5_S3_lS4_T11_S3_li.num_agpr, 0
	.set _ZL29rocblas_internal_gemmt_kernelIiLi16ELi32ELi8ELc78ELc78ELc85ELb0ELb0EfPKfS1_PfEviT_T9_T10_S3_lS5_S3_lS4_T11_S3_li.numbered_sgpr, 32
	.set _ZL29rocblas_internal_gemmt_kernelIiLi16ELi32ELi8ELc78ELc78ELc85ELb0ELb0EfPKfS1_PfEviT_T9_T10_S3_lS5_S3_lS4_T11_S3_li.num_named_barrier, 0
	.set _ZL29rocblas_internal_gemmt_kernelIiLi16ELi32ELi8ELc78ELc78ELc85ELb0ELb0EfPKfS1_PfEviT_T9_T10_S3_lS5_S3_lS4_T11_S3_li.private_seg_size, 0
	.set _ZL29rocblas_internal_gemmt_kernelIiLi16ELi32ELi8ELc78ELc78ELc85ELb0ELb0EfPKfS1_PfEviT_T9_T10_S3_lS5_S3_lS4_T11_S3_li.uses_vcc, 1
	.set _ZL29rocblas_internal_gemmt_kernelIiLi16ELi32ELi8ELc78ELc78ELc85ELb0ELb0EfPKfS1_PfEviT_T9_T10_S3_lS5_S3_lS4_T11_S3_li.uses_flat_scratch, 0
	.set _ZL29rocblas_internal_gemmt_kernelIiLi16ELi32ELi8ELc78ELc78ELc85ELb0ELb0EfPKfS1_PfEviT_T9_T10_S3_lS5_S3_lS4_T11_S3_li.has_dyn_sized_stack, 0
	.set _ZL29rocblas_internal_gemmt_kernelIiLi16ELi32ELi8ELc78ELc78ELc85ELb0ELb0EfPKfS1_PfEviT_T9_T10_S3_lS5_S3_lS4_T11_S3_li.has_recursion, 0
	.set _ZL29rocblas_internal_gemmt_kernelIiLi16ELi32ELi8ELc78ELc78ELc85ELb0ELb0EfPKfS1_PfEviT_T9_T10_S3_lS5_S3_lS4_T11_S3_li.has_indirect_call, 0
	.section	.AMDGPU.csdata,"",@progbits
; Kernel info:
; codeLenInByte = 1816
; TotalNumSgprs: 34
; NumVgprs: 52
; ScratchSize: 0
; MemoryBound: 0
; FloatMode: 240
; IeeeMode: 1
; LDSByteSize: 2048 bytes/workgroup (compile time only)
; SGPRBlocks: 0
; VGPRBlocks: 6
; NumSGPRsForWavesPerEU: 34
; NumVGPRsForWavesPerEU: 52
; Occupancy: 16
; WaveLimiterHint : 0
; COMPUTE_PGM_RSRC2:SCRATCH_EN: 0
; COMPUTE_PGM_RSRC2:USER_SGPR: 2
; COMPUTE_PGM_RSRC2:TRAP_HANDLER: 0
; COMPUTE_PGM_RSRC2:TGID_X_EN: 1
; COMPUTE_PGM_RSRC2:TGID_Y_EN: 1
; COMPUTE_PGM_RSRC2:TGID_Z_EN: 1
; COMPUTE_PGM_RSRC2:TIDIG_COMP_CNT: 1
	.section	.text._ZL29rocblas_internal_gemmt_kernelIiLi16ELi32ELi8ELc78ELc84ELc85ELb0ELb0EfPKfS1_PfEviT_T9_T10_S3_lS5_S3_lS4_T11_S3_li,"axG",@progbits,_ZL29rocblas_internal_gemmt_kernelIiLi16ELi32ELi8ELc78ELc84ELc85ELb0ELb0EfPKfS1_PfEviT_T9_T10_S3_lS5_S3_lS4_T11_S3_li,comdat
	.globl	_ZL29rocblas_internal_gemmt_kernelIiLi16ELi32ELi8ELc78ELc84ELc85ELb0ELb0EfPKfS1_PfEviT_T9_T10_S3_lS5_S3_lS4_T11_S3_li ; -- Begin function _ZL29rocblas_internal_gemmt_kernelIiLi16ELi32ELi8ELc78ELc84ELc85ELb0ELb0EfPKfS1_PfEviT_T9_T10_S3_lS5_S3_lS4_T11_S3_li
	.p2align	8
	.type	_ZL29rocblas_internal_gemmt_kernelIiLi16ELi32ELi8ELc78ELc84ELc85ELb0ELb0EfPKfS1_PfEviT_T9_T10_S3_lS5_S3_lS4_T11_S3_li,@function
_ZL29rocblas_internal_gemmt_kernelIiLi16ELi32ELi8ELc78ELc84ELc85ELb0ELb0EfPKfS1_PfEviT_T9_T10_S3_lS5_S3_lS4_T11_S3_li: ; @_ZL29rocblas_internal_gemmt_kernelIiLi16ELi32ELi8ELc78ELc84ELc85ELb0ELb0EfPKfS1_PfEviT_T9_T10_S3_lS5_S3_lS4_T11_S3_li
; %bb.0:
	s_clause 0x1
	s_load_b128 s[4:7], s[0:1], 0x38
	s_load_b128 s[8:11], s[0:1], 0x8
	s_wait_kmcnt 0x0
	s_load_b32 s19, s[6:7], 0x0
	s_load_b64 s[6:7], s[0:1], 0x0
	s_load_b32 s26, s[8:9], 0x0
	s_wait_kmcnt 0x0
	s_cmp_neq_f32 s19, 1.0
	s_cselect_b32 s2, -1, 0
	s_delay_alu instid0(SALU_CYCLE_1)
	s_and_b32 vcc_lo, exec_lo, s2
	s_cbranch_vccnz .LBB1_2
; %bb.1:
	s_cmp_lg_u32 s7, 0
	s_cselect_b32 s2, -1, 0
	s_cmp_neq_f32 s26, 0
	s_cselect_b32 s3, -1, 0
	s_delay_alu instid0(SALU_CYCLE_1)
	s_and_b32 s2, s2, s3
.LBB1_2:
	s_delay_alu instid0(SALU_CYCLE_1)
	s_and_not1_b32 vcc_lo, exec_lo, s2
	s_cbranch_vccnz .LBB1_33
; %bb.3:
	s_load_b32 s27, s[0:1], 0x60
	s_lshr_b32 s8, ttmp7, 16
	s_wait_kmcnt 0x0
	s_cmp_ge_u32 s8, s27
	s_cbranch_scc1 .LBB1_33
; %bb.4:
	s_clause 0x1
	s_load_b32 s22, s[0:1], 0x18
	s_load_b32 s24, s[0:1], 0x30
	v_and_b32_e32 v1, 0x3ff, v0
	v_bfe_u32 v2, v0, 10, 10
	v_and_b32_e32 v16, 7, v0
	s_clause 0x2
	s_load_b128 s[12:15], s[0:1], 0x20
	s_load_b96 s[16:18], s[0:1], 0x48
	s_load_b64 s[20:21], s[0:1], 0x58
	s_lshl_b32 s0, ttmp7, 5
	v_lshl_add_u32 v0, v2, 4, v1
	v_lshlrev_b32_e32 v5, 2, v16
	s_lshl_b32 s2, ttmp9, 5
	s_and_b32 s3, s0, 0x1fffe0
	v_lshl_add_u32 v21, v2, 5, 0x400
	v_and_b32_e32 v3, 31, v0
	v_lshrrev_b32_e32 v17, 5, v0
	v_lshrrev_b32_e32 v0, 3, v0
	v_lshlrev_b32_e32 v20, 2, v1
	s_mov_b32 s9, 0
	v_or_b32_e32 v4, s2, v3
	v_lshlrev_b32_e32 v3, 2, v3
	v_add_nc_u32_e32 v14, s3, v0
	v_lshl_or_b32 v0, v0, 5, v5
	s_wait_kmcnt 0x0
	s_ashr_i32 s23, s22, 31
	s_ashr_i32 s25, s24, 31
	s_cmp_neq_f32 s26, 0
	v_lshl_or_b32 v18, v17, 7, v3
	v_add_nc_u32_e32 v19, 0x400, v0
	v_add_nc_u32_e32 v3, s3, v2
	;; [unrolled: 1-line block ×3, first 2 shown]
	s_cselect_b32 s31, -1, 0
	s_cmp_gt_i32 s7, 0
	v_mad_co_i64_i32 v[6:7], null, v17, s22, 0
	v_cmp_gt_i32_e32 vcc_lo, s6, v3
	v_cmp_le_i32_e64 s2, v0, v3
	v_add_nc_u32_e32 v2, 16, v0
	s_cselect_b32 s33, -1, 0
	s_cmp_neq_f32 s19, 0
	v_ashrrev_i32_e32 v5, 31, v4
	v_add_nc_u32_e32 v12, 16, v3
	v_cmp_gt_i32_e64 s0, s6, v4
	s_cselect_b32 s28, -1, 0
	s_and_b32 s29, vcc_lo, s2
	v_cmp_le_i32_e64 s2, v2, v3
	v_lshlrev_b64_e32 v[6:7], 2, v[6:7]
	v_lshlrev_b64_e32 v[4:5], 2, v[4:5]
	v_mad_co_i64_i32 v[10:11], null, s24, v16, 0
	s_and_b32 s30, vcc_lo, s2
	v_cmp_gt_i32_e32 vcc_lo, s6, v12
	v_cmp_le_i32_e64 s2, v0, v12
	v_cmp_le_i32_e64 s3, v2, v12
	v_cmp_gt_i32_e64 s1, s6, v14
	v_mad_co_i64_i32 v[8:9], null, v3, s18, 0
	v_mad_co_i64_i32 v[12:13], null, v12, s18, 0
	s_and_b32 s6, vcc_lo, s2
	s_and_b32 s18, vcc_lo, s3
	v_add_co_u32 v4, vcc_lo, v6, v4
	s_delay_alu instid0(VALU_DEP_1) | instskip(SKIP_2) | instid1(VALU_DEP_4)
	v_add_co_ci_u32_e64 v5, null, v7, v5, vcc_lo
	v_lshlrev_b64_e32 v[6:7], 2, v[10:11]
	v_lshlrev_b32_e32 v10, 2, v14
	v_add_co_u32 v4, vcc_lo, s10, v4
	s_wait_alu 0xfffd
	v_add_co_ci_u32_e64 v5, null, s11, v5, vcc_lo
	s_delay_alu instid0(VALU_DEP_3) | instskip(SKIP_3) | instid1(VALU_DEP_3)
	v_add_co_u32 v6, vcc_lo, v6, v10
	s_wait_alu 0xfffd
	v_add_co_ci_u32_e64 v7, null, 0, v7, vcc_lo
	v_lshlrev_b64_e32 v[8:9], 2, v[8:9]
	v_add_co_u32 v6, vcc_lo, s14, v6
	v_lshlrev_b64_e32 v[10:11], 2, v[12:13]
	v_ashrrev_i32_e32 v1, 31, v0
	v_ashrrev_i32_e32 v3, 31, v2
	s_wait_alu 0xfffd
	v_add_co_ci_u32_e64 v7, null, s15, v7, vcc_lo
	s_lshl_b64 s[2:3], s[12:13], 2
	s_and_b32 s31, s31, s33
	s_lshl_b64 s[10:11], s[22:23], 5
	s_lshl_b64 s[4:5], s[4:5], 2
	;; [unrolled: 1-line block ×3, first 2 shown]
	s_branch .LBB1_6
.LBB1_5:                                ;   in Loop: Header=BB1_6 Depth=1
	s_wait_alu 0xfffe
	s_or_b32 exec_lo, exec_lo, s14
	s_add_co_i32 s8, s8, 0x10000
	s_wait_alu 0xfffe
	s_cmp_lt_u32 s8, s27
	s_cbranch_scc0 .LBB1_33
.LBB1_6:                                ; =>This Loop Header: Depth=1
                                        ;     Child Loop BB1_9 Depth 2
	v_dual_mov_b32 v25, 0 :: v_dual_mov_b32 v24, 0
	v_dual_mov_b32 v23, 0 :: v_dual_mov_b32 v22, 0
	s_and_not1_b32 vcc_lo, exec_lo, s31
	s_wait_alu 0xfffe
	s_cbranch_vccnz .LBB1_13
; %bb.7:                                ;   in Loop: Header=BB1_6 Depth=1
	v_mad_co_u64_u32 v[12:13], null, s2, s8, v[4:5]
	v_mad_co_u64_u32 v[14:15], null, s4, s8, v[6:7]
	v_dual_mov_b32 v22, 0 :: v_dual_mov_b32 v23, 0
	s_mov_b32 s14, 0
	s_delay_alu instid0(VALU_DEP_2) | instskip(NEXT) | instid1(VALU_DEP_3)
	v_mad_co_u64_u32 v[25:26], null, s3, s8, v[13:14]
	v_mad_co_u64_u32 v[26:27], null, s5, s8, v[15:16]
	s_delay_alu instid0(VALU_DEP_2) | instskip(SKIP_1) | instid1(VALU_DEP_3)
	v_dual_mov_b32 v24, 0 :: v_dual_mov_b32 v13, v25
	v_mov_b32_e32 v25, 0
	v_mov_b32_e32 v15, v26
	s_branch .LBB1_9
.LBB1_8:                                ;   in Loop: Header=BB1_9 Depth=2
	s_wait_alu 0xfffe
	s_or_b32 exec_lo, exec_lo, s15
	s_wait_loadcnt 0x0
	ds_store_b32 v19, v27
	s_wait_dscnt 0x0
	s_barrier_signal -1
	s_barrier_wait -1
	global_inv scope:SCOPE_SE
	ds_load_b128 v[26:29], v21
	ds_load_2addr_b32 v[42:43], v20 offset1:16
	ds_load_b128 v[30:33], v21 offset:512
	ds_load_2addr_b32 v[44:45], v20 offset0:32 offset1:48
	ds_load_2addr_b32 v[46:47], v20 offset0:64 offset1:80
	;; [unrolled: 1-line block ×3, first 2 shown]
	ds_load_b128 v[34:37], v21 offset:16
	ds_load_2addr_b32 v[50:51], v20 offset0:128 offset1:144
	ds_load_b128 v[38:41], v21 offset:528
	v_add_co_u32 v12, vcc_lo, v12, s10
	s_wait_alu 0xfffd
	v_add_co_ci_u32_e64 v13, null, s11, v13, vcc_lo
	v_add_co_u32 v14, vcc_lo, v14, s12
	s_wait_alu 0xfffd
	v_add_co_ci_u32_e64 v15, null, s13, v15, vcc_lo
	s_add_co_i32 s14, s14, 8
	s_wait_alu 0xfffe
	s_cmp_lt_i32 s14, s7
	s_wait_dscnt 0x7
	v_fmac_f32_e32 v24, v43, v26
	v_fmac_f32_e32 v25, v42, v26
	s_wait_dscnt 0x6
	v_fmac_f32_e32 v22, v43, v30
	v_fmac_f32_e32 v23, v42, v30
	ds_load_2addr_b32 v[42:43], v20 offset0:160 offset1:176
	s_wait_dscnt 0x6
	v_fmac_f32_e32 v24, v45, v27
	v_fmac_f32_e32 v25, v44, v27
	v_fmac_f32_e32 v22, v45, v31
	v_fmac_f32_e32 v23, v44, v31
	ds_load_2addr_b32 v[26:27], v20 offset0:192 offset1:208
	s_wait_dscnt 0x6
	v_fmac_f32_e32 v24, v47, v28
	v_fmac_f32_e32 v25, v46, v28
	;; [unrolled: 6-line block ×3, first 2 shown]
	v_fmac_f32_e32 v22, v49, v33
	v_fmac_f32_e32 v23, v48, v33
	s_wait_loadcnt_dscnt 0x0
	v_fmac_f32_e32 v24, v51, v34
	v_fmac_f32_e32 v25, v50, v34
	;; [unrolled: 1-line block ×4, first 2 shown]
	s_barrier_signal -1
	v_fmac_f32_e32 v24, v43, v35
	v_fmac_f32_e32 v25, v42, v35
	;; [unrolled: 1-line block ×4, first 2 shown]
	s_barrier_wait -1
	v_fmac_f32_e32 v24, v27, v36
	v_fmac_f32_e32 v25, v26, v36
	;; [unrolled: 1-line block ×4, first 2 shown]
	global_inv scope:SCOPE_SE
	v_fmac_f32_e32 v24, v31, v37
	v_fmac_f32_e32 v25, v30, v37
	;; [unrolled: 1-line block ×4, first 2 shown]
	s_cbranch_scc0 .LBB1_13
.LBB1_9:                                ;   Parent Loop BB1_6 Depth=1
                                        ; =>  This Inner Loop Header: Depth=2
	s_wait_alu 0xfffe
	v_add_nc_u32_e32 v26, s14, v17
	s_delay_alu instid0(VALU_DEP_1)
	v_cmp_gt_i32_e32 vcc_lo, s7, v26
	v_mov_b32_e32 v26, 0
	s_and_b32 s22, s0, vcc_lo
	s_wait_alu 0xfffe
	s_and_saveexec_b32 s15, s22
	s_cbranch_execz .LBB1_11
; %bb.10:                               ;   in Loop: Header=BB1_9 Depth=2
	global_load_b32 v26, v[12:13], off
.LBB1_11:                               ;   in Loop: Header=BB1_9 Depth=2
	s_wait_alu 0xfffe
	s_or_b32 exec_lo, exec_lo, s15
	v_add_nc_u32_e32 v27, s14, v16
	s_wait_loadcnt 0x0
	ds_store_b32 v18, v26
	v_cmp_gt_i32_e32 vcc_lo, s7, v27
	v_mov_b32_e32 v27, 0
	s_and_b32 s22, vcc_lo, s1
	s_wait_alu 0xfffe
	s_and_saveexec_b32 s15, s22
	s_cbranch_execz .LBB1_8
; %bb.12:                               ;   in Loop: Header=BB1_9 Depth=2
	global_load_b32 v27, v[14:15], off
	s_branch .LBB1_8
.LBB1_13:                               ;   in Loop: Header=BB1_6 Depth=1
	s_mul_u64 s[14:15], s[20:21], s[8:9]
	s_wait_alu 0xfffe
	s_lshl_b64 s[14:15], s[14:15], 2
	s_wait_alu 0xfffe
	s_add_nc_u64 s[14:15], s[16:17], s[14:15]
	s_wait_alu 0xfffe
	v_add_co_u32 v12, vcc_lo, s14, v8
	s_wait_alu 0xfffd
	v_add_co_ci_u32_e64 v13, null, s15, v9, vcc_lo
	s_and_saveexec_b32 s22, s29
	s_cbranch_execz .LBB1_17
; %bb.14:                               ;   in Loop: Header=BB1_6 Depth=1
	v_mul_f32_e32 v14, s26, v25
	s_and_b32 vcc_lo, exec_lo, s28
	s_wait_alu 0xfffe
	s_cbranch_vccz .LBB1_28
; %bb.15:                               ;   in Loop: Header=BB1_6 Depth=1
	v_lshlrev_b64_e32 v[25:26], 2, v[0:1]
	s_delay_alu instid0(VALU_DEP_1) | instskip(SKIP_1) | instid1(VALU_DEP_2)
	v_add_co_u32 v25, vcc_lo, v12, v25
	s_wait_alu 0xfffd
	v_add_co_ci_u32_e64 v26, null, v13, v26, vcc_lo
	global_load_b32 v15, v[25:26], off
	s_wait_loadcnt 0x0
	v_fma_f32 v15, s19, v15, v14
	global_store_b32 v[25:26], v15, off
	s_cbranch_execnz .LBB1_17
.LBB1_16:                               ;   in Loop: Header=BB1_6 Depth=1
	v_lshlrev_b64_e32 v[25:26], 2, v[0:1]
	s_delay_alu instid0(VALU_DEP_1) | instskip(SKIP_1) | instid1(VALU_DEP_2)
	v_add_co_u32 v25, vcc_lo, v12, v25
	s_wait_alu 0xfffd
	v_add_co_ci_u32_e64 v26, null, v13, v26, vcc_lo
	global_store_b32 v[25:26], v14, off
.LBB1_17:                               ;   in Loop: Header=BB1_6 Depth=1
	s_wait_alu 0xfffe
	s_or_b32 exec_lo, exec_lo, s22
	s_and_saveexec_b32 s22, s30
	s_cbranch_execz .LBB1_21
; %bb.18:                               ;   in Loop: Header=BB1_6 Depth=1
	v_mul_f32_e32 v14, s26, v24
	s_and_not1_b32 vcc_lo, exec_lo, s28
	s_wait_alu 0xfffe
	s_cbranch_vccnz .LBB1_29
; %bb.19:                               ;   in Loop: Header=BB1_6 Depth=1
	v_lshlrev_b64_e32 v[24:25], 2, v[2:3]
	s_delay_alu instid0(VALU_DEP_1) | instskip(SKIP_1) | instid1(VALU_DEP_2)
	v_add_co_u32 v24, vcc_lo, v12, v24
	s_wait_alu 0xfffd
	v_add_co_ci_u32_e64 v25, null, v13, v25, vcc_lo
	global_load_b32 v15, v[24:25], off
	s_wait_loadcnt 0x0
	v_fma_f32 v15, s19, v15, v14
	global_store_b32 v[24:25], v15, off
	s_cbranch_execnz .LBB1_21
.LBB1_20:                               ;   in Loop: Header=BB1_6 Depth=1
	v_lshlrev_b64_e32 v[24:25], 2, v[2:3]
	s_delay_alu instid0(VALU_DEP_1) | instskip(SKIP_1) | instid1(VALU_DEP_2)
	v_add_co_u32 v12, vcc_lo, v12, v24
	s_wait_alu 0xfffd
	v_add_co_ci_u32_e64 v13, null, v13, v25, vcc_lo
	global_store_b32 v[12:13], v14, off
.LBB1_21:                               ;   in Loop: Header=BB1_6 Depth=1
	s_wait_alu 0xfffe
	s_or_b32 exec_lo, exec_lo, s22
	v_add_co_u32 v14, vcc_lo, s14, v10
	s_wait_alu 0xfffd
	v_add_co_ci_u32_e64 v15, null, s15, v11, vcc_lo
	s_and_saveexec_b32 s14, s6
	s_cbranch_execz .LBB1_25
; %bb.22:                               ;   in Loop: Header=BB1_6 Depth=1
	v_lshlrev_b64_e32 v[12:13], 2, v[0:1]
	v_mul_f32_e32 v23, s26, v23
	s_and_not1_b32 vcc_lo, exec_lo, s28
	s_wait_alu 0xfffe
	s_cbranch_vccnz .LBB1_30
; %bb.23:                               ;   in Loop: Header=BB1_6 Depth=1
	s_delay_alu instid0(VALU_DEP_2)
	v_add_co_u32 v24, vcc_lo, v14, v12
	s_wait_alu 0xfffd
	v_add_co_ci_u32_e64 v25, null, v15, v13, vcc_lo
	global_load_b32 v26, v[24:25], off
	s_wait_loadcnt 0x0
	v_fma_f32 v26, s19, v26, v23
	global_store_b32 v[24:25], v26, off
	s_cbranch_execnz .LBB1_25
.LBB1_24:                               ;   in Loop: Header=BB1_6 Depth=1
	v_add_co_u32 v12, vcc_lo, v14, v12
	s_wait_alu 0xfffd
	v_add_co_ci_u32_e64 v13, null, v15, v13, vcc_lo
	global_store_b32 v[12:13], v23, off
.LBB1_25:                               ;   in Loop: Header=BB1_6 Depth=1
	s_wait_alu 0xfffe
	s_or_b32 exec_lo, exec_lo, s14
	s_and_saveexec_b32 s14, s18
	s_cbranch_execz .LBB1_5
; %bb.26:                               ;   in Loop: Header=BB1_6 Depth=1
	v_lshlrev_b64_e32 v[12:13], 2, v[2:3]
	v_mul_f32_e32 v22, s26, v22
	s_and_not1_b32 vcc_lo, exec_lo, s28
	s_wait_alu 0xfffe
	s_cbranch_vccnz .LBB1_31
; %bb.27:                               ;   in Loop: Header=BB1_6 Depth=1
	s_delay_alu instid0(VALU_DEP_2)
	v_add_co_u32 v23, vcc_lo, v14, v12
	s_wait_alu 0xfffd
	v_add_co_ci_u32_e64 v24, null, v15, v13, vcc_lo
	global_load_b32 v25, v[23:24], off
	s_wait_loadcnt 0x0
	v_fma_f32 v25, s19, v25, v22
	global_store_b32 v[23:24], v25, off
	s_cbranch_execnz .LBB1_5
	s_branch .LBB1_32
.LBB1_28:                               ;   in Loop: Header=BB1_6 Depth=1
	s_branch .LBB1_16
.LBB1_29:                               ;   in Loop: Header=BB1_6 Depth=1
	s_branch .LBB1_20
.LBB1_30:                               ;   in Loop: Header=BB1_6 Depth=1
	s_branch .LBB1_24
.LBB1_31:                               ;   in Loop: Header=BB1_6 Depth=1
.LBB1_32:                               ;   in Loop: Header=BB1_6 Depth=1
	s_delay_alu instid0(VALU_DEP_2)
	v_add_co_u32 v12, vcc_lo, v14, v12
	s_wait_alu 0xfffd
	v_add_co_ci_u32_e64 v13, null, v15, v13, vcc_lo
	global_store_b32 v[12:13], v22, off
	s_branch .LBB1_5
.LBB1_33:
	s_endpgm
	.section	.rodata,"a",@progbits
	.p2align	6, 0x0
	.amdhsa_kernel _ZL29rocblas_internal_gemmt_kernelIiLi16ELi32ELi8ELc78ELc84ELc85ELb0ELb0EfPKfS1_PfEviT_T9_T10_S3_lS5_S3_lS4_T11_S3_li
		.amdhsa_group_segment_fixed_size 2048
		.amdhsa_private_segment_fixed_size 0
		.amdhsa_kernarg_size 100
		.amdhsa_user_sgpr_count 2
		.amdhsa_user_sgpr_dispatch_ptr 0
		.amdhsa_user_sgpr_queue_ptr 0
		.amdhsa_user_sgpr_kernarg_segment_ptr 1
		.amdhsa_user_sgpr_dispatch_id 0
		.amdhsa_user_sgpr_private_segment_size 0
		.amdhsa_wavefront_size32 1
		.amdhsa_uses_dynamic_stack 0
		.amdhsa_enable_private_segment 0
		.amdhsa_system_sgpr_workgroup_id_x 1
		.amdhsa_system_sgpr_workgroup_id_y 1
		.amdhsa_system_sgpr_workgroup_id_z 1
		.amdhsa_system_sgpr_workgroup_info 0
		.amdhsa_system_vgpr_workitem_id 1
		.amdhsa_next_free_vgpr 52
		.amdhsa_next_free_sgpr 34
		.amdhsa_reserve_vcc 1
		.amdhsa_float_round_mode_32 0
		.amdhsa_float_round_mode_16_64 0
		.amdhsa_float_denorm_mode_32 3
		.amdhsa_float_denorm_mode_16_64 3
		.amdhsa_fp16_overflow 0
		.amdhsa_workgroup_processor_mode 1
		.amdhsa_memory_ordered 1
		.amdhsa_forward_progress 1
		.amdhsa_inst_pref_size 15
		.amdhsa_round_robin_scheduling 0
		.amdhsa_exception_fp_ieee_invalid_op 0
		.amdhsa_exception_fp_denorm_src 0
		.amdhsa_exception_fp_ieee_div_zero 0
		.amdhsa_exception_fp_ieee_overflow 0
		.amdhsa_exception_fp_ieee_underflow 0
		.amdhsa_exception_fp_ieee_inexact 0
		.amdhsa_exception_int_div_zero 0
	.end_amdhsa_kernel
	.section	.text._ZL29rocblas_internal_gemmt_kernelIiLi16ELi32ELi8ELc78ELc84ELc85ELb0ELb0EfPKfS1_PfEviT_T9_T10_S3_lS5_S3_lS4_T11_S3_li,"axG",@progbits,_ZL29rocblas_internal_gemmt_kernelIiLi16ELi32ELi8ELc78ELc84ELc85ELb0ELb0EfPKfS1_PfEviT_T9_T10_S3_lS5_S3_lS4_T11_S3_li,comdat
.Lfunc_end1:
	.size	_ZL29rocblas_internal_gemmt_kernelIiLi16ELi32ELi8ELc78ELc84ELc85ELb0ELb0EfPKfS1_PfEviT_T9_T10_S3_lS5_S3_lS4_T11_S3_li, .Lfunc_end1-_ZL29rocblas_internal_gemmt_kernelIiLi16ELi32ELi8ELc78ELc84ELc85ELb0ELb0EfPKfS1_PfEviT_T9_T10_S3_lS5_S3_lS4_T11_S3_li
                                        ; -- End function
	.set _ZL29rocblas_internal_gemmt_kernelIiLi16ELi32ELi8ELc78ELc84ELc85ELb0ELb0EfPKfS1_PfEviT_T9_T10_S3_lS5_S3_lS4_T11_S3_li.num_vgpr, 52
	.set _ZL29rocblas_internal_gemmt_kernelIiLi16ELi32ELi8ELc78ELc84ELc85ELb0ELb0EfPKfS1_PfEviT_T9_T10_S3_lS5_S3_lS4_T11_S3_li.num_agpr, 0
	.set _ZL29rocblas_internal_gemmt_kernelIiLi16ELi32ELi8ELc78ELc84ELc85ELb0ELb0EfPKfS1_PfEviT_T9_T10_S3_lS5_S3_lS4_T11_S3_li.numbered_sgpr, 34
	.set _ZL29rocblas_internal_gemmt_kernelIiLi16ELi32ELi8ELc78ELc84ELc85ELb0ELb0EfPKfS1_PfEviT_T9_T10_S3_lS5_S3_lS4_T11_S3_li.num_named_barrier, 0
	.set _ZL29rocblas_internal_gemmt_kernelIiLi16ELi32ELi8ELc78ELc84ELc85ELb0ELb0EfPKfS1_PfEviT_T9_T10_S3_lS5_S3_lS4_T11_S3_li.private_seg_size, 0
	.set _ZL29rocblas_internal_gemmt_kernelIiLi16ELi32ELi8ELc78ELc84ELc85ELb0ELb0EfPKfS1_PfEviT_T9_T10_S3_lS5_S3_lS4_T11_S3_li.uses_vcc, 1
	.set _ZL29rocblas_internal_gemmt_kernelIiLi16ELi32ELi8ELc78ELc84ELc85ELb0ELb0EfPKfS1_PfEviT_T9_T10_S3_lS5_S3_lS4_T11_S3_li.uses_flat_scratch, 0
	.set _ZL29rocblas_internal_gemmt_kernelIiLi16ELi32ELi8ELc78ELc84ELc85ELb0ELb0EfPKfS1_PfEviT_T9_T10_S3_lS5_S3_lS4_T11_S3_li.has_dyn_sized_stack, 0
	.set _ZL29rocblas_internal_gemmt_kernelIiLi16ELi32ELi8ELc78ELc84ELc85ELb0ELb0EfPKfS1_PfEviT_T9_T10_S3_lS5_S3_lS4_T11_S3_li.has_recursion, 0
	.set _ZL29rocblas_internal_gemmt_kernelIiLi16ELi32ELi8ELc78ELc84ELc85ELb0ELb0EfPKfS1_PfEviT_T9_T10_S3_lS5_S3_lS4_T11_S3_li.has_indirect_call, 0
	.section	.AMDGPU.csdata,"",@progbits
; Kernel info:
; codeLenInByte = 1832
; TotalNumSgprs: 36
; NumVgprs: 52
; ScratchSize: 0
; MemoryBound: 0
; FloatMode: 240
; IeeeMode: 1
; LDSByteSize: 2048 bytes/workgroup (compile time only)
; SGPRBlocks: 0
; VGPRBlocks: 6
; NumSGPRsForWavesPerEU: 36
; NumVGPRsForWavesPerEU: 52
; Occupancy: 16
; WaveLimiterHint : 0
; COMPUTE_PGM_RSRC2:SCRATCH_EN: 0
; COMPUTE_PGM_RSRC2:USER_SGPR: 2
; COMPUTE_PGM_RSRC2:TRAP_HANDLER: 0
; COMPUTE_PGM_RSRC2:TGID_X_EN: 1
; COMPUTE_PGM_RSRC2:TGID_Y_EN: 1
; COMPUTE_PGM_RSRC2:TGID_Z_EN: 1
; COMPUTE_PGM_RSRC2:TIDIG_COMP_CNT: 1
	.section	.text._ZL29rocblas_internal_gemmt_kernelIiLi16ELi32ELi8ELc78ELc67ELc85ELb0ELb0EfPKfS1_PfEviT_T9_T10_S3_lS5_S3_lS4_T11_S3_li,"axG",@progbits,_ZL29rocblas_internal_gemmt_kernelIiLi16ELi32ELi8ELc78ELc67ELc85ELb0ELb0EfPKfS1_PfEviT_T9_T10_S3_lS5_S3_lS4_T11_S3_li,comdat
	.globl	_ZL29rocblas_internal_gemmt_kernelIiLi16ELi32ELi8ELc78ELc67ELc85ELb0ELb0EfPKfS1_PfEviT_T9_T10_S3_lS5_S3_lS4_T11_S3_li ; -- Begin function _ZL29rocblas_internal_gemmt_kernelIiLi16ELi32ELi8ELc78ELc67ELc85ELb0ELb0EfPKfS1_PfEviT_T9_T10_S3_lS5_S3_lS4_T11_S3_li
	.p2align	8
	.type	_ZL29rocblas_internal_gemmt_kernelIiLi16ELi32ELi8ELc78ELc67ELc85ELb0ELb0EfPKfS1_PfEviT_T9_T10_S3_lS5_S3_lS4_T11_S3_li,@function
_ZL29rocblas_internal_gemmt_kernelIiLi16ELi32ELi8ELc78ELc67ELc85ELb0ELb0EfPKfS1_PfEviT_T9_T10_S3_lS5_S3_lS4_T11_S3_li: ; @_ZL29rocblas_internal_gemmt_kernelIiLi16ELi32ELi8ELc78ELc67ELc85ELb0ELb0EfPKfS1_PfEviT_T9_T10_S3_lS5_S3_lS4_T11_S3_li
; %bb.0:
	s_clause 0x1
	s_load_b128 s[4:7], s[0:1], 0x38
	s_load_b128 s[8:11], s[0:1], 0x8
	s_wait_kmcnt 0x0
	s_load_b32 s19, s[6:7], 0x0
	s_load_b64 s[6:7], s[0:1], 0x0
	s_load_b32 s26, s[8:9], 0x0
	s_wait_kmcnt 0x0
	s_cmp_neq_f32 s19, 1.0
	s_cselect_b32 s2, -1, 0
	s_delay_alu instid0(SALU_CYCLE_1)
	s_and_b32 vcc_lo, exec_lo, s2
	s_cbranch_vccnz .LBB2_2
; %bb.1:
	s_cmp_lg_u32 s7, 0
	s_cselect_b32 s2, -1, 0
	s_cmp_neq_f32 s26, 0
	s_cselect_b32 s3, -1, 0
	s_delay_alu instid0(SALU_CYCLE_1)
	s_and_b32 s2, s2, s3
.LBB2_2:
	s_delay_alu instid0(SALU_CYCLE_1)
	s_and_not1_b32 vcc_lo, exec_lo, s2
	s_cbranch_vccnz .LBB2_33
; %bb.3:
	s_load_b32 s27, s[0:1], 0x60
	s_lshr_b32 s8, ttmp7, 16
	s_wait_kmcnt 0x0
	s_cmp_ge_u32 s8, s27
	s_cbranch_scc1 .LBB2_33
; %bb.4:
	s_clause 0x1
	s_load_b32 s22, s[0:1], 0x18
	s_load_b32 s24, s[0:1], 0x30
	v_and_b32_e32 v1, 0x3ff, v0
	v_bfe_u32 v2, v0, 10, 10
	v_and_b32_e32 v16, 7, v0
	s_clause 0x2
	s_load_b128 s[12:15], s[0:1], 0x20
	s_load_b96 s[16:18], s[0:1], 0x48
	s_load_b64 s[20:21], s[0:1], 0x58
	s_lshl_b32 s0, ttmp7, 5
	v_lshl_add_u32 v0, v2, 4, v1
	v_lshlrev_b32_e32 v5, 2, v16
	s_lshl_b32 s2, ttmp9, 5
	s_and_b32 s3, s0, 0x1fffe0
	v_lshl_add_u32 v21, v2, 5, 0x400
	v_and_b32_e32 v3, 31, v0
	v_lshrrev_b32_e32 v17, 5, v0
	v_lshrrev_b32_e32 v0, 3, v0
	v_lshlrev_b32_e32 v20, 2, v1
	s_mov_b32 s9, 0
	v_or_b32_e32 v4, s2, v3
	v_lshlrev_b32_e32 v3, 2, v3
	v_add_nc_u32_e32 v14, s3, v0
	v_lshl_or_b32 v0, v0, 5, v5
	s_wait_kmcnt 0x0
	s_ashr_i32 s23, s22, 31
	s_ashr_i32 s25, s24, 31
	s_cmp_neq_f32 s26, 0
	v_lshl_or_b32 v18, v17, 7, v3
	v_add_nc_u32_e32 v19, 0x400, v0
	v_add_nc_u32_e32 v3, s3, v2
	;; [unrolled: 1-line block ×3, first 2 shown]
	s_cselect_b32 s31, -1, 0
	s_cmp_gt_i32 s7, 0
	v_mad_co_i64_i32 v[6:7], null, v17, s22, 0
	v_cmp_gt_i32_e32 vcc_lo, s6, v3
	v_cmp_le_i32_e64 s2, v0, v3
	v_add_nc_u32_e32 v2, 16, v0
	s_cselect_b32 s33, -1, 0
	s_cmp_neq_f32 s19, 0
	v_ashrrev_i32_e32 v5, 31, v4
	v_add_nc_u32_e32 v12, 16, v3
	v_cmp_gt_i32_e64 s0, s6, v4
	s_cselect_b32 s28, -1, 0
	s_and_b32 s29, vcc_lo, s2
	v_cmp_le_i32_e64 s2, v2, v3
	v_lshlrev_b64_e32 v[6:7], 2, v[6:7]
	v_lshlrev_b64_e32 v[4:5], 2, v[4:5]
	v_mad_co_i64_i32 v[10:11], null, s24, v16, 0
	s_and_b32 s30, vcc_lo, s2
	v_cmp_gt_i32_e32 vcc_lo, s6, v12
	v_cmp_le_i32_e64 s2, v0, v12
	v_cmp_le_i32_e64 s3, v2, v12
	v_cmp_gt_i32_e64 s1, s6, v14
	v_mad_co_i64_i32 v[8:9], null, v3, s18, 0
	v_mad_co_i64_i32 v[12:13], null, v12, s18, 0
	s_and_b32 s6, vcc_lo, s2
	s_and_b32 s18, vcc_lo, s3
	v_add_co_u32 v4, vcc_lo, v6, v4
	s_delay_alu instid0(VALU_DEP_1) | instskip(SKIP_2) | instid1(VALU_DEP_4)
	v_add_co_ci_u32_e64 v5, null, v7, v5, vcc_lo
	v_lshlrev_b64_e32 v[6:7], 2, v[10:11]
	v_lshlrev_b32_e32 v10, 2, v14
	v_add_co_u32 v4, vcc_lo, s10, v4
	s_wait_alu 0xfffd
	v_add_co_ci_u32_e64 v5, null, s11, v5, vcc_lo
	s_delay_alu instid0(VALU_DEP_3) | instskip(SKIP_3) | instid1(VALU_DEP_3)
	v_add_co_u32 v6, vcc_lo, v6, v10
	s_wait_alu 0xfffd
	v_add_co_ci_u32_e64 v7, null, 0, v7, vcc_lo
	v_lshlrev_b64_e32 v[8:9], 2, v[8:9]
	v_add_co_u32 v6, vcc_lo, s14, v6
	v_lshlrev_b64_e32 v[10:11], 2, v[12:13]
	v_ashrrev_i32_e32 v1, 31, v0
	v_ashrrev_i32_e32 v3, 31, v2
	s_wait_alu 0xfffd
	v_add_co_ci_u32_e64 v7, null, s15, v7, vcc_lo
	s_lshl_b64 s[2:3], s[12:13], 2
	s_and_b32 s31, s31, s33
	s_lshl_b64 s[10:11], s[22:23], 5
	s_lshl_b64 s[4:5], s[4:5], 2
	;; [unrolled: 1-line block ×3, first 2 shown]
	s_branch .LBB2_6
.LBB2_5:                                ;   in Loop: Header=BB2_6 Depth=1
	s_wait_alu 0xfffe
	s_or_b32 exec_lo, exec_lo, s14
	s_add_co_i32 s8, s8, 0x10000
	s_wait_alu 0xfffe
	s_cmp_lt_u32 s8, s27
	s_cbranch_scc0 .LBB2_33
.LBB2_6:                                ; =>This Loop Header: Depth=1
                                        ;     Child Loop BB2_9 Depth 2
	v_dual_mov_b32 v25, 0 :: v_dual_mov_b32 v24, 0
	v_dual_mov_b32 v23, 0 :: v_dual_mov_b32 v22, 0
	s_and_not1_b32 vcc_lo, exec_lo, s31
	s_wait_alu 0xfffe
	s_cbranch_vccnz .LBB2_13
; %bb.7:                                ;   in Loop: Header=BB2_6 Depth=1
	v_mad_co_u64_u32 v[12:13], null, s2, s8, v[4:5]
	v_mad_co_u64_u32 v[14:15], null, s4, s8, v[6:7]
	v_dual_mov_b32 v22, 0 :: v_dual_mov_b32 v23, 0
	s_mov_b32 s14, 0
	s_delay_alu instid0(VALU_DEP_2) | instskip(NEXT) | instid1(VALU_DEP_3)
	v_mad_co_u64_u32 v[25:26], null, s3, s8, v[13:14]
	v_mad_co_u64_u32 v[26:27], null, s5, s8, v[15:16]
	s_delay_alu instid0(VALU_DEP_2) | instskip(SKIP_1) | instid1(VALU_DEP_3)
	v_dual_mov_b32 v24, 0 :: v_dual_mov_b32 v13, v25
	v_mov_b32_e32 v25, 0
	v_mov_b32_e32 v15, v26
	s_branch .LBB2_9
.LBB2_8:                                ;   in Loop: Header=BB2_9 Depth=2
	s_wait_alu 0xfffe
	s_or_b32 exec_lo, exec_lo, s15
	s_wait_loadcnt 0x0
	ds_store_b32 v19, v27
	s_wait_dscnt 0x0
	s_barrier_signal -1
	s_barrier_wait -1
	global_inv scope:SCOPE_SE
	ds_load_b128 v[26:29], v21
	ds_load_2addr_b32 v[42:43], v20 offset1:16
	ds_load_b128 v[30:33], v21 offset:512
	ds_load_2addr_b32 v[44:45], v20 offset0:32 offset1:48
	ds_load_2addr_b32 v[46:47], v20 offset0:64 offset1:80
	;; [unrolled: 1-line block ×3, first 2 shown]
	ds_load_b128 v[34:37], v21 offset:16
	ds_load_2addr_b32 v[50:51], v20 offset0:128 offset1:144
	ds_load_b128 v[38:41], v21 offset:528
	v_add_co_u32 v12, vcc_lo, v12, s10
	s_wait_alu 0xfffd
	v_add_co_ci_u32_e64 v13, null, s11, v13, vcc_lo
	v_add_co_u32 v14, vcc_lo, v14, s12
	s_wait_alu 0xfffd
	v_add_co_ci_u32_e64 v15, null, s13, v15, vcc_lo
	s_add_co_i32 s14, s14, 8
	s_wait_alu 0xfffe
	s_cmp_lt_i32 s14, s7
	s_wait_dscnt 0x7
	v_fmac_f32_e32 v24, v43, v26
	v_fmac_f32_e32 v25, v42, v26
	s_wait_dscnt 0x6
	v_fmac_f32_e32 v22, v43, v30
	v_fmac_f32_e32 v23, v42, v30
	ds_load_2addr_b32 v[42:43], v20 offset0:160 offset1:176
	s_wait_dscnt 0x6
	v_fmac_f32_e32 v24, v45, v27
	v_fmac_f32_e32 v25, v44, v27
	v_fmac_f32_e32 v22, v45, v31
	v_fmac_f32_e32 v23, v44, v31
	ds_load_2addr_b32 v[26:27], v20 offset0:192 offset1:208
	s_wait_dscnt 0x6
	v_fmac_f32_e32 v24, v47, v28
	v_fmac_f32_e32 v25, v46, v28
	;; [unrolled: 6-line block ×3, first 2 shown]
	v_fmac_f32_e32 v22, v49, v33
	v_fmac_f32_e32 v23, v48, v33
	s_wait_loadcnt_dscnt 0x0
	v_fmac_f32_e32 v24, v51, v34
	v_fmac_f32_e32 v25, v50, v34
	;; [unrolled: 1-line block ×4, first 2 shown]
	s_barrier_signal -1
	v_fmac_f32_e32 v24, v43, v35
	v_fmac_f32_e32 v25, v42, v35
	;; [unrolled: 1-line block ×4, first 2 shown]
	s_barrier_wait -1
	v_fmac_f32_e32 v24, v27, v36
	v_fmac_f32_e32 v25, v26, v36
	;; [unrolled: 1-line block ×4, first 2 shown]
	global_inv scope:SCOPE_SE
	v_fmac_f32_e32 v24, v31, v37
	v_fmac_f32_e32 v25, v30, v37
	;; [unrolled: 1-line block ×4, first 2 shown]
	s_cbranch_scc0 .LBB2_13
.LBB2_9:                                ;   Parent Loop BB2_6 Depth=1
                                        ; =>  This Inner Loop Header: Depth=2
	s_wait_alu 0xfffe
	v_add_nc_u32_e32 v26, s14, v17
	s_delay_alu instid0(VALU_DEP_1)
	v_cmp_gt_i32_e32 vcc_lo, s7, v26
	v_mov_b32_e32 v26, 0
	s_and_b32 s22, s0, vcc_lo
	s_wait_alu 0xfffe
	s_and_saveexec_b32 s15, s22
	s_cbranch_execz .LBB2_11
; %bb.10:                               ;   in Loop: Header=BB2_9 Depth=2
	global_load_b32 v26, v[12:13], off
.LBB2_11:                               ;   in Loop: Header=BB2_9 Depth=2
	s_wait_alu 0xfffe
	s_or_b32 exec_lo, exec_lo, s15
	v_add_nc_u32_e32 v27, s14, v16
	s_wait_loadcnt 0x0
	ds_store_b32 v18, v26
	v_cmp_gt_i32_e32 vcc_lo, s7, v27
	v_mov_b32_e32 v27, 0
	s_and_b32 s22, vcc_lo, s1
	s_wait_alu 0xfffe
	s_and_saveexec_b32 s15, s22
	s_cbranch_execz .LBB2_8
; %bb.12:                               ;   in Loop: Header=BB2_9 Depth=2
	global_load_b32 v27, v[14:15], off
	s_branch .LBB2_8
.LBB2_13:                               ;   in Loop: Header=BB2_6 Depth=1
	s_mul_u64 s[14:15], s[20:21], s[8:9]
	s_wait_alu 0xfffe
	s_lshl_b64 s[14:15], s[14:15], 2
	s_wait_alu 0xfffe
	s_add_nc_u64 s[14:15], s[16:17], s[14:15]
	s_wait_alu 0xfffe
	v_add_co_u32 v12, vcc_lo, s14, v8
	s_wait_alu 0xfffd
	v_add_co_ci_u32_e64 v13, null, s15, v9, vcc_lo
	s_and_saveexec_b32 s22, s29
	s_cbranch_execz .LBB2_17
; %bb.14:                               ;   in Loop: Header=BB2_6 Depth=1
	v_mul_f32_e32 v14, s26, v25
	s_and_b32 vcc_lo, exec_lo, s28
	s_wait_alu 0xfffe
	s_cbranch_vccz .LBB2_28
; %bb.15:                               ;   in Loop: Header=BB2_6 Depth=1
	v_lshlrev_b64_e32 v[25:26], 2, v[0:1]
	s_delay_alu instid0(VALU_DEP_1) | instskip(SKIP_1) | instid1(VALU_DEP_2)
	v_add_co_u32 v25, vcc_lo, v12, v25
	s_wait_alu 0xfffd
	v_add_co_ci_u32_e64 v26, null, v13, v26, vcc_lo
	global_load_b32 v15, v[25:26], off
	s_wait_loadcnt 0x0
	v_fma_f32 v15, s19, v15, v14
	global_store_b32 v[25:26], v15, off
	s_cbranch_execnz .LBB2_17
.LBB2_16:                               ;   in Loop: Header=BB2_6 Depth=1
	v_lshlrev_b64_e32 v[25:26], 2, v[0:1]
	s_delay_alu instid0(VALU_DEP_1) | instskip(SKIP_1) | instid1(VALU_DEP_2)
	v_add_co_u32 v25, vcc_lo, v12, v25
	s_wait_alu 0xfffd
	v_add_co_ci_u32_e64 v26, null, v13, v26, vcc_lo
	global_store_b32 v[25:26], v14, off
.LBB2_17:                               ;   in Loop: Header=BB2_6 Depth=1
	s_wait_alu 0xfffe
	s_or_b32 exec_lo, exec_lo, s22
	s_and_saveexec_b32 s22, s30
	s_cbranch_execz .LBB2_21
; %bb.18:                               ;   in Loop: Header=BB2_6 Depth=1
	v_mul_f32_e32 v14, s26, v24
	s_and_not1_b32 vcc_lo, exec_lo, s28
	s_wait_alu 0xfffe
	s_cbranch_vccnz .LBB2_29
; %bb.19:                               ;   in Loop: Header=BB2_6 Depth=1
	v_lshlrev_b64_e32 v[24:25], 2, v[2:3]
	s_delay_alu instid0(VALU_DEP_1) | instskip(SKIP_1) | instid1(VALU_DEP_2)
	v_add_co_u32 v24, vcc_lo, v12, v24
	s_wait_alu 0xfffd
	v_add_co_ci_u32_e64 v25, null, v13, v25, vcc_lo
	global_load_b32 v15, v[24:25], off
	s_wait_loadcnt 0x0
	v_fma_f32 v15, s19, v15, v14
	global_store_b32 v[24:25], v15, off
	s_cbranch_execnz .LBB2_21
.LBB2_20:                               ;   in Loop: Header=BB2_6 Depth=1
	v_lshlrev_b64_e32 v[24:25], 2, v[2:3]
	s_delay_alu instid0(VALU_DEP_1) | instskip(SKIP_1) | instid1(VALU_DEP_2)
	v_add_co_u32 v12, vcc_lo, v12, v24
	s_wait_alu 0xfffd
	v_add_co_ci_u32_e64 v13, null, v13, v25, vcc_lo
	global_store_b32 v[12:13], v14, off
.LBB2_21:                               ;   in Loop: Header=BB2_6 Depth=1
	s_wait_alu 0xfffe
	s_or_b32 exec_lo, exec_lo, s22
	v_add_co_u32 v14, vcc_lo, s14, v10
	s_wait_alu 0xfffd
	v_add_co_ci_u32_e64 v15, null, s15, v11, vcc_lo
	s_and_saveexec_b32 s14, s6
	s_cbranch_execz .LBB2_25
; %bb.22:                               ;   in Loop: Header=BB2_6 Depth=1
	v_lshlrev_b64_e32 v[12:13], 2, v[0:1]
	v_mul_f32_e32 v23, s26, v23
	s_and_not1_b32 vcc_lo, exec_lo, s28
	s_wait_alu 0xfffe
	s_cbranch_vccnz .LBB2_30
; %bb.23:                               ;   in Loop: Header=BB2_6 Depth=1
	s_delay_alu instid0(VALU_DEP_2)
	v_add_co_u32 v24, vcc_lo, v14, v12
	s_wait_alu 0xfffd
	v_add_co_ci_u32_e64 v25, null, v15, v13, vcc_lo
	global_load_b32 v26, v[24:25], off
	s_wait_loadcnt 0x0
	v_fma_f32 v26, s19, v26, v23
	global_store_b32 v[24:25], v26, off
	s_cbranch_execnz .LBB2_25
.LBB2_24:                               ;   in Loop: Header=BB2_6 Depth=1
	v_add_co_u32 v12, vcc_lo, v14, v12
	s_wait_alu 0xfffd
	v_add_co_ci_u32_e64 v13, null, v15, v13, vcc_lo
	global_store_b32 v[12:13], v23, off
.LBB2_25:                               ;   in Loop: Header=BB2_6 Depth=1
	s_wait_alu 0xfffe
	s_or_b32 exec_lo, exec_lo, s14
	s_and_saveexec_b32 s14, s18
	s_cbranch_execz .LBB2_5
; %bb.26:                               ;   in Loop: Header=BB2_6 Depth=1
	v_lshlrev_b64_e32 v[12:13], 2, v[2:3]
	v_mul_f32_e32 v22, s26, v22
	s_and_not1_b32 vcc_lo, exec_lo, s28
	s_wait_alu 0xfffe
	s_cbranch_vccnz .LBB2_31
; %bb.27:                               ;   in Loop: Header=BB2_6 Depth=1
	s_delay_alu instid0(VALU_DEP_2)
	v_add_co_u32 v23, vcc_lo, v14, v12
	s_wait_alu 0xfffd
	v_add_co_ci_u32_e64 v24, null, v15, v13, vcc_lo
	global_load_b32 v25, v[23:24], off
	s_wait_loadcnt 0x0
	v_fma_f32 v25, s19, v25, v22
	global_store_b32 v[23:24], v25, off
	s_cbranch_execnz .LBB2_5
	s_branch .LBB2_32
.LBB2_28:                               ;   in Loop: Header=BB2_6 Depth=1
	s_branch .LBB2_16
.LBB2_29:                               ;   in Loop: Header=BB2_6 Depth=1
	s_branch .LBB2_20
.LBB2_30:                               ;   in Loop: Header=BB2_6 Depth=1
	s_branch .LBB2_24
.LBB2_31:                               ;   in Loop: Header=BB2_6 Depth=1
.LBB2_32:                               ;   in Loop: Header=BB2_6 Depth=1
	s_delay_alu instid0(VALU_DEP_2)
	v_add_co_u32 v12, vcc_lo, v14, v12
	s_wait_alu 0xfffd
	v_add_co_ci_u32_e64 v13, null, v15, v13, vcc_lo
	global_store_b32 v[12:13], v22, off
	s_branch .LBB2_5
.LBB2_33:
	s_endpgm
	.section	.rodata,"a",@progbits
	.p2align	6, 0x0
	.amdhsa_kernel _ZL29rocblas_internal_gemmt_kernelIiLi16ELi32ELi8ELc78ELc67ELc85ELb0ELb0EfPKfS1_PfEviT_T9_T10_S3_lS5_S3_lS4_T11_S3_li
		.amdhsa_group_segment_fixed_size 2048
		.amdhsa_private_segment_fixed_size 0
		.amdhsa_kernarg_size 100
		.amdhsa_user_sgpr_count 2
		.amdhsa_user_sgpr_dispatch_ptr 0
		.amdhsa_user_sgpr_queue_ptr 0
		.amdhsa_user_sgpr_kernarg_segment_ptr 1
		.amdhsa_user_sgpr_dispatch_id 0
		.amdhsa_user_sgpr_private_segment_size 0
		.amdhsa_wavefront_size32 1
		.amdhsa_uses_dynamic_stack 0
		.amdhsa_enable_private_segment 0
		.amdhsa_system_sgpr_workgroup_id_x 1
		.amdhsa_system_sgpr_workgroup_id_y 1
		.amdhsa_system_sgpr_workgroup_id_z 1
		.amdhsa_system_sgpr_workgroup_info 0
		.amdhsa_system_vgpr_workitem_id 1
		.amdhsa_next_free_vgpr 52
		.amdhsa_next_free_sgpr 34
		.amdhsa_reserve_vcc 1
		.amdhsa_float_round_mode_32 0
		.amdhsa_float_round_mode_16_64 0
		.amdhsa_float_denorm_mode_32 3
		.amdhsa_float_denorm_mode_16_64 3
		.amdhsa_fp16_overflow 0
		.amdhsa_workgroup_processor_mode 1
		.amdhsa_memory_ordered 1
		.amdhsa_forward_progress 1
		.amdhsa_inst_pref_size 15
		.amdhsa_round_robin_scheduling 0
		.amdhsa_exception_fp_ieee_invalid_op 0
		.amdhsa_exception_fp_denorm_src 0
		.amdhsa_exception_fp_ieee_div_zero 0
		.amdhsa_exception_fp_ieee_overflow 0
		.amdhsa_exception_fp_ieee_underflow 0
		.amdhsa_exception_fp_ieee_inexact 0
		.amdhsa_exception_int_div_zero 0
	.end_amdhsa_kernel
	.section	.text._ZL29rocblas_internal_gemmt_kernelIiLi16ELi32ELi8ELc78ELc67ELc85ELb0ELb0EfPKfS1_PfEviT_T9_T10_S3_lS5_S3_lS4_T11_S3_li,"axG",@progbits,_ZL29rocblas_internal_gemmt_kernelIiLi16ELi32ELi8ELc78ELc67ELc85ELb0ELb0EfPKfS1_PfEviT_T9_T10_S3_lS5_S3_lS4_T11_S3_li,comdat
.Lfunc_end2:
	.size	_ZL29rocblas_internal_gemmt_kernelIiLi16ELi32ELi8ELc78ELc67ELc85ELb0ELb0EfPKfS1_PfEviT_T9_T10_S3_lS5_S3_lS4_T11_S3_li, .Lfunc_end2-_ZL29rocblas_internal_gemmt_kernelIiLi16ELi32ELi8ELc78ELc67ELc85ELb0ELb0EfPKfS1_PfEviT_T9_T10_S3_lS5_S3_lS4_T11_S3_li
                                        ; -- End function
	.set _ZL29rocblas_internal_gemmt_kernelIiLi16ELi32ELi8ELc78ELc67ELc85ELb0ELb0EfPKfS1_PfEviT_T9_T10_S3_lS5_S3_lS4_T11_S3_li.num_vgpr, 52
	.set _ZL29rocblas_internal_gemmt_kernelIiLi16ELi32ELi8ELc78ELc67ELc85ELb0ELb0EfPKfS1_PfEviT_T9_T10_S3_lS5_S3_lS4_T11_S3_li.num_agpr, 0
	.set _ZL29rocblas_internal_gemmt_kernelIiLi16ELi32ELi8ELc78ELc67ELc85ELb0ELb0EfPKfS1_PfEviT_T9_T10_S3_lS5_S3_lS4_T11_S3_li.numbered_sgpr, 34
	.set _ZL29rocblas_internal_gemmt_kernelIiLi16ELi32ELi8ELc78ELc67ELc85ELb0ELb0EfPKfS1_PfEviT_T9_T10_S3_lS5_S3_lS4_T11_S3_li.num_named_barrier, 0
	.set _ZL29rocblas_internal_gemmt_kernelIiLi16ELi32ELi8ELc78ELc67ELc85ELb0ELb0EfPKfS1_PfEviT_T9_T10_S3_lS5_S3_lS4_T11_S3_li.private_seg_size, 0
	.set _ZL29rocblas_internal_gemmt_kernelIiLi16ELi32ELi8ELc78ELc67ELc85ELb0ELb0EfPKfS1_PfEviT_T9_T10_S3_lS5_S3_lS4_T11_S3_li.uses_vcc, 1
	.set _ZL29rocblas_internal_gemmt_kernelIiLi16ELi32ELi8ELc78ELc67ELc85ELb0ELb0EfPKfS1_PfEviT_T9_T10_S3_lS5_S3_lS4_T11_S3_li.uses_flat_scratch, 0
	.set _ZL29rocblas_internal_gemmt_kernelIiLi16ELi32ELi8ELc78ELc67ELc85ELb0ELb0EfPKfS1_PfEviT_T9_T10_S3_lS5_S3_lS4_T11_S3_li.has_dyn_sized_stack, 0
	.set _ZL29rocblas_internal_gemmt_kernelIiLi16ELi32ELi8ELc78ELc67ELc85ELb0ELb0EfPKfS1_PfEviT_T9_T10_S3_lS5_S3_lS4_T11_S3_li.has_recursion, 0
	.set _ZL29rocblas_internal_gemmt_kernelIiLi16ELi32ELi8ELc78ELc67ELc85ELb0ELb0EfPKfS1_PfEviT_T9_T10_S3_lS5_S3_lS4_T11_S3_li.has_indirect_call, 0
	.section	.AMDGPU.csdata,"",@progbits
; Kernel info:
; codeLenInByte = 1832
; TotalNumSgprs: 36
; NumVgprs: 52
; ScratchSize: 0
; MemoryBound: 0
; FloatMode: 240
; IeeeMode: 1
; LDSByteSize: 2048 bytes/workgroup (compile time only)
; SGPRBlocks: 0
; VGPRBlocks: 6
; NumSGPRsForWavesPerEU: 36
; NumVGPRsForWavesPerEU: 52
; Occupancy: 16
; WaveLimiterHint : 0
; COMPUTE_PGM_RSRC2:SCRATCH_EN: 0
; COMPUTE_PGM_RSRC2:USER_SGPR: 2
; COMPUTE_PGM_RSRC2:TRAP_HANDLER: 0
; COMPUTE_PGM_RSRC2:TGID_X_EN: 1
; COMPUTE_PGM_RSRC2:TGID_Y_EN: 1
; COMPUTE_PGM_RSRC2:TGID_Z_EN: 1
; COMPUTE_PGM_RSRC2:TIDIG_COMP_CNT: 1
	.section	.text._ZL29rocblas_internal_gemmt_kernelIiLi16ELi32ELi8ELc84ELc78ELc85ELb0ELb0EfPKfS1_PfEviT_T9_T10_S3_lS5_S3_lS4_T11_S3_li,"axG",@progbits,_ZL29rocblas_internal_gemmt_kernelIiLi16ELi32ELi8ELc84ELc78ELc85ELb0ELb0EfPKfS1_PfEviT_T9_T10_S3_lS5_S3_lS4_T11_S3_li,comdat
	.globl	_ZL29rocblas_internal_gemmt_kernelIiLi16ELi32ELi8ELc84ELc78ELc85ELb0ELb0EfPKfS1_PfEviT_T9_T10_S3_lS5_S3_lS4_T11_S3_li ; -- Begin function _ZL29rocblas_internal_gemmt_kernelIiLi16ELi32ELi8ELc84ELc78ELc85ELb0ELb0EfPKfS1_PfEviT_T9_T10_S3_lS5_S3_lS4_T11_S3_li
	.p2align	8
	.type	_ZL29rocblas_internal_gemmt_kernelIiLi16ELi32ELi8ELc84ELc78ELc85ELb0ELb0EfPKfS1_PfEviT_T9_T10_S3_lS5_S3_lS4_T11_S3_li,@function
_ZL29rocblas_internal_gemmt_kernelIiLi16ELi32ELi8ELc84ELc78ELc85ELb0ELb0EfPKfS1_PfEviT_T9_T10_S3_lS5_S3_lS4_T11_S3_li: ; @_ZL29rocblas_internal_gemmt_kernelIiLi16ELi32ELi8ELc84ELc78ELc85ELb0ELb0EfPKfS1_PfEviT_T9_T10_S3_lS5_S3_lS4_T11_S3_li
; %bb.0:
	s_clause 0x1
	s_load_b128 s[4:7], s[0:1], 0x38
	s_load_b128 s[8:11], s[0:1], 0x8
	s_wait_kmcnt 0x0
	s_load_b32 s19, s[6:7], 0x0
	s_load_b64 s[6:7], s[0:1], 0x0
	s_load_b32 s22, s[8:9], 0x0
	s_wait_kmcnt 0x0
	s_cmp_neq_f32 s19, 1.0
	s_cselect_b32 s2, -1, 0
	s_delay_alu instid0(SALU_CYCLE_1)
	s_and_b32 vcc_lo, exec_lo, s2
	s_cbranch_vccnz .LBB3_2
; %bb.1:
	s_cmp_lg_u32 s7, 0
	s_cselect_b32 s2, -1, 0
	s_cmp_neq_f32 s22, 0
	s_cselect_b32 s3, -1, 0
	s_delay_alu instid0(SALU_CYCLE_1)
	s_and_b32 s2, s2, s3
.LBB3_2:
	s_delay_alu instid0(SALU_CYCLE_1)
	s_and_not1_b32 vcc_lo, exec_lo, s2
	s_cbranch_vccnz .LBB3_33
; %bb.3:
	s_load_b32 s23, s[0:1], 0x60
	s_lshr_b32 s8, ttmp7, 16
	s_wait_kmcnt 0x0
	s_cmp_ge_u32 s8, s23
	s_cbranch_scc1 .LBB3_33
; %bb.4:
	v_and_b32_e32 v1, 0x3ff, v0
	v_bfe_u32 v3, v0, 10, 10
	v_and_b32_e32 v16, 7, v0
	s_clause 0x4
	s_load_b32 s27, s[0:1], 0x18
	s_load_b128 s[12:15], s[0:1], 0x20
	s_load_b32 s28, s[0:1], 0x30
	s_load_b96 s[16:18], s[0:1], 0x48
	s_load_b64 s[20:21], s[0:1], 0x58
	s_lshl_b32 s3, ttmp9, 5
	v_lshl_add_u32 v0, v3, 4, v1
	v_lshlrev_b32_e32 v12, 2, v16
	s_lshl_b32 s2, ttmp7, 5
	v_lshlrev_b32_e32 v20, 2, v1
	s_and_b32 s2, s2, 0x1fffe0
	v_lshrrev_b32_e32 v17, 5, v0
	v_lshrrev_b32_e32 v2, 3, v0
	v_and_b32_e32 v0, 31, v0
	v_add_nc_u32_e32 v5, s2, v3
	s_cmp_neq_f32 s22, 0
	v_lshlrev_b32_e32 v14, 2, v17
	v_add_nc_u32_e32 v6, s2, v2
	v_or_b32_e32 v4, s3, v0
	v_lshlrev_b32_e32 v0, 2, v0
	v_lshl_or_b32 v2, v2, 5, v12
	v_cmp_gt_i32_e32 vcc_lo, s6, v5
	v_add_nc_u32_e32 v13, 16, v5
	v_cmp_gt_i32_e64 s0, s6, v4
	v_lshl_or_b32 v18, v17, 7, v0
	v_add_nc_u32_e32 v0, s3, v1
	v_add_nc_u32_e32 v19, 0x400, v2
	s_wait_kmcnt 0x0
	v_mad_co_i64_i32 v[8:9], null, v5, s18, 0
	v_cmp_gt_i32_e64 s1, s6, v6
	v_add_nc_u32_e32 v2, 16, v0
	v_cmp_le_i32_e64 s2, v0, v5
	v_mad_co_i64_i32 v[6:7], null, s28, v6, 0
	s_cselect_b32 s29, -1, 0
	v_cmp_le_i32_e64 s3, v2, v5
	v_mad_co_i64_i32 v[4:5], null, s27, v4, 0
	s_cmp_gt_i32 s7, 0
	v_mad_co_i64_i32 v[10:11], null, v13, s18, 0
	s_cselect_b32 s30, -1, 0
	s_cmp_neq_f32 s19, 0
	v_lshlrev_b64_e32 v[6:7], 2, v[6:7]
	v_lshlrev_b64_e32 v[4:5], 2, v[4:5]
	;; [unrolled: 1-line block ×3, first 2 shown]
	s_cselect_b32 s24, -1, 0
	s_and_b32 s26, vcc_lo, s3
	s_and_b32 s25, vcc_lo, s2
	v_cmp_gt_i32_e32 vcc_lo, s6, v13
	v_add_co_u32 v4, s3, v4, v14
	v_cmp_le_i32_e64 s2, v0, v13
	s_wait_alu 0xf1ff
	v_add_co_ci_u32_e64 v5, null, 0, v5, s3
	v_add_co_u32 v6, s3, v6, v12
	s_wait_alu 0xf1ff
	v_add_co_ci_u32_e64 v7, null, 0, v7, s3
	v_add_co_u32 v4, s3, s10, v4
	s_and_b32 s6, vcc_lo, s2
	v_cmp_le_i32_e64 s2, v2, v13
	v_add_co_ci_u32_e64 v5, null, s11, v5, s3
	v_add_co_u32 v6, s3, s14, v6
	v_lshlrev_b64_e32 v[10:11], 2, v[10:11]
	v_lshl_add_u32 v21, v3, 5, 0x400
	v_ashrrev_i32_e32 v1, 31, v0
	v_ashrrev_i32_e32 v3, 31, v2
	s_wait_alu 0xf1ff
	v_add_co_ci_u32_e64 v7, null, s15, v7, s3
	s_mov_b32 s9, 0
	s_wait_alu 0xfffe
	s_and_b32 s14, s29, s30
	s_and_b32 s15, vcc_lo, s2
	s_lshl_b64 s[2:3], s[12:13], 2
	s_lshl_b64 s[4:5], s[4:5], 2
	s_branch .LBB3_6
.LBB3_5:                                ;   in Loop: Header=BB3_6 Depth=1
	s_wait_alu 0xfffe
	s_or_b32 exec_lo, exec_lo, s10
	s_add_co_i32 s8, s8, 0x10000
	s_wait_alu 0xfffe
	s_cmp_lt_u32 s8, s23
	s_cbranch_scc0 .LBB3_33
.LBB3_6:                                ; =>This Loop Header: Depth=1
                                        ;     Child Loop BB3_9 Depth 2
	v_dual_mov_b32 v25, 0 :: v_dual_mov_b32 v24, 0
	v_dual_mov_b32 v23, 0 :: v_dual_mov_b32 v22, 0
	s_wait_alu 0xfffe
	s_and_not1_b32 vcc_lo, exec_lo, s14
	s_wait_alu 0xfffe
	s_cbranch_vccnz .LBB3_13
; %bb.7:                                ;   in Loop: Header=BB3_6 Depth=1
	v_mad_co_u64_u32 v[12:13], null, s2, s8, v[4:5]
	v_mad_co_u64_u32 v[14:15], null, s4, s8, v[6:7]
	v_dual_mov_b32 v22, 0 :: v_dual_mov_b32 v23, 0
	s_mov_b32 s10, 0
	s_delay_alu instid0(VALU_DEP_2) | instskip(NEXT) | instid1(VALU_DEP_3)
	v_mad_co_u64_u32 v[25:26], null, s3, s8, v[13:14]
	v_mad_co_u64_u32 v[26:27], null, s5, s8, v[15:16]
	s_delay_alu instid0(VALU_DEP_2) | instskip(SKIP_1) | instid1(VALU_DEP_3)
	v_dual_mov_b32 v24, 0 :: v_dual_mov_b32 v13, v25
	v_mov_b32_e32 v25, 0
	v_mov_b32_e32 v15, v26
	s_branch .LBB3_9
.LBB3_8:                                ;   in Loop: Header=BB3_9 Depth=2
	s_wait_alu 0xfffe
	s_or_b32 exec_lo, exec_lo, s11
	s_wait_loadcnt 0x0
	ds_store_b32 v19, v27
	s_wait_dscnt 0x0
	s_barrier_signal -1
	s_barrier_wait -1
	global_inv scope:SCOPE_SE
	ds_load_b128 v[26:29], v21
	ds_load_2addr_b32 v[42:43], v20 offset1:16
	ds_load_b128 v[30:33], v21 offset:512
	ds_load_2addr_b32 v[44:45], v20 offset0:32 offset1:48
	ds_load_2addr_b32 v[46:47], v20 offset0:64 offset1:80
	;; [unrolled: 1-line block ×3, first 2 shown]
	ds_load_b128 v[34:37], v21 offset:16
	ds_load_2addr_b32 v[50:51], v20 offset0:128 offset1:144
	ds_load_b128 v[38:41], v21 offset:528
	v_add_co_u32 v12, vcc_lo, v12, 32
	s_wait_alu 0xfffd
	v_add_co_ci_u32_e64 v13, null, 0, v13, vcc_lo
	v_add_co_u32 v14, vcc_lo, v14, 32
	s_wait_alu 0xfffd
	v_add_co_ci_u32_e64 v15, null, 0, v15, vcc_lo
	s_add_co_i32 s10, s10, 8
	s_wait_alu 0xfffe
	s_cmp_lt_i32 s10, s7
	s_wait_dscnt 0x7
	v_fmac_f32_e32 v24, v43, v26
	v_fmac_f32_e32 v25, v42, v26
	s_wait_dscnt 0x6
	v_fmac_f32_e32 v22, v43, v30
	v_fmac_f32_e32 v23, v42, v30
	ds_load_2addr_b32 v[42:43], v20 offset0:160 offset1:176
	s_wait_dscnt 0x6
	v_fmac_f32_e32 v24, v45, v27
	v_fmac_f32_e32 v25, v44, v27
	v_fmac_f32_e32 v22, v45, v31
	v_fmac_f32_e32 v23, v44, v31
	ds_load_2addr_b32 v[26:27], v20 offset0:192 offset1:208
	s_wait_dscnt 0x6
	v_fmac_f32_e32 v24, v47, v28
	v_fmac_f32_e32 v25, v46, v28
	;; [unrolled: 6-line block ×3, first 2 shown]
	v_fmac_f32_e32 v22, v49, v33
	v_fmac_f32_e32 v23, v48, v33
	s_wait_loadcnt_dscnt 0x0
	v_fmac_f32_e32 v24, v51, v34
	v_fmac_f32_e32 v25, v50, v34
	;; [unrolled: 1-line block ×4, first 2 shown]
	s_barrier_signal -1
	v_fmac_f32_e32 v24, v43, v35
	v_fmac_f32_e32 v25, v42, v35
	;; [unrolled: 1-line block ×4, first 2 shown]
	s_barrier_wait -1
	v_fmac_f32_e32 v24, v27, v36
	v_fmac_f32_e32 v25, v26, v36
	;; [unrolled: 1-line block ×4, first 2 shown]
	global_inv scope:SCOPE_SE
	v_fmac_f32_e32 v24, v31, v37
	v_fmac_f32_e32 v25, v30, v37
	;; [unrolled: 1-line block ×4, first 2 shown]
	s_cbranch_scc0 .LBB3_13
.LBB3_9:                                ;   Parent Loop BB3_6 Depth=1
                                        ; =>  This Inner Loop Header: Depth=2
	s_wait_alu 0xfffe
	v_add_nc_u32_e32 v26, s10, v17
	s_delay_alu instid0(VALU_DEP_1) | instskip(SKIP_2) | instid1(SALU_CYCLE_1)
	v_cmp_gt_i32_e32 vcc_lo, s7, v26
	v_mov_b32_e32 v26, 0
	s_and_b32 s12, s0, vcc_lo
	s_and_saveexec_b32 s11, s12
	s_cbranch_execz .LBB3_11
; %bb.10:                               ;   in Loop: Header=BB3_9 Depth=2
	global_load_b32 v26, v[12:13], off
.LBB3_11:                               ;   in Loop: Header=BB3_9 Depth=2
	s_wait_alu 0xfffe
	s_or_b32 exec_lo, exec_lo, s11
	v_add_nc_u32_e32 v27, s10, v16
	s_wait_loadcnt 0x0
	ds_store_b32 v18, v26
	v_cmp_gt_i32_e32 vcc_lo, s7, v27
	v_mov_b32_e32 v27, 0
	s_and_b32 s12, vcc_lo, s1
	s_delay_alu instid0(SALU_CYCLE_1)
	s_and_saveexec_b32 s11, s12
	s_cbranch_execz .LBB3_8
; %bb.12:                               ;   in Loop: Header=BB3_9 Depth=2
	global_load_b32 v27, v[14:15], off
	s_branch .LBB3_8
.LBB3_13:                               ;   in Loop: Header=BB3_6 Depth=1
	s_mul_u64 s[10:11], s[20:21], s[8:9]
	s_wait_alu 0xfffe
	s_lshl_b64 s[10:11], s[10:11], 2
	s_wait_alu 0xfffe
	s_add_nc_u64 s[10:11], s[16:17], s[10:11]
	s_wait_alu 0xfffe
	v_add_co_u32 v12, vcc_lo, s10, v8
	s_wait_alu 0xfffd
	v_add_co_ci_u32_e64 v13, null, s11, v9, vcc_lo
	s_and_saveexec_b32 s12, s25
	s_cbranch_execz .LBB3_17
; %bb.14:                               ;   in Loop: Header=BB3_6 Depth=1
	v_mul_f32_e32 v14, s22, v25
	s_and_b32 vcc_lo, exec_lo, s24
	s_wait_alu 0xfffe
	s_cbranch_vccz .LBB3_28
; %bb.15:                               ;   in Loop: Header=BB3_6 Depth=1
	v_lshlrev_b64_e32 v[25:26], 2, v[0:1]
	s_delay_alu instid0(VALU_DEP_1) | instskip(SKIP_1) | instid1(VALU_DEP_2)
	v_add_co_u32 v25, vcc_lo, v12, v25
	s_wait_alu 0xfffd
	v_add_co_ci_u32_e64 v26, null, v13, v26, vcc_lo
	global_load_b32 v15, v[25:26], off
	s_wait_loadcnt 0x0
	v_fma_f32 v15, s19, v15, v14
	global_store_b32 v[25:26], v15, off
	s_cbranch_execnz .LBB3_17
.LBB3_16:                               ;   in Loop: Header=BB3_6 Depth=1
	v_lshlrev_b64_e32 v[25:26], 2, v[0:1]
	s_delay_alu instid0(VALU_DEP_1) | instskip(SKIP_1) | instid1(VALU_DEP_2)
	v_add_co_u32 v25, vcc_lo, v12, v25
	s_wait_alu 0xfffd
	v_add_co_ci_u32_e64 v26, null, v13, v26, vcc_lo
	global_store_b32 v[25:26], v14, off
.LBB3_17:                               ;   in Loop: Header=BB3_6 Depth=1
	s_or_b32 exec_lo, exec_lo, s12
	s_and_saveexec_b32 s12, s26
	s_cbranch_execz .LBB3_21
; %bb.18:                               ;   in Loop: Header=BB3_6 Depth=1
	v_mul_f32_e32 v14, s22, v24
	s_and_not1_b32 vcc_lo, exec_lo, s24
	s_wait_alu 0xfffe
	s_cbranch_vccnz .LBB3_29
; %bb.19:                               ;   in Loop: Header=BB3_6 Depth=1
	v_lshlrev_b64_e32 v[24:25], 2, v[2:3]
	s_delay_alu instid0(VALU_DEP_1) | instskip(SKIP_1) | instid1(VALU_DEP_2)
	v_add_co_u32 v24, vcc_lo, v12, v24
	s_wait_alu 0xfffd
	v_add_co_ci_u32_e64 v25, null, v13, v25, vcc_lo
	global_load_b32 v15, v[24:25], off
	s_wait_loadcnt 0x0
	v_fma_f32 v15, s19, v15, v14
	global_store_b32 v[24:25], v15, off
	s_cbranch_execnz .LBB3_21
.LBB3_20:                               ;   in Loop: Header=BB3_6 Depth=1
	v_lshlrev_b64_e32 v[24:25], 2, v[2:3]
	s_delay_alu instid0(VALU_DEP_1) | instskip(SKIP_1) | instid1(VALU_DEP_2)
	v_add_co_u32 v12, vcc_lo, v12, v24
	s_wait_alu 0xfffd
	v_add_co_ci_u32_e64 v13, null, v13, v25, vcc_lo
	global_store_b32 v[12:13], v14, off
.LBB3_21:                               ;   in Loop: Header=BB3_6 Depth=1
	s_or_b32 exec_lo, exec_lo, s12
	v_add_co_u32 v14, vcc_lo, s10, v10
	s_wait_alu 0xfffd
	v_add_co_ci_u32_e64 v15, null, s11, v11, vcc_lo
	s_and_saveexec_b32 s10, s6
	s_cbranch_execz .LBB3_25
; %bb.22:                               ;   in Loop: Header=BB3_6 Depth=1
	v_lshlrev_b64_e32 v[12:13], 2, v[0:1]
	v_mul_f32_e32 v23, s22, v23
	s_and_not1_b32 vcc_lo, exec_lo, s24
	s_wait_alu 0xfffe
	s_cbranch_vccnz .LBB3_30
; %bb.23:                               ;   in Loop: Header=BB3_6 Depth=1
	s_delay_alu instid0(VALU_DEP_2)
	v_add_co_u32 v24, vcc_lo, v14, v12
	s_wait_alu 0xfffd
	v_add_co_ci_u32_e64 v25, null, v15, v13, vcc_lo
	global_load_b32 v26, v[24:25], off
	s_wait_loadcnt 0x0
	v_fma_f32 v26, s19, v26, v23
	global_store_b32 v[24:25], v26, off
	s_cbranch_execnz .LBB3_25
.LBB3_24:                               ;   in Loop: Header=BB3_6 Depth=1
	v_add_co_u32 v12, vcc_lo, v14, v12
	s_wait_alu 0xfffd
	v_add_co_ci_u32_e64 v13, null, v15, v13, vcc_lo
	global_store_b32 v[12:13], v23, off
.LBB3_25:                               ;   in Loop: Header=BB3_6 Depth=1
	s_wait_alu 0xfffe
	s_or_b32 exec_lo, exec_lo, s10
	s_and_saveexec_b32 s10, s15
	s_cbranch_execz .LBB3_5
; %bb.26:                               ;   in Loop: Header=BB3_6 Depth=1
	v_lshlrev_b64_e32 v[12:13], 2, v[2:3]
	v_mul_f32_e32 v22, s22, v22
	s_and_not1_b32 vcc_lo, exec_lo, s24
	s_wait_alu 0xfffe
	s_cbranch_vccnz .LBB3_31
; %bb.27:                               ;   in Loop: Header=BB3_6 Depth=1
	s_delay_alu instid0(VALU_DEP_2)
	v_add_co_u32 v23, vcc_lo, v14, v12
	s_wait_alu 0xfffd
	v_add_co_ci_u32_e64 v24, null, v15, v13, vcc_lo
	global_load_b32 v25, v[23:24], off
	s_wait_loadcnt 0x0
	v_fma_f32 v25, s19, v25, v22
	global_store_b32 v[23:24], v25, off
	s_cbranch_execnz .LBB3_5
	s_branch .LBB3_32
.LBB3_28:                               ;   in Loop: Header=BB3_6 Depth=1
	s_branch .LBB3_16
.LBB3_29:                               ;   in Loop: Header=BB3_6 Depth=1
	s_branch .LBB3_20
.LBB3_30:                               ;   in Loop: Header=BB3_6 Depth=1
	s_branch .LBB3_24
.LBB3_31:                               ;   in Loop: Header=BB3_6 Depth=1
.LBB3_32:                               ;   in Loop: Header=BB3_6 Depth=1
	s_delay_alu instid0(VALU_DEP_2)
	v_add_co_u32 v12, vcc_lo, v14, v12
	s_wait_alu 0xfffd
	v_add_co_ci_u32_e64 v13, null, v15, v13, vcc_lo
	global_store_b32 v[12:13], v22, off
	s_branch .LBB3_5
.LBB3_33:
	s_endpgm
	.section	.rodata,"a",@progbits
	.p2align	6, 0x0
	.amdhsa_kernel _ZL29rocblas_internal_gemmt_kernelIiLi16ELi32ELi8ELc84ELc78ELc85ELb0ELb0EfPKfS1_PfEviT_T9_T10_S3_lS5_S3_lS4_T11_S3_li
		.amdhsa_group_segment_fixed_size 2048
		.amdhsa_private_segment_fixed_size 0
		.amdhsa_kernarg_size 100
		.amdhsa_user_sgpr_count 2
		.amdhsa_user_sgpr_dispatch_ptr 0
		.amdhsa_user_sgpr_queue_ptr 0
		.amdhsa_user_sgpr_kernarg_segment_ptr 1
		.amdhsa_user_sgpr_dispatch_id 0
		.amdhsa_user_sgpr_private_segment_size 0
		.amdhsa_wavefront_size32 1
		.amdhsa_uses_dynamic_stack 0
		.amdhsa_enable_private_segment 0
		.amdhsa_system_sgpr_workgroup_id_x 1
		.amdhsa_system_sgpr_workgroup_id_y 1
		.amdhsa_system_sgpr_workgroup_id_z 1
		.amdhsa_system_sgpr_workgroup_info 0
		.amdhsa_system_vgpr_workitem_id 1
		.amdhsa_next_free_vgpr 52
		.amdhsa_next_free_sgpr 31
		.amdhsa_reserve_vcc 1
		.amdhsa_float_round_mode_32 0
		.amdhsa_float_round_mode_16_64 0
		.amdhsa_float_denorm_mode_32 3
		.amdhsa_float_denorm_mode_16_64 3
		.amdhsa_fp16_overflow 0
		.amdhsa_workgroup_processor_mode 1
		.amdhsa_memory_ordered 1
		.amdhsa_forward_progress 1
		.amdhsa_inst_pref_size 14
		.amdhsa_round_robin_scheduling 0
		.amdhsa_exception_fp_ieee_invalid_op 0
		.amdhsa_exception_fp_denorm_src 0
		.amdhsa_exception_fp_ieee_div_zero 0
		.amdhsa_exception_fp_ieee_overflow 0
		.amdhsa_exception_fp_ieee_underflow 0
		.amdhsa_exception_fp_ieee_inexact 0
		.amdhsa_exception_int_div_zero 0
	.end_amdhsa_kernel
	.section	.text._ZL29rocblas_internal_gemmt_kernelIiLi16ELi32ELi8ELc84ELc78ELc85ELb0ELb0EfPKfS1_PfEviT_T9_T10_S3_lS5_S3_lS4_T11_S3_li,"axG",@progbits,_ZL29rocblas_internal_gemmt_kernelIiLi16ELi32ELi8ELc84ELc78ELc85ELb0ELb0EfPKfS1_PfEviT_T9_T10_S3_lS5_S3_lS4_T11_S3_li,comdat
.Lfunc_end3:
	.size	_ZL29rocblas_internal_gemmt_kernelIiLi16ELi32ELi8ELc84ELc78ELc85ELb0ELb0EfPKfS1_PfEviT_T9_T10_S3_lS5_S3_lS4_T11_S3_li, .Lfunc_end3-_ZL29rocblas_internal_gemmt_kernelIiLi16ELi32ELi8ELc84ELc78ELc85ELb0ELb0EfPKfS1_PfEviT_T9_T10_S3_lS5_S3_lS4_T11_S3_li
                                        ; -- End function
	.set _ZL29rocblas_internal_gemmt_kernelIiLi16ELi32ELi8ELc84ELc78ELc85ELb0ELb0EfPKfS1_PfEviT_T9_T10_S3_lS5_S3_lS4_T11_S3_li.num_vgpr, 52
	.set _ZL29rocblas_internal_gemmt_kernelIiLi16ELi32ELi8ELc84ELc78ELc85ELb0ELb0EfPKfS1_PfEviT_T9_T10_S3_lS5_S3_lS4_T11_S3_li.num_agpr, 0
	.set _ZL29rocblas_internal_gemmt_kernelIiLi16ELi32ELi8ELc84ELc78ELc85ELb0ELb0EfPKfS1_PfEviT_T9_T10_S3_lS5_S3_lS4_T11_S3_li.numbered_sgpr, 31
	.set _ZL29rocblas_internal_gemmt_kernelIiLi16ELi32ELi8ELc84ELc78ELc85ELb0ELb0EfPKfS1_PfEviT_T9_T10_S3_lS5_S3_lS4_T11_S3_li.num_named_barrier, 0
	.set _ZL29rocblas_internal_gemmt_kernelIiLi16ELi32ELi8ELc84ELc78ELc85ELb0ELb0EfPKfS1_PfEviT_T9_T10_S3_lS5_S3_lS4_T11_S3_li.private_seg_size, 0
	.set _ZL29rocblas_internal_gemmt_kernelIiLi16ELi32ELi8ELc84ELc78ELc85ELb0ELb0EfPKfS1_PfEviT_T9_T10_S3_lS5_S3_lS4_T11_S3_li.uses_vcc, 1
	.set _ZL29rocblas_internal_gemmt_kernelIiLi16ELi32ELi8ELc84ELc78ELc85ELb0ELb0EfPKfS1_PfEviT_T9_T10_S3_lS5_S3_lS4_T11_S3_li.uses_flat_scratch, 0
	.set _ZL29rocblas_internal_gemmt_kernelIiLi16ELi32ELi8ELc84ELc78ELc85ELb0ELb0EfPKfS1_PfEviT_T9_T10_S3_lS5_S3_lS4_T11_S3_li.has_dyn_sized_stack, 0
	.set _ZL29rocblas_internal_gemmt_kernelIiLi16ELi32ELi8ELc84ELc78ELc85ELb0ELb0EfPKfS1_PfEviT_T9_T10_S3_lS5_S3_lS4_T11_S3_li.has_recursion, 0
	.set _ZL29rocblas_internal_gemmt_kernelIiLi16ELi32ELi8ELc84ELc78ELc85ELb0ELb0EfPKfS1_PfEviT_T9_T10_S3_lS5_S3_lS4_T11_S3_li.has_indirect_call, 0
	.section	.AMDGPU.csdata,"",@progbits
; Kernel info:
; codeLenInByte = 1792
; TotalNumSgprs: 33
; NumVgprs: 52
; ScratchSize: 0
; MemoryBound: 0
; FloatMode: 240
; IeeeMode: 1
; LDSByteSize: 2048 bytes/workgroup (compile time only)
; SGPRBlocks: 0
; VGPRBlocks: 6
; NumSGPRsForWavesPerEU: 33
; NumVGPRsForWavesPerEU: 52
; Occupancy: 16
; WaveLimiterHint : 0
; COMPUTE_PGM_RSRC2:SCRATCH_EN: 0
; COMPUTE_PGM_RSRC2:USER_SGPR: 2
; COMPUTE_PGM_RSRC2:TRAP_HANDLER: 0
; COMPUTE_PGM_RSRC2:TGID_X_EN: 1
; COMPUTE_PGM_RSRC2:TGID_Y_EN: 1
; COMPUTE_PGM_RSRC2:TGID_Z_EN: 1
; COMPUTE_PGM_RSRC2:TIDIG_COMP_CNT: 1
	.section	.text._ZL29rocblas_internal_gemmt_kernelIiLi16ELi32ELi8ELc84ELc84ELc85ELb0ELb0EfPKfS1_PfEviT_T9_T10_S3_lS5_S3_lS4_T11_S3_li,"axG",@progbits,_ZL29rocblas_internal_gemmt_kernelIiLi16ELi32ELi8ELc84ELc84ELc85ELb0ELb0EfPKfS1_PfEviT_T9_T10_S3_lS5_S3_lS4_T11_S3_li,comdat
	.globl	_ZL29rocblas_internal_gemmt_kernelIiLi16ELi32ELi8ELc84ELc84ELc85ELb0ELb0EfPKfS1_PfEviT_T9_T10_S3_lS5_S3_lS4_T11_S3_li ; -- Begin function _ZL29rocblas_internal_gemmt_kernelIiLi16ELi32ELi8ELc84ELc84ELc85ELb0ELb0EfPKfS1_PfEviT_T9_T10_S3_lS5_S3_lS4_T11_S3_li
	.p2align	8
	.type	_ZL29rocblas_internal_gemmt_kernelIiLi16ELi32ELi8ELc84ELc84ELc85ELb0ELb0EfPKfS1_PfEviT_T9_T10_S3_lS5_S3_lS4_T11_S3_li,@function
_ZL29rocblas_internal_gemmt_kernelIiLi16ELi32ELi8ELc84ELc84ELc85ELb0ELb0EfPKfS1_PfEviT_T9_T10_S3_lS5_S3_lS4_T11_S3_li: ; @_ZL29rocblas_internal_gemmt_kernelIiLi16ELi32ELi8ELc84ELc84ELc85ELb0ELb0EfPKfS1_PfEviT_T9_T10_S3_lS5_S3_lS4_T11_S3_li
; %bb.0:
	s_clause 0x1
	s_load_b128 s[4:7], s[0:1], 0x38
	s_load_b128 s[8:11], s[0:1], 0x8
	s_wait_kmcnt 0x0
	s_load_b32 s19, s[6:7], 0x0
	s_load_b64 s[6:7], s[0:1], 0x0
	s_load_b32 s24, s[8:9], 0x0
	s_wait_kmcnt 0x0
	s_cmp_neq_f32 s19, 1.0
	s_cselect_b32 s2, -1, 0
	s_delay_alu instid0(SALU_CYCLE_1)
	s_and_b32 vcc_lo, exec_lo, s2
	s_cbranch_vccnz .LBB4_2
; %bb.1:
	s_cmp_lg_u32 s7, 0
	s_cselect_b32 s2, -1, 0
	s_cmp_neq_f32 s24, 0
	s_cselect_b32 s3, -1, 0
	s_delay_alu instid0(SALU_CYCLE_1)
	s_and_b32 s2, s2, s3
.LBB4_2:
	s_delay_alu instid0(SALU_CYCLE_1)
	s_and_not1_b32 vcc_lo, exec_lo, s2
	s_cbranch_vccnz .LBB4_33
; %bb.3:
	s_load_b32 s25, s[0:1], 0x60
	s_lshr_b32 s8, ttmp7, 16
	s_wait_kmcnt 0x0
	s_cmp_ge_u32 s8, s25
	s_cbranch_scc1 .LBB4_33
; %bb.4:
	v_and_b32_e32 v1, 0x3ff, v0
	v_bfe_u32 v3, v0, 10, 10
	v_and_b32_e32 v16, 7, v0
	s_clause 0x4
	s_load_b32 s22, s[0:1], 0x30
	s_load_b32 s29, s[0:1], 0x18
	s_load_b128 s[12:15], s[0:1], 0x20
	s_load_b96 s[16:18], s[0:1], 0x48
	s_load_b64 s[20:21], s[0:1], 0x58
	v_lshl_add_u32 v0, v3, 4, v1
	v_lshlrev_b32_e32 v5, 2, v16
	s_lshl_b32 s2, ttmp9, 5
	s_lshl_b32 s0, ttmp7, 5
	v_lshlrev_b32_e32 v20, 2, v1
	v_and_b32_e32 v2, 31, v0
	v_lshrrev_b32_e32 v4, 3, v0
	v_lshrrev_b32_e32 v17, 5, v0
	s_and_b32 s3, s0, 0x1fffe0
	v_lshl_add_u32 v21, v3, 5, 0x400
	v_lshlrev_b32_e32 v0, 2, v2
	v_or_b32_e32 v6, s2, v2
	v_lshl_or_b32 v2, v4, 5, v5
	v_add_nc_u32_e32 v12, s3, v4
	v_add_nc_u32_e32 v4, s3, v3
	v_lshl_or_b32 v18, v17, 7, v0
	v_add_nc_u32_e32 v0, s2, v1
	v_add_nc_u32_e32 v19, 0x400, v2
	s_wait_kmcnt 0x0
	s_ashr_i32 s23, s22, 31
	s_cmp_neq_f32 s24, 0
	v_cmp_gt_i32_e32 vcc_lo, s6, v4
	v_add_nc_u32_e32 v2, 16, v0
	v_cmp_le_i32_e64 s2, v0, v4
	v_mad_co_i64_i32 v[8:9], null, v4, s18, 0
	v_add_nc_u32_e32 v10, 16, v4
	s_delay_alu instid0(VALU_DEP_4)
	v_cmp_le_i32_e64 s3, v2, v4
	v_mad_co_i64_i32 v[4:5], null, s29, v6, 0
	v_cmp_gt_i32_e64 s0, s6, v6
	v_mad_co_i64_i32 v[6:7], null, s22, v16, 0
	s_cselect_b32 s30, -1, 0
	s_cmp_gt_i32 s7, 0
	v_lshlrev_b32_e32 v13, 2, v17
	s_cselect_b32 s31, -1, 0
	s_cmp_neq_f32 s19, 0
	v_lshlrev_b64_e32 v[4:5], 2, v[4:5]
	v_lshlrev_b64_e32 v[6:7], 2, v[6:7]
	v_cmp_gt_i32_e64 s1, s6, v12
	s_cselect_b32 s26, -1, 0
	s_and_b32 s27, vcc_lo, s2
	s_and_b32 s28, vcc_lo, s3
	v_cmp_gt_i32_e32 vcc_lo, s6, v10
	v_cmp_le_i32_e64 s2, v0, v10
	v_cmp_le_i32_e64 s3, v2, v10
	v_lshlrev_b32_e32 v12, 2, v12
	v_mad_co_i64_i32 v[10:11], null, v10, s18, 0
	s_and_b32 s6, vcc_lo, s2
	s_and_b32 s18, vcc_lo, s3
	v_add_co_u32 v4, vcc_lo, v4, v13
	s_delay_alu instid0(VALU_DEP_1)
	v_add_co_ci_u32_e64 v5, null, 0, v5, vcc_lo
	v_add_co_u32 v6, vcc_lo, v6, v12
	s_wait_alu 0xfffd
	v_add_co_ci_u32_e64 v7, null, 0, v7, vcc_lo
	v_add_co_u32 v4, vcc_lo, s10, v4
	s_wait_alu 0xfffd
	v_add_co_ci_u32_e64 v5, null, s11, v5, vcc_lo
	v_add_co_u32 v6, vcc_lo, s14, v6
	v_lshlrev_b64_e32 v[8:9], 2, v[8:9]
	v_lshlrev_b64_e32 v[10:11], 2, v[10:11]
	v_ashrrev_i32_e32 v1, 31, v0
	v_ashrrev_i32_e32 v3, 31, v2
	s_wait_alu 0xfffd
	v_add_co_ci_u32_e64 v7, null, s15, v7, vcc_lo
	s_mov_b32 s9, 0
	s_and_b32 s14, s30, s31
	s_lshl_b64 s[2:3], s[12:13], 2
	s_lshl_b64 s[4:5], s[4:5], 2
	;; [unrolled: 1-line block ×3, first 2 shown]
	s_branch .LBB4_6
.LBB4_5:                                ;   in Loop: Header=BB4_6 Depth=1
	s_wait_alu 0xfffe
	s_or_b32 exec_lo, exec_lo, s12
	s_add_co_i32 s8, s8, 0x10000
	s_wait_alu 0xfffe
	s_cmp_lt_u32 s8, s25
	s_cbranch_scc0 .LBB4_33
.LBB4_6:                                ; =>This Loop Header: Depth=1
                                        ;     Child Loop BB4_9 Depth 2
	v_dual_mov_b32 v25, 0 :: v_dual_mov_b32 v24, 0
	v_dual_mov_b32 v23, 0 :: v_dual_mov_b32 v22, 0
	s_wait_alu 0xfffe
	s_and_not1_b32 vcc_lo, exec_lo, s14
	s_wait_alu 0xfffe
	s_cbranch_vccnz .LBB4_13
; %bb.7:                                ;   in Loop: Header=BB4_6 Depth=1
	v_mad_co_u64_u32 v[12:13], null, s2, s8, v[4:5]
	v_mad_co_u64_u32 v[14:15], null, s4, s8, v[6:7]
	v_dual_mov_b32 v22, 0 :: v_dual_mov_b32 v23, 0
	s_mov_b32 s12, 0
	s_delay_alu instid0(VALU_DEP_2) | instskip(NEXT) | instid1(VALU_DEP_3)
	v_mad_co_u64_u32 v[25:26], null, s3, s8, v[13:14]
	v_mad_co_u64_u32 v[26:27], null, s5, s8, v[15:16]
	s_delay_alu instid0(VALU_DEP_2) | instskip(SKIP_1) | instid1(VALU_DEP_3)
	v_dual_mov_b32 v24, 0 :: v_dual_mov_b32 v13, v25
	v_mov_b32_e32 v25, 0
	v_mov_b32_e32 v15, v26
	s_branch .LBB4_9
.LBB4_8:                                ;   in Loop: Header=BB4_9 Depth=2
	s_wait_alu 0xfffe
	s_or_b32 exec_lo, exec_lo, s13
	s_wait_loadcnt 0x0
	ds_store_b32 v19, v27
	s_wait_dscnt 0x0
	s_barrier_signal -1
	s_barrier_wait -1
	global_inv scope:SCOPE_SE
	ds_load_b128 v[26:29], v21
	ds_load_2addr_b32 v[42:43], v20 offset1:16
	ds_load_b128 v[30:33], v21 offset:512
	ds_load_2addr_b32 v[44:45], v20 offset0:32 offset1:48
	ds_load_2addr_b32 v[46:47], v20 offset0:64 offset1:80
	;; [unrolled: 1-line block ×3, first 2 shown]
	ds_load_b128 v[34:37], v21 offset:16
	ds_load_2addr_b32 v[50:51], v20 offset0:128 offset1:144
	ds_load_b128 v[38:41], v21 offset:528
	v_add_co_u32 v12, vcc_lo, v12, 32
	s_wait_alu 0xfffd
	v_add_co_ci_u32_e64 v13, null, 0, v13, vcc_lo
	v_add_co_u32 v14, vcc_lo, v14, s10
	s_wait_alu 0xfffd
	v_add_co_ci_u32_e64 v15, null, s11, v15, vcc_lo
	s_add_co_i32 s12, s12, 8
	s_wait_alu 0xfffe
	s_cmp_lt_i32 s12, s7
	s_wait_dscnt 0x7
	v_fmac_f32_e32 v24, v43, v26
	v_fmac_f32_e32 v25, v42, v26
	s_wait_dscnt 0x6
	v_fmac_f32_e32 v22, v43, v30
	v_fmac_f32_e32 v23, v42, v30
	ds_load_2addr_b32 v[42:43], v20 offset0:160 offset1:176
	s_wait_dscnt 0x6
	v_fmac_f32_e32 v24, v45, v27
	v_fmac_f32_e32 v25, v44, v27
	v_fmac_f32_e32 v22, v45, v31
	v_fmac_f32_e32 v23, v44, v31
	ds_load_2addr_b32 v[26:27], v20 offset0:192 offset1:208
	s_wait_dscnt 0x6
	v_fmac_f32_e32 v24, v47, v28
	v_fmac_f32_e32 v25, v46, v28
	;; [unrolled: 6-line block ×3, first 2 shown]
	v_fmac_f32_e32 v22, v49, v33
	v_fmac_f32_e32 v23, v48, v33
	s_wait_loadcnt_dscnt 0x0
	v_fmac_f32_e32 v24, v51, v34
	v_fmac_f32_e32 v25, v50, v34
	v_fmac_f32_e32 v22, v51, v38
	v_fmac_f32_e32 v23, v50, v38
	s_barrier_signal -1
	v_fmac_f32_e32 v24, v43, v35
	v_fmac_f32_e32 v25, v42, v35
	v_fmac_f32_e32 v22, v43, v39
	v_fmac_f32_e32 v23, v42, v39
	s_barrier_wait -1
	v_fmac_f32_e32 v24, v27, v36
	v_fmac_f32_e32 v25, v26, v36
	;; [unrolled: 1-line block ×4, first 2 shown]
	global_inv scope:SCOPE_SE
	v_fmac_f32_e32 v24, v31, v37
	v_fmac_f32_e32 v25, v30, v37
	;; [unrolled: 1-line block ×4, first 2 shown]
	s_cbranch_scc0 .LBB4_13
.LBB4_9:                                ;   Parent Loop BB4_6 Depth=1
                                        ; =>  This Inner Loop Header: Depth=2
	s_wait_alu 0xfffe
	v_add_nc_u32_e32 v26, s12, v17
	s_delay_alu instid0(VALU_DEP_1)
	v_cmp_gt_i32_e32 vcc_lo, s7, v26
	v_mov_b32_e32 v26, 0
	s_and_b32 s15, s0, vcc_lo
	s_wait_alu 0xfffe
	s_and_saveexec_b32 s13, s15
	s_cbranch_execz .LBB4_11
; %bb.10:                               ;   in Loop: Header=BB4_9 Depth=2
	global_load_b32 v26, v[12:13], off
.LBB4_11:                               ;   in Loop: Header=BB4_9 Depth=2
	s_wait_alu 0xfffe
	s_or_b32 exec_lo, exec_lo, s13
	v_add_nc_u32_e32 v27, s12, v16
	s_wait_loadcnt 0x0
	ds_store_b32 v18, v26
	v_cmp_gt_i32_e32 vcc_lo, s7, v27
	v_mov_b32_e32 v27, 0
	s_and_b32 s15, vcc_lo, s1
	s_wait_alu 0xfffe
	s_and_saveexec_b32 s13, s15
	s_cbranch_execz .LBB4_8
; %bb.12:                               ;   in Loop: Header=BB4_9 Depth=2
	global_load_b32 v27, v[14:15], off
	s_branch .LBB4_8
.LBB4_13:                               ;   in Loop: Header=BB4_6 Depth=1
	s_mul_u64 s[12:13], s[20:21], s[8:9]
	s_wait_alu 0xfffe
	s_lshl_b64 s[12:13], s[12:13], 2
	s_wait_alu 0xfffe
	s_add_nc_u64 s[12:13], s[16:17], s[12:13]
	s_wait_alu 0xfffe
	v_add_co_u32 v12, vcc_lo, s12, v8
	s_wait_alu 0xfffd
	v_add_co_ci_u32_e64 v13, null, s13, v9, vcc_lo
	s_and_saveexec_b32 s15, s27
	s_cbranch_execz .LBB4_17
; %bb.14:                               ;   in Loop: Header=BB4_6 Depth=1
	v_mul_f32_e32 v14, s24, v25
	s_and_b32 vcc_lo, exec_lo, s26
	s_wait_alu 0xfffe
	s_cbranch_vccz .LBB4_28
; %bb.15:                               ;   in Loop: Header=BB4_6 Depth=1
	v_lshlrev_b64_e32 v[25:26], 2, v[0:1]
	s_delay_alu instid0(VALU_DEP_1) | instskip(SKIP_1) | instid1(VALU_DEP_2)
	v_add_co_u32 v25, vcc_lo, v12, v25
	s_wait_alu 0xfffd
	v_add_co_ci_u32_e64 v26, null, v13, v26, vcc_lo
	global_load_b32 v15, v[25:26], off
	s_wait_loadcnt 0x0
	v_fma_f32 v15, s19, v15, v14
	global_store_b32 v[25:26], v15, off
	s_cbranch_execnz .LBB4_17
.LBB4_16:                               ;   in Loop: Header=BB4_6 Depth=1
	v_lshlrev_b64_e32 v[25:26], 2, v[0:1]
	s_delay_alu instid0(VALU_DEP_1) | instskip(SKIP_1) | instid1(VALU_DEP_2)
	v_add_co_u32 v25, vcc_lo, v12, v25
	s_wait_alu 0xfffd
	v_add_co_ci_u32_e64 v26, null, v13, v26, vcc_lo
	global_store_b32 v[25:26], v14, off
.LBB4_17:                               ;   in Loop: Header=BB4_6 Depth=1
	s_wait_alu 0xfffe
	s_or_b32 exec_lo, exec_lo, s15
	s_and_saveexec_b32 s15, s28
	s_cbranch_execz .LBB4_21
; %bb.18:                               ;   in Loop: Header=BB4_6 Depth=1
	v_mul_f32_e32 v14, s24, v24
	s_and_not1_b32 vcc_lo, exec_lo, s26
	s_wait_alu 0xfffe
	s_cbranch_vccnz .LBB4_29
; %bb.19:                               ;   in Loop: Header=BB4_6 Depth=1
	v_lshlrev_b64_e32 v[24:25], 2, v[2:3]
	s_delay_alu instid0(VALU_DEP_1) | instskip(SKIP_1) | instid1(VALU_DEP_2)
	v_add_co_u32 v24, vcc_lo, v12, v24
	s_wait_alu 0xfffd
	v_add_co_ci_u32_e64 v25, null, v13, v25, vcc_lo
	global_load_b32 v15, v[24:25], off
	s_wait_loadcnt 0x0
	v_fma_f32 v15, s19, v15, v14
	global_store_b32 v[24:25], v15, off
	s_cbranch_execnz .LBB4_21
.LBB4_20:                               ;   in Loop: Header=BB4_6 Depth=1
	v_lshlrev_b64_e32 v[24:25], 2, v[2:3]
	s_delay_alu instid0(VALU_DEP_1) | instskip(SKIP_1) | instid1(VALU_DEP_2)
	v_add_co_u32 v12, vcc_lo, v12, v24
	s_wait_alu 0xfffd
	v_add_co_ci_u32_e64 v13, null, v13, v25, vcc_lo
	global_store_b32 v[12:13], v14, off
.LBB4_21:                               ;   in Loop: Header=BB4_6 Depth=1
	s_wait_alu 0xfffe
	s_or_b32 exec_lo, exec_lo, s15
	v_add_co_u32 v14, vcc_lo, s12, v10
	s_wait_alu 0xfffd
	v_add_co_ci_u32_e64 v15, null, s13, v11, vcc_lo
	s_and_saveexec_b32 s12, s6
	s_cbranch_execz .LBB4_25
; %bb.22:                               ;   in Loop: Header=BB4_6 Depth=1
	v_lshlrev_b64_e32 v[12:13], 2, v[0:1]
	v_mul_f32_e32 v23, s24, v23
	s_and_not1_b32 vcc_lo, exec_lo, s26
	s_wait_alu 0xfffe
	s_cbranch_vccnz .LBB4_30
; %bb.23:                               ;   in Loop: Header=BB4_6 Depth=1
	s_delay_alu instid0(VALU_DEP_2)
	v_add_co_u32 v24, vcc_lo, v14, v12
	s_wait_alu 0xfffd
	v_add_co_ci_u32_e64 v25, null, v15, v13, vcc_lo
	global_load_b32 v26, v[24:25], off
	s_wait_loadcnt 0x0
	v_fma_f32 v26, s19, v26, v23
	global_store_b32 v[24:25], v26, off
	s_cbranch_execnz .LBB4_25
.LBB4_24:                               ;   in Loop: Header=BB4_6 Depth=1
	v_add_co_u32 v12, vcc_lo, v14, v12
	s_wait_alu 0xfffd
	v_add_co_ci_u32_e64 v13, null, v15, v13, vcc_lo
	global_store_b32 v[12:13], v23, off
.LBB4_25:                               ;   in Loop: Header=BB4_6 Depth=1
	s_wait_alu 0xfffe
	s_or_b32 exec_lo, exec_lo, s12
	s_and_saveexec_b32 s12, s18
	s_cbranch_execz .LBB4_5
; %bb.26:                               ;   in Loop: Header=BB4_6 Depth=1
	v_lshlrev_b64_e32 v[12:13], 2, v[2:3]
	v_mul_f32_e32 v22, s24, v22
	s_and_not1_b32 vcc_lo, exec_lo, s26
	s_wait_alu 0xfffe
	s_cbranch_vccnz .LBB4_31
; %bb.27:                               ;   in Loop: Header=BB4_6 Depth=1
	s_delay_alu instid0(VALU_DEP_2)
	v_add_co_u32 v23, vcc_lo, v14, v12
	s_wait_alu 0xfffd
	v_add_co_ci_u32_e64 v24, null, v15, v13, vcc_lo
	global_load_b32 v25, v[23:24], off
	s_wait_loadcnt 0x0
	v_fma_f32 v25, s19, v25, v22
	global_store_b32 v[23:24], v25, off
	s_cbranch_execnz .LBB4_5
	s_branch .LBB4_32
.LBB4_28:                               ;   in Loop: Header=BB4_6 Depth=1
	s_branch .LBB4_16
.LBB4_29:                               ;   in Loop: Header=BB4_6 Depth=1
	s_branch .LBB4_20
.LBB4_30:                               ;   in Loop: Header=BB4_6 Depth=1
	s_branch .LBB4_24
.LBB4_31:                               ;   in Loop: Header=BB4_6 Depth=1
.LBB4_32:                               ;   in Loop: Header=BB4_6 Depth=1
	s_delay_alu instid0(VALU_DEP_2)
	v_add_co_u32 v12, vcc_lo, v14, v12
	s_wait_alu 0xfffd
	v_add_co_ci_u32_e64 v13, null, v15, v13, vcc_lo
	global_store_b32 v[12:13], v22, off
	s_branch .LBB4_5
.LBB4_33:
	s_endpgm
	.section	.rodata,"a",@progbits
	.p2align	6, 0x0
	.amdhsa_kernel _ZL29rocblas_internal_gemmt_kernelIiLi16ELi32ELi8ELc84ELc84ELc85ELb0ELb0EfPKfS1_PfEviT_T9_T10_S3_lS5_S3_lS4_T11_S3_li
		.amdhsa_group_segment_fixed_size 2048
		.amdhsa_private_segment_fixed_size 0
		.amdhsa_kernarg_size 100
		.amdhsa_user_sgpr_count 2
		.amdhsa_user_sgpr_dispatch_ptr 0
		.amdhsa_user_sgpr_queue_ptr 0
		.amdhsa_user_sgpr_kernarg_segment_ptr 1
		.amdhsa_user_sgpr_dispatch_id 0
		.amdhsa_user_sgpr_private_segment_size 0
		.amdhsa_wavefront_size32 1
		.amdhsa_uses_dynamic_stack 0
		.amdhsa_enable_private_segment 0
		.amdhsa_system_sgpr_workgroup_id_x 1
		.amdhsa_system_sgpr_workgroup_id_y 1
		.amdhsa_system_sgpr_workgroup_id_z 1
		.amdhsa_system_sgpr_workgroup_info 0
		.amdhsa_system_vgpr_workitem_id 1
		.amdhsa_next_free_vgpr 52
		.amdhsa_next_free_sgpr 32
		.amdhsa_reserve_vcc 1
		.amdhsa_float_round_mode_32 0
		.amdhsa_float_round_mode_16_64 0
		.amdhsa_float_denorm_mode_32 3
		.amdhsa_float_denorm_mode_16_64 3
		.amdhsa_fp16_overflow 0
		.amdhsa_workgroup_processor_mode 1
		.amdhsa_memory_ordered 1
		.amdhsa_forward_progress 1
		.amdhsa_inst_pref_size 15
		.amdhsa_round_robin_scheduling 0
		.amdhsa_exception_fp_ieee_invalid_op 0
		.amdhsa_exception_fp_denorm_src 0
		.amdhsa_exception_fp_ieee_div_zero 0
		.amdhsa_exception_fp_ieee_overflow 0
		.amdhsa_exception_fp_ieee_underflow 0
		.amdhsa_exception_fp_ieee_inexact 0
		.amdhsa_exception_int_div_zero 0
	.end_amdhsa_kernel
	.section	.text._ZL29rocblas_internal_gemmt_kernelIiLi16ELi32ELi8ELc84ELc84ELc85ELb0ELb0EfPKfS1_PfEviT_T9_T10_S3_lS5_S3_lS4_T11_S3_li,"axG",@progbits,_ZL29rocblas_internal_gemmt_kernelIiLi16ELi32ELi8ELc84ELc84ELc85ELb0ELb0EfPKfS1_PfEviT_T9_T10_S3_lS5_S3_lS4_T11_S3_li,comdat
.Lfunc_end4:
	.size	_ZL29rocblas_internal_gemmt_kernelIiLi16ELi32ELi8ELc84ELc84ELc85ELb0ELb0EfPKfS1_PfEviT_T9_T10_S3_lS5_S3_lS4_T11_S3_li, .Lfunc_end4-_ZL29rocblas_internal_gemmt_kernelIiLi16ELi32ELi8ELc84ELc84ELc85ELb0ELb0EfPKfS1_PfEviT_T9_T10_S3_lS5_S3_lS4_T11_S3_li
                                        ; -- End function
	.set _ZL29rocblas_internal_gemmt_kernelIiLi16ELi32ELi8ELc84ELc84ELc85ELb0ELb0EfPKfS1_PfEviT_T9_T10_S3_lS5_S3_lS4_T11_S3_li.num_vgpr, 52
	.set _ZL29rocblas_internal_gemmt_kernelIiLi16ELi32ELi8ELc84ELc84ELc85ELb0ELb0EfPKfS1_PfEviT_T9_T10_S3_lS5_S3_lS4_T11_S3_li.num_agpr, 0
	.set _ZL29rocblas_internal_gemmt_kernelIiLi16ELi32ELi8ELc84ELc84ELc85ELb0ELb0EfPKfS1_PfEviT_T9_T10_S3_lS5_S3_lS4_T11_S3_li.numbered_sgpr, 32
	.set _ZL29rocblas_internal_gemmt_kernelIiLi16ELi32ELi8ELc84ELc84ELc85ELb0ELb0EfPKfS1_PfEviT_T9_T10_S3_lS5_S3_lS4_T11_S3_li.num_named_barrier, 0
	.set _ZL29rocblas_internal_gemmt_kernelIiLi16ELi32ELi8ELc84ELc84ELc85ELb0ELb0EfPKfS1_PfEviT_T9_T10_S3_lS5_S3_lS4_T11_S3_li.private_seg_size, 0
	.set _ZL29rocblas_internal_gemmt_kernelIiLi16ELi32ELi8ELc84ELc84ELc85ELb0ELb0EfPKfS1_PfEviT_T9_T10_S3_lS5_S3_lS4_T11_S3_li.uses_vcc, 1
	.set _ZL29rocblas_internal_gemmt_kernelIiLi16ELi32ELi8ELc84ELc84ELc85ELb0ELb0EfPKfS1_PfEviT_T9_T10_S3_lS5_S3_lS4_T11_S3_li.uses_flat_scratch, 0
	.set _ZL29rocblas_internal_gemmt_kernelIiLi16ELi32ELi8ELc84ELc84ELc85ELb0ELb0EfPKfS1_PfEviT_T9_T10_S3_lS5_S3_lS4_T11_S3_li.has_dyn_sized_stack, 0
	.set _ZL29rocblas_internal_gemmt_kernelIiLi16ELi32ELi8ELc84ELc84ELc85ELb0ELb0EfPKfS1_PfEviT_T9_T10_S3_lS5_S3_lS4_T11_S3_li.has_recursion, 0
	.set _ZL29rocblas_internal_gemmt_kernelIiLi16ELi32ELi8ELc84ELc84ELc85ELb0ELb0EfPKfS1_PfEviT_T9_T10_S3_lS5_S3_lS4_T11_S3_li.has_indirect_call, 0
	.section	.AMDGPU.csdata,"",@progbits
; Kernel info:
; codeLenInByte = 1820
; TotalNumSgprs: 34
; NumVgprs: 52
; ScratchSize: 0
; MemoryBound: 0
; FloatMode: 240
; IeeeMode: 1
; LDSByteSize: 2048 bytes/workgroup (compile time only)
; SGPRBlocks: 0
; VGPRBlocks: 6
; NumSGPRsForWavesPerEU: 34
; NumVGPRsForWavesPerEU: 52
; Occupancy: 16
; WaveLimiterHint : 0
; COMPUTE_PGM_RSRC2:SCRATCH_EN: 0
; COMPUTE_PGM_RSRC2:USER_SGPR: 2
; COMPUTE_PGM_RSRC2:TRAP_HANDLER: 0
; COMPUTE_PGM_RSRC2:TGID_X_EN: 1
; COMPUTE_PGM_RSRC2:TGID_Y_EN: 1
; COMPUTE_PGM_RSRC2:TGID_Z_EN: 1
; COMPUTE_PGM_RSRC2:TIDIG_COMP_CNT: 1
	.section	.text._ZL29rocblas_internal_gemmt_kernelIiLi16ELi32ELi8ELc84ELc67ELc85ELb0ELb0EfPKfS1_PfEviT_T9_T10_S3_lS5_S3_lS4_T11_S3_li,"axG",@progbits,_ZL29rocblas_internal_gemmt_kernelIiLi16ELi32ELi8ELc84ELc67ELc85ELb0ELb0EfPKfS1_PfEviT_T9_T10_S3_lS5_S3_lS4_T11_S3_li,comdat
	.globl	_ZL29rocblas_internal_gemmt_kernelIiLi16ELi32ELi8ELc84ELc67ELc85ELb0ELb0EfPKfS1_PfEviT_T9_T10_S3_lS5_S3_lS4_T11_S3_li ; -- Begin function _ZL29rocblas_internal_gemmt_kernelIiLi16ELi32ELi8ELc84ELc67ELc85ELb0ELb0EfPKfS1_PfEviT_T9_T10_S3_lS5_S3_lS4_T11_S3_li
	.p2align	8
	.type	_ZL29rocblas_internal_gemmt_kernelIiLi16ELi32ELi8ELc84ELc67ELc85ELb0ELb0EfPKfS1_PfEviT_T9_T10_S3_lS5_S3_lS4_T11_S3_li,@function
_ZL29rocblas_internal_gemmt_kernelIiLi16ELi32ELi8ELc84ELc67ELc85ELb0ELb0EfPKfS1_PfEviT_T9_T10_S3_lS5_S3_lS4_T11_S3_li: ; @_ZL29rocblas_internal_gemmt_kernelIiLi16ELi32ELi8ELc84ELc67ELc85ELb0ELb0EfPKfS1_PfEviT_T9_T10_S3_lS5_S3_lS4_T11_S3_li
; %bb.0:
	s_clause 0x1
	s_load_b128 s[4:7], s[0:1], 0x38
	s_load_b128 s[8:11], s[0:1], 0x8
	s_wait_kmcnt 0x0
	s_load_b32 s19, s[6:7], 0x0
	s_load_b64 s[6:7], s[0:1], 0x0
	s_load_b32 s24, s[8:9], 0x0
	s_wait_kmcnt 0x0
	s_cmp_neq_f32 s19, 1.0
	s_cselect_b32 s2, -1, 0
	s_delay_alu instid0(SALU_CYCLE_1)
	s_and_b32 vcc_lo, exec_lo, s2
	s_cbranch_vccnz .LBB5_2
; %bb.1:
	s_cmp_lg_u32 s7, 0
	s_cselect_b32 s2, -1, 0
	s_cmp_neq_f32 s24, 0
	s_cselect_b32 s3, -1, 0
	s_delay_alu instid0(SALU_CYCLE_1)
	s_and_b32 s2, s2, s3
.LBB5_2:
	s_delay_alu instid0(SALU_CYCLE_1)
	s_and_not1_b32 vcc_lo, exec_lo, s2
	s_cbranch_vccnz .LBB5_33
; %bb.3:
	s_load_b32 s25, s[0:1], 0x60
	s_lshr_b32 s8, ttmp7, 16
	s_wait_kmcnt 0x0
	s_cmp_ge_u32 s8, s25
	s_cbranch_scc1 .LBB5_33
; %bb.4:
	v_and_b32_e32 v1, 0x3ff, v0
	v_bfe_u32 v3, v0, 10, 10
	v_and_b32_e32 v16, 7, v0
	s_clause 0x4
	s_load_b32 s22, s[0:1], 0x30
	s_load_b32 s29, s[0:1], 0x18
	s_load_b128 s[12:15], s[0:1], 0x20
	s_load_b96 s[16:18], s[0:1], 0x48
	s_load_b64 s[20:21], s[0:1], 0x58
	v_lshl_add_u32 v0, v3, 4, v1
	v_lshlrev_b32_e32 v5, 2, v16
	s_lshl_b32 s2, ttmp9, 5
	s_lshl_b32 s0, ttmp7, 5
	v_lshlrev_b32_e32 v20, 2, v1
	v_and_b32_e32 v2, 31, v0
	v_lshrrev_b32_e32 v4, 3, v0
	v_lshrrev_b32_e32 v17, 5, v0
	s_and_b32 s3, s0, 0x1fffe0
	v_lshl_add_u32 v21, v3, 5, 0x400
	v_lshlrev_b32_e32 v0, 2, v2
	v_or_b32_e32 v6, s2, v2
	v_lshl_or_b32 v2, v4, 5, v5
	v_add_nc_u32_e32 v12, s3, v4
	v_add_nc_u32_e32 v4, s3, v3
	v_lshl_or_b32 v18, v17, 7, v0
	v_add_nc_u32_e32 v0, s2, v1
	v_add_nc_u32_e32 v19, 0x400, v2
	s_wait_kmcnt 0x0
	s_ashr_i32 s23, s22, 31
	s_cmp_neq_f32 s24, 0
	v_cmp_gt_i32_e32 vcc_lo, s6, v4
	v_add_nc_u32_e32 v2, 16, v0
	v_cmp_le_i32_e64 s2, v0, v4
	v_mad_co_i64_i32 v[8:9], null, v4, s18, 0
	v_add_nc_u32_e32 v10, 16, v4
	s_delay_alu instid0(VALU_DEP_4)
	v_cmp_le_i32_e64 s3, v2, v4
	v_mad_co_i64_i32 v[4:5], null, s29, v6, 0
	v_cmp_gt_i32_e64 s0, s6, v6
	v_mad_co_i64_i32 v[6:7], null, s22, v16, 0
	s_cselect_b32 s30, -1, 0
	s_cmp_gt_i32 s7, 0
	v_lshlrev_b32_e32 v13, 2, v17
	s_cselect_b32 s31, -1, 0
	s_cmp_neq_f32 s19, 0
	v_lshlrev_b64_e32 v[4:5], 2, v[4:5]
	v_lshlrev_b64_e32 v[6:7], 2, v[6:7]
	v_cmp_gt_i32_e64 s1, s6, v12
	s_cselect_b32 s26, -1, 0
	s_and_b32 s27, vcc_lo, s2
	s_and_b32 s28, vcc_lo, s3
	v_cmp_gt_i32_e32 vcc_lo, s6, v10
	v_cmp_le_i32_e64 s2, v0, v10
	v_cmp_le_i32_e64 s3, v2, v10
	v_lshlrev_b32_e32 v12, 2, v12
	v_mad_co_i64_i32 v[10:11], null, v10, s18, 0
	s_and_b32 s6, vcc_lo, s2
	s_and_b32 s18, vcc_lo, s3
	v_add_co_u32 v4, vcc_lo, v4, v13
	s_delay_alu instid0(VALU_DEP_1)
	v_add_co_ci_u32_e64 v5, null, 0, v5, vcc_lo
	v_add_co_u32 v6, vcc_lo, v6, v12
	s_wait_alu 0xfffd
	v_add_co_ci_u32_e64 v7, null, 0, v7, vcc_lo
	v_add_co_u32 v4, vcc_lo, s10, v4
	s_wait_alu 0xfffd
	v_add_co_ci_u32_e64 v5, null, s11, v5, vcc_lo
	v_add_co_u32 v6, vcc_lo, s14, v6
	v_lshlrev_b64_e32 v[8:9], 2, v[8:9]
	v_lshlrev_b64_e32 v[10:11], 2, v[10:11]
	v_ashrrev_i32_e32 v1, 31, v0
	v_ashrrev_i32_e32 v3, 31, v2
	s_wait_alu 0xfffd
	v_add_co_ci_u32_e64 v7, null, s15, v7, vcc_lo
	s_mov_b32 s9, 0
	s_and_b32 s14, s30, s31
	s_lshl_b64 s[2:3], s[12:13], 2
	s_lshl_b64 s[4:5], s[4:5], 2
	s_lshl_b64 s[10:11], s[22:23], 5
	s_branch .LBB5_6
.LBB5_5:                                ;   in Loop: Header=BB5_6 Depth=1
	s_wait_alu 0xfffe
	s_or_b32 exec_lo, exec_lo, s12
	s_add_co_i32 s8, s8, 0x10000
	s_wait_alu 0xfffe
	s_cmp_lt_u32 s8, s25
	s_cbranch_scc0 .LBB5_33
.LBB5_6:                                ; =>This Loop Header: Depth=1
                                        ;     Child Loop BB5_9 Depth 2
	v_dual_mov_b32 v25, 0 :: v_dual_mov_b32 v24, 0
	v_dual_mov_b32 v23, 0 :: v_dual_mov_b32 v22, 0
	s_wait_alu 0xfffe
	s_and_not1_b32 vcc_lo, exec_lo, s14
	s_wait_alu 0xfffe
	s_cbranch_vccnz .LBB5_13
; %bb.7:                                ;   in Loop: Header=BB5_6 Depth=1
	v_mad_co_u64_u32 v[12:13], null, s2, s8, v[4:5]
	v_mad_co_u64_u32 v[14:15], null, s4, s8, v[6:7]
	v_dual_mov_b32 v22, 0 :: v_dual_mov_b32 v23, 0
	s_mov_b32 s12, 0
	s_delay_alu instid0(VALU_DEP_2) | instskip(NEXT) | instid1(VALU_DEP_3)
	v_mad_co_u64_u32 v[25:26], null, s3, s8, v[13:14]
	v_mad_co_u64_u32 v[26:27], null, s5, s8, v[15:16]
	s_delay_alu instid0(VALU_DEP_2) | instskip(SKIP_1) | instid1(VALU_DEP_3)
	v_dual_mov_b32 v24, 0 :: v_dual_mov_b32 v13, v25
	v_mov_b32_e32 v25, 0
	v_mov_b32_e32 v15, v26
	s_branch .LBB5_9
.LBB5_8:                                ;   in Loop: Header=BB5_9 Depth=2
	s_wait_alu 0xfffe
	s_or_b32 exec_lo, exec_lo, s13
	s_wait_loadcnt 0x0
	ds_store_b32 v19, v27
	s_wait_dscnt 0x0
	s_barrier_signal -1
	s_barrier_wait -1
	global_inv scope:SCOPE_SE
	ds_load_b128 v[26:29], v21
	ds_load_2addr_b32 v[42:43], v20 offset1:16
	ds_load_b128 v[30:33], v21 offset:512
	ds_load_2addr_b32 v[44:45], v20 offset0:32 offset1:48
	ds_load_2addr_b32 v[46:47], v20 offset0:64 offset1:80
	;; [unrolled: 1-line block ×3, first 2 shown]
	ds_load_b128 v[34:37], v21 offset:16
	ds_load_2addr_b32 v[50:51], v20 offset0:128 offset1:144
	ds_load_b128 v[38:41], v21 offset:528
	v_add_co_u32 v12, vcc_lo, v12, 32
	s_wait_alu 0xfffd
	v_add_co_ci_u32_e64 v13, null, 0, v13, vcc_lo
	v_add_co_u32 v14, vcc_lo, v14, s10
	s_wait_alu 0xfffd
	v_add_co_ci_u32_e64 v15, null, s11, v15, vcc_lo
	s_add_co_i32 s12, s12, 8
	s_wait_alu 0xfffe
	s_cmp_lt_i32 s12, s7
	s_wait_dscnt 0x7
	v_fmac_f32_e32 v24, v43, v26
	v_fmac_f32_e32 v25, v42, v26
	s_wait_dscnt 0x6
	v_fmac_f32_e32 v22, v43, v30
	v_fmac_f32_e32 v23, v42, v30
	ds_load_2addr_b32 v[42:43], v20 offset0:160 offset1:176
	s_wait_dscnt 0x6
	v_fmac_f32_e32 v24, v45, v27
	v_fmac_f32_e32 v25, v44, v27
	v_fmac_f32_e32 v22, v45, v31
	v_fmac_f32_e32 v23, v44, v31
	ds_load_2addr_b32 v[26:27], v20 offset0:192 offset1:208
	s_wait_dscnt 0x6
	v_fmac_f32_e32 v24, v47, v28
	v_fmac_f32_e32 v25, v46, v28
	;; [unrolled: 6-line block ×3, first 2 shown]
	v_fmac_f32_e32 v22, v49, v33
	v_fmac_f32_e32 v23, v48, v33
	s_wait_loadcnt_dscnt 0x0
	v_fmac_f32_e32 v24, v51, v34
	v_fmac_f32_e32 v25, v50, v34
	v_fmac_f32_e32 v22, v51, v38
	v_fmac_f32_e32 v23, v50, v38
	s_barrier_signal -1
	v_fmac_f32_e32 v24, v43, v35
	v_fmac_f32_e32 v25, v42, v35
	;; [unrolled: 1-line block ×4, first 2 shown]
	s_barrier_wait -1
	v_fmac_f32_e32 v24, v27, v36
	v_fmac_f32_e32 v25, v26, v36
	;; [unrolled: 1-line block ×4, first 2 shown]
	global_inv scope:SCOPE_SE
	v_fmac_f32_e32 v24, v31, v37
	v_fmac_f32_e32 v25, v30, v37
	;; [unrolled: 1-line block ×4, first 2 shown]
	s_cbranch_scc0 .LBB5_13
.LBB5_9:                                ;   Parent Loop BB5_6 Depth=1
                                        ; =>  This Inner Loop Header: Depth=2
	s_wait_alu 0xfffe
	v_add_nc_u32_e32 v26, s12, v17
	s_delay_alu instid0(VALU_DEP_1)
	v_cmp_gt_i32_e32 vcc_lo, s7, v26
	v_mov_b32_e32 v26, 0
	s_and_b32 s15, s0, vcc_lo
	s_wait_alu 0xfffe
	s_and_saveexec_b32 s13, s15
	s_cbranch_execz .LBB5_11
; %bb.10:                               ;   in Loop: Header=BB5_9 Depth=2
	global_load_b32 v26, v[12:13], off
.LBB5_11:                               ;   in Loop: Header=BB5_9 Depth=2
	s_wait_alu 0xfffe
	s_or_b32 exec_lo, exec_lo, s13
	v_add_nc_u32_e32 v27, s12, v16
	s_wait_loadcnt 0x0
	ds_store_b32 v18, v26
	v_cmp_gt_i32_e32 vcc_lo, s7, v27
	v_mov_b32_e32 v27, 0
	s_and_b32 s15, vcc_lo, s1
	s_wait_alu 0xfffe
	s_and_saveexec_b32 s13, s15
	s_cbranch_execz .LBB5_8
; %bb.12:                               ;   in Loop: Header=BB5_9 Depth=2
	global_load_b32 v27, v[14:15], off
	s_branch .LBB5_8
.LBB5_13:                               ;   in Loop: Header=BB5_6 Depth=1
	s_mul_u64 s[12:13], s[20:21], s[8:9]
	s_wait_alu 0xfffe
	s_lshl_b64 s[12:13], s[12:13], 2
	s_wait_alu 0xfffe
	s_add_nc_u64 s[12:13], s[16:17], s[12:13]
	s_wait_alu 0xfffe
	v_add_co_u32 v12, vcc_lo, s12, v8
	s_wait_alu 0xfffd
	v_add_co_ci_u32_e64 v13, null, s13, v9, vcc_lo
	s_and_saveexec_b32 s15, s27
	s_cbranch_execz .LBB5_17
; %bb.14:                               ;   in Loop: Header=BB5_6 Depth=1
	v_mul_f32_e32 v14, s24, v25
	s_and_b32 vcc_lo, exec_lo, s26
	s_wait_alu 0xfffe
	s_cbranch_vccz .LBB5_28
; %bb.15:                               ;   in Loop: Header=BB5_6 Depth=1
	v_lshlrev_b64_e32 v[25:26], 2, v[0:1]
	s_delay_alu instid0(VALU_DEP_1) | instskip(SKIP_1) | instid1(VALU_DEP_2)
	v_add_co_u32 v25, vcc_lo, v12, v25
	s_wait_alu 0xfffd
	v_add_co_ci_u32_e64 v26, null, v13, v26, vcc_lo
	global_load_b32 v15, v[25:26], off
	s_wait_loadcnt 0x0
	v_fma_f32 v15, s19, v15, v14
	global_store_b32 v[25:26], v15, off
	s_cbranch_execnz .LBB5_17
.LBB5_16:                               ;   in Loop: Header=BB5_6 Depth=1
	v_lshlrev_b64_e32 v[25:26], 2, v[0:1]
	s_delay_alu instid0(VALU_DEP_1) | instskip(SKIP_1) | instid1(VALU_DEP_2)
	v_add_co_u32 v25, vcc_lo, v12, v25
	s_wait_alu 0xfffd
	v_add_co_ci_u32_e64 v26, null, v13, v26, vcc_lo
	global_store_b32 v[25:26], v14, off
.LBB5_17:                               ;   in Loop: Header=BB5_6 Depth=1
	s_wait_alu 0xfffe
	s_or_b32 exec_lo, exec_lo, s15
	s_and_saveexec_b32 s15, s28
	s_cbranch_execz .LBB5_21
; %bb.18:                               ;   in Loop: Header=BB5_6 Depth=1
	v_mul_f32_e32 v14, s24, v24
	s_and_not1_b32 vcc_lo, exec_lo, s26
	s_wait_alu 0xfffe
	s_cbranch_vccnz .LBB5_29
; %bb.19:                               ;   in Loop: Header=BB5_6 Depth=1
	v_lshlrev_b64_e32 v[24:25], 2, v[2:3]
	s_delay_alu instid0(VALU_DEP_1) | instskip(SKIP_1) | instid1(VALU_DEP_2)
	v_add_co_u32 v24, vcc_lo, v12, v24
	s_wait_alu 0xfffd
	v_add_co_ci_u32_e64 v25, null, v13, v25, vcc_lo
	global_load_b32 v15, v[24:25], off
	s_wait_loadcnt 0x0
	v_fma_f32 v15, s19, v15, v14
	global_store_b32 v[24:25], v15, off
	s_cbranch_execnz .LBB5_21
.LBB5_20:                               ;   in Loop: Header=BB5_6 Depth=1
	v_lshlrev_b64_e32 v[24:25], 2, v[2:3]
	s_delay_alu instid0(VALU_DEP_1) | instskip(SKIP_1) | instid1(VALU_DEP_2)
	v_add_co_u32 v12, vcc_lo, v12, v24
	s_wait_alu 0xfffd
	v_add_co_ci_u32_e64 v13, null, v13, v25, vcc_lo
	global_store_b32 v[12:13], v14, off
.LBB5_21:                               ;   in Loop: Header=BB5_6 Depth=1
	s_wait_alu 0xfffe
	s_or_b32 exec_lo, exec_lo, s15
	v_add_co_u32 v14, vcc_lo, s12, v10
	s_wait_alu 0xfffd
	v_add_co_ci_u32_e64 v15, null, s13, v11, vcc_lo
	s_and_saveexec_b32 s12, s6
	s_cbranch_execz .LBB5_25
; %bb.22:                               ;   in Loop: Header=BB5_6 Depth=1
	v_lshlrev_b64_e32 v[12:13], 2, v[0:1]
	v_mul_f32_e32 v23, s24, v23
	s_and_not1_b32 vcc_lo, exec_lo, s26
	s_wait_alu 0xfffe
	s_cbranch_vccnz .LBB5_30
; %bb.23:                               ;   in Loop: Header=BB5_6 Depth=1
	s_delay_alu instid0(VALU_DEP_2)
	v_add_co_u32 v24, vcc_lo, v14, v12
	s_wait_alu 0xfffd
	v_add_co_ci_u32_e64 v25, null, v15, v13, vcc_lo
	global_load_b32 v26, v[24:25], off
	s_wait_loadcnt 0x0
	v_fma_f32 v26, s19, v26, v23
	global_store_b32 v[24:25], v26, off
	s_cbranch_execnz .LBB5_25
.LBB5_24:                               ;   in Loop: Header=BB5_6 Depth=1
	v_add_co_u32 v12, vcc_lo, v14, v12
	s_wait_alu 0xfffd
	v_add_co_ci_u32_e64 v13, null, v15, v13, vcc_lo
	global_store_b32 v[12:13], v23, off
.LBB5_25:                               ;   in Loop: Header=BB5_6 Depth=1
	s_wait_alu 0xfffe
	s_or_b32 exec_lo, exec_lo, s12
	s_and_saveexec_b32 s12, s18
	s_cbranch_execz .LBB5_5
; %bb.26:                               ;   in Loop: Header=BB5_6 Depth=1
	v_lshlrev_b64_e32 v[12:13], 2, v[2:3]
	v_mul_f32_e32 v22, s24, v22
	s_and_not1_b32 vcc_lo, exec_lo, s26
	s_wait_alu 0xfffe
	s_cbranch_vccnz .LBB5_31
; %bb.27:                               ;   in Loop: Header=BB5_6 Depth=1
	s_delay_alu instid0(VALU_DEP_2)
	v_add_co_u32 v23, vcc_lo, v14, v12
	s_wait_alu 0xfffd
	v_add_co_ci_u32_e64 v24, null, v15, v13, vcc_lo
	global_load_b32 v25, v[23:24], off
	s_wait_loadcnt 0x0
	v_fma_f32 v25, s19, v25, v22
	global_store_b32 v[23:24], v25, off
	s_cbranch_execnz .LBB5_5
	s_branch .LBB5_32
.LBB5_28:                               ;   in Loop: Header=BB5_6 Depth=1
	s_branch .LBB5_16
.LBB5_29:                               ;   in Loop: Header=BB5_6 Depth=1
	s_branch .LBB5_20
.LBB5_30:                               ;   in Loop: Header=BB5_6 Depth=1
	s_branch .LBB5_24
.LBB5_31:                               ;   in Loop: Header=BB5_6 Depth=1
.LBB5_32:                               ;   in Loop: Header=BB5_6 Depth=1
	s_delay_alu instid0(VALU_DEP_2)
	v_add_co_u32 v12, vcc_lo, v14, v12
	s_wait_alu 0xfffd
	v_add_co_ci_u32_e64 v13, null, v15, v13, vcc_lo
	global_store_b32 v[12:13], v22, off
	s_branch .LBB5_5
.LBB5_33:
	s_endpgm
	.section	.rodata,"a",@progbits
	.p2align	6, 0x0
	.amdhsa_kernel _ZL29rocblas_internal_gemmt_kernelIiLi16ELi32ELi8ELc84ELc67ELc85ELb0ELb0EfPKfS1_PfEviT_T9_T10_S3_lS5_S3_lS4_T11_S3_li
		.amdhsa_group_segment_fixed_size 2048
		.amdhsa_private_segment_fixed_size 0
		.amdhsa_kernarg_size 100
		.amdhsa_user_sgpr_count 2
		.amdhsa_user_sgpr_dispatch_ptr 0
		.amdhsa_user_sgpr_queue_ptr 0
		.amdhsa_user_sgpr_kernarg_segment_ptr 1
		.amdhsa_user_sgpr_dispatch_id 0
		.amdhsa_user_sgpr_private_segment_size 0
		.amdhsa_wavefront_size32 1
		.amdhsa_uses_dynamic_stack 0
		.amdhsa_enable_private_segment 0
		.amdhsa_system_sgpr_workgroup_id_x 1
		.amdhsa_system_sgpr_workgroup_id_y 1
		.amdhsa_system_sgpr_workgroup_id_z 1
		.amdhsa_system_sgpr_workgroup_info 0
		.amdhsa_system_vgpr_workitem_id 1
		.amdhsa_next_free_vgpr 52
		.amdhsa_next_free_sgpr 32
		.amdhsa_reserve_vcc 1
		.amdhsa_float_round_mode_32 0
		.amdhsa_float_round_mode_16_64 0
		.amdhsa_float_denorm_mode_32 3
		.amdhsa_float_denorm_mode_16_64 3
		.amdhsa_fp16_overflow 0
		.amdhsa_workgroup_processor_mode 1
		.amdhsa_memory_ordered 1
		.amdhsa_forward_progress 1
		.amdhsa_inst_pref_size 15
		.amdhsa_round_robin_scheduling 0
		.amdhsa_exception_fp_ieee_invalid_op 0
		.amdhsa_exception_fp_denorm_src 0
		.amdhsa_exception_fp_ieee_div_zero 0
		.amdhsa_exception_fp_ieee_overflow 0
		.amdhsa_exception_fp_ieee_underflow 0
		.amdhsa_exception_fp_ieee_inexact 0
		.amdhsa_exception_int_div_zero 0
	.end_amdhsa_kernel
	.section	.text._ZL29rocblas_internal_gemmt_kernelIiLi16ELi32ELi8ELc84ELc67ELc85ELb0ELb0EfPKfS1_PfEviT_T9_T10_S3_lS5_S3_lS4_T11_S3_li,"axG",@progbits,_ZL29rocblas_internal_gemmt_kernelIiLi16ELi32ELi8ELc84ELc67ELc85ELb0ELb0EfPKfS1_PfEviT_T9_T10_S3_lS5_S3_lS4_T11_S3_li,comdat
.Lfunc_end5:
	.size	_ZL29rocblas_internal_gemmt_kernelIiLi16ELi32ELi8ELc84ELc67ELc85ELb0ELb0EfPKfS1_PfEviT_T9_T10_S3_lS5_S3_lS4_T11_S3_li, .Lfunc_end5-_ZL29rocblas_internal_gemmt_kernelIiLi16ELi32ELi8ELc84ELc67ELc85ELb0ELb0EfPKfS1_PfEviT_T9_T10_S3_lS5_S3_lS4_T11_S3_li
                                        ; -- End function
	.set _ZL29rocblas_internal_gemmt_kernelIiLi16ELi32ELi8ELc84ELc67ELc85ELb0ELb0EfPKfS1_PfEviT_T9_T10_S3_lS5_S3_lS4_T11_S3_li.num_vgpr, 52
	.set _ZL29rocblas_internal_gemmt_kernelIiLi16ELi32ELi8ELc84ELc67ELc85ELb0ELb0EfPKfS1_PfEviT_T9_T10_S3_lS5_S3_lS4_T11_S3_li.num_agpr, 0
	.set _ZL29rocblas_internal_gemmt_kernelIiLi16ELi32ELi8ELc84ELc67ELc85ELb0ELb0EfPKfS1_PfEviT_T9_T10_S3_lS5_S3_lS4_T11_S3_li.numbered_sgpr, 32
	.set _ZL29rocblas_internal_gemmt_kernelIiLi16ELi32ELi8ELc84ELc67ELc85ELb0ELb0EfPKfS1_PfEviT_T9_T10_S3_lS5_S3_lS4_T11_S3_li.num_named_barrier, 0
	.set _ZL29rocblas_internal_gemmt_kernelIiLi16ELi32ELi8ELc84ELc67ELc85ELb0ELb0EfPKfS1_PfEviT_T9_T10_S3_lS5_S3_lS4_T11_S3_li.private_seg_size, 0
	.set _ZL29rocblas_internal_gemmt_kernelIiLi16ELi32ELi8ELc84ELc67ELc85ELb0ELb0EfPKfS1_PfEviT_T9_T10_S3_lS5_S3_lS4_T11_S3_li.uses_vcc, 1
	.set _ZL29rocblas_internal_gemmt_kernelIiLi16ELi32ELi8ELc84ELc67ELc85ELb0ELb0EfPKfS1_PfEviT_T9_T10_S3_lS5_S3_lS4_T11_S3_li.uses_flat_scratch, 0
	.set _ZL29rocblas_internal_gemmt_kernelIiLi16ELi32ELi8ELc84ELc67ELc85ELb0ELb0EfPKfS1_PfEviT_T9_T10_S3_lS5_S3_lS4_T11_S3_li.has_dyn_sized_stack, 0
	.set _ZL29rocblas_internal_gemmt_kernelIiLi16ELi32ELi8ELc84ELc67ELc85ELb0ELb0EfPKfS1_PfEviT_T9_T10_S3_lS5_S3_lS4_T11_S3_li.has_recursion, 0
	.set _ZL29rocblas_internal_gemmt_kernelIiLi16ELi32ELi8ELc84ELc67ELc85ELb0ELb0EfPKfS1_PfEviT_T9_T10_S3_lS5_S3_lS4_T11_S3_li.has_indirect_call, 0
	.section	.AMDGPU.csdata,"",@progbits
; Kernel info:
; codeLenInByte = 1820
; TotalNumSgprs: 34
; NumVgprs: 52
; ScratchSize: 0
; MemoryBound: 0
; FloatMode: 240
; IeeeMode: 1
; LDSByteSize: 2048 bytes/workgroup (compile time only)
; SGPRBlocks: 0
; VGPRBlocks: 6
; NumSGPRsForWavesPerEU: 34
; NumVGPRsForWavesPerEU: 52
; Occupancy: 16
; WaveLimiterHint : 0
; COMPUTE_PGM_RSRC2:SCRATCH_EN: 0
; COMPUTE_PGM_RSRC2:USER_SGPR: 2
; COMPUTE_PGM_RSRC2:TRAP_HANDLER: 0
; COMPUTE_PGM_RSRC2:TGID_X_EN: 1
; COMPUTE_PGM_RSRC2:TGID_Y_EN: 1
; COMPUTE_PGM_RSRC2:TGID_Z_EN: 1
; COMPUTE_PGM_RSRC2:TIDIG_COMP_CNT: 1
	.section	.text._ZL29rocblas_internal_gemmt_kernelIiLi16ELi32ELi8ELc67ELc78ELc85ELb0ELb0EfPKfS1_PfEviT_T9_T10_S3_lS5_S3_lS4_T11_S3_li,"axG",@progbits,_ZL29rocblas_internal_gemmt_kernelIiLi16ELi32ELi8ELc67ELc78ELc85ELb0ELb0EfPKfS1_PfEviT_T9_T10_S3_lS5_S3_lS4_T11_S3_li,comdat
	.globl	_ZL29rocblas_internal_gemmt_kernelIiLi16ELi32ELi8ELc67ELc78ELc85ELb0ELb0EfPKfS1_PfEviT_T9_T10_S3_lS5_S3_lS4_T11_S3_li ; -- Begin function _ZL29rocblas_internal_gemmt_kernelIiLi16ELi32ELi8ELc67ELc78ELc85ELb0ELb0EfPKfS1_PfEviT_T9_T10_S3_lS5_S3_lS4_T11_S3_li
	.p2align	8
	.type	_ZL29rocblas_internal_gemmt_kernelIiLi16ELi32ELi8ELc67ELc78ELc85ELb0ELb0EfPKfS1_PfEviT_T9_T10_S3_lS5_S3_lS4_T11_S3_li,@function
_ZL29rocblas_internal_gemmt_kernelIiLi16ELi32ELi8ELc67ELc78ELc85ELb0ELb0EfPKfS1_PfEviT_T9_T10_S3_lS5_S3_lS4_T11_S3_li: ; @_ZL29rocblas_internal_gemmt_kernelIiLi16ELi32ELi8ELc67ELc78ELc85ELb0ELb0EfPKfS1_PfEviT_T9_T10_S3_lS5_S3_lS4_T11_S3_li
; %bb.0:
	s_clause 0x1
	s_load_b128 s[4:7], s[0:1], 0x38
	s_load_b128 s[8:11], s[0:1], 0x8
	s_wait_kmcnt 0x0
	s_load_b32 s19, s[6:7], 0x0
	s_load_b64 s[6:7], s[0:1], 0x0
	s_load_b32 s22, s[8:9], 0x0
	s_wait_kmcnt 0x0
	s_cmp_neq_f32 s19, 1.0
	s_cselect_b32 s2, -1, 0
	s_delay_alu instid0(SALU_CYCLE_1)
	s_and_b32 vcc_lo, exec_lo, s2
	s_cbranch_vccnz .LBB6_2
; %bb.1:
	s_cmp_lg_u32 s7, 0
	s_cselect_b32 s2, -1, 0
	s_cmp_neq_f32 s22, 0
	s_cselect_b32 s3, -1, 0
	s_delay_alu instid0(SALU_CYCLE_1)
	s_and_b32 s2, s2, s3
.LBB6_2:
	s_delay_alu instid0(SALU_CYCLE_1)
	s_and_not1_b32 vcc_lo, exec_lo, s2
	s_cbranch_vccnz .LBB6_33
; %bb.3:
	s_load_b32 s23, s[0:1], 0x60
	s_lshr_b32 s8, ttmp7, 16
	s_wait_kmcnt 0x0
	s_cmp_ge_u32 s8, s23
	s_cbranch_scc1 .LBB6_33
; %bb.4:
	v_and_b32_e32 v1, 0x3ff, v0
	v_bfe_u32 v3, v0, 10, 10
	v_and_b32_e32 v16, 7, v0
	s_clause 0x4
	s_load_b32 s27, s[0:1], 0x18
	s_load_b128 s[12:15], s[0:1], 0x20
	s_load_b32 s28, s[0:1], 0x30
	s_load_b96 s[16:18], s[0:1], 0x48
	s_load_b64 s[20:21], s[0:1], 0x58
	s_lshl_b32 s3, ttmp9, 5
	v_lshl_add_u32 v0, v3, 4, v1
	v_lshlrev_b32_e32 v12, 2, v16
	s_lshl_b32 s2, ttmp7, 5
	v_lshlrev_b32_e32 v20, 2, v1
	s_and_b32 s2, s2, 0x1fffe0
	v_lshrrev_b32_e32 v17, 5, v0
	v_lshrrev_b32_e32 v2, 3, v0
	v_and_b32_e32 v0, 31, v0
	v_add_nc_u32_e32 v5, s2, v3
	s_cmp_neq_f32 s22, 0
	v_lshlrev_b32_e32 v14, 2, v17
	v_add_nc_u32_e32 v6, s2, v2
	v_or_b32_e32 v4, s3, v0
	v_lshlrev_b32_e32 v0, 2, v0
	v_lshl_or_b32 v2, v2, 5, v12
	v_cmp_gt_i32_e32 vcc_lo, s6, v5
	v_add_nc_u32_e32 v13, 16, v5
	v_cmp_gt_i32_e64 s0, s6, v4
	v_lshl_or_b32 v18, v17, 7, v0
	v_add_nc_u32_e32 v0, s3, v1
	v_add_nc_u32_e32 v19, 0x400, v2
	s_wait_kmcnt 0x0
	v_mad_co_i64_i32 v[8:9], null, v5, s18, 0
	v_cmp_gt_i32_e64 s1, s6, v6
	v_add_nc_u32_e32 v2, 16, v0
	v_cmp_le_i32_e64 s2, v0, v5
	v_mad_co_i64_i32 v[6:7], null, s28, v6, 0
	s_cselect_b32 s29, -1, 0
	v_cmp_le_i32_e64 s3, v2, v5
	v_mad_co_i64_i32 v[4:5], null, s27, v4, 0
	s_cmp_gt_i32 s7, 0
	v_mad_co_i64_i32 v[10:11], null, v13, s18, 0
	s_cselect_b32 s30, -1, 0
	s_cmp_neq_f32 s19, 0
	v_lshlrev_b64_e32 v[6:7], 2, v[6:7]
	v_lshlrev_b64_e32 v[4:5], 2, v[4:5]
	;; [unrolled: 1-line block ×3, first 2 shown]
	s_cselect_b32 s24, -1, 0
	s_and_b32 s26, vcc_lo, s3
	s_and_b32 s25, vcc_lo, s2
	v_cmp_gt_i32_e32 vcc_lo, s6, v13
	v_add_co_u32 v4, s3, v4, v14
	v_cmp_le_i32_e64 s2, v0, v13
	s_wait_alu 0xf1ff
	v_add_co_ci_u32_e64 v5, null, 0, v5, s3
	v_add_co_u32 v6, s3, v6, v12
	s_wait_alu 0xf1ff
	v_add_co_ci_u32_e64 v7, null, 0, v7, s3
	v_add_co_u32 v4, s3, s10, v4
	s_and_b32 s6, vcc_lo, s2
	v_cmp_le_i32_e64 s2, v2, v13
	v_add_co_ci_u32_e64 v5, null, s11, v5, s3
	v_add_co_u32 v6, s3, s14, v6
	v_lshlrev_b64_e32 v[10:11], 2, v[10:11]
	v_lshl_add_u32 v21, v3, 5, 0x400
	v_ashrrev_i32_e32 v1, 31, v0
	v_ashrrev_i32_e32 v3, 31, v2
	s_wait_alu 0xf1ff
	v_add_co_ci_u32_e64 v7, null, s15, v7, s3
	s_mov_b32 s9, 0
	s_wait_alu 0xfffe
	s_and_b32 s14, s29, s30
	s_and_b32 s15, vcc_lo, s2
	s_lshl_b64 s[2:3], s[12:13], 2
	s_lshl_b64 s[4:5], s[4:5], 2
	s_branch .LBB6_6
.LBB6_5:                                ;   in Loop: Header=BB6_6 Depth=1
	s_wait_alu 0xfffe
	s_or_b32 exec_lo, exec_lo, s10
	s_add_co_i32 s8, s8, 0x10000
	s_wait_alu 0xfffe
	s_cmp_lt_u32 s8, s23
	s_cbranch_scc0 .LBB6_33
.LBB6_6:                                ; =>This Loop Header: Depth=1
                                        ;     Child Loop BB6_9 Depth 2
	v_dual_mov_b32 v25, 0 :: v_dual_mov_b32 v24, 0
	v_dual_mov_b32 v23, 0 :: v_dual_mov_b32 v22, 0
	s_wait_alu 0xfffe
	s_and_not1_b32 vcc_lo, exec_lo, s14
	s_wait_alu 0xfffe
	s_cbranch_vccnz .LBB6_13
; %bb.7:                                ;   in Loop: Header=BB6_6 Depth=1
	v_mad_co_u64_u32 v[12:13], null, s2, s8, v[4:5]
	v_mad_co_u64_u32 v[14:15], null, s4, s8, v[6:7]
	v_dual_mov_b32 v22, 0 :: v_dual_mov_b32 v23, 0
	s_mov_b32 s10, 0
	s_delay_alu instid0(VALU_DEP_2) | instskip(NEXT) | instid1(VALU_DEP_3)
	v_mad_co_u64_u32 v[25:26], null, s3, s8, v[13:14]
	v_mad_co_u64_u32 v[26:27], null, s5, s8, v[15:16]
	s_delay_alu instid0(VALU_DEP_2) | instskip(SKIP_1) | instid1(VALU_DEP_3)
	v_dual_mov_b32 v24, 0 :: v_dual_mov_b32 v13, v25
	v_mov_b32_e32 v25, 0
	v_mov_b32_e32 v15, v26
	s_branch .LBB6_9
.LBB6_8:                                ;   in Loop: Header=BB6_9 Depth=2
	s_wait_alu 0xfffe
	s_or_b32 exec_lo, exec_lo, s11
	s_wait_loadcnt 0x0
	ds_store_b32 v19, v27
	s_wait_dscnt 0x0
	s_barrier_signal -1
	s_barrier_wait -1
	global_inv scope:SCOPE_SE
	ds_load_b128 v[26:29], v21
	ds_load_2addr_b32 v[42:43], v20 offset1:16
	ds_load_b128 v[30:33], v21 offset:512
	ds_load_2addr_b32 v[44:45], v20 offset0:32 offset1:48
	ds_load_2addr_b32 v[46:47], v20 offset0:64 offset1:80
	;; [unrolled: 1-line block ×3, first 2 shown]
	ds_load_b128 v[34:37], v21 offset:16
	ds_load_2addr_b32 v[50:51], v20 offset0:128 offset1:144
	ds_load_b128 v[38:41], v21 offset:528
	v_add_co_u32 v12, vcc_lo, v12, 32
	s_wait_alu 0xfffd
	v_add_co_ci_u32_e64 v13, null, 0, v13, vcc_lo
	v_add_co_u32 v14, vcc_lo, v14, 32
	s_wait_alu 0xfffd
	v_add_co_ci_u32_e64 v15, null, 0, v15, vcc_lo
	s_add_co_i32 s10, s10, 8
	s_wait_alu 0xfffe
	s_cmp_lt_i32 s10, s7
	s_wait_dscnt 0x7
	v_fmac_f32_e32 v24, v43, v26
	v_fmac_f32_e32 v25, v42, v26
	s_wait_dscnt 0x6
	v_fmac_f32_e32 v22, v43, v30
	v_fmac_f32_e32 v23, v42, v30
	ds_load_2addr_b32 v[42:43], v20 offset0:160 offset1:176
	s_wait_dscnt 0x6
	v_fmac_f32_e32 v24, v45, v27
	v_fmac_f32_e32 v25, v44, v27
	v_fmac_f32_e32 v22, v45, v31
	v_fmac_f32_e32 v23, v44, v31
	ds_load_2addr_b32 v[26:27], v20 offset0:192 offset1:208
	s_wait_dscnt 0x6
	v_fmac_f32_e32 v24, v47, v28
	v_fmac_f32_e32 v25, v46, v28
	;; [unrolled: 6-line block ×3, first 2 shown]
	v_fmac_f32_e32 v22, v49, v33
	v_fmac_f32_e32 v23, v48, v33
	s_wait_loadcnt_dscnt 0x0
	v_fmac_f32_e32 v24, v51, v34
	v_fmac_f32_e32 v25, v50, v34
	;; [unrolled: 1-line block ×4, first 2 shown]
	s_barrier_signal -1
	v_fmac_f32_e32 v24, v43, v35
	v_fmac_f32_e32 v25, v42, v35
	;; [unrolled: 1-line block ×4, first 2 shown]
	s_barrier_wait -1
	v_fmac_f32_e32 v24, v27, v36
	v_fmac_f32_e32 v25, v26, v36
	;; [unrolled: 1-line block ×4, first 2 shown]
	global_inv scope:SCOPE_SE
	v_fmac_f32_e32 v24, v31, v37
	v_fmac_f32_e32 v25, v30, v37
	;; [unrolled: 1-line block ×4, first 2 shown]
	s_cbranch_scc0 .LBB6_13
.LBB6_9:                                ;   Parent Loop BB6_6 Depth=1
                                        ; =>  This Inner Loop Header: Depth=2
	s_wait_alu 0xfffe
	v_add_nc_u32_e32 v26, s10, v17
	s_delay_alu instid0(VALU_DEP_1) | instskip(SKIP_2) | instid1(SALU_CYCLE_1)
	v_cmp_gt_i32_e32 vcc_lo, s7, v26
	v_mov_b32_e32 v26, 0
	s_and_b32 s12, s0, vcc_lo
	s_and_saveexec_b32 s11, s12
	s_cbranch_execz .LBB6_11
; %bb.10:                               ;   in Loop: Header=BB6_9 Depth=2
	global_load_b32 v26, v[12:13], off
.LBB6_11:                               ;   in Loop: Header=BB6_9 Depth=2
	s_wait_alu 0xfffe
	s_or_b32 exec_lo, exec_lo, s11
	v_add_nc_u32_e32 v27, s10, v16
	s_wait_loadcnt 0x0
	ds_store_b32 v18, v26
	v_cmp_gt_i32_e32 vcc_lo, s7, v27
	v_mov_b32_e32 v27, 0
	s_and_b32 s12, vcc_lo, s1
	s_delay_alu instid0(SALU_CYCLE_1)
	s_and_saveexec_b32 s11, s12
	s_cbranch_execz .LBB6_8
; %bb.12:                               ;   in Loop: Header=BB6_9 Depth=2
	global_load_b32 v27, v[14:15], off
	s_branch .LBB6_8
.LBB6_13:                               ;   in Loop: Header=BB6_6 Depth=1
	s_mul_u64 s[10:11], s[20:21], s[8:9]
	s_wait_alu 0xfffe
	s_lshl_b64 s[10:11], s[10:11], 2
	s_wait_alu 0xfffe
	s_add_nc_u64 s[10:11], s[16:17], s[10:11]
	s_wait_alu 0xfffe
	v_add_co_u32 v12, vcc_lo, s10, v8
	s_wait_alu 0xfffd
	v_add_co_ci_u32_e64 v13, null, s11, v9, vcc_lo
	s_and_saveexec_b32 s12, s25
	s_cbranch_execz .LBB6_17
; %bb.14:                               ;   in Loop: Header=BB6_6 Depth=1
	v_mul_f32_e32 v14, s22, v25
	s_and_b32 vcc_lo, exec_lo, s24
	s_wait_alu 0xfffe
	s_cbranch_vccz .LBB6_28
; %bb.15:                               ;   in Loop: Header=BB6_6 Depth=1
	v_lshlrev_b64_e32 v[25:26], 2, v[0:1]
	s_delay_alu instid0(VALU_DEP_1) | instskip(SKIP_1) | instid1(VALU_DEP_2)
	v_add_co_u32 v25, vcc_lo, v12, v25
	s_wait_alu 0xfffd
	v_add_co_ci_u32_e64 v26, null, v13, v26, vcc_lo
	global_load_b32 v15, v[25:26], off
	s_wait_loadcnt 0x0
	v_fma_f32 v15, s19, v15, v14
	global_store_b32 v[25:26], v15, off
	s_cbranch_execnz .LBB6_17
.LBB6_16:                               ;   in Loop: Header=BB6_6 Depth=1
	v_lshlrev_b64_e32 v[25:26], 2, v[0:1]
	s_delay_alu instid0(VALU_DEP_1) | instskip(SKIP_1) | instid1(VALU_DEP_2)
	v_add_co_u32 v25, vcc_lo, v12, v25
	s_wait_alu 0xfffd
	v_add_co_ci_u32_e64 v26, null, v13, v26, vcc_lo
	global_store_b32 v[25:26], v14, off
.LBB6_17:                               ;   in Loop: Header=BB6_6 Depth=1
	s_or_b32 exec_lo, exec_lo, s12
	s_and_saveexec_b32 s12, s26
	s_cbranch_execz .LBB6_21
; %bb.18:                               ;   in Loop: Header=BB6_6 Depth=1
	v_mul_f32_e32 v14, s22, v24
	s_and_not1_b32 vcc_lo, exec_lo, s24
	s_wait_alu 0xfffe
	s_cbranch_vccnz .LBB6_29
; %bb.19:                               ;   in Loop: Header=BB6_6 Depth=1
	v_lshlrev_b64_e32 v[24:25], 2, v[2:3]
	s_delay_alu instid0(VALU_DEP_1) | instskip(SKIP_1) | instid1(VALU_DEP_2)
	v_add_co_u32 v24, vcc_lo, v12, v24
	s_wait_alu 0xfffd
	v_add_co_ci_u32_e64 v25, null, v13, v25, vcc_lo
	global_load_b32 v15, v[24:25], off
	s_wait_loadcnt 0x0
	v_fma_f32 v15, s19, v15, v14
	global_store_b32 v[24:25], v15, off
	s_cbranch_execnz .LBB6_21
.LBB6_20:                               ;   in Loop: Header=BB6_6 Depth=1
	v_lshlrev_b64_e32 v[24:25], 2, v[2:3]
	s_delay_alu instid0(VALU_DEP_1) | instskip(SKIP_1) | instid1(VALU_DEP_2)
	v_add_co_u32 v12, vcc_lo, v12, v24
	s_wait_alu 0xfffd
	v_add_co_ci_u32_e64 v13, null, v13, v25, vcc_lo
	global_store_b32 v[12:13], v14, off
.LBB6_21:                               ;   in Loop: Header=BB6_6 Depth=1
	s_or_b32 exec_lo, exec_lo, s12
	v_add_co_u32 v14, vcc_lo, s10, v10
	s_wait_alu 0xfffd
	v_add_co_ci_u32_e64 v15, null, s11, v11, vcc_lo
	s_and_saveexec_b32 s10, s6
	s_cbranch_execz .LBB6_25
; %bb.22:                               ;   in Loop: Header=BB6_6 Depth=1
	v_lshlrev_b64_e32 v[12:13], 2, v[0:1]
	v_mul_f32_e32 v23, s22, v23
	s_and_not1_b32 vcc_lo, exec_lo, s24
	s_wait_alu 0xfffe
	s_cbranch_vccnz .LBB6_30
; %bb.23:                               ;   in Loop: Header=BB6_6 Depth=1
	s_delay_alu instid0(VALU_DEP_2)
	v_add_co_u32 v24, vcc_lo, v14, v12
	s_wait_alu 0xfffd
	v_add_co_ci_u32_e64 v25, null, v15, v13, vcc_lo
	global_load_b32 v26, v[24:25], off
	s_wait_loadcnt 0x0
	v_fma_f32 v26, s19, v26, v23
	global_store_b32 v[24:25], v26, off
	s_cbranch_execnz .LBB6_25
.LBB6_24:                               ;   in Loop: Header=BB6_6 Depth=1
	v_add_co_u32 v12, vcc_lo, v14, v12
	s_wait_alu 0xfffd
	v_add_co_ci_u32_e64 v13, null, v15, v13, vcc_lo
	global_store_b32 v[12:13], v23, off
.LBB6_25:                               ;   in Loop: Header=BB6_6 Depth=1
	s_wait_alu 0xfffe
	s_or_b32 exec_lo, exec_lo, s10
	s_and_saveexec_b32 s10, s15
	s_cbranch_execz .LBB6_5
; %bb.26:                               ;   in Loop: Header=BB6_6 Depth=1
	v_lshlrev_b64_e32 v[12:13], 2, v[2:3]
	v_mul_f32_e32 v22, s22, v22
	s_and_not1_b32 vcc_lo, exec_lo, s24
	s_wait_alu 0xfffe
	s_cbranch_vccnz .LBB6_31
; %bb.27:                               ;   in Loop: Header=BB6_6 Depth=1
	s_delay_alu instid0(VALU_DEP_2)
	v_add_co_u32 v23, vcc_lo, v14, v12
	s_wait_alu 0xfffd
	v_add_co_ci_u32_e64 v24, null, v15, v13, vcc_lo
	global_load_b32 v25, v[23:24], off
	s_wait_loadcnt 0x0
	v_fma_f32 v25, s19, v25, v22
	global_store_b32 v[23:24], v25, off
	s_cbranch_execnz .LBB6_5
	s_branch .LBB6_32
.LBB6_28:                               ;   in Loop: Header=BB6_6 Depth=1
	s_branch .LBB6_16
.LBB6_29:                               ;   in Loop: Header=BB6_6 Depth=1
	s_branch .LBB6_20
.LBB6_30:                               ;   in Loop: Header=BB6_6 Depth=1
	s_branch .LBB6_24
.LBB6_31:                               ;   in Loop: Header=BB6_6 Depth=1
.LBB6_32:                               ;   in Loop: Header=BB6_6 Depth=1
	s_delay_alu instid0(VALU_DEP_2)
	v_add_co_u32 v12, vcc_lo, v14, v12
	s_wait_alu 0xfffd
	v_add_co_ci_u32_e64 v13, null, v15, v13, vcc_lo
	global_store_b32 v[12:13], v22, off
	s_branch .LBB6_5
.LBB6_33:
	s_endpgm
	.section	.rodata,"a",@progbits
	.p2align	6, 0x0
	.amdhsa_kernel _ZL29rocblas_internal_gemmt_kernelIiLi16ELi32ELi8ELc67ELc78ELc85ELb0ELb0EfPKfS1_PfEviT_T9_T10_S3_lS5_S3_lS4_T11_S3_li
		.amdhsa_group_segment_fixed_size 2048
		.amdhsa_private_segment_fixed_size 0
		.amdhsa_kernarg_size 100
		.amdhsa_user_sgpr_count 2
		.amdhsa_user_sgpr_dispatch_ptr 0
		.amdhsa_user_sgpr_queue_ptr 0
		.amdhsa_user_sgpr_kernarg_segment_ptr 1
		.amdhsa_user_sgpr_dispatch_id 0
		.amdhsa_user_sgpr_private_segment_size 0
		.amdhsa_wavefront_size32 1
		.amdhsa_uses_dynamic_stack 0
		.amdhsa_enable_private_segment 0
		.amdhsa_system_sgpr_workgroup_id_x 1
		.amdhsa_system_sgpr_workgroup_id_y 1
		.amdhsa_system_sgpr_workgroup_id_z 1
		.amdhsa_system_sgpr_workgroup_info 0
		.amdhsa_system_vgpr_workitem_id 1
		.amdhsa_next_free_vgpr 52
		.amdhsa_next_free_sgpr 31
		.amdhsa_reserve_vcc 1
		.amdhsa_float_round_mode_32 0
		.amdhsa_float_round_mode_16_64 0
		.amdhsa_float_denorm_mode_32 3
		.amdhsa_float_denorm_mode_16_64 3
		.amdhsa_fp16_overflow 0
		.amdhsa_workgroup_processor_mode 1
		.amdhsa_memory_ordered 1
		.amdhsa_forward_progress 1
		.amdhsa_inst_pref_size 14
		.amdhsa_round_robin_scheduling 0
		.amdhsa_exception_fp_ieee_invalid_op 0
		.amdhsa_exception_fp_denorm_src 0
		.amdhsa_exception_fp_ieee_div_zero 0
		.amdhsa_exception_fp_ieee_overflow 0
		.amdhsa_exception_fp_ieee_underflow 0
		.amdhsa_exception_fp_ieee_inexact 0
		.amdhsa_exception_int_div_zero 0
	.end_amdhsa_kernel
	.section	.text._ZL29rocblas_internal_gemmt_kernelIiLi16ELi32ELi8ELc67ELc78ELc85ELb0ELb0EfPKfS1_PfEviT_T9_T10_S3_lS5_S3_lS4_T11_S3_li,"axG",@progbits,_ZL29rocblas_internal_gemmt_kernelIiLi16ELi32ELi8ELc67ELc78ELc85ELb0ELb0EfPKfS1_PfEviT_T9_T10_S3_lS5_S3_lS4_T11_S3_li,comdat
.Lfunc_end6:
	.size	_ZL29rocblas_internal_gemmt_kernelIiLi16ELi32ELi8ELc67ELc78ELc85ELb0ELb0EfPKfS1_PfEviT_T9_T10_S3_lS5_S3_lS4_T11_S3_li, .Lfunc_end6-_ZL29rocblas_internal_gemmt_kernelIiLi16ELi32ELi8ELc67ELc78ELc85ELb0ELb0EfPKfS1_PfEviT_T9_T10_S3_lS5_S3_lS4_T11_S3_li
                                        ; -- End function
	.set _ZL29rocblas_internal_gemmt_kernelIiLi16ELi32ELi8ELc67ELc78ELc85ELb0ELb0EfPKfS1_PfEviT_T9_T10_S3_lS5_S3_lS4_T11_S3_li.num_vgpr, 52
	.set _ZL29rocblas_internal_gemmt_kernelIiLi16ELi32ELi8ELc67ELc78ELc85ELb0ELb0EfPKfS1_PfEviT_T9_T10_S3_lS5_S3_lS4_T11_S3_li.num_agpr, 0
	.set _ZL29rocblas_internal_gemmt_kernelIiLi16ELi32ELi8ELc67ELc78ELc85ELb0ELb0EfPKfS1_PfEviT_T9_T10_S3_lS5_S3_lS4_T11_S3_li.numbered_sgpr, 31
	.set _ZL29rocblas_internal_gemmt_kernelIiLi16ELi32ELi8ELc67ELc78ELc85ELb0ELb0EfPKfS1_PfEviT_T9_T10_S3_lS5_S3_lS4_T11_S3_li.num_named_barrier, 0
	.set _ZL29rocblas_internal_gemmt_kernelIiLi16ELi32ELi8ELc67ELc78ELc85ELb0ELb0EfPKfS1_PfEviT_T9_T10_S3_lS5_S3_lS4_T11_S3_li.private_seg_size, 0
	.set _ZL29rocblas_internal_gemmt_kernelIiLi16ELi32ELi8ELc67ELc78ELc85ELb0ELb0EfPKfS1_PfEviT_T9_T10_S3_lS5_S3_lS4_T11_S3_li.uses_vcc, 1
	.set _ZL29rocblas_internal_gemmt_kernelIiLi16ELi32ELi8ELc67ELc78ELc85ELb0ELb0EfPKfS1_PfEviT_T9_T10_S3_lS5_S3_lS4_T11_S3_li.uses_flat_scratch, 0
	.set _ZL29rocblas_internal_gemmt_kernelIiLi16ELi32ELi8ELc67ELc78ELc85ELb0ELb0EfPKfS1_PfEviT_T9_T10_S3_lS5_S3_lS4_T11_S3_li.has_dyn_sized_stack, 0
	.set _ZL29rocblas_internal_gemmt_kernelIiLi16ELi32ELi8ELc67ELc78ELc85ELb0ELb0EfPKfS1_PfEviT_T9_T10_S3_lS5_S3_lS4_T11_S3_li.has_recursion, 0
	.set _ZL29rocblas_internal_gemmt_kernelIiLi16ELi32ELi8ELc67ELc78ELc85ELb0ELb0EfPKfS1_PfEviT_T9_T10_S3_lS5_S3_lS4_T11_S3_li.has_indirect_call, 0
	.section	.AMDGPU.csdata,"",@progbits
; Kernel info:
; codeLenInByte = 1792
; TotalNumSgprs: 33
; NumVgprs: 52
; ScratchSize: 0
; MemoryBound: 0
; FloatMode: 240
; IeeeMode: 1
; LDSByteSize: 2048 bytes/workgroup (compile time only)
; SGPRBlocks: 0
; VGPRBlocks: 6
; NumSGPRsForWavesPerEU: 33
; NumVGPRsForWavesPerEU: 52
; Occupancy: 16
; WaveLimiterHint : 0
; COMPUTE_PGM_RSRC2:SCRATCH_EN: 0
; COMPUTE_PGM_RSRC2:USER_SGPR: 2
; COMPUTE_PGM_RSRC2:TRAP_HANDLER: 0
; COMPUTE_PGM_RSRC2:TGID_X_EN: 1
; COMPUTE_PGM_RSRC2:TGID_Y_EN: 1
; COMPUTE_PGM_RSRC2:TGID_Z_EN: 1
; COMPUTE_PGM_RSRC2:TIDIG_COMP_CNT: 1
	.section	.text._ZL29rocblas_internal_gemmt_kernelIiLi16ELi32ELi8ELc67ELc84ELc85ELb0ELb0EfPKfS1_PfEviT_T9_T10_S3_lS5_S3_lS4_T11_S3_li,"axG",@progbits,_ZL29rocblas_internal_gemmt_kernelIiLi16ELi32ELi8ELc67ELc84ELc85ELb0ELb0EfPKfS1_PfEviT_T9_T10_S3_lS5_S3_lS4_T11_S3_li,comdat
	.globl	_ZL29rocblas_internal_gemmt_kernelIiLi16ELi32ELi8ELc67ELc84ELc85ELb0ELb0EfPKfS1_PfEviT_T9_T10_S3_lS5_S3_lS4_T11_S3_li ; -- Begin function _ZL29rocblas_internal_gemmt_kernelIiLi16ELi32ELi8ELc67ELc84ELc85ELb0ELb0EfPKfS1_PfEviT_T9_T10_S3_lS5_S3_lS4_T11_S3_li
	.p2align	8
	.type	_ZL29rocblas_internal_gemmt_kernelIiLi16ELi32ELi8ELc67ELc84ELc85ELb0ELb0EfPKfS1_PfEviT_T9_T10_S3_lS5_S3_lS4_T11_S3_li,@function
_ZL29rocblas_internal_gemmt_kernelIiLi16ELi32ELi8ELc67ELc84ELc85ELb0ELb0EfPKfS1_PfEviT_T9_T10_S3_lS5_S3_lS4_T11_S3_li: ; @_ZL29rocblas_internal_gemmt_kernelIiLi16ELi32ELi8ELc67ELc84ELc85ELb0ELb0EfPKfS1_PfEviT_T9_T10_S3_lS5_S3_lS4_T11_S3_li
; %bb.0:
	s_clause 0x1
	s_load_b128 s[4:7], s[0:1], 0x38
	s_load_b128 s[8:11], s[0:1], 0x8
	s_wait_kmcnt 0x0
	s_load_b32 s19, s[6:7], 0x0
	s_load_b64 s[6:7], s[0:1], 0x0
	s_load_b32 s24, s[8:9], 0x0
	s_wait_kmcnt 0x0
	s_cmp_neq_f32 s19, 1.0
	s_cselect_b32 s2, -1, 0
	s_delay_alu instid0(SALU_CYCLE_1)
	s_and_b32 vcc_lo, exec_lo, s2
	s_cbranch_vccnz .LBB7_2
; %bb.1:
	s_cmp_lg_u32 s7, 0
	s_cselect_b32 s2, -1, 0
	s_cmp_neq_f32 s24, 0
	s_cselect_b32 s3, -1, 0
	s_delay_alu instid0(SALU_CYCLE_1)
	s_and_b32 s2, s2, s3
.LBB7_2:
	s_delay_alu instid0(SALU_CYCLE_1)
	s_and_not1_b32 vcc_lo, exec_lo, s2
	s_cbranch_vccnz .LBB7_33
; %bb.3:
	s_load_b32 s25, s[0:1], 0x60
	s_lshr_b32 s8, ttmp7, 16
	s_wait_kmcnt 0x0
	s_cmp_ge_u32 s8, s25
	s_cbranch_scc1 .LBB7_33
; %bb.4:
	v_and_b32_e32 v1, 0x3ff, v0
	v_bfe_u32 v3, v0, 10, 10
	v_and_b32_e32 v16, 7, v0
	s_clause 0x4
	s_load_b32 s22, s[0:1], 0x30
	s_load_b32 s29, s[0:1], 0x18
	s_load_b128 s[12:15], s[0:1], 0x20
	s_load_b96 s[16:18], s[0:1], 0x48
	s_load_b64 s[20:21], s[0:1], 0x58
	v_lshl_add_u32 v0, v3, 4, v1
	v_lshlrev_b32_e32 v5, 2, v16
	s_lshl_b32 s2, ttmp9, 5
	s_lshl_b32 s0, ttmp7, 5
	v_lshlrev_b32_e32 v20, 2, v1
	v_and_b32_e32 v2, 31, v0
	v_lshrrev_b32_e32 v4, 3, v0
	v_lshrrev_b32_e32 v17, 5, v0
	s_and_b32 s3, s0, 0x1fffe0
	v_lshl_add_u32 v21, v3, 5, 0x400
	v_lshlrev_b32_e32 v0, 2, v2
	v_or_b32_e32 v6, s2, v2
	v_lshl_or_b32 v2, v4, 5, v5
	v_add_nc_u32_e32 v12, s3, v4
	v_add_nc_u32_e32 v4, s3, v3
	v_lshl_or_b32 v18, v17, 7, v0
	v_add_nc_u32_e32 v0, s2, v1
	v_add_nc_u32_e32 v19, 0x400, v2
	s_wait_kmcnt 0x0
	s_ashr_i32 s23, s22, 31
	s_cmp_neq_f32 s24, 0
	v_cmp_gt_i32_e32 vcc_lo, s6, v4
	v_add_nc_u32_e32 v2, 16, v0
	v_cmp_le_i32_e64 s2, v0, v4
	v_mad_co_i64_i32 v[8:9], null, v4, s18, 0
	v_add_nc_u32_e32 v10, 16, v4
	s_delay_alu instid0(VALU_DEP_4)
	v_cmp_le_i32_e64 s3, v2, v4
	v_mad_co_i64_i32 v[4:5], null, s29, v6, 0
	v_cmp_gt_i32_e64 s0, s6, v6
	v_mad_co_i64_i32 v[6:7], null, s22, v16, 0
	s_cselect_b32 s30, -1, 0
	s_cmp_gt_i32 s7, 0
	v_lshlrev_b32_e32 v13, 2, v17
	s_cselect_b32 s31, -1, 0
	s_cmp_neq_f32 s19, 0
	v_lshlrev_b64_e32 v[4:5], 2, v[4:5]
	v_lshlrev_b64_e32 v[6:7], 2, v[6:7]
	v_cmp_gt_i32_e64 s1, s6, v12
	s_cselect_b32 s26, -1, 0
	s_and_b32 s27, vcc_lo, s2
	s_and_b32 s28, vcc_lo, s3
	v_cmp_gt_i32_e32 vcc_lo, s6, v10
	v_cmp_le_i32_e64 s2, v0, v10
	v_cmp_le_i32_e64 s3, v2, v10
	v_lshlrev_b32_e32 v12, 2, v12
	v_mad_co_i64_i32 v[10:11], null, v10, s18, 0
	s_and_b32 s6, vcc_lo, s2
	s_and_b32 s18, vcc_lo, s3
	v_add_co_u32 v4, vcc_lo, v4, v13
	s_delay_alu instid0(VALU_DEP_1)
	v_add_co_ci_u32_e64 v5, null, 0, v5, vcc_lo
	v_add_co_u32 v6, vcc_lo, v6, v12
	s_wait_alu 0xfffd
	v_add_co_ci_u32_e64 v7, null, 0, v7, vcc_lo
	v_add_co_u32 v4, vcc_lo, s10, v4
	s_wait_alu 0xfffd
	v_add_co_ci_u32_e64 v5, null, s11, v5, vcc_lo
	v_add_co_u32 v6, vcc_lo, s14, v6
	v_lshlrev_b64_e32 v[8:9], 2, v[8:9]
	v_lshlrev_b64_e32 v[10:11], 2, v[10:11]
	v_ashrrev_i32_e32 v1, 31, v0
	v_ashrrev_i32_e32 v3, 31, v2
	s_wait_alu 0xfffd
	v_add_co_ci_u32_e64 v7, null, s15, v7, vcc_lo
	s_mov_b32 s9, 0
	s_and_b32 s14, s30, s31
	s_lshl_b64 s[2:3], s[12:13], 2
	s_lshl_b64 s[4:5], s[4:5], 2
	s_lshl_b64 s[10:11], s[22:23], 5
	s_branch .LBB7_6
.LBB7_5:                                ;   in Loop: Header=BB7_6 Depth=1
	s_wait_alu 0xfffe
	s_or_b32 exec_lo, exec_lo, s12
	s_add_co_i32 s8, s8, 0x10000
	s_wait_alu 0xfffe
	s_cmp_lt_u32 s8, s25
	s_cbranch_scc0 .LBB7_33
.LBB7_6:                                ; =>This Loop Header: Depth=1
                                        ;     Child Loop BB7_9 Depth 2
	v_dual_mov_b32 v25, 0 :: v_dual_mov_b32 v24, 0
	v_dual_mov_b32 v23, 0 :: v_dual_mov_b32 v22, 0
	s_wait_alu 0xfffe
	s_and_not1_b32 vcc_lo, exec_lo, s14
	s_wait_alu 0xfffe
	s_cbranch_vccnz .LBB7_13
; %bb.7:                                ;   in Loop: Header=BB7_6 Depth=1
	v_mad_co_u64_u32 v[12:13], null, s2, s8, v[4:5]
	v_mad_co_u64_u32 v[14:15], null, s4, s8, v[6:7]
	v_dual_mov_b32 v22, 0 :: v_dual_mov_b32 v23, 0
	s_mov_b32 s12, 0
	s_delay_alu instid0(VALU_DEP_2) | instskip(NEXT) | instid1(VALU_DEP_3)
	v_mad_co_u64_u32 v[25:26], null, s3, s8, v[13:14]
	v_mad_co_u64_u32 v[26:27], null, s5, s8, v[15:16]
	s_delay_alu instid0(VALU_DEP_2) | instskip(SKIP_1) | instid1(VALU_DEP_3)
	v_dual_mov_b32 v24, 0 :: v_dual_mov_b32 v13, v25
	v_mov_b32_e32 v25, 0
	v_mov_b32_e32 v15, v26
	s_branch .LBB7_9
.LBB7_8:                                ;   in Loop: Header=BB7_9 Depth=2
	s_wait_alu 0xfffe
	s_or_b32 exec_lo, exec_lo, s13
	s_wait_loadcnt 0x0
	ds_store_b32 v19, v27
	s_wait_dscnt 0x0
	s_barrier_signal -1
	s_barrier_wait -1
	global_inv scope:SCOPE_SE
	ds_load_b128 v[26:29], v21
	ds_load_2addr_b32 v[42:43], v20 offset1:16
	ds_load_b128 v[30:33], v21 offset:512
	ds_load_2addr_b32 v[44:45], v20 offset0:32 offset1:48
	ds_load_2addr_b32 v[46:47], v20 offset0:64 offset1:80
	;; [unrolled: 1-line block ×3, first 2 shown]
	ds_load_b128 v[34:37], v21 offset:16
	ds_load_2addr_b32 v[50:51], v20 offset0:128 offset1:144
	ds_load_b128 v[38:41], v21 offset:528
	v_add_co_u32 v12, vcc_lo, v12, 32
	s_wait_alu 0xfffd
	v_add_co_ci_u32_e64 v13, null, 0, v13, vcc_lo
	v_add_co_u32 v14, vcc_lo, v14, s10
	s_wait_alu 0xfffd
	v_add_co_ci_u32_e64 v15, null, s11, v15, vcc_lo
	s_add_co_i32 s12, s12, 8
	s_wait_alu 0xfffe
	s_cmp_lt_i32 s12, s7
	s_wait_dscnt 0x7
	v_fmac_f32_e32 v24, v43, v26
	v_fmac_f32_e32 v25, v42, v26
	s_wait_dscnt 0x6
	v_fmac_f32_e32 v22, v43, v30
	v_fmac_f32_e32 v23, v42, v30
	ds_load_2addr_b32 v[42:43], v20 offset0:160 offset1:176
	s_wait_dscnt 0x6
	v_fmac_f32_e32 v24, v45, v27
	v_fmac_f32_e32 v25, v44, v27
	v_fmac_f32_e32 v22, v45, v31
	v_fmac_f32_e32 v23, v44, v31
	ds_load_2addr_b32 v[26:27], v20 offset0:192 offset1:208
	s_wait_dscnt 0x6
	v_fmac_f32_e32 v24, v47, v28
	v_fmac_f32_e32 v25, v46, v28
	;; [unrolled: 6-line block ×3, first 2 shown]
	v_fmac_f32_e32 v22, v49, v33
	v_fmac_f32_e32 v23, v48, v33
	s_wait_loadcnt_dscnt 0x0
	v_fmac_f32_e32 v24, v51, v34
	v_fmac_f32_e32 v25, v50, v34
	;; [unrolled: 1-line block ×4, first 2 shown]
	s_barrier_signal -1
	v_fmac_f32_e32 v24, v43, v35
	v_fmac_f32_e32 v25, v42, v35
	v_fmac_f32_e32 v22, v43, v39
	v_fmac_f32_e32 v23, v42, v39
	s_barrier_wait -1
	v_fmac_f32_e32 v24, v27, v36
	v_fmac_f32_e32 v25, v26, v36
	;; [unrolled: 1-line block ×4, first 2 shown]
	global_inv scope:SCOPE_SE
	v_fmac_f32_e32 v24, v31, v37
	v_fmac_f32_e32 v25, v30, v37
	;; [unrolled: 1-line block ×4, first 2 shown]
	s_cbranch_scc0 .LBB7_13
.LBB7_9:                                ;   Parent Loop BB7_6 Depth=1
                                        ; =>  This Inner Loop Header: Depth=2
	s_wait_alu 0xfffe
	v_add_nc_u32_e32 v26, s12, v17
	s_delay_alu instid0(VALU_DEP_1)
	v_cmp_gt_i32_e32 vcc_lo, s7, v26
	v_mov_b32_e32 v26, 0
	s_and_b32 s15, s0, vcc_lo
	s_wait_alu 0xfffe
	s_and_saveexec_b32 s13, s15
	s_cbranch_execz .LBB7_11
; %bb.10:                               ;   in Loop: Header=BB7_9 Depth=2
	global_load_b32 v26, v[12:13], off
.LBB7_11:                               ;   in Loop: Header=BB7_9 Depth=2
	s_wait_alu 0xfffe
	s_or_b32 exec_lo, exec_lo, s13
	v_add_nc_u32_e32 v27, s12, v16
	s_wait_loadcnt 0x0
	ds_store_b32 v18, v26
	v_cmp_gt_i32_e32 vcc_lo, s7, v27
	v_mov_b32_e32 v27, 0
	s_and_b32 s15, vcc_lo, s1
	s_wait_alu 0xfffe
	s_and_saveexec_b32 s13, s15
	s_cbranch_execz .LBB7_8
; %bb.12:                               ;   in Loop: Header=BB7_9 Depth=2
	global_load_b32 v27, v[14:15], off
	s_branch .LBB7_8
.LBB7_13:                               ;   in Loop: Header=BB7_6 Depth=1
	s_mul_u64 s[12:13], s[20:21], s[8:9]
	s_wait_alu 0xfffe
	s_lshl_b64 s[12:13], s[12:13], 2
	s_wait_alu 0xfffe
	s_add_nc_u64 s[12:13], s[16:17], s[12:13]
	s_wait_alu 0xfffe
	v_add_co_u32 v12, vcc_lo, s12, v8
	s_wait_alu 0xfffd
	v_add_co_ci_u32_e64 v13, null, s13, v9, vcc_lo
	s_and_saveexec_b32 s15, s27
	s_cbranch_execz .LBB7_17
; %bb.14:                               ;   in Loop: Header=BB7_6 Depth=1
	v_mul_f32_e32 v14, s24, v25
	s_and_b32 vcc_lo, exec_lo, s26
	s_wait_alu 0xfffe
	s_cbranch_vccz .LBB7_28
; %bb.15:                               ;   in Loop: Header=BB7_6 Depth=1
	v_lshlrev_b64_e32 v[25:26], 2, v[0:1]
	s_delay_alu instid0(VALU_DEP_1) | instskip(SKIP_1) | instid1(VALU_DEP_2)
	v_add_co_u32 v25, vcc_lo, v12, v25
	s_wait_alu 0xfffd
	v_add_co_ci_u32_e64 v26, null, v13, v26, vcc_lo
	global_load_b32 v15, v[25:26], off
	s_wait_loadcnt 0x0
	v_fma_f32 v15, s19, v15, v14
	global_store_b32 v[25:26], v15, off
	s_cbranch_execnz .LBB7_17
.LBB7_16:                               ;   in Loop: Header=BB7_6 Depth=1
	v_lshlrev_b64_e32 v[25:26], 2, v[0:1]
	s_delay_alu instid0(VALU_DEP_1) | instskip(SKIP_1) | instid1(VALU_DEP_2)
	v_add_co_u32 v25, vcc_lo, v12, v25
	s_wait_alu 0xfffd
	v_add_co_ci_u32_e64 v26, null, v13, v26, vcc_lo
	global_store_b32 v[25:26], v14, off
.LBB7_17:                               ;   in Loop: Header=BB7_6 Depth=1
	s_wait_alu 0xfffe
	s_or_b32 exec_lo, exec_lo, s15
	s_and_saveexec_b32 s15, s28
	s_cbranch_execz .LBB7_21
; %bb.18:                               ;   in Loop: Header=BB7_6 Depth=1
	v_mul_f32_e32 v14, s24, v24
	s_and_not1_b32 vcc_lo, exec_lo, s26
	s_wait_alu 0xfffe
	s_cbranch_vccnz .LBB7_29
; %bb.19:                               ;   in Loop: Header=BB7_6 Depth=1
	v_lshlrev_b64_e32 v[24:25], 2, v[2:3]
	s_delay_alu instid0(VALU_DEP_1) | instskip(SKIP_1) | instid1(VALU_DEP_2)
	v_add_co_u32 v24, vcc_lo, v12, v24
	s_wait_alu 0xfffd
	v_add_co_ci_u32_e64 v25, null, v13, v25, vcc_lo
	global_load_b32 v15, v[24:25], off
	s_wait_loadcnt 0x0
	v_fma_f32 v15, s19, v15, v14
	global_store_b32 v[24:25], v15, off
	s_cbranch_execnz .LBB7_21
.LBB7_20:                               ;   in Loop: Header=BB7_6 Depth=1
	v_lshlrev_b64_e32 v[24:25], 2, v[2:3]
	s_delay_alu instid0(VALU_DEP_1) | instskip(SKIP_1) | instid1(VALU_DEP_2)
	v_add_co_u32 v12, vcc_lo, v12, v24
	s_wait_alu 0xfffd
	v_add_co_ci_u32_e64 v13, null, v13, v25, vcc_lo
	global_store_b32 v[12:13], v14, off
.LBB7_21:                               ;   in Loop: Header=BB7_6 Depth=1
	s_wait_alu 0xfffe
	s_or_b32 exec_lo, exec_lo, s15
	v_add_co_u32 v14, vcc_lo, s12, v10
	s_wait_alu 0xfffd
	v_add_co_ci_u32_e64 v15, null, s13, v11, vcc_lo
	s_and_saveexec_b32 s12, s6
	s_cbranch_execz .LBB7_25
; %bb.22:                               ;   in Loop: Header=BB7_6 Depth=1
	v_lshlrev_b64_e32 v[12:13], 2, v[0:1]
	v_mul_f32_e32 v23, s24, v23
	s_and_not1_b32 vcc_lo, exec_lo, s26
	s_wait_alu 0xfffe
	s_cbranch_vccnz .LBB7_30
; %bb.23:                               ;   in Loop: Header=BB7_6 Depth=1
	s_delay_alu instid0(VALU_DEP_2)
	v_add_co_u32 v24, vcc_lo, v14, v12
	s_wait_alu 0xfffd
	v_add_co_ci_u32_e64 v25, null, v15, v13, vcc_lo
	global_load_b32 v26, v[24:25], off
	s_wait_loadcnt 0x0
	v_fma_f32 v26, s19, v26, v23
	global_store_b32 v[24:25], v26, off
	s_cbranch_execnz .LBB7_25
.LBB7_24:                               ;   in Loop: Header=BB7_6 Depth=1
	v_add_co_u32 v12, vcc_lo, v14, v12
	s_wait_alu 0xfffd
	v_add_co_ci_u32_e64 v13, null, v15, v13, vcc_lo
	global_store_b32 v[12:13], v23, off
.LBB7_25:                               ;   in Loop: Header=BB7_6 Depth=1
	s_wait_alu 0xfffe
	s_or_b32 exec_lo, exec_lo, s12
	s_and_saveexec_b32 s12, s18
	s_cbranch_execz .LBB7_5
; %bb.26:                               ;   in Loop: Header=BB7_6 Depth=1
	v_lshlrev_b64_e32 v[12:13], 2, v[2:3]
	v_mul_f32_e32 v22, s24, v22
	s_and_not1_b32 vcc_lo, exec_lo, s26
	s_wait_alu 0xfffe
	s_cbranch_vccnz .LBB7_31
; %bb.27:                               ;   in Loop: Header=BB7_6 Depth=1
	s_delay_alu instid0(VALU_DEP_2)
	v_add_co_u32 v23, vcc_lo, v14, v12
	s_wait_alu 0xfffd
	v_add_co_ci_u32_e64 v24, null, v15, v13, vcc_lo
	global_load_b32 v25, v[23:24], off
	s_wait_loadcnt 0x0
	v_fma_f32 v25, s19, v25, v22
	global_store_b32 v[23:24], v25, off
	s_cbranch_execnz .LBB7_5
	s_branch .LBB7_32
.LBB7_28:                               ;   in Loop: Header=BB7_6 Depth=1
	s_branch .LBB7_16
.LBB7_29:                               ;   in Loop: Header=BB7_6 Depth=1
	s_branch .LBB7_20
.LBB7_30:                               ;   in Loop: Header=BB7_6 Depth=1
	s_branch .LBB7_24
.LBB7_31:                               ;   in Loop: Header=BB7_6 Depth=1
.LBB7_32:                               ;   in Loop: Header=BB7_6 Depth=1
	s_delay_alu instid0(VALU_DEP_2)
	v_add_co_u32 v12, vcc_lo, v14, v12
	s_wait_alu 0xfffd
	v_add_co_ci_u32_e64 v13, null, v15, v13, vcc_lo
	global_store_b32 v[12:13], v22, off
	s_branch .LBB7_5
.LBB7_33:
	s_endpgm
	.section	.rodata,"a",@progbits
	.p2align	6, 0x0
	.amdhsa_kernel _ZL29rocblas_internal_gemmt_kernelIiLi16ELi32ELi8ELc67ELc84ELc85ELb0ELb0EfPKfS1_PfEviT_T9_T10_S3_lS5_S3_lS4_T11_S3_li
		.amdhsa_group_segment_fixed_size 2048
		.amdhsa_private_segment_fixed_size 0
		.amdhsa_kernarg_size 100
		.amdhsa_user_sgpr_count 2
		.amdhsa_user_sgpr_dispatch_ptr 0
		.amdhsa_user_sgpr_queue_ptr 0
		.amdhsa_user_sgpr_kernarg_segment_ptr 1
		.amdhsa_user_sgpr_dispatch_id 0
		.amdhsa_user_sgpr_private_segment_size 0
		.amdhsa_wavefront_size32 1
		.amdhsa_uses_dynamic_stack 0
		.amdhsa_enable_private_segment 0
		.amdhsa_system_sgpr_workgroup_id_x 1
		.amdhsa_system_sgpr_workgroup_id_y 1
		.amdhsa_system_sgpr_workgroup_id_z 1
		.amdhsa_system_sgpr_workgroup_info 0
		.amdhsa_system_vgpr_workitem_id 1
		.amdhsa_next_free_vgpr 52
		.amdhsa_next_free_sgpr 32
		.amdhsa_reserve_vcc 1
		.amdhsa_float_round_mode_32 0
		.amdhsa_float_round_mode_16_64 0
		.amdhsa_float_denorm_mode_32 3
		.amdhsa_float_denorm_mode_16_64 3
		.amdhsa_fp16_overflow 0
		.amdhsa_workgroup_processor_mode 1
		.amdhsa_memory_ordered 1
		.amdhsa_forward_progress 1
		.amdhsa_inst_pref_size 15
		.amdhsa_round_robin_scheduling 0
		.amdhsa_exception_fp_ieee_invalid_op 0
		.amdhsa_exception_fp_denorm_src 0
		.amdhsa_exception_fp_ieee_div_zero 0
		.amdhsa_exception_fp_ieee_overflow 0
		.amdhsa_exception_fp_ieee_underflow 0
		.amdhsa_exception_fp_ieee_inexact 0
		.amdhsa_exception_int_div_zero 0
	.end_amdhsa_kernel
	.section	.text._ZL29rocblas_internal_gemmt_kernelIiLi16ELi32ELi8ELc67ELc84ELc85ELb0ELb0EfPKfS1_PfEviT_T9_T10_S3_lS5_S3_lS4_T11_S3_li,"axG",@progbits,_ZL29rocblas_internal_gemmt_kernelIiLi16ELi32ELi8ELc67ELc84ELc85ELb0ELb0EfPKfS1_PfEviT_T9_T10_S3_lS5_S3_lS4_T11_S3_li,comdat
.Lfunc_end7:
	.size	_ZL29rocblas_internal_gemmt_kernelIiLi16ELi32ELi8ELc67ELc84ELc85ELb0ELb0EfPKfS1_PfEviT_T9_T10_S3_lS5_S3_lS4_T11_S3_li, .Lfunc_end7-_ZL29rocblas_internal_gemmt_kernelIiLi16ELi32ELi8ELc67ELc84ELc85ELb0ELb0EfPKfS1_PfEviT_T9_T10_S3_lS5_S3_lS4_T11_S3_li
                                        ; -- End function
	.set _ZL29rocblas_internal_gemmt_kernelIiLi16ELi32ELi8ELc67ELc84ELc85ELb0ELb0EfPKfS1_PfEviT_T9_T10_S3_lS5_S3_lS4_T11_S3_li.num_vgpr, 52
	.set _ZL29rocblas_internal_gemmt_kernelIiLi16ELi32ELi8ELc67ELc84ELc85ELb0ELb0EfPKfS1_PfEviT_T9_T10_S3_lS5_S3_lS4_T11_S3_li.num_agpr, 0
	.set _ZL29rocblas_internal_gemmt_kernelIiLi16ELi32ELi8ELc67ELc84ELc85ELb0ELb0EfPKfS1_PfEviT_T9_T10_S3_lS5_S3_lS4_T11_S3_li.numbered_sgpr, 32
	.set _ZL29rocblas_internal_gemmt_kernelIiLi16ELi32ELi8ELc67ELc84ELc85ELb0ELb0EfPKfS1_PfEviT_T9_T10_S3_lS5_S3_lS4_T11_S3_li.num_named_barrier, 0
	.set _ZL29rocblas_internal_gemmt_kernelIiLi16ELi32ELi8ELc67ELc84ELc85ELb0ELb0EfPKfS1_PfEviT_T9_T10_S3_lS5_S3_lS4_T11_S3_li.private_seg_size, 0
	.set _ZL29rocblas_internal_gemmt_kernelIiLi16ELi32ELi8ELc67ELc84ELc85ELb0ELb0EfPKfS1_PfEviT_T9_T10_S3_lS5_S3_lS4_T11_S3_li.uses_vcc, 1
	.set _ZL29rocblas_internal_gemmt_kernelIiLi16ELi32ELi8ELc67ELc84ELc85ELb0ELb0EfPKfS1_PfEviT_T9_T10_S3_lS5_S3_lS4_T11_S3_li.uses_flat_scratch, 0
	.set _ZL29rocblas_internal_gemmt_kernelIiLi16ELi32ELi8ELc67ELc84ELc85ELb0ELb0EfPKfS1_PfEviT_T9_T10_S3_lS5_S3_lS4_T11_S3_li.has_dyn_sized_stack, 0
	.set _ZL29rocblas_internal_gemmt_kernelIiLi16ELi32ELi8ELc67ELc84ELc85ELb0ELb0EfPKfS1_PfEviT_T9_T10_S3_lS5_S3_lS4_T11_S3_li.has_recursion, 0
	.set _ZL29rocblas_internal_gemmt_kernelIiLi16ELi32ELi8ELc67ELc84ELc85ELb0ELb0EfPKfS1_PfEviT_T9_T10_S3_lS5_S3_lS4_T11_S3_li.has_indirect_call, 0
	.section	.AMDGPU.csdata,"",@progbits
; Kernel info:
; codeLenInByte = 1820
; TotalNumSgprs: 34
; NumVgprs: 52
; ScratchSize: 0
; MemoryBound: 0
; FloatMode: 240
; IeeeMode: 1
; LDSByteSize: 2048 bytes/workgroup (compile time only)
; SGPRBlocks: 0
; VGPRBlocks: 6
; NumSGPRsForWavesPerEU: 34
; NumVGPRsForWavesPerEU: 52
; Occupancy: 16
; WaveLimiterHint : 0
; COMPUTE_PGM_RSRC2:SCRATCH_EN: 0
; COMPUTE_PGM_RSRC2:USER_SGPR: 2
; COMPUTE_PGM_RSRC2:TRAP_HANDLER: 0
; COMPUTE_PGM_RSRC2:TGID_X_EN: 1
; COMPUTE_PGM_RSRC2:TGID_Y_EN: 1
; COMPUTE_PGM_RSRC2:TGID_Z_EN: 1
; COMPUTE_PGM_RSRC2:TIDIG_COMP_CNT: 1
	.section	.text._ZL29rocblas_internal_gemmt_kernelIiLi16ELi32ELi8ELc67ELc67ELc85ELb0ELb0EfPKfS1_PfEviT_T9_T10_S3_lS5_S3_lS4_T11_S3_li,"axG",@progbits,_ZL29rocblas_internal_gemmt_kernelIiLi16ELi32ELi8ELc67ELc67ELc85ELb0ELb0EfPKfS1_PfEviT_T9_T10_S3_lS5_S3_lS4_T11_S3_li,comdat
	.globl	_ZL29rocblas_internal_gemmt_kernelIiLi16ELi32ELi8ELc67ELc67ELc85ELb0ELb0EfPKfS1_PfEviT_T9_T10_S3_lS5_S3_lS4_T11_S3_li ; -- Begin function _ZL29rocblas_internal_gemmt_kernelIiLi16ELi32ELi8ELc67ELc67ELc85ELb0ELb0EfPKfS1_PfEviT_T9_T10_S3_lS5_S3_lS4_T11_S3_li
	.p2align	8
	.type	_ZL29rocblas_internal_gemmt_kernelIiLi16ELi32ELi8ELc67ELc67ELc85ELb0ELb0EfPKfS1_PfEviT_T9_T10_S3_lS5_S3_lS4_T11_S3_li,@function
_ZL29rocblas_internal_gemmt_kernelIiLi16ELi32ELi8ELc67ELc67ELc85ELb0ELb0EfPKfS1_PfEviT_T9_T10_S3_lS5_S3_lS4_T11_S3_li: ; @_ZL29rocblas_internal_gemmt_kernelIiLi16ELi32ELi8ELc67ELc67ELc85ELb0ELb0EfPKfS1_PfEviT_T9_T10_S3_lS5_S3_lS4_T11_S3_li
; %bb.0:
	s_clause 0x1
	s_load_b128 s[4:7], s[0:1], 0x38
	s_load_b128 s[8:11], s[0:1], 0x8
	s_wait_kmcnt 0x0
	s_load_b32 s19, s[6:7], 0x0
	s_load_b64 s[6:7], s[0:1], 0x0
	s_load_b32 s24, s[8:9], 0x0
	s_wait_kmcnt 0x0
	s_cmp_neq_f32 s19, 1.0
	s_cselect_b32 s2, -1, 0
	s_delay_alu instid0(SALU_CYCLE_1)
	s_and_b32 vcc_lo, exec_lo, s2
	s_cbranch_vccnz .LBB8_2
; %bb.1:
	s_cmp_lg_u32 s7, 0
	s_cselect_b32 s2, -1, 0
	s_cmp_neq_f32 s24, 0
	s_cselect_b32 s3, -1, 0
	s_delay_alu instid0(SALU_CYCLE_1)
	s_and_b32 s2, s2, s3
.LBB8_2:
	s_delay_alu instid0(SALU_CYCLE_1)
	s_and_not1_b32 vcc_lo, exec_lo, s2
	s_cbranch_vccnz .LBB8_33
; %bb.3:
	s_load_b32 s25, s[0:1], 0x60
	s_lshr_b32 s8, ttmp7, 16
	s_wait_kmcnt 0x0
	s_cmp_ge_u32 s8, s25
	s_cbranch_scc1 .LBB8_33
; %bb.4:
	v_and_b32_e32 v1, 0x3ff, v0
	v_bfe_u32 v3, v0, 10, 10
	v_and_b32_e32 v16, 7, v0
	s_clause 0x4
	s_load_b32 s22, s[0:1], 0x30
	s_load_b32 s29, s[0:1], 0x18
	s_load_b128 s[12:15], s[0:1], 0x20
	s_load_b96 s[16:18], s[0:1], 0x48
	s_load_b64 s[20:21], s[0:1], 0x58
	v_lshl_add_u32 v0, v3, 4, v1
	v_lshlrev_b32_e32 v5, 2, v16
	s_lshl_b32 s2, ttmp9, 5
	s_lshl_b32 s0, ttmp7, 5
	v_lshlrev_b32_e32 v20, 2, v1
	v_and_b32_e32 v2, 31, v0
	v_lshrrev_b32_e32 v4, 3, v0
	v_lshrrev_b32_e32 v17, 5, v0
	s_and_b32 s3, s0, 0x1fffe0
	v_lshl_add_u32 v21, v3, 5, 0x400
	v_lshlrev_b32_e32 v0, 2, v2
	v_or_b32_e32 v6, s2, v2
	v_lshl_or_b32 v2, v4, 5, v5
	v_add_nc_u32_e32 v12, s3, v4
	v_add_nc_u32_e32 v4, s3, v3
	v_lshl_or_b32 v18, v17, 7, v0
	v_add_nc_u32_e32 v0, s2, v1
	v_add_nc_u32_e32 v19, 0x400, v2
	s_wait_kmcnt 0x0
	s_ashr_i32 s23, s22, 31
	s_cmp_neq_f32 s24, 0
	v_cmp_gt_i32_e32 vcc_lo, s6, v4
	v_add_nc_u32_e32 v2, 16, v0
	v_cmp_le_i32_e64 s2, v0, v4
	v_mad_co_i64_i32 v[8:9], null, v4, s18, 0
	v_add_nc_u32_e32 v10, 16, v4
	s_delay_alu instid0(VALU_DEP_4)
	v_cmp_le_i32_e64 s3, v2, v4
	v_mad_co_i64_i32 v[4:5], null, s29, v6, 0
	v_cmp_gt_i32_e64 s0, s6, v6
	v_mad_co_i64_i32 v[6:7], null, s22, v16, 0
	s_cselect_b32 s30, -1, 0
	s_cmp_gt_i32 s7, 0
	v_lshlrev_b32_e32 v13, 2, v17
	s_cselect_b32 s31, -1, 0
	s_cmp_neq_f32 s19, 0
	v_lshlrev_b64_e32 v[4:5], 2, v[4:5]
	v_lshlrev_b64_e32 v[6:7], 2, v[6:7]
	v_cmp_gt_i32_e64 s1, s6, v12
	s_cselect_b32 s26, -1, 0
	s_and_b32 s27, vcc_lo, s2
	s_and_b32 s28, vcc_lo, s3
	v_cmp_gt_i32_e32 vcc_lo, s6, v10
	v_cmp_le_i32_e64 s2, v0, v10
	v_cmp_le_i32_e64 s3, v2, v10
	v_lshlrev_b32_e32 v12, 2, v12
	v_mad_co_i64_i32 v[10:11], null, v10, s18, 0
	s_and_b32 s6, vcc_lo, s2
	s_and_b32 s18, vcc_lo, s3
	v_add_co_u32 v4, vcc_lo, v4, v13
	s_delay_alu instid0(VALU_DEP_1)
	v_add_co_ci_u32_e64 v5, null, 0, v5, vcc_lo
	v_add_co_u32 v6, vcc_lo, v6, v12
	s_wait_alu 0xfffd
	v_add_co_ci_u32_e64 v7, null, 0, v7, vcc_lo
	v_add_co_u32 v4, vcc_lo, s10, v4
	s_wait_alu 0xfffd
	v_add_co_ci_u32_e64 v5, null, s11, v5, vcc_lo
	v_add_co_u32 v6, vcc_lo, s14, v6
	v_lshlrev_b64_e32 v[8:9], 2, v[8:9]
	v_lshlrev_b64_e32 v[10:11], 2, v[10:11]
	v_ashrrev_i32_e32 v1, 31, v0
	v_ashrrev_i32_e32 v3, 31, v2
	s_wait_alu 0xfffd
	v_add_co_ci_u32_e64 v7, null, s15, v7, vcc_lo
	s_mov_b32 s9, 0
	s_and_b32 s14, s30, s31
	s_lshl_b64 s[2:3], s[12:13], 2
	s_lshl_b64 s[4:5], s[4:5], 2
	;; [unrolled: 1-line block ×3, first 2 shown]
	s_branch .LBB8_6
.LBB8_5:                                ;   in Loop: Header=BB8_6 Depth=1
	s_wait_alu 0xfffe
	s_or_b32 exec_lo, exec_lo, s12
	s_add_co_i32 s8, s8, 0x10000
	s_wait_alu 0xfffe
	s_cmp_lt_u32 s8, s25
	s_cbranch_scc0 .LBB8_33
.LBB8_6:                                ; =>This Loop Header: Depth=1
                                        ;     Child Loop BB8_9 Depth 2
	v_dual_mov_b32 v25, 0 :: v_dual_mov_b32 v24, 0
	v_dual_mov_b32 v23, 0 :: v_dual_mov_b32 v22, 0
	s_wait_alu 0xfffe
	s_and_not1_b32 vcc_lo, exec_lo, s14
	s_wait_alu 0xfffe
	s_cbranch_vccnz .LBB8_13
; %bb.7:                                ;   in Loop: Header=BB8_6 Depth=1
	v_mad_co_u64_u32 v[12:13], null, s2, s8, v[4:5]
	v_mad_co_u64_u32 v[14:15], null, s4, s8, v[6:7]
	v_dual_mov_b32 v22, 0 :: v_dual_mov_b32 v23, 0
	s_mov_b32 s12, 0
	s_delay_alu instid0(VALU_DEP_2) | instskip(NEXT) | instid1(VALU_DEP_3)
	v_mad_co_u64_u32 v[25:26], null, s3, s8, v[13:14]
	v_mad_co_u64_u32 v[26:27], null, s5, s8, v[15:16]
	s_delay_alu instid0(VALU_DEP_2) | instskip(SKIP_1) | instid1(VALU_DEP_3)
	v_dual_mov_b32 v24, 0 :: v_dual_mov_b32 v13, v25
	v_mov_b32_e32 v25, 0
	v_mov_b32_e32 v15, v26
	s_branch .LBB8_9
.LBB8_8:                                ;   in Loop: Header=BB8_9 Depth=2
	s_wait_alu 0xfffe
	s_or_b32 exec_lo, exec_lo, s13
	s_wait_loadcnt 0x0
	ds_store_b32 v19, v27
	s_wait_dscnt 0x0
	s_barrier_signal -1
	s_barrier_wait -1
	global_inv scope:SCOPE_SE
	ds_load_b128 v[26:29], v21
	ds_load_2addr_b32 v[42:43], v20 offset1:16
	ds_load_b128 v[30:33], v21 offset:512
	ds_load_2addr_b32 v[44:45], v20 offset0:32 offset1:48
	ds_load_2addr_b32 v[46:47], v20 offset0:64 offset1:80
	;; [unrolled: 1-line block ×3, first 2 shown]
	ds_load_b128 v[34:37], v21 offset:16
	ds_load_2addr_b32 v[50:51], v20 offset0:128 offset1:144
	ds_load_b128 v[38:41], v21 offset:528
	v_add_co_u32 v12, vcc_lo, v12, 32
	s_wait_alu 0xfffd
	v_add_co_ci_u32_e64 v13, null, 0, v13, vcc_lo
	v_add_co_u32 v14, vcc_lo, v14, s10
	s_wait_alu 0xfffd
	v_add_co_ci_u32_e64 v15, null, s11, v15, vcc_lo
	s_add_co_i32 s12, s12, 8
	s_wait_alu 0xfffe
	s_cmp_lt_i32 s12, s7
	s_wait_dscnt 0x7
	v_fmac_f32_e32 v24, v43, v26
	v_fmac_f32_e32 v25, v42, v26
	s_wait_dscnt 0x6
	v_fmac_f32_e32 v22, v43, v30
	v_fmac_f32_e32 v23, v42, v30
	ds_load_2addr_b32 v[42:43], v20 offset0:160 offset1:176
	s_wait_dscnt 0x6
	v_fmac_f32_e32 v24, v45, v27
	v_fmac_f32_e32 v25, v44, v27
	v_fmac_f32_e32 v22, v45, v31
	v_fmac_f32_e32 v23, v44, v31
	ds_load_2addr_b32 v[26:27], v20 offset0:192 offset1:208
	s_wait_dscnt 0x6
	v_fmac_f32_e32 v24, v47, v28
	v_fmac_f32_e32 v25, v46, v28
	;; [unrolled: 6-line block ×3, first 2 shown]
	v_fmac_f32_e32 v22, v49, v33
	v_fmac_f32_e32 v23, v48, v33
	s_wait_loadcnt_dscnt 0x0
	v_fmac_f32_e32 v24, v51, v34
	v_fmac_f32_e32 v25, v50, v34
	;; [unrolled: 1-line block ×4, first 2 shown]
	s_barrier_signal -1
	v_fmac_f32_e32 v24, v43, v35
	v_fmac_f32_e32 v25, v42, v35
	;; [unrolled: 1-line block ×4, first 2 shown]
	s_barrier_wait -1
	v_fmac_f32_e32 v24, v27, v36
	v_fmac_f32_e32 v25, v26, v36
	;; [unrolled: 1-line block ×4, first 2 shown]
	global_inv scope:SCOPE_SE
	v_fmac_f32_e32 v24, v31, v37
	v_fmac_f32_e32 v25, v30, v37
	v_fmac_f32_e32 v22, v31, v41
	v_fmac_f32_e32 v23, v30, v41
	s_cbranch_scc0 .LBB8_13
.LBB8_9:                                ;   Parent Loop BB8_6 Depth=1
                                        ; =>  This Inner Loop Header: Depth=2
	s_wait_alu 0xfffe
	v_add_nc_u32_e32 v26, s12, v17
	s_delay_alu instid0(VALU_DEP_1)
	v_cmp_gt_i32_e32 vcc_lo, s7, v26
	v_mov_b32_e32 v26, 0
	s_and_b32 s15, s0, vcc_lo
	s_wait_alu 0xfffe
	s_and_saveexec_b32 s13, s15
	s_cbranch_execz .LBB8_11
; %bb.10:                               ;   in Loop: Header=BB8_9 Depth=2
	global_load_b32 v26, v[12:13], off
.LBB8_11:                               ;   in Loop: Header=BB8_9 Depth=2
	s_wait_alu 0xfffe
	s_or_b32 exec_lo, exec_lo, s13
	v_add_nc_u32_e32 v27, s12, v16
	s_wait_loadcnt 0x0
	ds_store_b32 v18, v26
	v_cmp_gt_i32_e32 vcc_lo, s7, v27
	v_mov_b32_e32 v27, 0
	s_and_b32 s15, vcc_lo, s1
	s_wait_alu 0xfffe
	s_and_saveexec_b32 s13, s15
	s_cbranch_execz .LBB8_8
; %bb.12:                               ;   in Loop: Header=BB8_9 Depth=2
	global_load_b32 v27, v[14:15], off
	s_branch .LBB8_8
.LBB8_13:                               ;   in Loop: Header=BB8_6 Depth=1
	s_mul_u64 s[12:13], s[20:21], s[8:9]
	s_wait_alu 0xfffe
	s_lshl_b64 s[12:13], s[12:13], 2
	s_wait_alu 0xfffe
	s_add_nc_u64 s[12:13], s[16:17], s[12:13]
	s_wait_alu 0xfffe
	v_add_co_u32 v12, vcc_lo, s12, v8
	s_wait_alu 0xfffd
	v_add_co_ci_u32_e64 v13, null, s13, v9, vcc_lo
	s_and_saveexec_b32 s15, s27
	s_cbranch_execz .LBB8_17
; %bb.14:                               ;   in Loop: Header=BB8_6 Depth=1
	v_mul_f32_e32 v14, s24, v25
	s_and_b32 vcc_lo, exec_lo, s26
	s_wait_alu 0xfffe
	s_cbranch_vccz .LBB8_28
; %bb.15:                               ;   in Loop: Header=BB8_6 Depth=1
	v_lshlrev_b64_e32 v[25:26], 2, v[0:1]
	s_delay_alu instid0(VALU_DEP_1) | instskip(SKIP_1) | instid1(VALU_DEP_2)
	v_add_co_u32 v25, vcc_lo, v12, v25
	s_wait_alu 0xfffd
	v_add_co_ci_u32_e64 v26, null, v13, v26, vcc_lo
	global_load_b32 v15, v[25:26], off
	s_wait_loadcnt 0x0
	v_fma_f32 v15, s19, v15, v14
	global_store_b32 v[25:26], v15, off
	s_cbranch_execnz .LBB8_17
.LBB8_16:                               ;   in Loop: Header=BB8_6 Depth=1
	v_lshlrev_b64_e32 v[25:26], 2, v[0:1]
	s_delay_alu instid0(VALU_DEP_1) | instskip(SKIP_1) | instid1(VALU_DEP_2)
	v_add_co_u32 v25, vcc_lo, v12, v25
	s_wait_alu 0xfffd
	v_add_co_ci_u32_e64 v26, null, v13, v26, vcc_lo
	global_store_b32 v[25:26], v14, off
.LBB8_17:                               ;   in Loop: Header=BB8_6 Depth=1
	s_wait_alu 0xfffe
	s_or_b32 exec_lo, exec_lo, s15
	s_and_saveexec_b32 s15, s28
	s_cbranch_execz .LBB8_21
; %bb.18:                               ;   in Loop: Header=BB8_6 Depth=1
	v_mul_f32_e32 v14, s24, v24
	s_and_not1_b32 vcc_lo, exec_lo, s26
	s_wait_alu 0xfffe
	s_cbranch_vccnz .LBB8_29
; %bb.19:                               ;   in Loop: Header=BB8_6 Depth=1
	v_lshlrev_b64_e32 v[24:25], 2, v[2:3]
	s_delay_alu instid0(VALU_DEP_1) | instskip(SKIP_1) | instid1(VALU_DEP_2)
	v_add_co_u32 v24, vcc_lo, v12, v24
	s_wait_alu 0xfffd
	v_add_co_ci_u32_e64 v25, null, v13, v25, vcc_lo
	global_load_b32 v15, v[24:25], off
	s_wait_loadcnt 0x0
	v_fma_f32 v15, s19, v15, v14
	global_store_b32 v[24:25], v15, off
	s_cbranch_execnz .LBB8_21
.LBB8_20:                               ;   in Loop: Header=BB8_6 Depth=1
	v_lshlrev_b64_e32 v[24:25], 2, v[2:3]
	s_delay_alu instid0(VALU_DEP_1) | instskip(SKIP_1) | instid1(VALU_DEP_2)
	v_add_co_u32 v12, vcc_lo, v12, v24
	s_wait_alu 0xfffd
	v_add_co_ci_u32_e64 v13, null, v13, v25, vcc_lo
	global_store_b32 v[12:13], v14, off
.LBB8_21:                               ;   in Loop: Header=BB8_6 Depth=1
	s_wait_alu 0xfffe
	s_or_b32 exec_lo, exec_lo, s15
	v_add_co_u32 v14, vcc_lo, s12, v10
	s_wait_alu 0xfffd
	v_add_co_ci_u32_e64 v15, null, s13, v11, vcc_lo
	s_and_saveexec_b32 s12, s6
	s_cbranch_execz .LBB8_25
; %bb.22:                               ;   in Loop: Header=BB8_6 Depth=1
	v_lshlrev_b64_e32 v[12:13], 2, v[0:1]
	v_mul_f32_e32 v23, s24, v23
	s_and_not1_b32 vcc_lo, exec_lo, s26
	s_wait_alu 0xfffe
	s_cbranch_vccnz .LBB8_30
; %bb.23:                               ;   in Loop: Header=BB8_6 Depth=1
	s_delay_alu instid0(VALU_DEP_2)
	v_add_co_u32 v24, vcc_lo, v14, v12
	s_wait_alu 0xfffd
	v_add_co_ci_u32_e64 v25, null, v15, v13, vcc_lo
	global_load_b32 v26, v[24:25], off
	s_wait_loadcnt 0x0
	v_fma_f32 v26, s19, v26, v23
	global_store_b32 v[24:25], v26, off
	s_cbranch_execnz .LBB8_25
.LBB8_24:                               ;   in Loop: Header=BB8_6 Depth=1
	v_add_co_u32 v12, vcc_lo, v14, v12
	s_wait_alu 0xfffd
	v_add_co_ci_u32_e64 v13, null, v15, v13, vcc_lo
	global_store_b32 v[12:13], v23, off
.LBB8_25:                               ;   in Loop: Header=BB8_6 Depth=1
	s_wait_alu 0xfffe
	s_or_b32 exec_lo, exec_lo, s12
	s_and_saveexec_b32 s12, s18
	s_cbranch_execz .LBB8_5
; %bb.26:                               ;   in Loop: Header=BB8_6 Depth=1
	v_lshlrev_b64_e32 v[12:13], 2, v[2:3]
	v_mul_f32_e32 v22, s24, v22
	s_and_not1_b32 vcc_lo, exec_lo, s26
	s_wait_alu 0xfffe
	s_cbranch_vccnz .LBB8_31
; %bb.27:                               ;   in Loop: Header=BB8_6 Depth=1
	s_delay_alu instid0(VALU_DEP_2)
	v_add_co_u32 v23, vcc_lo, v14, v12
	s_wait_alu 0xfffd
	v_add_co_ci_u32_e64 v24, null, v15, v13, vcc_lo
	global_load_b32 v25, v[23:24], off
	s_wait_loadcnt 0x0
	v_fma_f32 v25, s19, v25, v22
	global_store_b32 v[23:24], v25, off
	s_cbranch_execnz .LBB8_5
	s_branch .LBB8_32
.LBB8_28:                               ;   in Loop: Header=BB8_6 Depth=1
	s_branch .LBB8_16
.LBB8_29:                               ;   in Loop: Header=BB8_6 Depth=1
	s_branch .LBB8_20
.LBB8_30:                               ;   in Loop: Header=BB8_6 Depth=1
	s_branch .LBB8_24
.LBB8_31:                               ;   in Loop: Header=BB8_6 Depth=1
.LBB8_32:                               ;   in Loop: Header=BB8_6 Depth=1
	s_delay_alu instid0(VALU_DEP_2)
	v_add_co_u32 v12, vcc_lo, v14, v12
	s_wait_alu 0xfffd
	v_add_co_ci_u32_e64 v13, null, v15, v13, vcc_lo
	global_store_b32 v[12:13], v22, off
	s_branch .LBB8_5
.LBB8_33:
	s_endpgm
	.section	.rodata,"a",@progbits
	.p2align	6, 0x0
	.amdhsa_kernel _ZL29rocblas_internal_gemmt_kernelIiLi16ELi32ELi8ELc67ELc67ELc85ELb0ELb0EfPKfS1_PfEviT_T9_T10_S3_lS5_S3_lS4_T11_S3_li
		.amdhsa_group_segment_fixed_size 2048
		.amdhsa_private_segment_fixed_size 0
		.amdhsa_kernarg_size 100
		.amdhsa_user_sgpr_count 2
		.amdhsa_user_sgpr_dispatch_ptr 0
		.amdhsa_user_sgpr_queue_ptr 0
		.amdhsa_user_sgpr_kernarg_segment_ptr 1
		.amdhsa_user_sgpr_dispatch_id 0
		.amdhsa_user_sgpr_private_segment_size 0
		.amdhsa_wavefront_size32 1
		.amdhsa_uses_dynamic_stack 0
		.amdhsa_enable_private_segment 0
		.amdhsa_system_sgpr_workgroup_id_x 1
		.amdhsa_system_sgpr_workgroup_id_y 1
		.amdhsa_system_sgpr_workgroup_id_z 1
		.amdhsa_system_sgpr_workgroup_info 0
		.amdhsa_system_vgpr_workitem_id 1
		.amdhsa_next_free_vgpr 52
		.amdhsa_next_free_sgpr 32
		.amdhsa_reserve_vcc 1
		.amdhsa_float_round_mode_32 0
		.amdhsa_float_round_mode_16_64 0
		.amdhsa_float_denorm_mode_32 3
		.amdhsa_float_denorm_mode_16_64 3
		.amdhsa_fp16_overflow 0
		.amdhsa_workgroup_processor_mode 1
		.amdhsa_memory_ordered 1
		.amdhsa_forward_progress 1
		.amdhsa_inst_pref_size 15
		.amdhsa_round_robin_scheduling 0
		.amdhsa_exception_fp_ieee_invalid_op 0
		.amdhsa_exception_fp_denorm_src 0
		.amdhsa_exception_fp_ieee_div_zero 0
		.amdhsa_exception_fp_ieee_overflow 0
		.amdhsa_exception_fp_ieee_underflow 0
		.amdhsa_exception_fp_ieee_inexact 0
		.amdhsa_exception_int_div_zero 0
	.end_amdhsa_kernel
	.section	.text._ZL29rocblas_internal_gemmt_kernelIiLi16ELi32ELi8ELc67ELc67ELc85ELb0ELb0EfPKfS1_PfEviT_T9_T10_S3_lS5_S3_lS4_T11_S3_li,"axG",@progbits,_ZL29rocblas_internal_gemmt_kernelIiLi16ELi32ELi8ELc67ELc67ELc85ELb0ELb0EfPKfS1_PfEviT_T9_T10_S3_lS5_S3_lS4_T11_S3_li,comdat
.Lfunc_end8:
	.size	_ZL29rocblas_internal_gemmt_kernelIiLi16ELi32ELi8ELc67ELc67ELc85ELb0ELb0EfPKfS1_PfEviT_T9_T10_S3_lS5_S3_lS4_T11_S3_li, .Lfunc_end8-_ZL29rocblas_internal_gemmt_kernelIiLi16ELi32ELi8ELc67ELc67ELc85ELb0ELb0EfPKfS1_PfEviT_T9_T10_S3_lS5_S3_lS4_T11_S3_li
                                        ; -- End function
	.set _ZL29rocblas_internal_gemmt_kernelIiLi16ELi32ELi8ELc67ELc67ELc85ELb0ELb0EfPKfS1_PfEviT_T9_T10_S3_lS5_S3_lS4_T11_S3_li.num_vgpr, 52
	.set _ZL29rocblas_internal_gemmt_kernelIiLi16ELi32ELi8ELc67ELc67ELc85ELb0ELb0EfPKfS1_PfEviT_T9_T10_S3_lS5_S3_lS4_T11_S3_li.num_agpr, 0
	.set _ZL29rocblas_internal_gemmt_kernelIiLi16ELi32ELi8ELc67ELc67ELc85ELb0ELb0EfPKfS1_PfEviT_T9_T10_S3_lS5_S3_lS4_T11_S3_li.numbered_sgpr, 32
	.set _ZL29rocblas_internal_gemmt_kernelIiLi16ELi32ELi8ELc67ELc67ELc85ELb0ELb0EfPKfS1_PfEviT_T9_T10_S3_lS5_S3_lS4_T11_S3_li.num_named_barrier, 0
	.set _ZL29rocblas_internal_gemmt_kernelIiLi16ELi32ELi8ELc67ELc67ELc85ELb0ELb0EfPKfS1_PfEviT_T9_T10_S3_lS5_S3_lS4_T11_S3_li.private_seg_size, 0
	.set _ZL29rocblas_internal_gemmt_kernelIiLi16ELi32ELi8ELc67ELc67ELc85ELb0ELb0EfPKfS1_PfEviT_T9_T10_S3_lS5_S3_lS4_T11_S3_li.uses_vcc, 1
	.set _ZL29rocblas_internal_gemmt_kernelIiLi16ELi32ELi8ELc67ELc67ELc85ELb0ELb0EfPKfS1_PfEviT_T9_T10_S3_lS5_S3_lS4_T11_S3_li.uses_flat_scratch, 0
	.set _ZL29rocblas_internal_gemmt_kernelIiLi16ELi32ELi8ELc67ELc67ELc85ELb0ELb0EfPKfS1_PfEviT_T9_T10_S3_lS5_S3_lS4_T11_S3_li.has_dyn_sized_stack, 0
	.set _ZL29rocblas_internal_gemmt_kernelIiLi16ELi32ELi8ELc67ELc67ELc85ELb0ELb0EfPKfS1_PfEviT_T9_T10_S3_lS5_S3_lS4_T11_S3_li.has_recursion, 0
	.set _ZL29rocblas_internal_gemmt_kernelIiLi16ELi32ELi8ELc67ELc67ELc85ELb0ELb0EfPKfS1_PfEviT_T9_T10_S3_lS5_S3_lS4_T11_S3_li.has_indirect_call, 0
	.section	.AMDGPU.csdata,"",@progbits
; Kernel info:
; codeLenInByte = 1820
; TotalNumSgprs: 34
; NumVgprs: 52
; ScratchSize: 0
; MemoryBound: 0
; FloatMode: 240
; IeeeMode: 1
; LDSByteSize: 2048 bytes/workgroup (compile time only)
; SGPRBlocks: 0
; VGPRBlocks: 6
; NumSGPRsForWavesPerEU: 34
; NumVGPRsForWavesPerEU: 52
; Occupancy: 16
; WaveLimiterHint : 0
; COMPUTE_PGM_RSRC2:SCRATCH_EN: 0
; COMPUTE_PGM_RSRC2:USER_SGPR: 2
; COMPUTE_PGM_RSRC2:TRAP_HANDLER: 0
; COMPUTE_PGM_RSRC2:TGID_X_EN: 1
; COMPUTE_PGM_RSRC2:TGID_Y_EN: 1
; COMPUTE_PGM_RSRC2:TGID_Z_EN: 1
; COMPUTE_PGM_RSRC2:TIDIG_COMP_CNT: 1
	.section	.text._ZL29rocblas_internal_gemmt_kernelIiLi16ELi32ELi8ELc78ELc78ELc76ELb0ELb0EfPKfS1_PfEviT_T9_T10_S3_lS5_S3_lS4_T11_S3_li,"axG",@progbits,_ZL29rocblas_internal_gemmt_kernelIiLi16ELi32ELi8ELc78ELc78ELc76ELb0ELb0EfPKfS1_PfEviT_T9_T10_S3_lS5_S3_lS4_T11_S3_li,comdat
	.globl	_ZL29rocblas_internal_gemmt_kernelIiLi16ELi32ELi8ELc78ELc78ELc76ELb0ELb0EfPKfS1_PfEviT_T9_T10_S3_lS5_S3_lS4_T11_S3_li ; -- Begin function _ZL29rocblas_internal_gemmt_kernelIiLi16ELi32ELi8ELc78ELc78ELc76ELb0ELb0EfPKfS1_PfEviT_T9_T10_S3_lS5_S3_lS4_T11_S3_li
	.p2align	8
	.type	_ZL29rocblas_internal_gemmt_kernelIiLi16ELi32ELi8ELc78ELc78ELc76ELb0ELb0EfPKfS1_PfEviT_T9_T10_S3_lS5_S3_lS4_T11_S3_li,@function
_ZL29rocblas_internal_gemmt_kernelIiLi16ELi32ELi8ELc78ELc78ELc76ELb0ELb0EfPKfS1_PfEviT_T9_T10_S3_lS5_S3_lS4_T11_S3_li: ; @_ZL29rocblas_internal_gemmt_kernelIiLi16ELi32ELi8ELc78ELc78ELc76ELb0ELb0EfPKfS1_PfEviT_T9_T10_S3_lS5_S3_lS4_T11_S3_li
; %bb.0:
	s_clause 0x1
	s_load_b128 s[8:11], s[0:1], 0x38
	s_load_b128 s[4:7], s[0:1], 0x8
	s_wait_kmcnt 0x0
	s_load_b32 s19, s[10:11], 0x0
	s_load_b64 s[10:11], s[0:1], 0x0
	s_load_b32 s26, s[4:5], 0x0
	s_wait_kmcnt 0x0
	s_cmp_neq_f32 s19, 1.0
	s_cselect_b32 s2, -1, 0
	s_delay_alu instid0(SALU_CYCLE_1)
	s_and_b32 vcc_lo, exec_lo, s2
	s_cbranch_vccnz .LBB9_2
; %bb.1:
	s_cmp_lg_u32 s11, 0
	s_cselect_b32 s2, -1, 0
	s_cmp_neq_f32 s26, 0
	s_cselect_b32 s3, -1, 0
	s_delay_alu instid0(SALU_CYCLE_1)
	s_and_b32 s2, s2, s3
.LBB9_2:
	s_delay_alu instid0(SALU_CYCLE_1)
	s_and_not1_b32 vcc_lo, exec_lo, s2
	s_cbranch_vccnz .LBB9_33
; %bb.3:
	s_load_b32 s27, s[0:1], 0x60
	s_lshr_b32 s20, ttmp7, 16
	s_wait_kmcnt 0x0
	s_cmp_ge_u32 s20, s27
	s_cbranch_scc1 .LBB9_33
; %bb.4:
	s_load_b32 s24, s[0:1], 0x18
	v_and_b32_e32 v1, 0x3ff, v0
	v_bfe_u32 v2, v0, 10, 10
	v_and_b32_e32 v16, 7, v0
	s_clause 0x3
	s_load_b128 s[12:15], s[0:1], 0x20
	s_load_b32 s4, s[0:1], 0x30
	s_load_b96 s[16:18], s[0:1], 0x48
	s_load_b64 s[22:23], s[0:1], 0x58
	s_lshl_b32 s0, ttmp7, 5
	v_lshl_add_u32 v0, v2, 4, v1
	v_lshlrev_b32_e32 v14, 2, v16
	s_lshl_b32 s2, ttmp9, 5
	s_and_b32 s3, s0, 0x1fffe0
	v_lshl_add_u32 v21, v2, 5, 0x400
	v_and_b32_e32 v3, 31, v0
	v_lshrrev_b32_e32 v5, 3, v0
	v_lshrrev_b32_e32 v17, 5, v0
	v_lshlrev_b32_e32 v20, 2, v1
	s_mov_b32 s21, 0
	v_lshlrev_b32_e32 v0, 2, v3
	v_or_b32_e32 v4, s2, v3
	v_add_nc_u32_e32 v10, s3, v5
	s_wait_kmcnt 0x0
	s_ashr_i32 s25, s24, 31
	s_cmp_neq_f32 s26, 0
	v_lshl_or_b32 v3, v5, 5, v14
	v_lshl_or_b32 v18, v17, 7, v0
	v_add_nc_u32_e32 v0, s2, v1
	v_add_nc_u32_e32 v5, s3, v2
	s_cselect_b32 s5, -1, 0
	s_cmp_gt_i32 s11, 0
	v_mad_co_i64_i32 v[6:7], null, v17, s24, 0
	s_delay_alu instid0(VALU_DEP_2)
	v_cmp_le_i32_e32 vcc_lo, v5, v0
	v_cmp_gt_i32_e64 s2, s10, v0
	v_add_nc_u32_e32 v2, 16, v0
	s_cselect_b32 s31, -1, 0
	s_cmp_neq_f32 s19, 0
	v_cmp_gt_i32_e64 s1, s10, v10
	v_mad_co_i64_i32 v[10:11], null, s4, v10, 0
	s_cselect_b32 s28, -1, 0
	v_mad_co_i64_i32 v[8:9], null, v5, s18, 0
	s_and_b32 s29, vcc_lo, s2
	v_cmp_le_i32_e32 vcc_lo, v5, v2
	v_add_nc_u32_e32 v12, 16, v5
	v_ashrrev_i32_e32 v5, 31, v4
	v_cmp_gt_i32_e64 s3, s10, v2
	v_cmp_gt_i32_e64 s0, s10, v4
	v_lshlrev_b64_e32 v[6:7], 2, v[6:7]
	v_lshlrev_b64_e32 v[10:11], 2, v[10:11]
	;; [unrolled: 1-line block ×3, first 2 shown]
	s_and_b32 s10, vcc_lo, s3
	v_cmp_le_i32_e32 vcc_lo, v12, v0
	v_cmp_le_i32_e64 s4, v12, v2
	v_mad_co_i64_i32 v[12:13], null, v12, s18, 0
	v_lshlrev_b64_e32 v[8:9], 2, v[8:9]
	s_and_b32 s18, vcc_lo, s2
	v_add_co_u32 v4, vcc_lo, v6, v4
	s_delay_alu instid0(VALU_DEP_1)
	v_add_co_ci_u32_e64 v5, null, v7, v5, vcc_lo
	v_add_co_u32 v6, vcc_lo, v10, v14
	s_wait_alu 0xfffd
	v_add_co_ci_u32_e64 v7, null, 0, v11, vcc_lo
	v_add_co_u32 v4, vcc_lo, s6, v4
	s_wait_alu 0xfffd
	v_add_co_ci_u32_e64 v5, null, s7, v5, vcc_lo
	v_add_co_u32 v6, vcc_lo, s14, v6
	v_lshlrev_b64_e32 v[10:11], 2, v[12:13]
	v_add_nc_u32_e32 v19, 0x400, v3
	v_ashrrev_i32_e32 v1, 31, v0
	v_ashrrev_i32_e32 v3, 31, v2
	s_wait_alu 0xfffd
	v_add_co_ci_u32_e64 v7, null, s15, v7, vcc_lo
	s_and_b32 s30, s4, s3
	s_and_b32 s14, s5, s31
	s_lshl_b64 s[2:3], s[12:13], 2
	s_lshl_b64 s[4:5], s[24:25], 5
	;; [unrolled: 1-line block ×3, first 2 shown]
	s_branch .LBB9_6
.LBB9_5:                                ;   in Loop: Header=BB9_6 Depth=1
	s_wait_alu 0xfffe
	s_or_b32 exec_lo, exec_lo, s8
	s_add_co_i32 s20, s20, 0x10000
	s_wait_alu 0xfffe
	s_cmp_lt_u32 s20, s27
	s_cbranch_scc0 .LBB9_33
.LBB9_6:                                ; =>This Loop Header: Depth=1
                                        ;     Child Loop BB9_9 Depth 2
	v_dual_mov_b32 v25, 0 :: v_dual_mov_b32 v24, 0
	v_dual_mov_b32 v23, 0 :: v_dual_mov_b32 v22, 0
	s_wait_alu 0xfffe
	s_and_not1_b32 vcc_lo, exec_lo, s14
	s_wait_alu 0xfffe
	s_cbranch_vccnz .LBB9_13
; %bb.7:                                ;   in Loop: Header=BB9_6 Depth=1
	v_mad_co_u64_u32 v[12:13], null, s2, s20, v[4:5]
	v_mad_co_u64_u32 v[14:15], null, s6, s20, v[6:7]
	v_dual_mov_b32 v22, 0 :: v_dual_mov_b32 v23, 0
	s_mov_b32 s8, 0
	s_delay_alu instid0(VALU_DEP_2) | instskip(NEXT) | instid1(VALU_DEP_3)
	v_mad_co_u64_u32 v[25:26], null, s3, s20, v[13:14]
	v_mad_co_u64_u32 v[26:27], null, s7, s20, v[15:16]
	s_delay_alu instid0(VALU_DEP_2) | instskip(SKIP_1) | instid1(VALU_DEP_3)
	v_dual_mov_b32 v24, 0 :: v_dual_mov_b32 v13, v25
	v_mov_b32_e32 v25, 0
	v_mov_b32_e32 v15, v26
	s_branch .LBB9_9
.LBB9_8:                                ;   in Loop: Header=BB9_9 Depth=2
	s_wait_alu 0xfffe
	s_or_b32 exec_lo, exec_lo, s9
	s_wait_loadcnt 0x0
	ds_store_b32 v19, v27
	s_wait_dscnt 0x0
	s_barrier_signal -1
	s_barrier_wait -1
	global_inv scope:SCOPE_SE
	ds_load_b128 v[26:29], v21
	ds_load_2addr_b32 v[42:43], v20 offset1:16
	ds_load_b128 v[30:33], v21 offset:512
	ds_load_2addr_b32 v[44:45], v20 offset0:32 offset1:48
	ds_load_2addr_b32 v[46:47], v20 offset0:64 offset1:80
	;; [unrolled: 1-line block ×3, first 2 shown]
	ds_load_b128 v[34:37], v21 offset:16
	ds_load_2addr_b32 v[50:51], v20 offset0:128 offset1:144
	ds_load_b128 v[38:41], v21 offset:528
	v_add_co_u32 v12, vcc_lo, v12, s4
	s_wait_alu 0xfffd
	v_add_co_ci_u32_e64 v13, null, s5, v13, vcc_lo
	v_add_co_u32 v14, vcc_lo, v14, 32
	s_wait_alu 0xfffd
	v_add_co_ci_u32_e64 v15, null, 0, v15, vcc_lo
	s_add_co_i32 s8, s8, 8
	s_wait_alu 0xfffe
	s_cmp_lt_i32 s8, s11
	s_wait_dscnt 0x7
	v_fmac_f32_e32 v24, v43, v26
	v_fmac_f32_e32 v25, v42, v26
	s_wait_dscnt 0x6
	v_fmac_f32_e32 v22, v43, v30
	v_fmac_f32_e32 v23, v42, v30
	ds_load_2addr_b32 v[42:43], v20 offset0:160 offset1:176
	s_wait_dscnt 0x6
	v_fmac_f32_e32 v24, v45, v27
	v_fmac_f32_e32 v25, v44, v27
	v_fmac_f32_e32 v22, v45, v31
	v_fmac_f32_e32 v23, v44, v31
	ds_load_2addr_b32 v[26:27], v20 offset0:192 offset1:208
	s_wait_dscnt 0x6
	v_fmac_f32_e32 v24, v47, v28
	v_fmac_f32_e32 v25, v46, v28
	;; [unrolled: 6-line block ×3, first 2 shown]
	v_fmac_f32_e32 v22, v49, v33
	v_fmac_f32_e32 v23, v48, v33
	s_wait_loadcnt_dscnt 0x0
	v_fmac_f32_e32 v24, v51, v34
	v_fmac_f32_e32 v25, v50, v34
	;; [unrolled: 1-line block ×4, first 2 shown]
	s_barrier_signal -1
	v_fmac_f32_e32 v24, v43, v35
	v_fmac_f32_e32 v25, v42, v35
	;; [unrolled: 1-line block ×4, first 2 shown]
	s_barrier_wait -1
	v_fmac_f32_e32 v24, v27, v36
	v_fmac_f32_e32 v25, v26, v36
	;; [unrolled: 1-line block ×4, first 2 shown]
	global_inv scope:SCOPE_SE
	v_fmac_f32_e32 v24, v31, v37
	v_fmac_f32_e32 v25, v30, v37
	;; [unrolled: 1-line block ×4, first 2 shown]
	s_cbranch_scc0 .LBB9_13
.LBB9_9:                                ;   Parent Loop BB9_6 Depth=1
                                        ; =>  This Inner Loop Header: Depth=2
	s_wait_alu 0xfffe
	v_add_nc_u32_e32 v26, s8, v17
	s_delay_alu instid0(VALU_DEP_1) | instskip(SKIP_2) | instid1(SALU_CYCLE_1)
	v_cmp_gt_i32_e32 vcc_lo, s11, v26
	v_mov_b32_e32 v26, 0
	s_and_b32 s12, s0, vcc_lo
	s_and_saveexec_b32 s9, s12
	s_cbranch_execz .LBB9_11
; %bb.10:                               ;   in Loop: Header=BB9_9 Depth=2
	global_load_b32 v26, v[12:13], off
.LBB9_11:                               ;   in Loop: Header=BB9_9 Depth=2
	s_wait_alu 0xfffe
	s_or_b32 exec_lo, exec_lo, s9
	v_add_nc_u32_e32 v27, s8, v16
	s_wait_loadcnt 0x0
	ds_store_b32 v18, v26
	v_cmp_gt_i32_e32 vcc_lo, s11, v27
	v_mov_b32_e32 v27, 0
	s_and_b32 s12, vcc_lo, s1
	s_delay_alu instid0(SALU_CYCLE_1)
	s_and_saveexec_b32 s9, s12
	s_cbranch_execz .LBB9_8
; %bb.12:                               ;   in Loop: Header=BB9_9 Depth=2
	global_load_b32 v27, v[14:15], off
	s_branch .LBB9_8
.LBB9_13:                               ;   in Loop: Header=BB9_6 Depth=1
	s_mul_u64 s[8:9], s[22:23], s[20:21]
	s_wait_alu 0xfffe
	s_lshl_b64 s[8:9], s[8:9], 2
	s_wait_alu 0xfffe
	s_add_nc_u64 s[8:9], s[16:17], s[8:9]
	s_wait_alu 0xfffe
	v_add_co_u32 v12, vcc_lo, s8, v8
	s_wait_alu 0xfffd
	v_add_co_ci_u32_e64 v13, null, s9, v9, vcc_lo
	s_and_saveexec_b32 s12, s29
	s_cbranch_execz .LBB9_17
; %bb.14:                               ;   in Loop: Header=BB9_6 Depth=1
	v_mul_f32_e32 v14, s26, v25
	s_and_b32 vcc_lo, exec_lo, s28
	s_wait_alu 0xfffe
	s_cbranch_vccz .LBB9_28
; %bb.15:                               ;   in Loop: Header=BB9_6 Depth=1
	v_lshlrev_b64_e32 v[25:26], 2, v[0:1]
	s_delay_alu instid0(VALU_DEP_1) | instskip(SKIP_1) | instid1(VALU_DEP_2)
	v_add_co_u32 v25, vcc_lo, v12, v25
	s_wait_alu 0xfffd
	v_add_co_ci_u32_e64 v26, null, v13, v26, vcc_lo
	global_load_b32 v15, v[25:26], off
	s_wait_loadcnt 0x0
	v_fma_f32 v15, s19, v15, v14
	global_store_b32 v[25:26], v15, off
	s_cbranch_execnz .LBB9_17
.LBB9_16:                               ;   in Loop: Header=BB9_6 Depth=1
	v_lshlrev_b64_e32 v[25:26], 2, v[0:1]
	s_delay_alu instid0(VALU_DEP_1) | instskip(SKIP_1) | instid1(VALU_DEP_2)
	v_add_co_u32 v25, vcc_lo, v12, v25
	s_wait_alu 0xfffd
	v_add_co_ci_u32_e64 v26, null, v13, v26, vcc_lo
	global_store_b32 v[25:26], v14, off
.LBB9_17:                               ;   in Loop: Header=BB9_6 Depth=1
	s_or_b32 exec_lo, exec_lo, s12
	s_and_saveexec_b32 s12, s10
	s_cbranch_execz .LBB9_21
; %bb.18:                               ;   in Loop: Header=BB9_6 Depth=1
	v_mul_f32_e32 v14, s26, v24
	s_and_not1_b32 vcc_lo, exec_lo, s28
	s_wait_alu 0xfffe
	s_cbranch_vccnz .LBB9_29
; %bb.19:                               ;   in Loop: Header=BB9_6 Depth=1
	v_lshlrev_b64_e32 v[24:25], 2, v[2:3]
	s_delay_alu instid0(VALU_DEP_1) | instskip(SKIP_1) | instid1(VALU_DEP_2)
	v_add_co_u32 v24, vcc_lo, v12, v24
	s_wait_alu 0xfffd
	v_add_co_ci_u32_e64 v25, null, v13, v25, vcc_lo
	global_load_b32 v15, v[24:25], off
	s_wait_loadcnt 0x0
	v_fma_f32 v15, s19, v15, v14
	global_store_b32 v[24:25], v15, off
	s_cbranch_execnz .LBB9_21
.LBB9_20:                               ;   in Loop: Header=BB9_6 Depth=1
	v_lshlrev_b64_e32 v[24:25], 2, v[2:3]
	s_delay_alu instid0(VALU_DEP_1) | instskip(SKIP_1) | instid1(VALU_DEP_2)
	v_add_co_u32 v12, vcc_lo, v12, v24
	s_wait_alu 0xfffd
	v_add_co_ci_u32_e64 v13, null, v13, v25, vcc_lo
	global_store_b32 v[12:13], v14, off
.LBB9_21:                               ;   in Loop: Header=BB9_6 Depth=1
	s_or_b32 exec_lo, exec_lo, s12
	v_add_co_u32 v14, vcc_lo, s8, v10
	s_wait_alu 0xfffd
	v_add_co_ci_u32_e64 v15, null, s9, v11, vcc_lo
	s_and_saveexec_b32 s8, s18
	s_cbranch_execz .LBB9_25
; %bb.22:                               ;   in Loop: Header=BB9_6 Depth=1
	v_lshlrev_b64_e32 v[12:13], 2, v[0:1]
	v_mul_f32_e32 v23, s26, v23
	s_and_not1_b32 vcc_lo, exec_lo, s28
	s_wait_alu 0xfffe
	s_cbranch_vccnz .LBB9_30
; %bb.23:                               ;   in Loop: Header=BB9_6 Depth=1
	s_delay_alu instid0(VALU_DEP_2)
	v_add_co_u32 v24, vcc_lo, v14, v12
	s_wait_alu 0xfffd
	v_add_co_ci_u32_e64 v25, null, v15, v13, vcc_lo
	global_load_b32 v26, v[24:25], off
	s_wait_loadcnt 0x0
	v_fma_f32 v26, s19, v26, v23
	global_store_b32 v[24:25], v26, off
	s_cbranch_execnz .LBB9_25
.LBB9_24:                               ;   in Loop: Header=BB9_6 Depth=1
	v_add_co_u32 v12, vcc_lo, v14, v12
	s_wait_alu 0xfffd
	v_add_co_ci_u32_e64 v13, null, v15, v13, vcc_lo
	global_store_b32 v[12:13], v23, off
.LBB9_25:                               ;   in Loop: Header=BB9_6 Depth=1
	s_wait_alu 0xfffe
	s_or_b32 exec_lo, exec_lo, s8
	s_and_saveexec_b32 s8, s30
	s_cbranch_execz .LBB9_5
; %bb.26:                               ;   in Loop: Header=BB9_6 Depth=1
	v_lshlrev_b64_e32 v[12:13], 2, v[2:3]
	v_mul_f32_e32 v22, s26, v22
	s_and_not1_b32 vcc_lo, exec_lo, s28
	s_wait_alu 0xfffe
	s_cbranch_vccnz .LBB9_31
; %bb.27:                               ;   in Loop: Header=BB9_6 Depth=1
	s_delay_alu instid0(VALU_DEP_2)
	v_add_co_u32 v23, vcc_lo, v14, v12
	s_wait_alu 0xfffd
	v_add_co_ci_u32_e64 v24, null, v15, v13, vcc_lo
	global_load_b32 v25, v[23:24], off
	s_wait_loadcnt 0x0
	v_fma_f32 v25, s19, v25, v22
	global_store_b32 v[23:24], v25, off
	s_cbranch_execnz .LBB9_5
	s_branch .LBB9_32
.LBB9_28:                               ;   in Loop: Header=BB9_6 Depth=1
	s_branch .LBB9_16
.LBB9_29:                               ;   in Loop: Header=BB9_6 Depth=1
	s_branch .LBB9_20
.LBB9_30:                               ;   in Loop: Header=BB9_6 Depth=1
	s_branch .LBB9_24
.LBB9_31:                               ;   in Loop: Header=BB9_6 Depth=1
.LBB9_32:                               ;   in Loop: Header=BB9_6 Depth=1
	s_delay_alu instid0(VALU_DEP_2)
	v_add_co_u32 v12, vcc_lo, v14, v12
	s_wait_alu 0xfffd
	v_add_co_ci_u32_e64 v13, null, v15, v13, vcc_lo
	global_store_b32 v[12:13], v22, off
	s_branch .LBB9_5
.LBB9_33:
	s_endpgm
	.section	.rodata,"a",@progbits
	.p2align	6, 0x0
	.amdhsa_kernel _ZL29rocblas_internal_gemmt_kernelIiLi16ELi32ELi8ELc78ELc78ELc76ELb0ELb0EfPKfS1_PfEviT_T9_T10_S3_lS5_S3_lS4_T11_S3_li
		.amdhsa_group_segment_fixed_size 2048
		.amdhsa_private_segment_fixed_size 0
		.amdhsa_kernarg_size 100
		.amdhsa_user_sgpr_count 2
		.amdhsa_user_sgpr_dispatch_ptr 0
		.amdhsa_user_sgpr_queue_ptr 0
		.amdhsa_user_sgpr_kernarg_segment_ptr 1
		.amdhsa_user_sgpr_dispatch_id 0
		.amdhsa_user_sgpr_private_segment_size 0
		.amdhsa_wavefront_size32 1
		.amdhsa_uses_dynamic_stack 0
		.amdhsa_enable_private_segment 0
		.amdhsa_system_sgpr_workgroup_id_x 1
		.amdhsa_system_sgpr_workgroup_id_y 1
		.amdhsa_system_sgpr_workgroup_id_z 1
		.amdhsa_system_sgpr_workgroup_info 0
		.amdhsa_system_vgpr_workitem_id 1
		.amdhsa_next_free_vgpr 52
		.amdhsa_next_free_sgpr 32
		.amdhsa_reserve_vcc 1
		.amdhsa_float_round_mode_32 0
		.amdhsa_float_round_mode_16_64 0
		.amdhsa_float_denorm_mode_32 3
		.amdhsa_float_denorm_mode_16_64 3
		.amdhsa_fp16_overflow 0
		.amdhsa_workgroup_processor_mode 1
		.amdhsa_memory_ordered 1
		.amdhsa_forward_progress 1
		.amdhsa_inst_pref_size 15
		.amdhsa_round_robin_scheduling 0
		.amdhsa_exception_fp_ieee_invalid_op 0
		.amdhsa_exception_fp_denorm_src 0
		.amdhsa_exception_fp_ieee_div_zero 0
		.amdhsa_exception_fp_ieee_overflow 0
		.amdhsa_exception_fp_ieee_underflow 0
		.amdhsa_exception_fp_ieee_inexact 0
		.amdhsa_exception_int_div_zero 0
	.end_amdhsa_kernel
	.section	.text._ZL29rocblas_internal_gemmt_kernelIiLi16ELi32ELi8ELc78ELc78ELc76ELb0ELb0EfPKfS1_PfEviT_T9_T10_S3_lS5_S3_lS4_T11_S3_li,"axG",@progbits,_ZL29rocblas_internal_gemmt_kernelIiLi16ELi32ELi8ELc78ELc78ELc76ELb0ELb0EfPKfS1_PfEviT_T9_T10_S3_lS5_S3_lS4_T11_S3_li,comdat
.Lfunc_end9:
	.size	_ZL29rocblas_internal_gemmt_kernelIiLi16ELi32ELi8ELc78ELc78ELc76ELb0ELb0EfPKfS1_PfEviT_T9_T10_S3_lS5_S3_lS4_T11_S3_li, .Lfunc_end9-_ZL29rocblas_internal_gemmt_kernelIiLi16ELi32ELi8ELc78ELc78ELc76ELb0ELb0EfPKfS1_PfEviT_T9_T10_S3_lS5_S3_lS4_T11_S3_li
                                        ; -- End function
	.set _ZL29rocblas_internal_gemmt_kernelIiLi16ELi32ELi8ELc78ELc78ELc76ELb0ELb0EfPKfS1_PfEviT_T9_T10_S3_lS5_S3_lS4_T11_S3_li.num_vgpr, 52
	.set _ZL29rocblas_internal_gemmt_kernelIiLi16ELi32ELi8ELc78ELc78ELc76ELb0ELb0EfPKfS1_PfEviT_T9_T10_S3_lS5_S3_lS4_T11_S3_li.num_agpr, 0
	.set _ZL29rocblas_internal_gemmt_kernelIiLi16ELi32ELi8ELc78ELc78ELc76ELb0ELb0EfPKfS1_PfEviT_T9_T10_S3_lS5_S3_lS4_T11_S3_li.numbered_sgpr, 32
	.set _ZL29rocblas_internal_gemmt_kernelIiLi16ELi32ELi8ELc78ELc78ELc76ELb0ELb0EfPKfS1_PfEviT_T9_T10_S3_lS5_S3_lS4_T11_S3_li.num_named_barrier, 0
	.set _ZL29rocblas_internal_gemmt_kernelIiLi16ELi32ELi8ELc78ELc78ELc76ELb0ELb0EfPKfS1_PfEviT_T9_T10_S3_lS5_S3_lS4_T11_S3_li.private_seg_size, 0
	.set _ZL29rocblas_internal_gemmt_kernelIiLi16ELi32ELi8ELc78ELc78ELc76ELb0ELb0EfPKfS1_PfEviT_T9_T10_S3_lS5_S3_lS4_T11_S3_li.uses_vcc, 1
	.set _ZL29rocblas_internal_gemmt_kernelIiLi16ELi32ELi8ELc78ELc78ELc76ELb0ELb0EfPKfS1_PfEviT_T9_T10_S3_lS5_S3_lS4_T11_S3_li.uses_flat_scratch, 0
	.set _ZL29rocblas_internal_gemmt_kernelIiLi16ELi32ELi8ELc78ELc78ELc76ELb0ELb0EfPKfS1_PfEviT_T9_T10_S3_lS5_S3_lS4_T11_S3_li.has_dyn_sized_stack, 0
	.set _ZL29rocblas_internal_gemmt_kernelIiLi16ELi32ELi8ELc78ELc78ELc76ELb0ELb0EfPKfS1_PfEviT_T9_T10_S3_lS5_S3_lS4_T11_S3_li.has_recursion, 0
	.set _ZL29rocblas_internal_gemmt_kernelIiLi16ELi32ELi8ELc78ELc78ELc76ELb0ELb0EfPKfS1_PfEviT_T9_T10_S3_lS5_S3_lS4_T11_S3_li.has_indirect_call, 0
	.section	.AMDGPU.csdata,"",@progbits
; Kernel info:
; codeLenInByte = 1804
; TotalNumSgprs: 34
; NumVgprs: 52
; ScratchSize: 0
; MemoryBound: 0
; FloatMode: 240
; IeeeMode: 1
; LDSByteSize: 2048 bytes/workgroup (compile time only)
; SGPRBlocks: 0
; VGPRBlocks: 6
; NumSGPRsForWavesPerEU: 34
; NumVGPRsForWavesPerEU: 52
; Occupancy: 16
; WaveLimiterHint : 0
; COMPUTE_PGM_RSRC2:SCRATCH_EN: 0
; COMPUTE_PGM_RSRC2:USER_SGPR: 2
; COMPUTE_PGM_RSRC2:TRAP_HANDLER: 0
; COMPUTE_PGM_RSRC2:TGID_X_EN: 1
; COMPUTE_PGM_RSRC2:TGID_Y_EN: 1
; COMPUTE_PGM_RSRC2:TGID_Z_EN: 1
; COMPUTE_PGM_RSRC2:TIDIG_COMP_CNT: 1
	.section	.text._ZL29rocblas_internal_gemmt_kernelIiLi16ELi32ELi8ELc78ELc84ELc76ELb0ELb0EfPKfS1_PfEviT_T9_T10_S3_lS5_S3_lS4_T11_S3_li,"axG",@progbits,_ZL29rocblas_internal_gemmt_kernelIiLi16ELi32ELi8ELc78ELc84ELc76ELb0ELb0EfPKfS1_PfEviT_T9_T10_S3_lS5_S3_lS4_T11_S3_li,comdat
	.globl	_ZL29rocblas_internal_gemmt_kernelIiLi16ELi32ELi8ELc78ELc84ELc76ELb0ELb0EfPKfS1_PfEviT_T9_T10_S3_lS5_S3_lS4_T11_S3_li ; -- Begin function _ZL29rocblas_internal_gemmt_kernelIiLi16ELi32ELi8ELc78ELc84ELc76ELb0ELb0EfPKfS1_PfEviT_T9_T10_S3_lS5_S3_lS4_T11_S3_li
	.p2align	8
	.type	_ZL29rocblas_internal_gemmt_kernelIiLi16ELi32ELi8ELc78ELc84ELc76ELb0ELb0EfPKfS1_PfEviT_T9_T10_S3_lS5_S3_lS4_T11_S3_li,@function
_ZL29rocblas_internal_gemmt_kernelIiLi16ELi32ELi8ELc78ELc84ELc76ELb0ELb0EfPKfS1_PfEviT_T9_T10_S3_lS5_S3_lS4_T11_S3_li: ; @_ZL29rocblas_internal_gemmt_kernelIiLi16ELi32ELi8ELc78ELc84ELc76ELb0ELb0EfPKfS1_PfEviT_T9_T10_S3_lS5_S3_lS4_T11_S3_li
; %bb.0:
	s_clause 0x1
	s_load_b128 s[8:11], s[0:1], 0x38
	s_load_b128 s[4:7], s[0:1], 0x8
	s_wait_kmcnt 0x0
	s_load_b32 s19, s[10:11], 0x0
	s_load_b64 s[10:11], s[0:1], 0x0
	s_load_b32 s28, s[4:5], 0x0
	s_wait_kmcnt 0x0
	s_cmp_neq_f32 s19, 1.0
	s_cselect_b32 s2, -1, 0
	s_delay_alu instid0(SALU_CYCLE_1)
	s_and_b32 vcc_lo, exec_lo, s2
	s_cbranch_vccnz .LBB10_2
; %bb.1:
	s_cmp_lg_u32 s11, 0
	s_cselect_b32 s2, -1, 0
	s_cmp_neq_f32 s28, 0
	s_cselect_b32 s3, -1, 0
	s_delay_alu instid0(SALU_CYCLE_1)
	s_and_b32 s2, s2, s3
.LBB10_2:
	s_delay_alu instid0(SALU_CYCLE_1)
	s_and_not1_b32 vcc_lo, exec_lo, s2
	s_cbranch_vccnz .LBB10_33
; %bb.3:
	s_load_b32 s29, s[0:1], 0x60
	s_lshr_b32 s20, ttmp7, 16
	s_wait_kmcnt 0x0
	s_cmp_ge_u32 s20, s29
	s_cbranch_scc1 .LBB10_33
; %bb.4:
	s_clause 0x1
	s_load_b32 s24, s[0:1], 0x18
	s_load_b32 s26, s[0:1], 0x30
	v_and_b32_e32 v1, 0x3ff, v0
	v_bfe_u32 v2, v0, 10, 10
	v_and_b32_e32 v16, 7, v0
	s_lshl_b32 s2, ttmp9, 5
	s_clause 0x2
	s_load_b128 s[12:15], s[0:1], 0x20
	s_load_b96 s[16:18], s[0:1], 0x48
	s_load_b64 s[22:23], s[0:1], 0x58
	v_lshl_add_u32 v0, v2, 4, v1
	v_lshlrev_b32_e32 v5, 2, v16
	s_lshl_b32 s0, ttmp7, 5
	v_lshl_add_u32 v21, v2, 5, 0x400
	s_and_b32 s3, s0, 0x1fffe0
	v_and_b32_e32 v3, 31, v0
	v_lshrrev_b32_e32 v17, 5, v0
	v_lshrrev_b32_e32 v0, 3, v0
	v_lshlrev_b32_e32 v20, 2, v1
	s_mov_b32 s21, 0
	v_or_b32_e32 v4, s2, v3
	v_lshlrev_b32_e32 v3, 2, v3
	s_wait_kmcnt 0x0
	s_ashr_i32 s25, s24, 31
	s_ashr_i32 s27, s26, 31
	s_cmp_neq_f32 s28, 0
	v_add_nc_u32_e32 v14, s3, v0
	v_lshl_or_b32 v5, v0, 5, v5
	v_lshl_or_b32 v18, v17, 7, v3
	v_add_nc_u32_e32 v0, s2, v1
	v_add_nc_u32_e32 v3, s3, v2
	s_cselect_b32 s5, -1, 0
	s_cmp_gt_i32 s11, 0
	v_mad_co_i64_i32 v[6:7], null, v17, s24, 0
	s_delay_alu instid0(VALU_DEP_2)
	v_cmp_le_i32_e32 vcc_lo, v3, v0
	v_cmp_gt_i32_e64 s2, s10, v0
	v_add_nc_u32_e32 v2, 16, v0
	s_cselect_b32 s34, -1, 0
	s_cmp_neq_f32 s19, 0
	v_add_nc_u32_e32 v19, 0x400, v5
	v_ashrrev_i32_e32 v5, 31, v4
	v_cmp_gt_i32_e64 s3, s10, v2
	s_cselect_b32 s30, -1, 0
	s_and_b32 s31, vcc_lo, s2
	v_cmp_le_i32_e32 vcc_lo, v3, v2
	v_add_nc_u32_e32 v12, 16, v3
	v_cmp_gt_i32_e64 s0, s10, v4
	v_lshlrev_b64_e32 v[6:7], 2, v[6:7]
	v_lshlrev_b64_e32 v[4:5], 2, v[4:5]
	v_mad_co_i64_i32 v[10:11], null, s26, v16, 0
	v_cmp_gt_i32_e64 s1, s10, v14
	s_and_b32 s10, vcc_lo, s3
	v_cmp_le_i32_e32 vcc_lo, v12, v0
	v_mad_co_i64_i32 v[8:9], null, v3, s18, 0
	v_cmp_le_i32_e64 s4, v12, v2
	v_mad_co_i64_i32 v[12:13], null, v12, s18, 0
	s_and_b32 s18, vcc_lo, s2
	v_add_co_u32 v4, vcc_lo, v6, v4
	s_delay_alu instid0(VALU_DEP_1) | instskip(SKIP_2) | instid1(VALU_DEP_4)
	v_add_co_ci_u32_e64 v5, null, v7, v5, vcc_lo
	v_lshlrev_b64_e32 v[6:7], 2, v[10:11]
	v_lshlrev_b32_e32 v10, 2, v14
	v_add_co_u32 v4, vcc_lo, s6, v4
	s_wait_alu 0xfffd
	v_add_co_ci_u32_e64 v5, null, s7, v5, vcc_lo
	s_delay_alu instid0(VALU_DEP_3) | instskip(SKIP_3) | instid1(VALU_DEP_3)
	v_add_co_u32 v6, vcc_lo, v6, v10
	s_wait_alu 0xfffd
	v_add_co_ci_u32_e64 v7, null, 0, v7, vcc_lo
	v_lshlrev_b64_e32 v[8:9], 2, v[8:9]
	v_add_co_u32 v6, vcc_lo, s14, v6
	v_lshlrev_b64_e32 v[10:11], 2, v[12:13]
	v_ashrrev_i32_e32 v1, 31, v0
	v_ashrrev_i32_e32 v3, 31, v2
	s_wait_alu 0xfffd
	v_add_co_ci_u32_e64 v7, null, s15, v7, vcc_lo
	s_and_b32 s33, s4, s3
	s_lshl_b64 s[2:3], s[12:13], 2
	s_and_b32 s14, s5, s34
	s_lshl_b64 s[4:5], s[24:25], 5
	s_lshl_b64 s[6:7], s[8:9], 2
	;; [unrolled: 1-line block ×3, first 2 shown]
	s_branch .LBB10_6
.LBB10_5:                               ;   in Loop: Header=BB10_6 Depth=1
	s_wait_alu 0xfffe
	s_or_b32 exec_lo, exec_lo, s12
	s_add_co_i32 s20, s20, 0x10000
	s_wait_alu 0xfffe
	s_cmp_lt_u32 s20, s29
	s_cbranch_scc0 .LBB10_33
.LBB10_6:                               ; =>This Loop Header: Depth=1
                                        ;     Child Loop BB10_9 Depth 2
	v_dual_mov_b32 v25, 0 :: v_dual_mov_b32 v24, 0
	v_dual_mov_b32 v23, 0 :: v_dual_mov_b32 v22, 0
	s_wait_alu 0xfffe
	s_and_not1_b32 vcc_lo, exec_lo, s14
	s_wait_alu 0xfffe
	s_cbranch_vccnz .LBB10_13
; %bb.7:                                ;   in Loop: Header=BB10_6 Depth=1
	v_mad_co_u64_u32 v[12:13], null, s2, s20, v[4:5]
	v_mad_co_u64_u32 v[14:15], null, s6, s20, v[6:7]
	v_dual_mov_b32 v22, 0 :: v_dual_mov_b32 v23, 0
	s_mov_b32 s12, 0
	s_delay_alu instid0(VALU_DEP_2) | instskip(NEXT) | instid1(VALU_DEP_3)
	v_mad_co_u64_u32 v[25:26], null, s3, s20, v[13:14]
	v_mad_co_u64_u32 v[26:27], null, s7, s20, v[15:16]
	s_delay_alu instid0(VALU_DEP_2) | instskip(SKIP_1) | instid1(VALU_DEP_3)
	v_dual_mov_b32 v24, 0 :: v_dual_mov_b32 v13, v25
	v_mov_b32_e32 v25, 0
	v_mov_b32_e32 v15, v26
	s_branch .LBB10_9
.LBB10_8:                               ;   in Loop: Header=BB10_9 Depth=2
	s_wait_alu 0xfffe
	s_or_b32 exec_lo, exec_lo, s13
	s_wait_loadcnt 0x0
	ds_store_b32 v19, v27
	s_wait_dscnt 0x0
	s_barrier_signal -1
	s_barrier_wait -1
	global_inv scope:SCOPE_SE
	ds_load_b128 v[26:29], v21
	ds_load_2addr_b32 v[42:43], v20 offset1:16
	ds_load_b128 v[30:33], v21 offset:512
	ds_load_2addr_b32 v[44:45], v20 offset0:32 offset1:48
	ds_load_2addr_b32 v[46:47], v20 offset0:64 offset1:80
	;; [unrolled: 1-line block ×3, first 2 shown]
	ds_load_b128 v[34:37], v21 offset:16
	ds_load_2addr_b32 v[50:51], v20 offset0:128 offset1:144
	ds_load_b128 v[38:41], v21 offset:528
	v_add_co_u32 v12, vcc_lo, v12, s4
	s_wait_alu 0xfffd
	v_add_co_ci_u32_e64 v13, null, s5, v13, vcc_lo
	v_add_co_u32 v14, vcc_lo, v14, s8
	s_wait_alu 0xfffd
	v_add_co_ci_u32_e64 v15, null, s9, v15, vcc_lo
	s_add_co_i32 s12, s12, 8
	s_wait_alu 0xfffe
	s_cmp_lt_i32 s12, s11
	s_wait_dscnt 0x7
	v_fmac_f32_e32 v24, v43, v26
	v_fmac_f32_e32 v25, v42, v26
	s_wait_dscnt 0x6
	v_fmac_f32_e32 v22, v43, v30
	v_fmac_f32_e32 v23, v42, v30
	ds_load_2addr_b32 v[42:43], v20 offset0:160 offset1:176
	s_wait_dscnt 0x6
	v_fmac_f32_e32 v24, v45, v27
	v_fmac_f32_e32 v25, v44, v27
	v_fmac_f32_e32 v22, v45, v31
	v_fmac_f32_e32 v23, v44, v31
	ds_load_2addr_b32 v[26:27], v20 offset0:192 offset1:208
	s_wait_dscnt 0x6
	v_fmac_f32_e32 v24, v47, v28
	v_fmac_f32_e32 v25, v46, v28
	;; [unrolled: 6-line block ×3, first 2 shown]
	v_fmac_f32_e32 v22, v49, v33
	v_fmac_f32_e32 v23, v48, v33
	s_wait_loadcnt_dscnt 0x0
	v_fmac_f32_e32 v24, v51, v34
	v_fmac_f32_e32 v25, v50, v34
	;; [unrolled: 1-line block ×4, first 2 shown]
	s_barrier_signal -1
	v_fmac_f32_e32 v24, v43, v35
	v_fmac_f32_e32 v25, v42, v35
	;; [unrolled: 1-line block ×4, first 2 shown]
	s_barrier_wait -1
	v_fmac_f32_e32 v24, v27, v36
	v_fmac_f32_e32 v25, v26, v36
	;; [unrolled: 1-line block ×4, first 2 shown]
	global_inv scope:SCOPE_SE
	v_fmac_f32_e32 v24, v31, v37
	v_fmac_f32_e32 v25, v30, v37
	v_fmac_f32_e32 v22, v31, v41
	v_fmac_f32_e32 v23, v30, v41
	s_cbranch_scc0 .LBB10_13
.LBB10_9:                               ;   Parent Loop BB10_6 Depth=1
                                        ; =>  This Inner Loop Header: Depth=2
	s_wait_alu 0xfffe
	v_add_nc_u32_e32 v26, s12, v17
	s_delay_alu instid0(VALU_DEP_1)
	v_cmp_gt_i32_e32 vcc_lo, s11, v26
	v_mov_b32_e32 v26, 0
	s_and_b32 s15, s0, vcc_lo
	s_wait_alu 0xfffe
	s_and_saveexec_b32 s13, s15
	s_cbranch_execz .LBB10_11
; %bb.10:                               ;   in Loop: Header=BB10_9 Depth=2
	global_load_b32 v26, v[12:13], off
.LBB10_11:                              ;   in Loop: Header=BB10_9 Depth=2
	s_wait_alu 0xfffe
	s_or_b32 exec_lo, exec_lo, s13
	v_add_nc_u32_e32 v27, s12, v16
	s_wait_loadcnt 0x0
	ds_store_b32 v18, v26
	v_cmp_gt_i32_e32 vcc_lo, s11, v27
	v_mov_b32_e32 v27, 0
	s_and_b32 s15, vcc_lo, s1
	s_wait_alu 0xfffe
	s_and_saveexec_b32 s13, s15
	s_cbranch_execz .LBB10_8
; %bb.12:                               ;   in Loop: Header=BB10_9 Depth=2
	global_load_b32 v27, v[14:15], off
	s_branch .LBB10_8
.LBB10_13:                              ;   in Loop: Header=BB10_6 Depth=1
	s_mul_u64 s[12:13], s[22:23], s[20:21]
	s_wait_alu 0xfffe
	s_lshl_b64 s[12:13], s[12:13], 2
	s_wait_alu 0xfffe
	s_add_nc_u64 s[12:13], s[16:17], s[12:13]
	s_wait_alu 0xfffe
	v_add_co_u32 v12, vcc_lo, s12, v8
	s_wait_alu 0xfffd
	v_add_co_ci_u32_e64 v13, null, s13, v9, vcc_lo
	s_and_saveexec_b32 s15, s31
	s_cbranch_execz .LBB10_17
; %bb.14:                               ;   in Loop: Header=BB10_6 Depth=1
	v_mul_f32_e32 v14, s28, v25
	s_and_b32 vcc_lo, exec_lo, s30
	s_wait_alu 0xfffe
	s_cbranch_vccz .LBB10_28
; %bb.15:                               ;   in Loop: Header=BB10_6 Depth=1
	v_lshlrev_b64_e32 v[25:26], 2, v[0:1]
	s_delay_alu instid0(VALU_DEP_1) | instskip(SKIP_1) | instid1(VALU_DEP_2)
	v_add_co_u32 v25, vcc_lo, v12, v25
	s_wait_alu 0xfffd
	v_add_co_ci_u32_e64 v26, null, v13, v26, vcc_lo
	global_load_b32 v15, v[25:26], off
	s_wait_loadcnt 0x0
	v_fma_f32 v15, s19, v15, v14
	global_store_b32 v[25:26], v15, off
	s_cbranch_execnz .LBB10_17
.LBB10_16:                              ;   in Loop: Header=BB10_6 Depth=1
	v_lshlrev_b64_e32 v[25:26], 2, v[0:1]
	s_delay_alu instid0(VALU_DEP_1) | instskip(SKIP_1) | instid1(VALU_DEP_2)
	v_add_co_u32 v25, vcc_lo, v12, v25
	s_wait_alu 0xfffd
	v_add_co_ci_u32_e64 v26, null, v13, v26, vcc_lo
	global_store_b32 v[25:26], v14, off
.LBB10_17:                              ;   in Loop: Header=BB10_6 Depth=1
	s_wait_alu 0xfffe
	s_or_b32 exec_lo, exec_lo, s15
	s_and_saveexec_b32 s15, s10
	s_cbranch_execz .LBB10_21
; %bb.18:                               ;   in Loop: Header=BB10_6 Depth=1
	v_mul_f32_e32 v14, s28, v24
	s_and_not1_b32 vcc_lo, exec_lo, s30
	s_wait_alu 0xfffe
	s_cbranch_vccnz .LBB10_29
; %bb.19:                               ;   in Loop: Header=BB10_6 Depth=1
	v_lshlrev_b64_e32 v[24:25], 2, v[2:3]
	s_delay_alu instid0(VALU_DEP_1) | instskip(SKIP_1) | instid1(VALU_DEP_2)
	v_add_co_u32 v24, vcc_lo, v12, v24
	s_wait_alu 0xfffd
	v_add_co_ci_u32_e64 v25, null, v13, v25, vcc_lo
	global_load_b32 v15, v[24:25], off
	s_wait_loadcnt 0x0
	v_fma_f32 v15, s19, v15, v14
	global_store_b32 v[24:25], v15, off
	s_cbranch_execnz .LBB10_21
.LBB10_20:                              ;   in Loop: Header=BB10_6 Depth=1
	v_lshlrev_b64_e32 v[24:25], 2, v[2:3]
	s_delay_alu instid0(VALU_DEP_1) | instskip(SKIP_1) | instid1(VALU_DEP_2)
	v_add_co_u32 v12, vcc_lo, v12, v24
	s_wait_alu 0xfffd
	v_add_co_ci_u32_e64 v13, null, v13, v25, vcc_lo
	global_store_b32 v[12:13], v14, off
.LBB10_21:                              ;   in Loop: Header=BB10_6 Depth=1
	s_wait_alu 0xfffe
	s_or_b32 exec_lo, exec_lo, s15
	v_add_co_u32 v14, vcc_lo, s12, v10
	s_wait_alu 0xfffd
	v_add_co_ci_u32_e64 v15, null, s13, v11, vcc_lo
	s_and_saveexec_b32 s12, s18
	s_cbranch_execz .LBB10_25
; %bb.22:                               ;   in Loop: Header=BB10_6 Depth=1
	v_lshlrev_b64_e32 v[12:13], 2, v[0:1]
	v_mul_f32_e32 v23, s28, v23
	s_and_not1_b32 vcc_lo, exec_lo, s30
	s_wait_alu 0xfffe
	s_cbranch_vccnz .LBB10_30
; %bb.23:                               ;   in Loop: Header=BB10_6 Depth=1
	s_delay_alu instid0(VALU_DEP_2)
	v_add_co_u32 v24, vcc_lo, v14, v12
	s_wait_alu 0xfffd
	v_add_co_ci_u32_e64 v25, null, v15, v13, vcc_lo
	global_load_b32 v26, v[24:25], off
	s_wait_loadcnt 0x0
	v_fma_f32 v26, s19, v26, v23
	global_store_b32 v[24:25], v26, off
	s_cbranch_execnz .LBB10_25
.LBB10_24:                              ;   in Loop: Header=BB10_6 Depth=1
	v_add_co_u32 v12, vcc_lo, v14, v12
	s_wait_alu 0xfffd
	v_add_co_ci_u32_e64 v13, null, v15, v13, vcc_lo
	global_store_b32 v[12:13], v23, off
.LBB10_25:                              ;   in Loop: Header=BB10_6 Depth=1
	s_wait_alu 0xfffe
	s_or_b32 exec_lo, exec_lo, s12
	s_and_saveexec_b32 s12, s33
	s_cbranch_execz .LBB10_5
; %bb.26:                               ;   in Loop: Header=BB10_6 Depth=1
	v_lshlrev_b64_e32 v[12:13], 2, v[2:3]
	v_mul_f32_e32 v22, s28, v22
	s_and_not1_b32 vcc_lo, exec_lo, s30
	s_wait_alu 0xfffe
	s_cbranch_vccnz .LBB10_31
; %bb.27:                               ;   in Loop: Header=BB10_6 Depth=1
	s_delay_alu instid0(VALU_DEP_2)
	v_add_co_u32 v23, vcc_lo, v14, v12
	s_wait_alu 0xfffd
	v_add_co_ci_u32_e64 v24, null, v15, v13, vcc_lo
	global_load_b32 v25, v[23:24], off
	s_wait_loadcnt 0x0
	v_fma_f32 v25, s19, v25, v22
	global_store_b32 v[23:24], v25, off
	s_cbranch_execnz .LBB10_5
	s_branch .LBB10_32
.LBB10_28:                              ;   in Loop: Header=BB10_6 Depth=1
	s_branch .LBB10_16
.LBB10_29:                              ;   in Loop: Header=BB10_6 Depth=1
	s_branch .LBB10_20
.LBB10_30:                              ;   in Loop: Header=BB10_6 Depth=1
	s_branch .LBB10_24
.LBB10_31:                              ;   in Loop: Header=BB10_6 Depth=1
.LBB10_32:                              ;   in Loop: Header=BB10_6 Depth=1
	s_delay_alu instid0(VALU_DEP_2)
	v_add_co_u32 v12, vcc_lo, v14, v12
	s_wait_alu 0xfffd
	v_add_co_ci_u32_e64 v13, null, v15, v13, vcc_lo
	global_store_b32 v[12:13], v22, off
	s_branch .LBB10_5
.LBB10_33:
	s_endpgm
	.section	.rodata,"a",@progbits
	.p2align	6, 0x0
	.amdhsa_kernel _ZL29rocblas_internal_gemmt_kernelIiLi16ELi32ELi8ELc78ELc84ELc76ELb0ELb0EfPKfS1_PfEviT_T9_T10_S3_lS5_S3_lS4_T11_S3_li
		.amdhsa_group_segment_fixed_size 2048
		.amdhsa_private_segment_fixed_size 0
		.amdhsa_kernarg_size 100
		.amdhsa_user_sgpr_count 2
		.amdhsa_user_sgpr_dispatch_ptr 0
		.amdhsa_user_sgpr_queue_ptr 0
		.amdhsa_user_sgpr_kernarg_segment_ptr 1
		.amdhsa_user_sgpr_dispatch_id 0
		.amdhsa_user_sgpr_private_segment_size 0
		.amdhsa_wavefront_size32 1
		.amdhsa_uses_dynamic_stack 0
		.amdhsa_enable_private_segment 0
		.amdhsa_system_sgpr_workgroup_id_x 1
		.amdhsa_system_sgpr_workgroup_id_y 1
		.amdhsa_system_sgpr_workgroup_id_z 1
		.amdhsa_system_sgpr_workgroup_info 0
		.amdhsa_system_vgpr_workitem_id 1
		.amdhsa_next_free_vgpr 52
		.amdhsa_next_free_sgpr 35
		.amdhsa_reserve_vcc 1
		.amdhsa_float_round_mode_32 0
		.amdhsa_float_round_mode_16_64 0
		.amdhsa_float_denorm_mode_32 3
		.amdhsa_float_denorm_mode_16_64 3
		.amdhsa_fp16_overflow 0
		.amdhsa_workgroup_processor_mode 1
		.amdhsa_memory_ordered 1
		.amdhsa_forward_progress 1
		.amdhsa_inst_pref_size 15
		.amdhsa_round_robin_scheduling 0
		.amdhsa_exception_fp_ieee_invalid_op 0
		.amdhsa_exception_fp_denorm_src 0
		.amdhsa_exception_fp_ieee_div_zero 0
		.amdhsa_exception_fp_ieee_overflow 0
		.amdhsa_exception_fp_ieee_underflow 0
		.amdhsa_exception_fp_ieee_inexact 0
		.amdhsa_exception_int_div_zero 0
	.end_amdhsa_kernel
	.section	.text._ZL29rocblas_internal_gemmt_kernelIiLi16ELi32ELi8ELc78ELc84ELc76ELb0ELb0EfPKfS1_PfEviT_T9_T10_S3_lS5_S3_lS4_T11_S3_li,"axG",@progbits,_ZL29rocblas_internal_gemmt_kernelIiLi16ELi32ELi8ELc78ELc84ELc76ELb0ELb0EfPKfS1_PfEviT_T9_T10_S3_lS5_S3_lS4_T11_S3_li,comdat
.Lfunc_end10:
	.size	_ZL29rocblas_internal_gemmt_kernelIiLi16ELi32ELi8ELc78ELc84ELc76ELb0ELb0EfPKfS1_PfEviT_T9_T10_S3_lS5_S3_lS4_T11_S3_li, .Lfunc_end10-_ZL29rocblas_internal_gemmt_kernelIiLi16ELi32ELi8ELc78ELc84ELc76ELb0ELb0EfPKfS1_PfEviT_T9_T10_S3_lS5_S3_lS4_T11_S3_li
                                        ; -- End function
	.set _ZL29rocblas_internal_gemmt_kernelIiLi16ELi32ELi8ELc78ELc84ELc76ELb0ELb0EfPKfS1_PfEviT_T9_T10_S3_lS5_S3_lS4_T11_S3_li.num_vgpr, 52
	.set _ZL29rocblas_internal_gemmt_kernelIiLi16ELi32ELi8ELc78ELc84ELc76ELb0ELb0EfPKfS1_PfEviT_T9_T10_S3_lS5_S3_lS4_T11_S3_li.num_agpr, 0
	.set _ZL29rocblas_internal_gemmt_kernelIiLi16ELi32ELi8ELc78ELc84ELc76ELb0ELb0EfPKfS1_PfEviT_T9_T10_S3_lS5_S3_lS4_T11_S3_li.numbered_sgpr, 35
	.set _ZL29rocblas_internal_gemmt_kernelIiLi16ELi32ELi8ELc78ELc84ELc76ELb0ELb0EfPKfS1_PfEviT_T9_T10_S3_lS5_S3_lS4_T11_S3_li.num_named_barrier, 0
	.set _ZL29rocblas_internal_gemmt_kernelIiLi16ELi32ELi8ELc78ELc84ELc76ELb0ELb0EfPKfS1_PfEviT_T9_T10_S3_lS5_S3_lS4_T11_S3_li.private_seg_size, 0
	.set _ZL29rocblas_internal_gemmt_kernelIiLi16ELi32ELi8ELc78ELc84ELc76ELb0ELb0EfPKfS1_PfEviT_T9_T10_S3_lS5_S3_lS4_T11_S3_li.uses_vcc, 1
	.set _ZL29rocblas_internal_gemmt_kernelIiLi16ELi32ELi8ELc78ELc84ELc76ELb0ELb0EfPKfS1_PfEviT_T9_T10_S3_lS5_S3_lS4_T11_S3_li.uses_flat_scratch, 0
	.set _ZL29rocblas_internal_gemmt_kernelIiLi16ELi32ELi8ELc78ELc84ELc76ELb0ELb0EfPKfS1_PfEviT_T9_T10_S3_lS5_S3_lS4_T11_S3_li.has_dyn_sized_stack, 0
	.set _ZL29rocblas_internal_gemmt_kernelIiLi16ELi32ELi8ELc78ELc84ELc76ELb0ELb0EfPKfS1_PfEviT_T9_T10_S3_lS5_S3_lS4_T11_S3_li.has_recursion, 0
	.set _ZL29rocblas_internal_gemmt_kernelIiLi16ELi32ELi8ELc78ELc84ELc76ELb0ELb0EfPKfS1_PfEviT_T9_T10_S3_lS5_S3_lS4_T11_S3_li.has_indirect_call, 0
	.section	.AMDGPU.csdata,"",@progbits
; Kernel info:
; codeLenInByte = 1836
; TotalNumSgprs: 37
; NumVgprs: 52
; ScratchSize: 0
; MemoryBound: 0
; FloatMode: 240
; IeeeMode: 1
; LDSByteSize: 2048 bytes/workgroup (compile time only)
; SGPRBlocks: 0
; VGPRBlocks: 6
; NumSGPRsForWavesPerEU: 37
; NumVGPRsForWavesPerEU: 52
; Occupancy: 16
; WaveLimiterHint : 0
; COMPUTE_PGM_RSRC2:SCRATCH_EN: 0
; COMPUTE_PGM_RSRC2:USER_SGPR: 2
; COMPUTE_PGM_RSRC2:TRAP_HANDLER: 0
; COMPUTE_PGM_RSRC2:TGID_X_EN: 1
; COMPUTE_PGM_RSRC2:TGID_Y_EN: 1
; COMPUTE_PGM_RSRC2:TGID_Z_EN: 1
; COMPUTE_PGM_RSRC2:TIDIG_COMP_CNT: 1
	.section	.text._ZL29rocblas_internal_gemmt_kernelIiLi16ELi32ELi8ELc78ELc67ELc76ELb0ELb0EfPKfS1_PfEviT_T9_T10_S3_lS5_S3_lS4_T11_S3_li,"axG",@progbits,_ZL29rocblas_internal_gemmt_kernelIiLi16ELi32ELi8ELc78ELc67ELc76ELb0ELb0EfPKfS1_PfEviT_T9_T10_S3_lS5_S3_lS4_T11_S3_li,comdat
	.globl	_ZL29rocblas_internal_gemmt_kernelIiLi16ELi32ELi8ELc78ELc67ELc76ELb0ELb0EfPKfS1_PfEviT_T9_T10_S3_lS5_S3_lS4_T11_S3_li ; -- Begin function _ZL29rocblas_internal_gemmt_kernelIiLi16ELi32ELi8ELc78ELc67ELc76ELb0ELb0EfPKfS1_PfEviT_T9_T10_S3_lS5_S3_lS4_T11_S3_li
	.p2align	8
	.type	_ZL29rocblas_internal_gemmt_kernelIiLi16ELi32ELi8ELc78ELc67ELc76ELb0ELb0EfPKfS1_PfEviT_T9_T10_S3_lS5_S3_lS4_T11_S3_li,@function
_ZL29rocblas_internal_gemmt_kernelIiLi16ELi32ELi8ELc78ELc67ELc76ELb0ELb0EfPKfS1_PfEviT_T9_T10_S3_lS5_S3_lS4_T11_S3_li: ; @_ZL29rocblas_internal_gemmt_kernelIiLi16ELi32ELi8ELc78ELc67ELc76ELb0ELb0EfPKfS1_PfEviT_T9_T10_S3_lS5_S3_lS4_T11_S3_li
; %bb.0:
	s_clause 0x1
	s_load_b128 s[8:11], s[0:1], 0x38
	s_load_b128 s[4:7], s[0:1], 0x8
	s_wait_kmcnt 0x0
	s_load_b32 s19, s[10:11], 0x0
	s_load_b64 s[10:11], s[0:1], 0x0
	s_load_b32 s28, s[4:5], 0x0
	s_wait_kmcnt 0x0
	s_cmp_neq_f32 s19, 1.0
	s_cselect_b32 s2, -1, 0
	s_delay_alu instid0(SALU_CYCLE_1)
	s_and_b32 vcc_lo, exec_lo, s2
	s_cbranch_vccnz .LBB11_2
; %bb.1:
	s_cmp_lg_u32 s11, 0
	s_cselect_b32 s2, -1, 0
	s_cmp_neq_f32 s28, 0
	s_cselect_b32 s3, -1, 0
	s_delay_alu instid0(SALU_CYCLE_1)
	s_and_b32 s2, s2, s3
.LBB11_2:
	s_delay_alu instid0(SALU_CYCLE_1)
	s_and_not1_b32 vcc_lo, exec_lo, s2
	s_cbranch_vccnz .LBB11_33
; %bb.3:
	s_load_b32 s29, s[0:1], 0x60
	s_lshr_b32 s20, ttmp7, 16
	s_wait_kmcnt 0x0
	s_cmp_ge_u32 s20, s29
	s_cbranch_scc1 .LBB11_33
; %bb.4:
	s_clause 0x1
	s_load_b32 s24, s[0:1], 0x18
	s_load_b32 s26, s[0:1], 0x30
	v_and_b32_e32 v1, 0x3ff, v0
	v_bfe_u32 v2, v0, 10, 10
	v_and_b32_e32 v16, 7, v0
	s_lshl_b32 s2, ttmp9, 5
	s_clause 0x2
	s_load_b128 s[12:15], s[0:1], 0x20
	s_load_b96 s[16:18], s[0:1], 0x48
	s_load_b64 s[22:23], s[0:1], 0x58
	v_lshl_add_u32 v0, v2, 4, v1
	v_lshlrev_b32_e32 v5, 2, v16
	s_lshl_b32 s0, ttmp7, 5
	v_lshl_add_u32 v21, v2, 5, 0x400
	s_and_b32 s3, s0, 0x1fffe0
	v_and_b32_e32 v3, 31, v0
	v_lshrrev_b32_e32 v17, 5, v0
	v_lshrrev_b32_e32 v0, 3, v0
	v_lshlrev_b32_e32 v20, 2, v1
	s_mov_b32 s21, 0
	v_or_b32_e32 v4, s2, v3
	v_lshlrev_b32_e32 v3, 2, v3
	s_wait_kmcnt 0x0
	s_ashr_i32 s25, s24, 31
	s_ashr_i32 s27, s26, 31
	s_cmp_neq_f32 s28, 0
	v_add_nc_u32_e32 v14, s3, v0
	v_lshl_or_b32 v5, v0, 5, v5
	v_lshl_or_b32 v18, v17, 7, v3
	v_add_nc_u32_e32 v0, s2, v1
	v_add_nc_u32_e32 v3, s3, v2
	s_cselect_b32 s5, -1, 0
	s_cmp_gt_i32 s11, 0
	v_mad_co_i64_i32 v[6:7], null, v17, s24, 0
	s_delay_alu instid0(VALU_DEP_2)
	v_cmp_le_i32_e32 vcc_lo, v3, v0
	v_cmp_gt_i32_e64 s2, s10, v0
	v_add_nc_u32_e32 v2, 16, v0
	s_cselect_b32 s34, -1, 0
	s_cmp_neq_f32 s19, 0
	v_add_nc_u32_e32 v19, 0x400, v5
	v_ashrrev_i32_e32 v5, 31, v4
	v_cmp_gt_i32_e64 s3, s10, v2
	s_cselect_b32 s30, -1, 0
	s_and_b32 s31, vcc_lo, s2
	v_cmp_le_i32_e32 vcc_lo, v3, v2
	v_add_nc_u32_e32 v12, 16, v3
	v_cmp_gt_i32_e64 s0, s10, v4
	v_lshlrev_b64_e32 v[6:7], 2, v[6:7]
	v_lshlrev_b64_e32 v[4:5], 2, v[4:5]
	v_mad_co_i64_i32 v[10:11], null, s26, v16, 0
	v_cmp_gt_i32_e64 s1, s10, v14
	s_and_b32 s10, vcc_lo, s3
	v_cmp_le_i32_e32 vcc_lo, v12, v0
	v_mad_co_i64_i32 v[8:9], null, v3, s18, 0
	v_cmp_le_i32_e64 s4, v12, v2
	v_mad_co_i64_i32 v[12:13], null, v12, s18, 0
	s_and_b32 s18, vcc_lo, s2
	v_add_co_u32 v4, vcc_lo, v6, v4
	s_delay_alu instid0(VALU_DEP_1) | instskip(SKIP_2) | instid1(VALU_DEP_4)
	v_add_co_ci_u32_e64 v5, null, v7, v5, vcc_lo
	v_lshlrev_b64_e32 v[6:7], 2, v[10:11]
	v_lshlrev_b32_e32 v10, 2, v14
	v_add_co_u32 v4, vcc_lo, s6, v4
	s_wait_alu 0xfffd
	v_add_co_ci_u32_e64 v5, null, s7, v5, vcc_lo
	s_delay_alu instid0(VALU_DEP_3) | instskip(SKIP_3) | instid1(VALU_DEP_3)
	v_add_co_u32 v6, vcc_lo, v6, v10
	s_wait_alu 0xfffd
	v_add_co_ci_u32_e64 v7, null, 0, v7, vcc_lo
	v_lshlrev_b64_e32 v[8:9], 2, v[8:9]
	v_add_co_u32 v6, vcc_lo, s14, v6
	v_lshlrev_b64_e32 v[10:11], 2, v[12:13]
	v_ashrrev_i32_e32 v1, 31, v0
	v_ashrrev_i32_e32 v3, 31, v2
	s_wait_alu 0xfffd
	v_add_co_ci_u32_e64 v7, null, s15, v7, vcc_lo
	s_and_b32 s33, s4, s3
	s_lshl_b64 s[2:3], s[12:13], 2
	s_and_b32 s14, s5, s34
	s_lshl_b64 s[4:5], s[24:25], 5
	s_lshl_b64 s[6:7], s[8:9], 2
	;; [unrolled: 1-line block ×3, first 2 shown]
	s_branch .LBB11_6
.LBB11_5:                               ;   in Loop: Header=BB11_6 Depth=1
	s_wait_alu 0xfffe
	s_or_b32 exec_lo, exec_lo, s12
	s_add_co_i32 s20, s20, 0x10000
	s_wait_alu 0xfffe
	s_cmp_lt_u32 s20, s29
	s_cbranch_scc0 .LBB11_33
.LBB11_6:                               ; =>This Loop Header: Depth=1
                                        ;     Child Loop BB11_9 Depth 2
	v_dual_mov_b32 v25, 0 :: v_dual_mov_b32 v24, 0
	v_dual_mov_b32 v23, 0 :: v_dual_mov_b32 v22, 0
	s_wait_alu 0xfffe
	s_and_not1_b32 vcc_lo, exec_lo, s14
	s_wait_alu 0xfffe
	s_cbranch_vccnz .LBB11_13
; %bb.7:                                ;   in Loop: Header=BB11_6 Depth=1
	v_mad_co_u64_u32 v[12:13], null, s2, s20, v[4:5]
	v_mad_co_u64_u32 v[14:15], null, s6, s20, v[6:7]
	v_dual_mov_b32 v22, 0 :: v_dual_mov_b32 v23, 0
	s_mov_b32 s12, 0
	s_delay_alu instid0(VALU_DEP_2) | instskip(NEXT) | instid1(VALU_DEP_3)
	v_mad_co_u64_u32 v[25:26], null, s3, s20, v[13:14]
	v_mad_co_u64_u32 v[26:27], null, s7, s20, v[15:16]
	s_delay_alu instid0(VALU_DEP_2) | instskip(SKIP_1) | instid1(VALU_DEP_3)
	v_dual_mov_b32 v24, 0 :: v_dual_mov_b32 v13, v25
	v_mov_b32_e32 v25, 0
	v_mov_b32_e32 v15, v26
	s_branch .LBB11_9
.LBB11_8:                               ;   in Loop: Header=BB11_9 Depth=2
	s_wait_alu 0xfffe
	s_or_b32 exec_lo, exec_lo, s13
	s_wait_loadcnt 0x0
	ds_store_b32 v19, v27
	s_wait_dscnt 0x0
	s_barrier_signal -1
	s_barrier_wait -1
	global_inv scope:SCOPE_SE
	ds_load_b128 v[26:29], v21
	ds_load_2addr_b32 v[42:43], v20 offset1:16
	ds_load_b128 v[30:33], v21 offset:512
	ds_load_2addr_b32 v[44:45], v20 offset0:32 offset1:48
	ds_load_2addr_b32 v[46:47], v20 offset0:64 offset1:80
	;; [unrolled: 1-line block ×3, first 2 shown]
	ds_load_b128 v[34:37], v21 offset:16
	ds_load_2addr_b32 v[50:51], v20 offset0:128 offset1:144
	ds_load_b128 v[38:41], v21 offset:528
	v_add_co_u32 v12, vcc_lo, v12, s4
	s_wait_alu 0xfffd
	v_add_co_ci_u32_e64 v13, null, s5, v13, vcc_lo
	v_add_co_u32 v14, vcc_lo, v14, s8
	s_wait_alu 0xfffd
	v_add_co_ci_u32_e64 v15, null, s9, v15, vcc_lo
	s_add_co_i32 s12, s12, 8
	s_wait_alu 0xfffe
	s_cmp_lt_i32 s12, s11
	s_wait_dscnt 0x7
	v_fmac_f32_e32 v24, v43, v26
	v_fmac_f32_e32 v25, v42, v26
	s_wait_dscnt 0x6
	v_fmac_f32_e32 v22, v43, v30
	v_fmac_f32_e32 v23, v42, v30
	ds_load_2addr_b32 v[42:43], v20 offset0:160 offset1:176
	s_wait_dscnt 0x6
	v_fmac_f32_e32 v24, v45, v27
	v_fmac_f32_e32 v25, v44, v27
	v_fmac_f32_e32 v22, v45, v31
	v_fmac_f32_e32 v23, v44, v31
	ds_load_2addr_b32 v[26:27], v20 offset0:192 offset1:208
	s_wait_dscnt 0x6
	v_fmac_f32_e32 v24, v47, v28
	v_fmac_f32_e32 v25, v46, v28
	;; [unrolled: 6-line block ×3, first 2 shown]
	v_fmac_f32_e32 v22, v49, v33
	v_fmac_f32_e32 v23, v48, v33
	s_wait_loadcnt_dscnt 0x0
	v_fmac_f32_e32 v24, v51, v34
	v_fmac_f32_e32 v25, v50, v34
	;; [unrolled: 1-line block ×4, first 2 shown]
	s_barrier_signal -1
	v_fmac_f32_e32 v24, v43, v35
	v_fmac_f32_e32 v25, v42, v35
	;; [unrolled: 1-line block ×4, first 2 shown]
	s_barrier_wait -1
	v_fmac_f32_e32 v24, v27, v36
	v_fmac_f32_e32 v25, v26, v36
	;; [unrolled: 1-line block ×4, first 2 shown]
	global_inv scope:SCOPE_SE
	v_fmac_f32_e32 v24, v31, v37
	v_fmac_f32_e32 v25, v30, v37
	v_fmac_f32_e32 v22, v31, v41
	v_fmac_f32_e32 v23, v30, v41
	s_cbranch_scc0 .LBB11_13
.LBB11_9:                               ;   Parent Loop BB11_6 Depth=1
                                        ; =>  This Inner Loop Header: Depth=2
	s_wait_alu 0xfffe
	v_add_nc_u32_e32 v26, s12, v17
	s_delay_alu instid0(VALU_DEP_1)
	v_cmp_gt_i32_e32 vcc_lo, s11, v26
	v_mov_b32_e32 v26, 0
	s_and_b32 s15, s0, vcc_lo
	s_wait_alu 0xfffe
	s_and_saveexec_b32 s13, s15
	s_cbranch_execz .LBB11_11
; %bb.10:                               ;   in Loop: Header=BB11_9 Depth=2
	global_load_b32 v26, v[12:13], off
.LBB11_11:                              ;   in Loop: Header=BB11_9 Depth=2
	s_wait_alu 0xfffe
	s_or_b32 exec_lo, exec_lo, s13
	v_add_nc_u32_e32 v27, s12, v16
	s_wait_loadcnt 0x0
	ds_store_b32 v18, v26
	v_cmp_gt_i32_e32 vcc_lo, s11, v27
	v_mov_b32_e32 v27, 0
	s_and_b32 s15, vcc_lo, s1
	s_wait_alu 0xfffe
	s_and_saveexec_b32 s13, s15
	s_cbranch_execz .LBB11_8
; %bb.12:                               ;   in Loop: Header=BB11_9 Depth=2
	global_load_b32 v27, v[14:15], off
	s_branch .LBB11_8
.LBB11_13:                              ;   in Loop: Header=BB11_6 Depth=1
	s_mul_u64 s[12:13], s[22:23], s[20:21]
	s_wait_alu 0xfffe
	s_lshl_b64 s[12:13], s[12:13], 2
	s_wait_alu 0xfffe
	s_add_nc_u64 s[12:13], s[16:17], s[12:13]
	s_wait_alu 0xfffe
	v_add_co_u32 v12, vcc_lo, s12, v8
	s_wait_alu 0xfffd
	v_add_co_ci_u32_e64 v13, null, s13, v9, vcc_lo
	s_and_saveexec_b32 s15, s31
	s_cbranch_execz .LBB11_17
; %bb.14:                               ;   in Loop: Header=BB11_6 Depth=1
	v_mul_f32_e32 v14, s28, v25
	s_and_b32 vcc_lo, exec_lo, s30
	s_wait_alu 0xfffe
	s_cbranch_vccz .LBB11_28
; %bb.15:                               ;   in Loop: Header=BB11_6 Depth=1
	v_lshlrev_b64_e32 v[25:26], 2, v[0:1]
	s_delay_alu instid0(VALU_DEP_1) | instskip(SKIP_1) | instid1(VALU_DEP_2)
	v_add_co_u32 v25, vcc_lo, v12, v25
	s_wait_alu 0xfffd
	v_add_co_ci_u32_e64 v26, null, v13, v26, vcc_lo
	global_load_b32 v15, v[25:26], off
	s_wait_loadcnt 0x0
	v_fma_f32 v15, s19, v15, v14
	global_store_b32 v[25:26], v15, off
	s_cbranch_execnz .LBB11_17
.LBB11_16:                              ;   in Loop: Header=BB11_6 Depth=1
	v_lshlrev_b64_e32 v[25:26], 2, v[0:1]
	s_delay_alu instid0(VALU_DEP_1) | instskip(SKIP_1) | instid1(VALU_DEP_2)
	v_add_co_u32 v25, vcc_lo, v12, v25
	s_wait_alu 0xfffd
	v_add_co_ci_u32_e64 v26, null, v13, v26, vcc_lo
	global_store_b32 v[25:26], v14, off
.LBB11_17:                              ;   in Loop: Header=BB11_6 Depth=1
	s_wait_alu 0xfffe
	s_or_b32 exec_lo, exec_lo, s15
	s_and_saveexec_b32 s15, s10
	s_cbranch_execz .LBB11_21
; %bb.18:                               ;   in Loop: Header=BB11_6 Depth=1
	v_mul_f32_e32 v14, s28, v24
	s_and_not1_b32 vcc_lo, exec_lo, s30
	s_wait_alu 0xfffe
	s_cbranch_vccnz .LBB11_29
; %bb.19:                               ;   in Loop: Header=BB11_6 Depth=1
	v_lshlrev_b64_e32 v[24:25], 2, v[2:3]
	s_delay_alu instid0(VALU_DEP_1) | instskip(SKIP_1) | instid1(VALU_DEP_2)
	v_add_co_u32 v24, vcc_lo, v12, v24
	s_wait_alu 0xfffd
	v_add_co_ci_u32_e64 v25, null, v13, v25, vcc_lo
	global_load_b32 v15, v[24:25], off
	s_wait_loadcnt 0x0
	v_fma_f32 v15, s19, v15, v14
	global_store_b32 v[24:25], v15, off
	s_cbranch_execnz .LBB11_21
.LBB11_20:                              ;   in Loop: Header=BB11_6 Depth=1
	v_lshlrev_b64_e32 v[24:25], 2, v[2:3]
	s_delay_alu instid0(VALU_DEP_1) | instskip(SKIP_1) | instid1(VALU_DEP_2)
	v_add_co_u32 v12, vcc_lo, v12, v24
	s_wait_alu 0xfffd
	v_add_co_ci_u32_e64 v13, null, v13, v25, vcc_lo
	global_store_b32 v[12:13], v14, off
.LBB11_21:                              ;   in Loop: Header=BB11_6 Depth=1
	s_wait_alu 0xfffe
	s_or_b32 exec_lo, exec_lo, s15
	v_add_co_u32 v14, vcc_lo, s12, v10
	s_wait_alu 0xfffd
	v_add_co_ci_u32_e64 v15, null, s13, v11, vcc_lo
	s_and_saveexec_b32 s12, s18
	s_cbranch_execz .LBB11_25
; %bb.22:                               ;   in Loop: Header=BB11_6 Depth=1
	v_lshlrev_b64_e32 v[12:13], 2, v[0:1]
	v_mul_f32_e32 v23, s28, v23
	s_and_not1_b32 vcc_lo, exec_lo, s30
	s_wait_alu 0xfffe
	s_cbranch_vccnz .LBB11_30
; %bb.23:                               ;   in Loop: Header=BB11_6 Depth=1
	s_delay_alu instid0(VALU_DEP_2)
	v_add_co_u32 v24, vcc_lo, v14, v12
	s_wait_alu 0xfffd
	v_add_co_ci_u32_e64 v25, null, v15, v13, vcc_lo
	global_load_b32 v26, v[24:25], off
	s_wait_loadcnt 0x0
	v_fma_f32 v26, s19, v26, v23
	global_store_b32 v[24:25], v26, off
	s_cbranch_execnz .LBB11_25
.LBB11_24:                              ;   in Loop: Header=BB11_6 Depth=1
	v_add_co_u32 v12, vcc_lo, v14, v12
	s_wait_alu 0xfffd
	v_add_co_ci_u32_e64 v13, null, v15, v13, vcc_lo
	global_store_b32 v[12:13], v23, off
.LBB11_25:                              ;   in Loop: Header=BB11_6 Depth=1
	s_wait_alu 0xfffe
	s_or_b32 exec_lo, exec_lo, s12
	s_and_saveexec_b32 s12, s33
	s_cbranch_execz .LBB11_5
; %bb.26:                               ;   in Loop: Header=BB11_6 Depth=1
	v_lshlrev_b64_e32 v[12:13], 2, v[2:3]
	v_mul_f32_e32 v22, s28, v22
	s_and_not1_b32 vcc_lo, exec_lo, s30
	s_wait_alu 0xfffe
	s_cbranch_vccnz .LBB11_31
; %bb.27:                               ;   in Loop: Header=BB11_6 Depth=1
	s_delay_alu instid0(VALU_DEP_2)
	v_add_co_u32 v23, vcc_lo, v14, v12
	s_wait_alu 0xfffd
	v_add_co_ci_u32_e64 v24, null, v15, v13, vcc_lo
	global_load_b32 v25, v[23:24], off
	s_wait_loadcnt 0x0
	v_fma_f32 v25, s19, v25, v22
	global_store_b32 v[23:24], v25, off
	s_cbranch_execnz .LBB11_5
	s_branch .LBB11_32
.LBB11_28:                              ;   in Loop: Header=BB11_6 Depth=1
	s_branch .LBB11_16
.LBB11_29:                              ;   in Loop: Header=BB11_6 Depth=1
	s_branch .LBB11_20
.LBB11_30:                              ;   in Loop: Header=BB11_6 Depth=1
	s_branch .LBB11_24
.LBB11_31:                              ;   in Loop: Header=BB11_6 Depth=1
.LBB11_32:                              ;   in Loop: Header=BB11_6 Depth=1
	s_delay_alu instid0(VALU_DEP_2)
	v_add_co_u32 v12, vcc_lo, v14, v12
	s_wait_alu 0xfffd
	v_add_co_ci_u32_e64 v13, null, v15, v13, vcc_lo
	global_store_b32 v[12:13], v22, off
	s_branch .LBB11_5
.LBB11_33:
	s_endpgm
	.section	.rodata,"a",@progbits
	.p2align	6, 0x0
	.amdhsa_kernel _ZL29rocblas_internal_gemmt_kernelIiLi16ELi32ELi8ELc78ELc67ELc76ELb0ELb0EfPKfS1_PfEviT_T9_T10_S3_lS5_S3_lS4_T11_S3_li
		.amdhsa_group_segment_fixed_size 2048
		.amdhsa_private_segment_fixed_size 0
		.amdhsa_kernarg_size 100
		.amdhsa_user_sgpr_count 2
		.amdhsa_user_sgpr_dispatch_ptr 0
		.amdhsa_user_sgpr_queue_ptr 0
		.amdhsa_user_sgpr_kernarg_segment_ptr 1
		.amdhsa_user_sgpr_dispatch_id 0
		.amdhsa_user_sgpr_private_segment_size 0
		.amdhsa_wavefront_size32 1
		.amdhsa_uses_dynamic_stack 0
		.amdhsa_enable_private_segment 0
		.amdhsa_system_sgpr_workgroup_id_x 1
		.amdhsa_system_sgpr_workgroup_id_y 1
		.amdhsa_system_sgpr_workgroup_id_z 1
		.amdhsa_system_sgpr_workgroup_info 0
		.amdhsa_system_vgpr_workitem_id 1
		.amdhsa_next_free_vgpr 52
		.amdhsa_next_free_sgpr 35
		.amdhsa_reserve_vcc 1
		.amdhsa_float_round_mode_32 0
		.amdhsa_float_round_mode_16_64 0
		.amdhsa_float_denorm_mode_32 3
		.amdhsa_float_denorm_mode_16_64 3
		.amdhsa_fp16_overflow 0
		.amdhsa_workgroup_processor_mode 1
		.amdhsa_memory_ordered 1
		.amdhsa_forward_progress 1
		.amdhsa_inst_pref_size 15
		.amdhsa_round_robin_scheduling 0
		.amdhsa_exception_fp_ieee_invalid_op 0
		.amdhsa_exception_fp_denorm_src 0
		.amdhsa_exception_fp_ieee_div_zero 0
		.amdhsa_exception_fp_ieee_overflow 0
		.amdhsa_exception_fp_ieee_underflow 0
		.amdhsa_exception_fp_ieee_inexact 0
		.amdhsa_exception_int_div_zero 0
	.end_amdhsa_kernel
	.section	.text._ZL29rocblas_internal_gemmt_kernelIiLi16ELi32ELi8ELc78ELc67ELc76ELb0ELb0EfPKfS1_PfEviT_T9_T10_S3_lS5_S3_lS4_T11_S3_li,"axG",@progbits,_ZL29rocblas_internal_gemmt_kernelIiLi16ELi32ELi8ELc78ELc67ELc76ELb0ELb0EfPKfS1_PfEviT_T9_T10_S3_lS5_S3_lS4_T11_S3_li,comdat
.Lfunc_end11:
	.size	_ZL29rocblas_internal_gemmt_kernelIiLi16ELi32ELi8ELc78ELc67ELc76ELb0ELb0EfPKfS1_PfEviT_T9_T10_S3_lS5_S3_lS4_T11_S3_li, .Lfunc_end11-_ZL29rocblas_internal_gemmt_kernelIiLi16ELi32ELi8ELc78ELc67ELc76ELb0ELb0EfPKfS1_PfEviT_T9_T10_S3_lS5_S3_lS4_T11_S3_li
                                        ; -- End function
	.set _ZL29rocblas_internal_gemmt_kernelIiLi16ELi32ELi8ELc78ELc67ELc76ELb0ELb0EfPKfS1_PfEviT_T9_T10_S3_lS5_S3_lS4_T11_S3_li.num_vgpr, 52
	.set _ZL29rocblas_internal_gemmt_kernelIiLi16ELi32ELi8ELc78ELc67ELc76ELb0ELb0EfPKfS1_PfEviT_T9_T10_S3_lS5_S3_lS4_T11_S3_li.num_agpr, 0
	.set _ZL29rocblas_internal_gemmt_kernelIiLi16ELi32ELi8ELc78ELc67ELc76ELb0ELb0EfPKfS1_PfEviT_T9_T10_S3_lS5_S3_lS4_T11_S3_li.numbered_sgpr, 35
	.set _ZL29rocblas_internal_gemmt_kernelIiLi16ELi32ELi8ELc78ELc67ELc76ELb0ELb0EfPKfS1_PfEviT_T9_T10_S3_lS5_S3_lS4_T11_S3_li.num_named_barrier, 0
	.set _ZL29rocblas_internal_gemmt_kernelIiLi16ELi32ELi8ELc78ELc67ELc76ELb0ELb0EfPKfS1_PfEviT_T9_T10_S3_lS5_S3_lS4_T11_S3_li.private_seg_size, 0
	.set _ZL29rocblas_internal_gemmt_kernelIiLi16ELi32ELi8ELc78ELc67ELc76ELb0ELb0EfPKfS1_PfEviT_T9_T10_S3_lS5_S3_lS4_T11_S3_li.uses_vcc, 1
	.set _ZL29rocblas_internal_gemmt_kernelIiLi16ELi32ELi8ELc78ELc67ELc76ELb0ELb0EfPKfS1_PfEviT_T9_T10_S3_lS5_S3_lS4_T11_S3_li.uses_flat_scratch, 0
	.set _ZL29rocblas_internal_gemmt_kernelIiLi16ELi32ELi8ELc78ELc67ELc76ELb0ELb0EfPKfS1_PfEviT_T9_T10_S3_lS5_S3_lS4_T11_S3_li.has_dyn_sized_stack, 0
	.set _ZL29rocblas_internal_gemmt_kernelIiLi16ELi32ELi8ELc78ELc67ELc76ELb0ELb0EfPKfS1_PfEviT_T9_T10_S3_lS5_S3_lS4_T11_S3_li.has_recursion, 0
	.set _ZL29rocblas_internal_gemmt_kernelIiLi16ELi32ELi8ELc78ELc67ELc76ELb0ELb0EfPKfS1_PfEviT_T9_T10_S3_lS5_S3_lS4_T11_S3_li.has_indirect_call, 0
	.section	.AMDGPU.csdata,"",@progbits
; Kernel info:
; codeLenInByte = 1836
; TotalNumSgprs: 37
; NumVgprs: 52
; ScratchSize: 0
; MemoryBound: 0
; FloatMode: 240
; IeeeMode: 1
; LDSByteSize: 2048 bytes/workgroup (compile time only)
; SGPRBlocks: 0
; VGPRBlocks: 6
; NumSGPRsForWavesPerEU: 37
; NumVGPRsForWavesPerEU: 52
; Occupancy: 16
; WaveLimiterHint : 0
; COMPUTE_PGM_RSRC2:SCRATCH_EN: 0
; COMPUTE_PGM_RSRC2:USER_SGPR: 2
; COMPUTE_PGM_RSRC2:TRAP_HANDLER: 0
; COMPUTE_PGM_RSRC2:TGID_X_EN: 1
; COMPUTE_PGM_RSRC2:TGID_Y_EN: 1
; COMPUTE_PGM_RSRC2:TGID_Z_EN: 1
; COMPUTE_PGM_RSRC2:TIDIG_COMP_CNT: 1
	.section	.text._ZL29rocblas_internal_gemmt_kernelIiLi16ELi32ELi8ELc84ELc78ELc76ELb0ELb0EfPKfS1_PfEviT_T9_T10_S3_lS5_S3_lS4_T11_S3_li,"axG",@progbits,_ZL29rocblas_internal_gemmt_kernelIiLi16ELi32ELi8ELc84ELc78ELc76ELb0ELb0EfPKfS1_PfEviT_T9_T10_S3_lS5_S3_lS4_T11_S3_li,comdat
	.globl	_ZL29rocblas_internal_gemmt_kernelIiLi16ELi32ELi8ELc84ELc78ELc76ELb0ELb0EfPKfS1_PfEviT_T9_T10_S3_lS5_S3_lS4_T11_S3_li ; -- Begin function _ZL29rocblas_internal_gemmt_kernelIiLi16ELi32ELi8ELc84ELc78ELc76ELb0ELb0EfPKfS1_PfEviT_T9_T10_S3_lS5_S3_lS4_T11_S3_li
	.p2align	8
	.type	_ZL29rocblas_internal_gemmt_kernelIiLi16ELi32ELi8ELc84ELc78ELc76ELb0ELb0EfPKfS1_PfEviT_T9_T10_S3_lS5_S3_lS4_T11_S3_li,@function
_ZL29rocblas_internal_gemmt_kernelIiLi16ELi32ELi8ELc84ELc78ELc76ELb0ELb0EfPKfS1_PfEviT_T9_T10_S3_lS5_S3_lS4_T11_S3_li: ; @_ZL29rocblas_internal_gemmt_kernelIiLi16ELi32ELi8ELc84ELc78ELc76ELb0ELb0EfPKfS1_PfEviT_T9_T10_S3_lS5_S3_lS4_T11_S3_li
; %bb.0:
	s_clause 0x1
	s_load_b128 s[4:7], s[0:1], 0x38
	s_load_b128 s[8:11], s[0:1], 0x8
	s_wait_kmcnt 0x0
	s_load_b32 s19, s[6:7], 0x0
	s_load_b64 s[6:7], s[0:1], 0x0
	s_load_b32 s22, s[8:9], 0x0
	s_wait_kmcnt 0x0
	s_cmp_neq_f32 s19, 1.0
	s_cselect_b32 s2, -1, 0
	s_delay_alu instid0(SALU_CYCLE_1)
	s_and_b32 vcc_lo, exec_lo, s2
	s_cbranch_vccnz .LBB12_2
; %bb.1:
	s_cmp_lg_u32 s7, 0
	s_cselect_b32 s2, -1, 0
	s_cmp_neq_f32 s22, 0
	s_cselect_b32 s3, -1, 0
	s_delay_alu instid0(SALU_CYCLE_1)
	s_and_b32 s2, s2, s3
.LBB12_2:
	s_delay_alu instid0(SALU_CYCLE_1)
	s_and_not1_b32 vcc_lo, exec_lo, s2
	s_cbranch_vccnz .LBB12_33
; %bb.3:
	s_load_b32 s23, s[0:1], 0x60
	s_lshr_b32 s8, ttmp7, 16
	s_wait_kmcnt 0x0
	s_cmp_ge_u32 s8, s23
	s_cbranch_scc1 .LBB12_33
; %bb.4:
	v_and_b32_e32 v1, 0x3ff, v0
	v_bfe_u32 v2, v0, 10, 10
	v_and_b32_e32 v16, 7, v0
	s_clause 0x4
	s_load_b32 s26, s[0:1], 0x18
	s_load_b128 s[12:15], s[0:1], 0x20
	s_load_b32 s27, s[0:1], 0x30
	s_load_b96 s[16:18], s[0:1], 0x48
	s_load_b64 s[20:21], s[0:1], 0x58
	s_lshl_b32 s3, ttmp9, 5
	v_lshl_add_u32 v0, v2, 4, v1
	s_lshl_b32 s2, ttmp7, 5
	v_lshl_add_u32 v21, v2, 5, 0x400
	s_and_b32 s2, s2, 0x1fffe0
	s_cmp_neq_f32 s22, 0
	v_lshrrev_b32_e32 v17, 5, v0
	v_lshrrev_b32_e32 v3, 3, v0
	v_and_b32_e32 v0, 31, v0
	v_add_nc_u32_e32 v5, s2, v2
	s_cselect_b32 s28, -1, 0
	s_cmp_gt_i32 s7, 0
	v_add_nc_u32_e32 v6, s2, v3
	v_or_b32_e32 v4, s3, v0
	v_lshlrev_b32_e32 v0, 2, v0
	s_cselect_b32 s29, -1, 0
	s_cmp_neq_f32 s19, 0
	v_add_nc_u32_e32 v13, 16, v5
	v_cmp_gt_i32_e64 s0, s6, v4
	v_lshl_or_b32 v18, v17, 7, v0
	v_add_nc_u32_e32 v0, s3, v1
	s_cselect_b32 s24, -1, 0
	s_wait_kmcnt 0x0
	v_mad_co_i64_i32 v[8:9], null, v5, s18, 0
	v_cmp_gt_i32_e64 s1, s6, v6
	v_cmp_le_i32_e32 vcc_lo, v5, v0
	v_cmp_gt_i32_e64 s2, s6, v0
	v_add_nc_u32_e32 v2, 16, v0
	v_mad_co_i64_i32 v[6:7], null, s27, v6, 0
	v_lshlrev_b32_e32 v14, 2, v17
	s_delay_alu instid0(VALU_DEP_4) | instskip(NEXT) | instid1(VALU_DEP_3)
	s_and_b32 s25, vcc_lo, s2
	v_cmp_le_i32_e32 vcc_lo, v5, v2
	v_mad_co_i64_i32 v[4:5], null, s26, v4, 0
	v_cmp_gt_i32_e64 s3, s6, v2
	v_lshlrev_b64_e32 v[6:7], 2, v[6:7]
	v_lshlrev_b32_e32 v12, 2, v16
	v_mad_co_i64_i32 v[10:11], null, v13, s18, 0
	s_and_b32 s6, vcc_lo, s3
	v_lshlrev_b64_e32 v[4:5], 2, v[4:5]
	v_cmp_le_i32_e32 vcc_lo, v13, v0
	v_lshl_or_b32 v3, v3, 5, v12
	v_lshlrev_b64_e32 v[8:9], 2, v[8:9]
	v_lshlrev_b32_e32 v20, 2, v1
	v_lshlrev_b64_e32 v[10:11], 2, v[10:11]
	s_and_b32 s18, vcc_lo, s2
	v_add_co_u32 v4, s2, v4, v14
	s_wait_alu 0xf1ff
	v_add_co_ci_u32_e64 v5, null, 0, v5, s2
	v_add_co_u32 v6, s2, v6, v12
	s_wait_alu 0xf1ff
	v_add_co_ci_u32_e64 v7, null, 0, v7, s2
	v_add_co_u32 v4, s2, s10, v4
	v_cmp_le_i32_e32 vcc_lo, v13, v2
	s_wait_alu 0xf1ff
	v_add_co_ci_u32_e64 v5, null, s11, v5, s2
	v_add_co_u32 v6, s2, s14, v6
	v_add_nc_u32_e32 v19, 0x400, v3
	v_ashrrev_i32_e32 v1, 31, v0
	v_ashrrev_i32_e32 v3, 31, v2
	s_wait_alu 0xf1ff
	v_add_co_ci_u32_e64 v7, null, s15, v7, s2
	s_mov_b32 s9, 0
	s_and_b32 s14, s28, s29
	s_and_b32 s15, vcc_lo, s3
	s_lshl_b64 s[2:3], s[12:13], 2
	s_lshl_b64 s[4:5], s[4:5], 2
	s_branch .LBB12_6
.LBB12_5:                               ;   in Loop: Header=BB12_6 Depth=1
	s_wait_alu 0xfffe
	s_or_b32 exec_lo, exec_lo, s10
	s_add_co_i32 s8, s8, 0x10000
	s_wait_alu 0xfffe
	s_cmp_lt_u32 s8, s23
	s_cbranch_scc0 .LBB12_33
.LBB12_6:                               ; =>This Loop Header: Depth=1
                                        ;     Child Loop BB12_9 Depth 2
	v_dual_mov_b32 v25, 0 :: v_dual_mov_b32 v24, 0
	v_dual_mov_b32 v23, 0 :: v_dual_mov_b32 v22, 0
	s_wait_alu 0xfffe
	s_and_not1_b32 vcc_lo, exec_lo, s14
	s_wait_alu 0xfffe
	s_cbranch_vccnz .LBB12_13
; %bb.7:                                ;   in Loop: Header=BB12_6 Depth=1
	v_mad_co_u64_u32 v[12:13], null, s2, s8, v[4:5]
	v_mad_co_u64_u32 v[14:15], null, s4, s8, v[6:7]
	v_dual_mov_b32 v22, 0 :: v_dual_mov_b32 v23, 0
	s_mov_b32 s10, 0
	s_delay_alu instid0(VALU_DEP_2) | instskip(NEXT) | instid1(VALU_DEP_3)
	v_mad_co_u64_u32 v[25:26], null, s3, s8, v[13:14]
	v_mad_co_u64_u32 v[26:27], null, s5, s8, v[15:16]
	s_delay_alu instid0(VALU_DEP_2) | instskip(SKIP_1) | instid1(VALU_DEP_3)
	v_dual_mov_b32 v24, 0 :: v_dual_mov_b32 v13, v25
	v_mov_b32_e32 v25, 0
	v_mov_b32_e32 v15, v26
	s_branch .LBB12_9
.LBB12_8:                               ;   in Loop: Header=BB12_9 Depth=2
	s_wait_alu 0xfffe
	s_or_b32 exec_lo, exec_lo, s11
	s_wait_loadcnt 0x0
	ds_store_b32 v19, v27
	s_wait_dscnt 0x0
	s_barrier_signal -1
	s_barrier_wait -1
	global_inv scope:SCOPE_SE
	ds_load_b128 v[26:29], v21
	ds_load_2addr_b32 v[42:43], v20 offset1:16
	ds_load_b128 v[30:33], v21 offset:512
	ds_load_2addr_b32 v[44:45], v20 offset0:32 offset1:48
	ds_load_2addr_b32 v[46:47], v20 offset0:64 offset1:80
	;; [unrolled: 1-line block ×3, first 2 shown]
	ds_load_b128 v[34:37], v21 offset:16
	ds_load_2addr_b32 v[50:51], v20 offset0:128 offset1:144
	ds_load_b128 v[38:41], v21 offset:528
	v_add_co_u32 v12, vcc_lo, v12, 32
	s_wait_alu 0xfffd
	v_add_co_ci_u32_e64 v13, null, 0, v13, vcc_lo
	v_add_co_u32 v14, vcc_lo, v14, 32
	s_wait_alu 0xfffd
	v_add_co_ci_u32_e64 v15, null, 0, v15, vcc_lo
	s_add_co_i32 s10, s10, 8
	s_wait_alu 0xfffe
	s_cmp_lt_i32 s10, s7
	s_wait_dscnt 0x7
	v_fmac_f32_e32 v24, v43, v26
	v_fmac_f32_e32 v25, v42, v26
	s_wait_dscnt 0x6
	v_fmac_f32_e32 v22, v43, v30
	v_fmac_f32_e32 v23, v42, v30
	ds_load_2addr_b32 v[42:43], v20 offset0:160 offset1:176
	s_wait_dscnt 0x6
	v_fmac_f32_e32 v24, v45, v27
	v_fmac_f32_e32 v25, v44, v27
	v_fmac_f32_e32 v22, v45, v31
	v_fmac_f32_e32 v23, v44, v31
	ds_load_2addr_b32 v[26:27], v20 offset0:192 offset1:208
	s_wait_dscnt 0x6
	v_fmac_f32_e32 v24, v47, v28
	v_fmac_f32_e32 v25, v46, v28
	;; [unrolled: 6-line block ×3, first 2 shown]
	v_fmac_f32_e32 v22, v49, v33
	v_fmac_f32_e32 v23, v48, v33
	s_wait_loadcnt_dscnt 0x0
	v_fmac_f32_e32 v24, v51, v34
	v_fmac_f32_e32 v25, v50, v34
	v_fmac_f32_e32 v22, v51, v38
	v_fmac_f32_e32 v23, v50, v38
	s_barrier_signal -1
	v_fmac_f32_e32 v24, v43, v35
	v_fmac_f32_e32 v25, v42, v35
	;; [unrolled: 1-line block ×4, first 2 shown]
	s_barrier_wait -1
	v_fmac_f32_e32 v24, v27, v36
	v_fmac_f32_e32 v25, v26, v36
	;; [unrolled: 1-line block ×4, first 2 shown]
	global_inv scope:SCOPE_SE
	v_fmac_f32_e32 v24, v31, v37
	v_fmac_f32_e32 v25, v30, v37
	;; [unrolled: 1-line block ×4, first 2 shown]
	s_cbranch_scc0 .LBB12_13
.LBB12_9:                               ;   Parent Loop BB12_6 Depth=1
                                        ; =>  This Inner Loop Header: Depth=2
	s_wait_alu 0xfffe
	v_add_nc_u32_e32 v26, s10, v17
	s_delay_alu instid0(VALU_DEP_1) | instskip(SKIP_2) | instid1(SALU_CYCLE_1)
	v_cmp_gt_i32_e32 vcc_lo, s7, v26
	v_mov_b32_e32 v26, 0
	s_and_b32 s12, s0, vcc_lo
	s_and_saveexec_b32 s11, s12
	s_cbranch_execz .LBB12_11
; %bb.10:                               ;   in Loop: Header=BB12_9 Depth=2
	global_load_b32 v26, v[12:13], off
.LBB12_11:                              ;   in Loop: Header=BB12_9 Depth=2
	s_wait_alu 0xfffe
	s_or_b32 exec_lo, exec_lo, s11
	v_add_nc_u32_e32 v27, s10, v16
	s_wait_loadcnt 0x0
	ds_store_b32 v18, v26
	v_cmp_gt_i32_e32 vcc_lo, s7, v27
	v_mov_b32_e32 v27, 0
	s_and_b32 s12, vcc_lo, s1
	s_delay_alu instid0(SALU_CYCLE_1)
	s_and_saveexec_b32 s11, s12
	s_cbranch_execz .LBB12_8
; %bb.12:                               ;   in Loop: Header=BB12_9 Depth=2
	global_load_b32 v27, v[14:15], off
	s_branch .LBB12_8
.LBB12_13:                              ;   in Loop: Header=BB12_6 Depth=1
	s_mul_u64 s[10:11], s[20:21], s[8:9]
	s_wait_alu 0xfffe
	s_lshl_b64 s[10:11], s[10:11], 2
	s_wait_alu 0xfffe
	s_add_nc_u64 s[10:11], s[16:17], s[10:11]
	s_wait_alu 0xfffe
	v_add_co_u32 v12, vcc_lo, s10, v8
	s_wait_alu 0xfffd
	v_add_co_ci_u32_e64 v13, null, s11, v9, vcc_lo
	s_and_saveexec_b32 s12, s25
	s_cbranch_execz .LBB12_17
; %bb.14:                               ;   in Loop: Header=BB12_6 Depth=1
	v_mul_f32_e32 v14, s22, v25
	s_and_b32 vcc_lo, exec_lo, s24
	s_wait_alu 0xfffe
	s_cbranch_vccz .LBB12_28
; %bb.15:                               ;   in Loop: Header=BB12_6 Depth=1
	v_lshlrev_b64_e32 v[25:26], 2, v[0:1]
	s_delay_alu instid0(VALU_DEP_1) | instskip(SKIP_1) | instid1(VALU_DEP_2)
	v_add_co_u32 v25, vcc_lo, v12, v25
	s_wait_alu 0xfffd
	v_add_co_ci_u32_e64 v26, null, v13, v26, vcc_lo
	global_load_b32 v15, v[25:26], off
	s_wait_loadcnt 0x0
	v_fma_f32 v15, s19, v15, v14
	global_store_b32 v[25:26], v15, off
	s_cbranch_execnz .LBB12_17
.LBB12_16:                              ;   in Loop: Header=BB12_6 Depth=1
	v_lshlrev_b64_e32 v[25:26], 2, v[0:1]
	s_delay_alu instid0(VALU_DEP_1) | instskip(SKIP_1) | instid1(VALU_DEP_2)
	v_add_co_u32 v25, vcc_lo, v12, v25
	s_wait_alu 0xfffd
	v_add_co_ci_u32_e64 v26, null, v13, v26, vcc_lo
	global_store_b32 v[25:26], v14, off
.LBB12_17:                              ;   in Loop: Header=BB12_6 Depth=1
	s_or_b32 exec_lo, exec_lo, s12
	s_and_saveexec_b32 s12, s6
	s_cbranch_execz .LBB12_21
; %bb.18:                               ;   in Loop: Header=BB12_6 Depth=1
	v_mul_f32_e32 v14, s22, v24
	s_and_not1_b32 vcc_lo, exec_lo, s24
	s_wait_alu 0xfffe
	s_cbranch_vccnz .LBB12_29
; %bb.19:                               ;   in Loop: Header=BB12_6 Depth=1
	v_lshlrev_b64_e32 v[24:25], 2, v[2:3]
	s_delay_alu instid0(VALU_DEP_1) | instskip(SKIP_1) | instid1(VALU_DEP_2)
	v_add_co_u32 v24, vcc_lo, v12, v24
	s_wait_alu 0xfffd
	v_add_co_ci_u32_e64 v25, null, v13, v25, vcc_lo
	global_load_b32 v15, v[24:25], off
	s_wait_loadcnt 0x0
	v_fma_f32 v15, s19, v15, v14
	global_store_b32 v[24:25], v15, off
	s_cbranch_execnz .LBB12_21
.LBB12_20:                              ;   in Loop: Header=BB12_6 Depth=1
	v_lshlrev_b64_e32 v[24:25], 2, v[2:3]
	s_delay_alu instid0(VALU_DEP_1) | instskip(SKIP_1) | instid1(VALU_DEP_2)
	v_add_co_u32 v12, vcc_lo, v12, v24
	s_wait_alu 0xfffd
	v_add_co_ci_u32_e64 v13, null, v13, v25, vcc_lo
	global_store_b32 v[12:13], v14, off
.LBB12_21:                              ;   in Loop: Header=BB12_6 Depth=1
	s_or_b32 exec_lo, exec_lo, s12
	v_add_co_u32 v14, vcc_lo, s10, v10
	s_wait_alu 0xfffd
	v_add_co_ci_u32_e64 v15, null, s11, v11, vcc_lo
	s_and_saveexec_b32 s10, s18
	s_cbranch_execz .LBB12_25
; %bb.22:                               ;   in Loop: Header=BB12_6 Depth=1
	v_lshlrev_b64_e32 v[12:13], 2, v[0:1]
	v_mul_f32_e32 v23, s22, v23
	s_and_not1_b32 vcc_lo, exec_lo, s24
	s_wait_alu 0xfffe
	s_cbranch_vccnz .LBB12_30
; %bb.23:                               ;   in Loop: Header=BB12_6 Depth=1
	s_delay_alu instid0(VALU_DEP_2)
	v_add_co_u32 v24, vcc_lo, v14, v12
	s_wait_alu 0xfffd
	v_add_co_ci_u32_e64 v25, null, v15, v13, vcc_lo
	global_load_b32 v26, v[24:25], off
	s_wait_loadcnt 0x0
	v_fma_f32 v26, s19, v26, v23
	global_store_b32 v[24:25], v26, off
	s_cbranch_execnz .LBB12_25
.LBB12_24:                              ;   in Loop: Header=BB12_6 Depth=1
	v_add_co_u32 v12, vcc_lo, v14, v12
	s_wait_alu 0xfffd
	v_add_co_ci_u32_e64 v13, null, v15, v13, vcc_lo
	global_store_b32 v[12:13], v23, off
.LBB12_25:                              ;   in Loop: Header=BB12_6 Depth=1
	s_wait_alu 0xfffe
	s_or_b32 exec_lo, exec_lo, s10
	s_and_saveexec_b32 s10, s15
	s_cbranch_execz .LBB12_5
; %bb.26:                               ;   in Loop: Header=BB12_6 Depth=1
	v_lshlrev_b64_e32 v[12:13], 2, v[2:3]
	v_mul_f32_e32 v22, s22, v22
	s_and_not1_b32 vcc_lo, exec_lo, s24
	s_wait_alu 0xfffe
	s_cbranch_vccnz .LBB12_31
; %bb.27:                               ;   in Loop: Header=BB12_6 Depth=1
	s_delay_alu instid0(VALU_DEP_2)
	v_add_co_u32 v23, vcc_lo, v14, v12
	s_wait_alu 0xfffd
	v_add_co_ci_u32_e64 v24, null, v15, v13, vcc_lo
	global_load_b32 v25, v[23:24], off
	s_wait_loadcnt 0x0
	v_fma_f32 v25, s19, v25, v22
	global_store_b32 v[23:24], v25, off
	s_cbranch_execnz .LBB12_5
	s_branch .LBB12_32
.LBB12_28:                              ;   in Loop: Header=BB12_6 Depth=1
	s_branch .LBB12_16
.LBB12_29:                              ;   in Loop: Header=BB12_6 Depth=1
	s_branch .LBB12_20
.LBB12_30:                              ;   in Loop: Header=BB12_6 Depth=1
	s_branch .LBB12_24
.LBB12_31:                              ;   in Loop: Header=BB12_6 Depth=1
.LBB12_32:                              ;   in Loop: Header=BB12_6 Depth=1
	s_delay_alu instid0(VALU_DEP_2)
	v_add_co_u32 v12, vcc_lo, v14, v12
	s_wait_alu 0xfffd
	v_add_co_ci_u32_e64 v13, null, v15, v13, vcc_lo
	global_store_b32 v[12:13], v22, off
	s_branch .LBB12_5
.LBB12_33:
	s_endpgm
	.section	.rodata,"a",@progbits
	.p2align	6, 0x0
	.amdhsa_kernel _ZL29rocblas_internal_gemmt_kernelIiLi16ELi32ELi8ELc84ELc78ELc76ELb0ELb0EfPKfS1_PfEviT_T9_T10_S3_lS5_S3_lS4_T11_S3_li
		.amdhsa_group_segment_fixed_size 2048
		.amdhsa_private_segment_fixed_size 0
		.amdhsa_kernarg_size 100
		.amdhsa_user_sgpr_count 2
		.amdhsa_user_sgpr_dispatch_ptr 0
		.amdhsa_user_sgpr_queue_ptr 0
		.amdhsa_user_sgpr_kernarg_segment_ptr 1
		.amdhsa_user_sgpr_dispatch_id 0
		.amdhsa_user_sgpr_private_segment_size 0
		.amdhsa_wavefront_size32 1
		.amdhsa_uses_dynamic_stack 0
		.amdhsa_enable_private_segment 0
		.amdhsa_system_sgpr_workgroup_id_x 1
		.amdhsa_system_sgpr_workgroup_id_y 1
		.amdhsa_system_sgpr_workgroup_id_z 1
		.amdhsa_system_sgpr_workgroup_info 0
		.amdhsa_system_vgpr_workitem_id 1
		.amdhsa_next_free_vgpr 52
		.amdhsa_next_free_sgpr 30
		.amdhsa_reserve_vcc 1
		.amdhsa_float_round_mode_32 0
		.amdhsa_float_round_mode_16_64 0
		.amdhsa_float_denorm_mode_32 3
		.amdhsa_float_denorm_mode_16_64 3
		.amdhsa_fp16_overflow 0
		.amdhsa_workgroup_processor_mode 1
		.amdhsa_memory_ordered 1
		.amdhsa_forward_progress 1
		.amdhsa_inst_pref_size 14
		.amdhsa_round_robin_scheduling 0
		.amdhsa_exception_fp_ieee_invalid_op 0
		.amdhsa_exception_fp_denorm_src 0
		.amdhsa_exception_fp_ieee_div_zero 0
		.amdhsa_exception_fp_ieee_overflow 0
		.amdhsa_exception_fp_ieee_underflow 0
		.amdhsa_exception_fp_ieee_inexact 0
		.amdhsa_exception_int_div_zero 0
	.end_amdhsa_kernel
	.section	.text._ZL29rocblas_internal_gemmt_kernelIiLi16ELi32ELi8ELc84ELc78ELc76ELb0ELb0EfPKfS1_PfEviT_T9_T10_S3_lS5_S3_lS4_T11_S3_li,"axG",@progbits,_ZL29rocblas_internal_gemmt_kernelIiLi16ELi32ELi8ELc84ELc78ELc76ELb0ELb0EfPKfS1_PfEviT_T9_T10_S3_lS5_S3_lS4_T11_S3_li,comdat
.Lfunc_end12:
	.size	_ZL29rocblas_internal_gemmt_kernelIiLi16ELi32ELi8ELc84ELc78ELc76ELb0ELb0EfPKfS1_PfEviT_T9_T10_S3_lS5_S3_lS4_T11_S3_li, .Lfunc_end12-_ZL29rocblas_internal_gemmt_kernelIiLi16ELi32ELi8ELc84ELc78ELc76ELb0ELb0EfPKfS1_PfEviT_T9_T10_S3_lS5_S3_lS4_T11_S3_li
                                        ; -- End function
	.set _ZL29rocblas_internal_gemmt_kernelIiLi16ELi32ELi8ELc84ELc78ELc76ELb0ELb0EfPKfS1_PfEviT_T9_T10_S3_lS5_S3_lS4_T11_S3_li.num_vgpr, 52
	.set _ZL29rocblas_internal_gemmt_kernelIiLi16ELi32ELi8ELc84ELc78ELc76ELb0ELb0EfPKfS1_PfEviT_T9_T10_S3_lS5_S3_lS4_T11_S3_li.num_agpr, 0
	.set _ZL29rocblas_internal_gemmt_kernelIiLi16ELi32ELi8ELc84ELc78ELc76ELb0ELb0EfPKfS1_PfEviT_T9_T10_S3_lS5_S3_lS4_T11_S3_li.numbered_sgpr, 30
	.set _ZL29rocblas_internal_gemmt_kernelIiLi16ELi32ELi8ELc84ELc78ELc76ELb0ELb0EfPKfS1_PfEviT_T9_T10_S3_lS5_S3_lS4_T11_S3_li.num_named_barrier, 0
	.set _ZL29rocblas_internal_gemmt_kernelIiLi16ELi32ELi8ELc84ELc78ELc76ELb0ELb0EfPKfS1_PfEviT_T9_T10_S3_lS5_S3_lS4_T11_S3_li.private_seg_size, 0
	.set _ZL29rocblas_internal_gemmt_kernelIiLi16ELi32ELi8ELc84ELc78ELc76ELb0ELb0EfPKfS1_PfEviT_T9_T10_S3_lS5_S3_lS4_T11_S3_li.uses_vcc, 1
	.set _ZL29rocblas_internal_gemmt_kernelIiLi16ELi32ELi8ELc84ELc78ELc76ELb0ELb0EfPKfS1_PfEviT_T9_T10_S3_lS5_S3_lS4_T11_S3_li.uses_flat_scratch, 0
	.set _ZL29rocblas_internal_gemmt_kernelIiLi16ELi32ELi8ELc84ELc78ELc76ELb0ELb0EfPKfS1_PfEviT_T9_T10_S3_lS5_S3_lS4_T11_S3_li.has_dyn_sized_stack, 0
	.set _ZL29rocblas_internal_gemmt_kernelIiLi16ELi32ELi8ELc84ELc78ELc76ELb0ELb0EfPKfS1_PfEviT_T9_T10_S3_lS5_S3_lS4_T11_S3_li.has_recursion, 0
	.set _ZL29rocblas_internal_gemmt_kernelIiLi16ELi32ELi8ELc84ELc78ELc76ELb0ELb0EfPKfS1_PfEviT_T9_T10_S3_lS5_S3_lS4_T11_S3_li.has_indirect_call, 0
	.section	.AMDGPU.csdata,"",@progbits
; Kernel info:
; codeLenInByte = 1788
; TotalNumSgprs: 32
; NumVgprs: 52
; ScratchSize: 0
; MemoryBound: 0
; FloatMode: 240
; IeeeMode: 1
; LDSByteSize: 2048 bytes/workgroup (compile time only)
; SGPRBlocks: 0
; VGPRBlocks: 6
; NumSGPRsForWavesPerEU: 32
; NumVGPRsForWavesPerEU: 52
; Occupancy: 16
; WaveLimiterHint : 0
; COMPUTE_PGM_RSRC2:SCRATCH_EN: 0
; COMPUTE_PGM_RSRC2:USER_SGPR: 2
; COMPUTE_PGM_RSRC2:TRAP_HANDLER: 0
; COMPUTE_PGM_RSRC2:TGID_X_EN: 1
; COMPUTE_PGM_RSRC2:TGID_Y_EN: 1
; COMPUTE_PGM_RSRC2:TGID_Z_EN: 1
; COMPUTE_PGM_RSRC2:TIDIG_COMP_CNT: 1
	.section	.text._ZL29rocblas_internal_gemmt_kernelIiLi16ELi32ELi8ELc84ELc84ELc76ELb0ELb0EfPKfS1_PfEviT_T9_T10_S3_lS5_S3_lS4_T11_S3_li,"axG",@progbits,_ZL29rocblas_internal_gemmt_kernelIiLi16ELi32ELi8ELc84ELc84ELc76ELb0ELb0EfPKfS1_PfEviT_T9_T10_S3_lS5_S3_lS4_T11_S3_li,comdat
	.globl	_ZL29rocblas_internal_gemmt_kernelIiLi16ELi32ELi8ELc84ELc84ELc76ELb0ELb0EfPKfS1_PfEviT_T9_T10_S3_lS5_S3_lS4_T11_S3_li ; -- Begin function _ZL29rocblas_internal_gemmt_kernelIiLi16ELi32ELi8ELc84ELc84ELc76ELb0ELb0EfPKfS1_PfEviT_T9_T10_S3_lS5_S3_lS4_T11_S3_li
	.p2align	8
	.type	_ZL29rocblas_internal_gemmt_kernelIiLi16ELi32ELi8ELc84ELc84ELc76ELb0ELb0EfPKfS1_PfEviT_T9_T10_S3_lS5_S3_lS4_T11_S3_li,@function
_ZL29rocblas_internal_gemmt_kernelIiLi16ELi32ELi8ELc84ELc84ELc76ELb0ELb0EfPKfS1_PfEviT_T9_T10_S3_lS5_S3_lS4_T11_S3_li: ; @_ZL29rocblas_internal_gemmt_kernelIiLi16ELi32ELi8ELc84ELc84ELc76ELb0ELb0EfPKfS1_PfEviT_T9_T10_S3_lS5_S3_lS4_T11_S3_li
; %bb.0:
	s_clause 0x1
	s_load_b128 s[8:11], s[0:1], 0x38
	s_load_b128 s[4:7], s[0:1], 0x8
	s_wait_kmcnt 0x0
	s_load_b32 s19, s[10:11], 0x0
	s_load_b64 s[10:11], s[0:1], 0x0
	s_load_b32 s26, s[4:5], 0x0
	s_wait_kmcnt 0x0
	s_cmp_neq_f32 s19, 1.0
	s_cselect_b32 s2, -1, 0
	s_delay_alu instid0(SALU_CYCLE_1)
	s_and_b32 vcc_lo, exec_lo, s2
	s_cbranch_vccnz .LBB13_2
; %bb.1:
	s_cmp_lg_u32 s11, 0
	s_cselect_b32 s2, -1, 0
	s_cmp_neq_f32 s26, 0
	s_cselect_b32 s3, -1, 0
	s_delay_alu instid0(SALU_CYCLE_1)
	s_and_b32 s2, s2, s3
.LBB13_2:
	s_delay_alu instid0(SALU_CYCLE_1)
	s_and_not1_b32 vcc_lo, exec_lo, s2
	s_cbranch_vccnz .LBB13_33
; %bb.3:
	s_load_b32 s27, s[0:1], 0x60
	s_lshr_b32 s20, ttmp7, 16
	s_wait_kmcnt 0x0
	s_cmp_ge_u32 s20, s27
	s_cbranch_scc1 .LBB13_33
; %bb.4:
	v_and_b32_e32 v1, 0x3ff, v0
	v_bfe_u32 v3, v0, 10, 10
	v_and_b32_e32 v16, 7, v0
	s_clause 0x4
	s_load_b32 s24, s[0:1], 0x30
	s_load_b32 s5, s[0:1], 0x18
	s_load_b128 s[12:15], s[0:1], 0x20
	s_load_b96 s[16:18], s[0:1], 0x48
	s_load_b64 s[22:23], s[0:1], 0x58
	v_lshl_add_u32 v0, v3, 4, v1
	v_lshlrev_b32_e32 v5, 2, v16
	s_lshl_b32 s2, ttmp9, 5
	s_lshl_b32 s0, ttmp7, 5
	v_lshlrev_b32_e32 v20, 2, v1
	v_and_b32_e32 v2, 31, v0
	v_lshrrev_b32_e32 v4, 3, v0
	v_lshrrev_b32_e32 v17, 5, v0
	s_and_b32 s3, s0, 0x1fffe0
	v_lshl_add_u32 v21, v3, 5, 0x400
	v_lshlrev_b32_e32 v0, 2, v2
	v_or_b32_e32 v6, s2, v2
	v_lshl_or_b32 v2, v4, 5, v5
	v_add_nc_u32_e32 v12, s3, v4
	v_add_nc_u32_e32 v4, s3, v3
	v_lshl_or_b32 v18, v17, 7, v0
	v_add_nc_u32_e32 v0, s2, v1
	v_add_nc_u32_e32 v19, 0x400, v2
	s_wait_kmcnt 0x0
	s_ashr_i32 s25, s24, 31
	s_cmp_neq_f32 s26, 0
	v_mad_co_i64_i32 v[8:9], null, v4, s18, 0
	v_add_nc_u32_e32 v2, 16, v0
	v_cmp_le_i32_e32 vcc_lo, v4, v0
	v_add_nc_u32_e32 v10, 16, v4
	v_cmp_gt_i32_e64 s0, s10, v6
	s_cselect_b32 s31, -1, 0
	v_cmp_le_i32_e64 s3, v4, v2
	v_mad_co_i64_i32 v[4:5], null, s5, v6, 0
	v_mad_co_i64_i32 v[6:7], null, s24, v16, 0
	s_cmp_gt_i32 s11, 0
	v_cmp_gt_i32_e64 s2, s10, v0
	s_cselect_b32 s33, -1, 0
	s_cmp_neq_f32 s19, 0
	v_lshlrev_b64_e32 v[4:5], 2, v[4:5]
	v_cmp_gt_i32_e64 s1, s10, v12
	v_cmp_gt_i32_e64 s4, s10, v2
	s_cselect_b32 s28, -1, 0
	s_and_b32 s10, vcc_lo, s2
	v_cmp_le_i32_e32 vcc_lo, v10, v0
	v_lshlrev_b32_e32 v13, 2, v17
	v_lshlrev_b64_e32 v[6:7], 2, v[6:7]
	v_lshlrev_b32_e32 v12, 2, v12
	s_and_b32 s29, s3, s4
	v_cmp_le_i32_e64 s3, v10, v2
	v_mad_co_i64_i32 v[10:11], null, v10, s18, 0
	s_and_b32 s18, vcc_lo, s2
	v_add_co_u32 v4, vcc_lo, v4, v13
	s_delay_alu instid0(VALU_DEP_1)
	v_add_co_ci_u32_e64 v5, null, 0, v5, vcc_lo
	v_add_co_u32 v6, vcc_lo, v6, v12
	s_wait_alu 0xfffd
	v_add_co_ci_u32_e64 v7, null, 0, v7, vcc_lo
	v_add_co_u32 v4, vcc_lo, s6, v4
	s_wait_alu 0xfffd
	v_add_co_ci_u32_e64 v5, null, s7, v5, vcc_lo
	v_add_co_u32 v6, vcc_lo, s14, v6
	v_lshlrev_b64_e32 v[8:9], 2, v[8:9]
	v_lshlrev_b64_e32 v[10:11], 2, v[10:11]
	v_ashrrev_i32_e32 v1, 31, v0
	v_ashrrev_i32_e32 v3, 31, v2
	s_wait_alu 0xfffd
	v_add_co_ci_u32_e64 v7, null, s15, v7, vcc_lo
	s_mov_b32 s21, 0
	s_and_b32 s30, s3, s4
	s_and_b32 s14, s31, s33
	s_lshl_b64 s[2:3], s[12:13], 2
	s_lshl_b64 s[4:5], s[8:9], 2
	;; [unrolled: 1-line block ×3, first 2 shown]
	s_branch .LBB13_6
.LBB13_5:                               ;   in Loop: Header=BB13_6 Depth=1
	s_wait_alu 0xfffe
	s_or_b32 exec_lo, exec_lo, s8
	s_add_co_i32 s20, s20, 0x10000
	s_wait_alu 0xfffe
	s_cmp_lt_u32 s20, s27
	s_cbranch_scc0 .LBB13_33
.LBB13_6:                               ; =>This Loop Header: Depth=1
                                        ;     Child Loop BB13_9 Depth 2
	v_dual_mov_b32 v25, 0 :: v_dual_mov_b32 v24, 0
	v_dual_mov_b32 v23, 0 :: v_dual_mov_b32 v22, 0
	s_wait_alu 0xfffe
	s_and_not1_b32 vcc_lo, exec_lo, s14
	s_wait_alu 0xfffe
	s_cbranch_vccnz .LBB13_13
; %bb.7:                                ;   in Loop: Header=BB13_6 Depth=1
	v_mad_co_u64_u32 v[12:13], null, s2, s20, v[4:5]
	v_mad_co_u64_u32 v[14:15], null, s4, s20, v[6:7]
	v_dual_mov_b32 v22, 0 :: v_dual_mov_b32 v23, 0
	s_mov_b32 s8, 0
	s_delay_alu instid0(VALU_DEP_2) | instskip(NEXT) | instid1(VALU_DEP_3)
	v_mad_co_u64_u32 v[25:26], null, s3, s20, v[13:14]
	v_mad_co_u64_u32 v[26:27], null, s5, s20, v[15:16]
	s_delay_alu instid0(VALU_DEP_2) | instskip(SKIP_1) | instid1(VALU_DEP_3)
	v_dual_mov_b32 v24, 0 :: v_dual_mov_b32 v13, v25
	v_mov_b32_e32 v25, 0
	v_mov_b32_e32 v15, v26
	s_branch .LBB13_9
.LBB13_8:                               ;   in Loop: Header=BB13_9 Depth=2
	s_wait_alu 0xfffe
	s_or_b32 exec_lo, exec_lo, s9
	s_wait_loadcnt 0x0
	ds_store_b32 v19, v27
	s_wait_dscnt 0x0
	s_barrier_signal -1
	s_barrier_wait -1
	global_inv scope:SCOPE_SE
	ds_load_b128 v[26:29], v21
	ds_load_2addr_b32 v[42:43], v20 offset1:16
	ds_load_b128 v[30:33], v21 offset:512
	ds_load_2addr_b32 v[44:45], v20 offset0:32 offset1:48
	ds_load_2addr_b32 v[46:47], v20 offset0:64 offset1:80
	;; [unrolled: 1-line block ×3, first 2 shown]
	ds_load_b128 v[34:37], v21 offset:16
	ds_load_2addr_b32 v[50:51], v20 offset0:128 offset1:144
	ds_load_b128 v[38:41], v21 offset:528
	v_add_co_u32 v12, vcc_lo, v12, 32
	s_wait_alu 0xfffd
	v_add_co_ci_u32_e64 v13, null, 0, v13, vcc_lo
	v_add_co_u32 v14, vcc_lo, v14, s6
	s_wait_alu 0xfffd
	v_add_co_ci_u32_e64 v15, null, s7, v15, vcc_lo
	s_add_co_i32 s8, s8, 8
	s_wait_alu 0xfffe
	s_cmp_lt_i32 s8, s11
	s_wait_dscnt 0x7
	v_fmac_f32_e32 v24, v43, v26
	v_fmac_f32_e32 v25, v42, v26
	s_wait_dscnt 0x6
	v_fmac_f32_e32 v22, v43, v30
	v_fmac_f32_e32 v23, v42, v30
	ds_load_2addr_b32 v[42:43], v20 offset0:160 offset1:176
	s_wait_dscnt 0x6
	v_fmac_f32_e32 v24, v45, v27
	v_fmac_f32_e32 v25, v44, v27
	v_fmac_f32_e32 v22, v45, v31
	v_fmac_f32_e32 v23, v44, v31
	ds_load_2addr_b32 v[26:27], v20 offset0:192 offset1:208
	s_wait_dscnt 0x6
	v_fmac_f32_e32 v24, v47, v28
	v_fmac_f32_e32 v25, v46, v28
	;; [unrolled: 6-line block ×3, first 2 shown]
	v_fmac_f32_e32 v22, v49, v33
	v_fmac_f32_e32 v23, v48, v33
	s_wait_loadcnt_dscnt 0x0
	v_fmac_f32_e32 v24, v51, v34
	v_fmac_f32_e32 v25, v50, v34
	v_fmac_f32_e32 v22, v51, v38
	v_fmac_f32_e32 v23, v50, v38
	s_barrier_signal -1
	v_fmac_f32_e32 v24, v43, v35
	v_fmac_f32_e32 v25, v42, v35
	;; [unrolled: 1-line block ×4, first 2 shown]
	s_barrier_wait -1
	v_fmac_f32_e32 v24, v27, v36
	v_fmac_f32_e32 v25, v26, v36
	;; [unrolled: 1-line block ×4, first 2 shown]
	global_inv scope:SCOPE_SE
	v_fmac_f32_e32 v24, v31, v37
	v_fmac_f32_e32 v25, v30, v37
	v_fmac_f32_e32 v22, v31, v41
	v_fmac_f32_e32 v23, v30, v41
	s_cbranch_scc0 .LBB13_13
.LBB13_9:                               ;   Parent Loop BB13_6 Depth=1
                                        ; =>  This Inner Loop Header: Depth=2
	s_wait_alu 0xfffe
	v_add_nc_u32_e32 v26, s8, v17
	s_delay_alu instid0(VALU_DEP_1) | instskip(SKIP_2) | instid1(SALU_CYCLE_1)
	v_cmp_gt_i32_e32 vcc_lo, s11, v26
	v_mov_b32_e32 v26, 0
	s_and_b32 s12, s0, vcc_lo
	s_and_saveexec_b32 s9, s12
	s_cbranch_execz .LBB13_11
; %bb.10:                               ;   in Loop: Header=BB13_9 Depth=2
	global_load_b32 v26, v[12:13], off
.LBB13_11:                              ;   in Loop: Header=BB13_9 Depth=2
	s_wait_alu 0xfffe
	s_or_b32 exec_lo, exec_lo, s9
	v_add_nc_u32_e32 v27, s8, v16
	s_wait_loadcnt 0x0
	ds_store_b32 v18, v26
	v_cmp_gt_i32_e32 vcc_lo, s11, v27
	v_mov_b32_e32 v27, 0
	s_and_b32 s12, vcc_lo, s1
	s_delay_alu instid0(SALU_CYCLE_1)
	s_and_saveexec_b32 s9, s12
	s_cbranch_execz .LBB13_8
; %bb.12:                               ;   in Loop: Header=BB13_9 Depth=2
	global_load_b32 v27, v[14:15], off
	s_branch .LBB13_8
.LBB13_13:                              ;   in Loop: Header=BB13_6 Depth=1
	s_mul_u64 s[8:9], s[22:23], s[20:21]
	s_wait_alu 0xfffe
	s_lshl_b64 s[8:9], s[8:9], 2
	s_wait_alu 0xfffe
	s_add_nc_u64 s[8:9], s[16:17], s[8:9]
	s_wait_alu 0xfffe
	v_add_co_u32 v12, vcc_lo, s8, v8
	s_wait_alu 0xfffd
	v_add_co_ci_u32_e64 v13, null, s9, v9, vcc_lo
	s_and_saveexec_b32 s12, s10
	s_cbranch_execz .LBB13_17
; %bb.14:                               ;   in Loop: Header=BB13_6 Depth=1
	v_mul_f32_e32 v14, s26, v25
	s_and_b32 vcc_lo, exec_lo, s28
	s_wait_alu 0xfffe
	s_cbranch_vccz .LBB13_28
; %bb.15:                               ;   in Loop: Header=BB13_6 Depth=1
	v_lshlrev_b64_e32 v[25:26], 2, v[0:1]
	s_delay_alu instid0(VALU_DEP_1) | instskip(SKIP_1) | instid1(VALU_DEP_2)
	v_add_co_u32 v25, vcc_lo, v12, v25
	s_wait_alu 0xfffd
	v_add_co_ci_u32_e64 v26, null, v13, v26, vcc_lo
	global_load_b32 v15, v[25:26], off
	s_wait_loadcnt 0x0
	v_fma_f32 v15, s19, v15, v14
	global_store_b32 v[25:26], v15, off
	s_cbranch_execnz .LBB13_17
.LBB13_16:                              ;   in Loop: Header=BB13_6 Depth=1
	v_lshlrev_b64_e32 v[25:26], 2, v[0:1]
	s_delay_alu instid0(VALU_DEP_1) | instskip(SKIP_1) | instid1(VALU_DEP_2)
	v_add_co_u32 v25, vcc_lo, v12, v25
	s_wait_alu 0xfffd
	v_add_co_ci_u32_e64 v26, null, v13, v26, vcc_lo
	global_store_b32 v[25:26], v14, off
.LBB13_17:                              ;   in Loop: Header=BB13_6 Depth=1
	s_or_b32 exec_lo, exec_lo, s12
	s_and_saveexec_b32 s12, s29
	s_cbranch_execz .LBB13_21
; %bb.18:                               ;   in Loop: Header=BB13_6 Depth=1
	v_mul_f32_e32 v14, s26, v24
	s_and_not1_b32 vcc_lo, exec_lo, s28
	s_wait_alu 0xfffe
	s_cbranch_vccnz .LBB13_29
; %bb.19:                               ;   in Loop: Header=BB13_6 Depth=1
	v_lshlrev_b64_e32 v[24:25], 2, v[2:3]
	s_delay_alu instid0(VALU_DEP_1) | instskip(SKIP_1) | instid1(VALU_DEP_2)
	v_add_co_u32 v24, vcc_lo, v12, v24
	s_wait_alu 0xfffd
	v_add_co_ci_u32_e64 v25, null, v13, v25, vcc_lo
	global_load_b32 v15, v[24:25], off
	s_wait_loadcnt 0x0
	v_fma_f32 v15, s19, v15, v14
	global_store_b32 v[24:25], v15, off
	s_cbranch_execnz .LBB13_21
.LBB13_20:                              ;   in Loop: Header=BB13_6 Depth=1
	v_lshlrev_b64_e32 v[24:25], 2, v[2:3]
	s_delay_alu instid0(VALU_DEP_1) | instskip(SKIP_1) | instid1(VALU_DEP_2)
	v_add_co_u32 v12, vcc_lo, v12, v24
	s_wait_alu 0xfffd
	v_add_co_ci_u32_e64 v13, null, v13, v25, vcc_lo
	global_store_b32 v[12:13], v14, off
.LBB13_21:                              ;   in Loop: Header=BB13_6 Depth=1
	s_or_b32 exec_lo, exec_lo, s12
	v_add_co_u32 v14, vcc_lo, s8, v10
	s_wait_alu 0xfffd
	v_add_co_ci_u32_e64 v15, null, s9, v11, vcc_lo
	s_and_saveexec_b32 s8, s18
	s_cbranch_execz .LBB13_25
; %bb.22:                               ;   in Loop: Header=BB13_6 Depth=1
	v_lshlrev_b64_e32 v[12:13], 2, v[0:1]
	v_mul_f32_e32 v23, s26, v23
	s_and_not1_b32 vcc_lo, exec_lo, s28
	s_wait_alu 0xfffe
	s_cbranch_vccnz .LBB13_30
; %bb.23:                               ;   in Loop: Header=BB13_6 Depth=1
	s_delay_alu instid0(VALU_DEP_2)
	v_add_co_u32 v24, vcc_lo, v14, v12
	s_wait_alu 0xfffd
	v_add_co_ci_u32_e64 v25, null, v15, v13, vcc_lo
	global_load_b32 v26, v[24:25], off
	s_wait_loadcnt 0x0
	v_fma_f32 v26, s19, v26, v23
	global_store_b32 v[24:25], v26, off
	s_cbranch_execnz .LBB13_25
.LBB13_24:                              ;   in Loop: Header=BB13_6 Depth=1
	v_add_co_u32 v12, vcc_lo, v14, v12
	s_wait_alu 0xfffd
	v_add_co_ci_u32_e64 v13, null, v15, v13, vcc_lo
	global_store_b32 v[12:13], v23, off
.LBB13_25:                              ;   in Loop: Header=BB13_6 Depth=1
	s_wait_alu 0xfffe
	s_or_b32 exec_lo, exec_lo, s8
	s_and_saveexec_b32 s8, s30
	s_cbranch_execz .LBB13_5
; %bb.26:                               ;   in Loop: Header=BB13_6 Depth=1
	v_lshlrev_b64_e32 v[12:13], 2, v[2:3]
	v_mul_f32_e32 v22, s26, v22
	s_and_not1_b32 vcc_lo, exec_lo, s28
	s_wait_alu 0xfffe
	s_cbranch_vccnz .LBB13_31
; %bb.27:                               ;   in Loop: Header=BB13_6 Depth=1
	s_delay_alu instid0(VALU_DEP_2)
	v_add_co_u32 v23, vcc_lo, v14, v12
	s_wait_alu 0xfffd
	v_add_co_ci_u32_e64 v24, null, v15, v13, vcc_lo
	global_load_b32 v25, v[23:24], off
	s_wait_loadcnt 0x0
	v_fma_f32 v25, s19, v25, v22
	global_store_b32 v[23:24], v25, off
	s_cbranch_execnz .LBB13_5
	s_branch .LBB13_32
.LBB13_28:                              ;   in Loop: Header=BB13_6 Depth=1
	s_branch .LBB13_16
.LBB13_29:                              ;   in Loop: Header=BB13_6 Depth=1
	s_branch .LBB13_20
.LBB13_30:                              ;   in Loop: Header=BB13_6 Depth=1
	s_branch .LBB13_24
.LBB13_31:                              ;   in Loop: Header=BB13_6 Depth=1
.LBB13_32:                              ;   in Loop: Header=BB13_6 Depth=1
	s_delay_alu instid0(VALU_DEP_2)
	v_add_co_u32 v12, vcc_lo, v14, v12
	s_wait_alu 0xfffd
	v_add_co_ci_u32_e64 v13, null, v15, v13, vcc_lo
	global_store_b32 v[12:13], v22, off
	s_branch .LBB13_5
.LBB13_33:
	s_endpgm
	.section	.rodata,"a",@progbits
	.p2align	6, 0x0
	.amdhsa_kernel _ZL29rocblas_internal_gemmt_kernelIiLi16ELi32ELi8ELc84ELc84ELc76ELb0ELb0EfPKfS1_PfEviT_T9_T10_S3_lS5_S3_lS4_T11_S3_li
		.amdhsa_group_segment_fixed_size 2048
		.amdhsa_private_segment_fixed_size 0
		.amdhsa_kernarg_size 100
		.amdhsa_user_sgpr_count 2
		.amdhsa_user_sgpr_dispatch_ptr 0
		.amdhsa_user_sgpr_queue_ptr 0
		.amdhsa_user_sgpr_kernarg_segment_ptr 1
		.amdhsa_user_sgpr_dispatch_id 0
		.amdhsa_user_sgpr_private_segment_size 0
		.amdhsa_wavefront_size32 1
		.amdhsa_uses_dynamic_stack 0
		.amdhsa_enable_private_segment 0
		.amdhsa_system_sgpr_workgroup_id_x 1
		.amdhsa_system_sgpr_workgroup_id_y 1
		.amdhsa_system_sgpr_workgroup_id_z 1
		.amdhsa_system_sgpr_workgroup_info 0
		.amdhsa_system_vgpr_workitem_id 1
		.amdhsa_next_free_vgpr 52
		.amdhsa_next_free_sgpr 34
		.amdhsa_reserve_vcc 1
		.amdhsa_float_round_mode_32 0
		.amdhsa_float_round_mode_16_64 0
		.amdhsa_float_denorm_mode_32 3
		.amdhsa_float_denorm_mode_16_64 3
		.amdhsa_fp16_overflow 0
		.amdhsa_workgroup_processor_mode 1
		.amdhsa_memory_ordered 1
		.amdhsa_forward_progress 1
		.amdhsa_inst_pref_size 15
		.amdhsa_round_robin_scheduling 0
		.amdhsa_exception_fp_ieee_invalid_op 0
		.amdhsa_exception_fp_denorm_src 0
		.amdhsa_exception_fp_ieee_div_zero 0
		.amdhsa_exception_fp_ieee_overflow 0
		.amdhsa_exception_fp_ieee_underflow 0
		.amdhsa_exception_fp_ieee_inexact 0
		.amdhsa_exception_int_div_zero 0
	.end_amdhsa_kernel
	.section	.text._ZL29rocblas_internal_gemmt_kernelIiLi16ELi32ELi8ELc84ELc84ELc76ELb0ELb0EfPKfS1_PfEviT_T9_T10_S3_lS5_S3_lS4_T11_S3_li,"axG",@progbits,_ZL29rocblas_internal_gemmt_kernelIiLi16ELi32ELi8ELc84ELc84ELc76ELb0ELb0EfPKfS1_PfEviT_T9_T10_S3_lS5_S3_lS4_T11_S3_li,comdat
.Lfunc_end13:
	.size	_ZL29rocblas_internal_gemmt_kernelIiLi16ELi32ELi8ELc84ELc84ELc76ELb0ELb0EfPKfS1_PfEviT_T9_T10_S3_lS5_S3_lS4_T11_S3_li, .Lfunc_end13-_ZL29rocblas_internal_gemmt_kernelIiLi16ELi32ELi8ELc84ELc84ELc76ELb0ELb0EfPKfS1_PfEviT_T9_T10_S3_lS5_S3_lS4_T11_S3_li
                                        ; -- End function
	.set _ZL29rocblas_internal_gemmt_kernelIiLi16ELi32ELi8ELc84ELc84ELc76ELb0ELb0EfPKfS1_PfEviT_T9_T10_S3_lS5_S3_lS4_T11_S3_li.num_vgpr, 52
	.set _ZL29rocblas_internal_gemmt_kernelIiLi16ELi32ELi8ELc84ELc84ELc76ELb0ELb0EfPKfS1_PfEviT_T9_T10_S3_lS5_S3_lS4_T11_S3_li.num_agpr, 0
	.set _ZL29rocblas_internal_gemmt_kernelIiLi16ELi32ELi8ELc84ELc84ELc76ELb0ELb0EfPKfS1_PfEviT_T9_T10_S3_lS5_S3_lS4_T11_S3_li.numbered_sgpr, 34
	.set _ZL29rocblas_internal_gemmt_kernelIiLi16ELi32ELi8ELc84ELc84ELc76ELb0ELb0EfPKfS1_PfEviT_T9_T10_S3_lS5_S3_lS4_T11_S3_li.num_named_barrier, 0
	.set _ZL29rocblas_internal_gemmt_kernelIiLi16ELi32ELi8ELc84ELc84ELc76ELb0ELb0EfPKfS1_PfEviT_T9_T10_S3_lS5_S3_lS4_T11_S3_li.private_seg_size, 0
	.set _ZL29rocblas_internal_gemmt_kernelIiLi16ELi32ELi8ELc84ELc84ELc76ELb0ELb0EfPKfS1_PfEviT_T9_T10_S3_lS5_S3_lS4_T11_S3_li.uses_vcc, 1
	.set _ZL29rocblas_internal_gemmt_kernelIiLi16ELi32ELi8ELc84ELc84ELc76ELb0ELb0EfPKfS1_PfEviT_T9_T10_S3_lS5_S3_lS4_T11_S3_li.uses_flat_scratch, 0
	.set _ZL29rocblas_internal_gemmt_kernelIiLi16ELi32ELi8ELc84ELc84ELc76ELb0ELb0EfPKfS1_PfEviT_T9_T10_S3_lS5_S3_lS4_T11_S3_li.has_dyn_sized_stack, 0
	.set _ZL29rocblas_internal_gemmt_kernelIiLi16ELi32ELi8ELc84ELc84ELc76ELb0ELb0EfPKfS1_PfEviT_T9_T10_S3_lS5_S3_lS4_T11_S3_li.has_recursion, 0
	.set _ZL29rocblas_internal_gemmt_kernelIiLi16ELi32ELi8ELc84ELc84ELc76ELb0ELb0EfPKfS1_PfEviT_T9_T10_S3_lS5_S3_lS4_T11_S3_li.has_indirect_call, 0
	.section	.AMDGPU.csdata,"",@progbits
; Kernel info:
; codeLenInByte = 1804
; TotalNumSgprs: 36
; NumVgprs: 52
; ScratchSize: 0
; MemoryBound: 0
; FloatMode: 240
; IeeeMode: 1
; LDSByteSize: 2048 bytes/workgroup (compile time only)
; SGPRBlocks: 0
; VGPRBlocks: 6
; NumSGPRsForWavesPerEU: 36
; NumVGPRsForWavesPerEU: 52
; Occupancy: 16
; WaveLimiterHint : 0
; COMPUTE_PGM_RSRC2:SCRATCH_EN: 0
; COMPUTE_PGM_RSRC2:USER_SGPR: 2
; COMPUTE_PGM_RSRC2:TRAP_HANDLER: 0
; COMPUTE_PGM_RSRC2:TGID_X_EN: 1
; COMPUTE_PGM_RSRC2:TGID_Y_EN: 1
; COMPUTE_PGM_RSRC2:TGID_Z_EN: 1
; COMPUTE_PGM_RSRC2:TIDIG_COMP_CNT: 1
	.section	.text._ZL29rocblas_internal_gemmt_kernelIiLi16ELi32ELi8ELc84ELc67ELc76ELb0ELb0EfPKfS1_PfEviT_T9_T10_S3_lS5_S3_lS4_T11_S3_li,"axG",@progbits,_ZL29rocblas_internal_gemmt_kernelIiLi16ELi32ELi8ELc84ELc67ELc76ELb0ELb0EfPKfS1_PfEviT_T9_T10_S3_lS5_S3_lS4_T11_S3_li,comdat
	.globl	_ZL29rocblas_internal_gemmt_kernelIiLi16ELi32ELi8ELc84ELc67ELc76ELb0ELb0EfPKfS1_PfEviT_T9_T10_S3_lS5_S3_lS4_T11_S3_li ; -- Begin function _ZL29rocblas_internal_gemmt_kernelIiLi16ELi32ELi8ELc84ELc67ELc76ELb0ELb0EfPKfS1_PfEviT_T9_T10_S3_lS5_S3_lS4_T11_S3_li
	.p2align	8
	.type	_ZL29rocblas_internal_gemmt_kernelIiLi16ELi32ELi8ELc84ELc67ELc76ELb0ELb0EfPKfS1_PfEviT_T9_T10_S3_lS5_S3_lS4_T11_S3_li,@function
_ZL29rocblas_internal_gemmt_kernelIiLi16ELi32ELi8ELc84ELc67ELc76ELb0ELb0EfPKfS1_PfEviT_T9_T10_S3_lS5_S3_lS4_T11_S3_li: ; @_ZL29rocblas_internal_gemmt_kernelIiLi16ELi32ELi8ELc84ELc67ELc76ELb0ELb0EfPKfS1_PfEviT_T9_T10_S3_lS5_S3_lS4_T11_S3_li
; %bb.0:
	s_clause 0x1
	s_load_b128 s[8:11], s[0:1], 0x38
	s_load_b128 s[4:7], s[0:1], 0x8
	s_wait_kmcnt 0x0
	s_load_b32 s19, s[10:11], 0x0
	s_load_b64 s[10:11], s[0:1], 0x0
	s_load_b32 s26, s[4:5], 0x0
	s_wait_kmcnt 0x0
	s_cmp_neq_f32 s19, 1.0
	s_cselect_b32 s2, -1, 0
	s_delay_alu instid0(SALU_CYCLE_1)
	s_and_b32 vcc_lo, exec_lo, s2
	s_cbranch_vccnz .LBB14_2
; %bb.1:
	s_cmp_lg_u32 s11, 0
	s_cselect_b32 s2, -1, 0
	s_cmp_neq_f32 s26, 0
	s_cselect_b32 s3, -1, 0
	s_delay_alu instid0(SALU_CYCLE_1)
	s_and_b32 s2, s2, s3
.LBB14_2:
	s_delay_alu instid0(SALU_CYCLE_1)
	s_and_not1_b32 vcc_lo, exec_lo, s2
	s_cbranch_vccnz .LBB14_33
; %bb.3:
	s_load_b32 s27, s[0:1], 0x60
	s_lshr_b32 s20, ttmp7, 16
	s_wait_kmcnt 0x0
	s_cmp_ge_u32 s20, s27
	s_cbranch_scc1 .LBB14_33
; %bb.4:
	v_and_b32_e32 v1, 0x3ff, v0
	v_bfe_u32 v3, v0, 10, 10
	v_and_b32_e32 v16, 7, v0
	s_clause 0x4
	s_load_b32 s24, s[0:1], 0x30
	s_load_b32 s5, s[0:1], 0x18
	s_load_b128 s[12:15], s[0:1], 0x20
	s_load_b96 s[16:18], s[0:1], 0x48
	s_load_b64 s[22:23], s[0:1], 0x58
	v_lshl_add_u32 v0, v3, 4, v1
	v_lshlrev_b32_e32 v5, 2, v16
	s_lshl_b32 s2, ttmp9, 5
	s_lshl_b32 s0, ttmp7, 5
	v_lshlrev_b32_e32 v20, 2, v1
	v_and_b32_e32 v2, 31, v0
	v_lshrrev_b32_e32 v4, 3, v0
	v_lshrrev_b32_e32 v17, 5, v0
	s_and_b32 s3, s0, 0x1fffe0
	v_lshl_add_u32 v21, v3, 5, 0x400
	v_lshlrev_b32_e32 v0, 2, v2
	v_or_b32_e32 v6, s2, v2
	v_lshl_or_b32 v2, v4, 5, v5
	v_add_nc_u32_e32 v12, s3, v4
	v_add_nc_u32_e32 v4, s3, v3
	v_lshl_or_b32 v18, v17, 7, v0
	v_add_nc_u32_e32 v0, s2, v1
	v_add_nc_u32_e32 v19, 0x400, v2
	s_wait_kmcnt 0x0
	s_ashr_i32 s25, s24, 31
	s_cmp_neq_f32 s26, 0
	v_mad_co_i64_i32 v[8:9], null, v4, s18, 0
	v_add_nc_u32_e32 v2, 16, v0
	v_cmp_le_i32_e32 vcc_lo, v4, v0
	v_add_nc_u32_e32 v10, 16, v4
	v_cmp_gt_i32_e64 s0, s10, v6
	s_cselect_b32 s31, -1, 0
	v_cmp_le_i32_e64 s3, v4, v2
	v_mad_co_i64_i32 v[4:5], null, s5, v6, 0
	v_mad_co_i64_i32 v[6:7], null, s24, v16, 0
	s_cmp_gt_i32 s11, 0
	v_cmp_gt_i32_e64 s2, s10, v0
	s_cselect_b32 s33, -1, 0
	s_cmp_neq_f32 s19, 0
	v_lshlrev_b64_e32 v[4:5], 2, v[4:5]
	v_cmp_gt_i32_e64 s1, s10, v12
	v_cmp_gt_i32_e64 s4, s10, v2
	s_cselect_b32 s28, -1, 0
	s_and_b32 s10, vcc_lo, s2
	v_cmp_le_i32_e32 vcc_lo, v10, v0
	v_lshlrev_b32_e32 v13, 2, v17
	v_lshlrev_b64_e32 v[6:7], 2, v[6:7]
	v_lshlrev_b32_e32 v12, 2, v12
	s_and_b32 s29, s3, s4
	v_cmp_le_i32_e64 s3, v10, v2
	v_mad_co_i64_i32 v[10:11], null, v10, s18, 0
	s_and_b32 s18, vcc_lo, s2
	v_add_co_u32 v4, vcc_lo, v4, v13
	s_delay_alu instid0(VALU_DEP_1)
	v_add_co_ci_u32_e64 v5, null, 0, v5, vcc_lo
	v_add_co_u32 v6, vcc_lo, v6, v12
	s_wait_alu 0xfffd
	v_add_co_ci_u32_e64 v7, null, 0, v7, vcc_lo
	v_add_co_u32 v4, vcc_lo, s6, v4
	s_wait_alu 0xfffd
	v_add_co_ci_u32_e64 v5, null, s7, v5, vcc_lo
	v_add_co_u32 v6, vcc_lo, s14, v6
	v_lshlrev_b64_e32 v[8:9], 2, v[8:9]
	v_lshlrev_b64_e32 v[10:11], 2, v[10:11]
	v_ashrrev_i32_e32 v1, 31, v0
	v_ashrrev_i32_e32 v3, 31, v2
	s_wait_alu 0xfffd
	v_add_co_ci_u32_e64 v7, null, s15, v7, vcc_lo
	s_mov_b32 s21, 0
	s_and_b32 s30, s3, s4
	s_and_b32 s14, s31, s33
	s_lshl_b64 s[2:3], s[12:13], 2
	s_lshl_b64 s[4:5], s[8:9], 2
	;; [unrolled: 1-line block ×3, first 2 shown]
	s_branch .LBB14_6
.LBB14_5:                               ;   in Loop: Header=BB14_6 Depth=1
	s_wait_alu 0xfffe
	s_or_b32 exec_lo, exec_lo, s8
	s_add_co_i32 s20, s20, 0x10000
	s_wait_alu 0xfffe
	s_cmp_lt_u32 s20, s27
	s_cbranch_scc0 .LBB14_33
.LBB14_6:                               ; =>This Loop Header: Depth=1
                                        ;     Child Loop BB14_9 Depth 2
	v_dual_mov_b32 v25, 0 :: v_dual_mov_b32 v24, 0
	v_dual_mov_b32 v23, 0 :: v_dual_mov_b32 v22, 0
	s_wait_alu 0xfffe
	s_and_not1_b32 vcc_lo, exec_lo, s14
	s_wait_alu 0xfffe
	s_cbranch_vccnz .LBB14_13
; %bb.7:                                ;   in Loop: Header=BB14_6 Depth=1
	v_mad_co_u64_u32 v[12:13], null, s2, s20, v[4:5]
	v_mad_co_u64_u32 v[14:15], null, s4, s20, v[6:7]
	v_dual_mov_b32 v22, 0 :: v_dual_mov_b32 v23, 0
	s_mov_b32 s8, 0
	s_delay_alu instid0(VALU_DEP_2) | instskip(NEXT) | instid1(VALU_DEP_3)
	v_mad_co_u64_u32 v[25:26], null, s3, s20, v[13:14]
	v_mad_co_u64_u32 v[26:27], null, s5, s20, v[15:16]
	s_delay_alu instid0(VALU_DEP_2) | instskip(SKIP_1) | instid1(VALU_DEP_3)
	v_dual_mov_b32 v24, 0 :: v_dual_mov_b32 v13, v25
	v_mov_b32_e32 v25, 0
	v_mov_b32_e32 v15, v26
	s_branch .LBB14_9
.LBB14_8:                               ;   in Loop: Header=BB14_9 Depth=2
	s_wait_alu 0xfffe
	s_or_b32 exec_lo, exec_lo, s9
	s_wait_loadcnt 0x0
	ds_store_b32 v19, v27
	s_wait_dscnt 0x0
	s_barrier_signal -1
	s_barrier_wait -1
	global_inv scope:SCOPE_SE
	ds_load_b128 v[26:29], v21
	ds_load_2addr_b32 v[42:43], v20 offset1:16
	ds_load_b128 v[30:33], v21 offset:512
	ds_load_2addr_b32 v[44:45], v20 offset0:32 offset1:48
	ds_load_2addr_b32 v[46:47], v20 offset0:64 offset1:80
	;; [unrolled: 1-line block ×3, first 2 shown]
	ds_load_b128 v[34:37], v21 offset:16
	ds_load_2addr_b32 v[50:51], v20 offset0:128 offset1:144
	ds_load_b128 v[38:41], v21 offset:528
	v_add_co_u32 v12, vcc_lo, v12, 32
	s_wait_alu 0xfffd
	v_add_co_ci_u32_e64 v13, null, 0, v13, vcc_lo
	v_add_co_u32 v14, vcc_lo, v14, s6
	s_wait_alu 0xfffd
	v_add_co_ci_u32_e64 v15, null, s7, v15, vcc_lo
	s_add_co_i32 s8, s8, 8
	s_wait_alu 0xfffe
	s_cmp_lt_i32 s8, s11
	s_wait_dscnt 0x7
	v_fmac_f32_e32 v24, v43, v26
	v_fmac_f32_e32 v25, v42, v26
	s_wait_dscnt 0x6
	v_fmac_f32_e32 v22, v43, v30
	v_fmac_f32_e32 v23, v42, v30
	ds_load_2addr_b32 v[42:43], v20 offset0:160 offset1:176
	s_wait_dscnt 0x6
	v_fmac_f32_e32 v24, v45, v27
	v_fmac_f32_e32 v25, v44, v27
	v_fmac_f32_e32 v22, v45, v31
	v_fmac_f32_e32 v23, v44, v31
	ds_load_2addr_b32 v[26:27], v20 offset0:192 offset1:208
	s_wait_dscnt 0x6
	v_fmac_f32_e32 v24, v47, v28
	v_fmac_f32_e32 v25, v46, v28
	;; [unrolled: 6-line block ×3, first 2 shown]
	v_fmac_f32_e32 v22, v49, v33
	v_fmac_f32_e32 v23, v48, v33
	s_wait_loadcnt_dscnt 0x0
	v_fmac_f32_e32 v24, v51, v34
	v_fmac_f32_e32 v25, v50, v34
	v_fmac_f32_e32 v22, v51, v38
	v_fmac_f32_e32 v23, v50, v38
	s_barrier_signal -1
	v_fmac_f32_e32 v24, v43, v35
	v_fmac_f32_e32 v25, v42, v35
	;; [unrolled: 1-line block ×4, first 2 shown]
	s_barrier_wait -1
	v_fmac_f32_e32 v24, v27, v36
	v_fmac_f32_e32 v25, v26, v36
	;; [unrolled: 1-line block ×4, first 2 shown]
	global_inv scope:SCOPE_SE
	v_fmac_f32_e32 v24, v31, v37
	v_fmac_f32_e32 v25, v30, v37
	;; [unrolled: 1-line block ×4, first 2 shown]
	s_cbranch_scc0 .LBB14_13
.LBB14_9:                               ;   Parent Loop BB14_6 Depth=1
                                        ; =>  This Inner Loop Header: Depth=2
	s_wait_alu 0xfffe
	v_add_nc_u32_e32 v26, s8, v17
	s_delay_alu instid0(VALU_DEP_1) | instskip(SKIP_2) | instid1(SALU_CYCLE_1)
	v_cmp_gt_i32_e32 vcc_lo, s11, v26
	v_mov_b32_e32 v26, 0
	s_and_b32 s12, s0, vcc_lo
	s_and_saveexec_b32 s9, s12
	s_cbranch_execz .LBB14_11
; %bb.10:                               ;   in Loop: Header=BB14_9 Depth=2
	global_load_b32 v26, v[12:13], off
.LBB14_11:                              ;   in Loop: Header=BB14_9 Depth=2
	s_wait_alu 0xfffe
	s_or_b32 exec_lo, exec_lo, s9
	v_add_nc_u32_e32 v27, s8, v16
	s_wait_loadcnt 0x0
	ds_store_b32 v18, v26
	v_cmp_gt_i32_e32 vcc_lo, s11, v27
	v_mov_b32_e32 v27, 0
	s_and_b32 s12, vcc_lo, s1
	s_delay_alu instid0(SALU_CYCLE_1)
	s_and_saveexec_b32 s9, s12
	s_cbranch_execz .LBB14_8
; %bb.12:                               ;   in Loop: Header=BB14_9 Depth=2
	global_load_b32 v27, v[14:15], off
	s_branch .LBB14_8
.LBB14_13:                              ;   in Loop: Header=BB14_6 Depth=1
	s_mul_u64 s[8:9], s[22:23], s[20:21]
	s_wait_alu 0xfffe
	s_lshl_b64 s[8:9], s[8:9], 2
	s_wait_alu 0xfffe
	s_add_nc_u64 s[8:9], s[16:17], s[8:9]
	s_wait_alu 0xfffe
	v_add_co_u32 v12, vcc_lo, s8, v8
	s_wait_alu 0xfffd
	v_add_co_ci_u32_e64 v13, null, s9, v9, vcc_lo
	s_and_saveexec_b32 s12, s10
	s_cbranch_execz .LBB14_17
; %bb.14:                               ;   in Loop: Header=BB14_6 Depth=1
	v_mul_f32_e32 v14, s26, v25
	s_and_b32 vcc_lo, exec_lo, s28
	s_wait_alu 0xfffe
	s_cbranch_vccz .LBB14_28
; %bb.15:                               ;   in Loop: Header=BB14_6 Depth=1
	v_lshlrev_b64_e32 v[25:26], 2, v[0:1]
	s_delay_alu instid0(VALU_DEP_1) | instskip(SKIP_1) | instid1(VALU_DEP_2)
	v_add_co_u32 v25, vcc_lo, v12, v25
	s_wait_alu 0xfffd
	v_add_co_ci_u32_e64 v26, null, v13, v26, vcc_lo
	global_load_b32 v15, v[25:26], off
	s_wait_loadcnt 0x0
	v_fma_f32 v15, s19, v15, v14
	global_store_b32 v[25:26], v15, off
	s_cbranch_execnz .LBB14_17
.LBB14_16:                              ;   in Loop: Header=BB14_6 Depth=1
	v_lshlrev_b64_e32 v[25:26], 2, v[0:1]
	s_delay_alu instid0(VALU_DEP_1) | instskip(SKIP_1) | instid1(VALU_DEP_2)
	v_add_co_u32 v25, vcc_lo, v12, v25
	s_wait_alu 0xfffd
	v_add_co_ci_u32_e64 v26, null, v13, v26, vcc_lo
	global_store_b32 v[25:26], v14, off
.LBB14_17:                              ;   in Loop: Header=BB14_6 Depth=1
	s_or_b32 exec_lo, exec_lo, s12
	s_and_saveexec_b32 s12, s29
	s_cbranch_execz .LBB14_21
; %bb.18:                               ;   in Loop: Header=BB14_6 Depth=1
	v_mul_f32_e32 v14, s26, v24
	s_and_not1_b32 vcc_lo, exec_lo, s28
	s_wait_alu 0xfffe
	s_cbranch_vccnz .LBB14_29
; %bb.19:                               ;   in Loop: Header=BB14_6 Depth=1
	v_lshlrev_b64_e32 v[24:25], 2, v[2:3]
	s_delay_alu instid0(VALU_DEP_1) | instskip(SKIP_1) | instid1(VALU_DEP_2)
	v_add_co_u32 v24, vcc_lo, v12, v24
	s_wait_alu 0xfffd
	v_add_co_ci_u32_e64 v25, null, v13, v25, vcc_lo
	global_load_b32 v15, v[24:25], off
	s_wait_loadcnt 0x0
	v_fma_f32 v15, s19, v15, v14
	global_store_b32 v[24:25], v15, off
	s_cbranch_execnz .LBB14_21
.LBB14_20:                              ;   in Loop: Header=BB14_6 Depth=1
	v_lshlrev_b64_e32 v[24:25], 2, v[2:3]
	s_delay_alu instid0(VALU_DEP_1) | instskip(SKIP_1) | instid1(VALU_DEP_2)
	v_add_co_u32 v12, vcc_lo, v12, v24
	s_wait_alu 0xfffd
	v_add_co_ci_u32_e64 v13, null, v13, v25, vcc_lo
	global_store_b32 v[12:13], v14, off
.LBB14_21:                              ;   in Loop: Header=BB14_6 Depth=1
	s_or_b32 exec_lo, exec_lo, s12
	v_add_co_u32 v14, vcc_lo, s8, v10
	s_wait_alu 0xfffd
	v_add_co_ci_u32_e64 v15, null, s9, v11, vcc_lo
	s_and_saveexec_b32 s8, s18
	s_cbranch_execz .LBB14_25
; %bb.22:                               ;   in Loop: Header=BB14_6 Depth=1
	v_lshlrev_b64_e32 v[12:13], 2, v[0:1]
	v_mul_f32_e32 v23, s26, v23
	s_and_not1_b32 vcc_lo, exec_lo, s28
	s_wait_alu 0xfffe
	s_cbranch_vccnz .LBB14_30
; %bb.23:                               ;   in Loop: Header=BB14_6 Depth=1
	s_delay_alu instid0(VALU_DEP_2)
	v_add_co_u32 v24, vcc_lo, v14, v12
	s_wait_alu 0xfffd
	v_add_co_ci_u32_e64 v25, null, v15, v13, vcc_lo
	global_load_b32 v26, v[24:25], off
	s_wait_loadcnt 0x0
	v_fma_f32 v26, s19, v26, v23
	global_store_b32 v[24:25], v26, off
	s_cbranch_execnz .LBB14_25
.LBB14_24:                              ;   in Loop: Header=BB14_6 Depth=1
	v_add_co_u32 v12, vcc_lo, v14, v12
	s_wait_alu 0xfffd
	v_add_co_ci_u32_e64 v13, null, v15, v13, vcc_lo
	global_store_b32 v[12:13], v23, off
.LBB14_25:                              ;   in Loop: Header=BB14_6 Depth=1
	s_wait_alu 0xfffe
	s_or_b32 exec_lo, exec_lo, s8
	s_and_saveexec_b32 s8, s30
	s_cbranch_execz .LBB14_5
; %bb.26:                               ;   in Loop: Header=BB14_6 Depth=1
	v_lshlrev_b64_e32 v[12:13], 2, v[2:3]
	v_mul_f32_e32 v22, s26, v22
	s_and_not1_b32 vcc_lo, exec_lo, s28
	s_wait_alu 0xfffe
	s_cbranch_vccnz .LBB14_31
; %bb.27:                               ;   in Loop: Header=BB14_6 Depth=1
	s_delay_alu instid0(VALU_DEP_2)
	v_add_co_u32 v23, vcc_lo, v14, v12
	s_wait_alu 0xfffd
	v_add_co_ci_u32_e64 v24, null, v15, v13, vcc_lo
	global_load_b32 v25, v[23:24], off
	s_wait_loadcnt 0x0
	v_fma_f32 v25, s19, v25, v22
	global_store_b32 v[23:24], v25, off
	s_cbranch_execnz .LBB14_5
	s_branch .LBB14_32
.LBB14_28:                              ;   in Loop: Header=BB14_6 Depth=1
	s_branch .LBB14_16
.LBB14_29:                              ;   in Loop: Header=BB14_6 Depth=1
	s_branch .LBB14_20
.LBB14_30:                              ;   in Loop: Header=BB14_6 Depth=1
	s_branch .LBB14_24
.LBB14_31:                              ;   in Loop: Header=BB14_6 Depth=1
.LBB14_32:                              ;   in Loop: Header=BB14_6 Depth=1
	s_delay_alu instid0(VALU_DEP_2)
	v_add_co_u32 v12, vcc_lo, v14, v12
	s_wait_alu 0xfffd
	v_add_co_ci_u32_e64 v13, null, v15, v13, vcc_lo
	global_store_b32 v[12:13], v22, off
	s_branch .LBB14_5
.LBB14_33:
	s_endpgm
	.section	.rodata,"a",@progbits
	.p2align	6, 0x0
	.amdhsa_kernel _ZL29rocblas_internal_gemmt_kernelIiLi16ELi32ELi8ELc84ELc67ELc76ELb0ELb0EfPKfS1_PfEviT_T9_T10_S3_lS5_S3_lS4_T11_S3_li
		.amdhsa_group_segment_fixed_size 2048
		.amdhsa_private_segment_fixed_size 0
		.amdhsa_kernarg_size 100
		.amdhsa_user_sgpr_count 2
		.amdhsa_user_sgpr_dispatch_ptr 0
		.amdhsa_user_sgpr_queue_ptr 0
		.amdhsa_user_sgpr_kernarg_segment_ptr 1
		.amdhsa_user_sgpr_dispatch_id 0
		.amdhsa_user_sgpr_private_segment_size 0
		.amdhsa_wavefront_size32 1
		.amdhsa_uses_dynamic_stack 0
		.amdhsa_enable_private_segment 0
		.amdhsa_system_sgpr_workgroup_id_x 1
		.amdhsa_system_sgpr_workgroup_id_y 1
		.amdhsa_system_sgpr_workgroup_id_z 1
		.amdhsa_system_sgpr_workgroup_info 0
		.amdhsa_system_vgpr_workitem_id 1
		.amdhsa_next_free_vgpr 52
		.amdhsa_next_free_sgpr 34
		.amdhsa_reserve_vcc 1
		.amdhsa_float_round_mode_32 0
		.amdhsa_float_round_mode_16_64 0
		.amdhsa_float_denorm_mode_32 3
		.amdhsa_float_denorm_mode_16_64 3
		.amdhsa_fp16_overflow 0
		.amdhsa_workgroup_processor_mode 1
		.amdhsa_memory_ordered 1
		.amdhsa_forward_progress 1
		.amdhsa_inst_pref_size 15
		.amdhsa_round_robin_scheduling 0
		.amdhsa_exception_fp_ieee_invalid_op 0
		.amdhsa_exception_fp_denorm_src 0
		.amdhsa_exception_fp_ieee_div_zero 0
		.amdhsa_exception_fp_ieee_overflow 0
		.amdhsa_exception_fp_ieee_underflow 0
		.amdhsa_exception_fp_ieee_inexact 0
		.amdhsa_exception_int_div_zero 0
	.end_amdhsa_kernel
	.section	.text._ZL29rocblas_internal_gemmt_kernelIiLi16ELi32ELi8ELc84ELc67ELc76ELb0ELb0EfPKfS1_PfEviT_T9_T10_S3_lS5_S3_lS4_T11_S3_li,"axG",@progbits,_ZL29rocblas_internal_gemmt_kernelIiLi16ELi32ELi8ELc84ELc67ELc76ELb0ELb0EfPKfS1_PfEviT_T9_T10_S3_lS5_S3_lS4_T11_S3_li,comdat
.Lfunc_end14:
	.size	_ZL29rocblas_internal_gemmt_kernelIiLi16ELi32ELi8ELc84ELc67ELc76ELb0ELb0EfPKfS1_PfEviT_T9_T10_S3_lS5_S3_lS4_T11_S3_li, .Lfunc_end14-_ZL29rocblas_internal_gemmt_kernelIiLi16ELi32ELi8ELc84ELc67ELc76ELb0ELb0EfPKfS1_PfEviT_T9_T10_S3_lS5_S3_lS4_T11_S3_li
                                        ; -- End function
	.set _ZL29rocblas_internal_gemmt_kernelIiLi16ELi32ELi8ELc84ELc67ELc76ELb0ELb0EfPKfS1_PfEviT_T9_T10_S3_lS5_S3_lS4_T11_S3_li.num_vgpr, 52
	.set _ZL29rocblas_internal_gemmt_kernelIiLi16ELi32ELi8ELc84ELc67ELc76ELb0ELb0EfPKfS1_PfEviT_T9_T10_S3_lS5_S3_lS4_T11_S3_li.num_agpr, 0
	.set _ZL29rocblas_internal_gemmt_kernelIiLi16ELi32ELi8ELc84ELc67ELc76ELb0ELb0EfPKfS1_PfEviT_T9_T10_S3_lS5_S3_lS4_T11_S3_li.numbered_sgpr, 34
	.set _ZL29rocblas_internal_gemmt_kernelIiLi16ELi32ELi8ELc84ELc67ELc76ELb0ELb0EfPKfS1_PfEviT_T9_T10_S3_lS5_S3_lS4_T11_S3_li.num_named_barrier, 0
	.set _ZL29rocblas_internal_gemmt_kernelIiLi16ELi32ELi8ELc84ELc67ELc76ELb0ELb0EfPKfS1_PfEviT_T9_T10_S3_lS5_S3_lS4_T11_S3_li.private_seg_size, 0
	.set _ZL29rocblas_internal_gemmt_kernelIiLi16ELi32ELi8ELc84ELc67ELc76ELb0ELb0EfPKfS1_PfEviT_T9_T10_S3_lS5_S3_lS4_T11_S3_li.uses_vcc, 1
	.set _ZL29rocblas_internal_gemmt_kernelIiLi16ELi32ELi8ELc84ELc67ELc76ELb0ELb0EfPKfS1_PfEviT_T9_T10_S3_lS5_S3_lS4_T11_S3_li.uses_flat_scratch, 0
	.set _ZL29rocblas_internal_gemmt_kernelIiLi16ELi32ELi8ELc84ELc67ELc76ELb0ELb0EfPKfS1_PfEviT_T9_T10_S3_lS5_S3_lS4_T11_S3_li.has_dyn_sized_stack, 0
	.set _ZL29rocblas_internal_gemmt_kernelIiLi16ELi32ELi8ELc84ELc67ELc76ELb0ELb0EfPKfS1_PfEviT_T9_T10_S3_lS5_S3_lS4_T11_S3_li.has_recursion, 0
	.set _ZL29rocblas_internal_gemmt_kernelIiLi16ELi32ELi8ELc84ELc67ELc76ELb0ELb0EfPKfS1_PfEviT_T9_T10_S3_lS5_S3_lS4_T11_S3_li.has_indirect_call, 0
	.section	.AMDGPU.csdata,"",@progbits
; Kernel info:
; codeLenInByte = 1804
; TotalNumSgprs: 36
; NumVgprs: 52
; ScratchSize: 0
; MemoryBound: 0
; FloatMode: 240
; IeeeMode: 1
; LDSByteSize: 2048 bytes/workgroup (compile time only)
; SGPRBlocks: 0
; VGPRBlocks: 6
; NumSGPRsForWavesPerEU: 36
; NumVGPRsForWavesPerEU: 52
; Occupancy: 16
; WaveLimiterHint : 0
; COMPUTE_PGM_RSRC2:SCRATCH_EN: 0
; COMPUTE_PGM_RSRC2:USER_SGPR: 2
; COMPUTE_PGM_RSRC2:TRAP_HANDLER: 0
; COMPUTE_PGM_RSRC2:TGID_X_EN: 1
; COMPUTE_PGM_RSRC2:TGID_Y_EN: 1
; COMPUTE_PGM_RSRC2:TGID_Z_EN: 1
; COMPUTE_PGM_RSRC2:TIDIG_COMP_CNT: 1
	.section	.text._ZL29rocblas_internal_gemmt_kernelIiLi16ELi32ELi8ELc67ELc78ELc76ELb0ELb0EfPKfS1_PfEviT_T9_T10_S3_lS5_S3_lS4_T11_S3_li,"axG",@progbits,_ZL29rocblas_internal_gemmt_kernelIiLi16ELi32ELi8ELc67ELc78ELc76ELb0ELb0EfPKfS1_PfEviT_T9_T10_S3_lS5_S3_lS4_T11_S3_li,comdat
	.globl	_ZL29rocblas_internal_gemmt_kernelIiLi16ELi32ELi8ELc67ELc78ELc76ELb0ELb0EfPKfS1_PfEviT_T9_T10_S3_lS5_S3_lS4_T11_S3_li ; -- Begin function _ZL29rocblas_internal_gemmt_kernelIiLi16ELi32ELi8ELc67ELc78ELc76ELb0ELb0EfPKfS1_PfEviT_T9_T10_S3_lS5_S3_lS4_T11_S3_li
	.p2align	8
	.type	_ZL29rocblas_internal_gemmt_kernelIiLi16ELi32ELi8ELc67ELc78ELc76ELb0ELb0EfPKfS1_PfEviT_T9_T10_S3_lS5_S3_lS4_T11_S3_li,@function
_ZL29rocblas_internal_gemmt_kernelIiLi16ELi32ELi8ELc67ELc78ELc76ELb0ELb0EfPKfS1_PfEviT_T9_T10_S3_lS5_S3_lS4_T11_S3_li: ; @_ZL29rocblas_internal_gemmt_kernelIiLi16ELi32ELi8ELc67ELc78ELc76ELb0ELb0EfPKfS1_PfEviT_T9_T10_S3_lS5_S3_lS4_T11_S3_li
; %bb.0:
	s_clause 0x1
	s_load_b128 s[4:7], s[0:1], 0x38
	s_load_b128 s[8:11], s[0:1], 0x8
	s_wait_kmcnt 0x0
	s_load_b32 s19, s[6:7], 0x0
	s_load_b64 s[6:7], s[0:1], 0x0
	s_load_b32 s22, s[8:9], 0x0
	s_wait_kmcnt 0x0
	s_cmp_neq_f32 s19, 1.0
	s_cselect_b32 s2, -1, 0
	s_delay_alu instid0(SALU_CYCLE_1)
	s_and_b32 vcc_lo, exec_lo, s2
	s_cbranch_vccnz .LBB15_2
; %bb.1:
	s_cmp_lg_u32 s7, 0
	s_cselect_b32 s2, -1, 0
	s_cmp_neq_f32 s22, 0
	s_cselect_b32 s3, -1, 0
	s_delay_alu instid0(SALU_CYCLE_1)
	s_and_b32 s2, s2, s3
.LBB15_2:
	s_delay_alu instid0(SALU_CYCLE_1)
	s_and_not1_b32 vcc_lo, exec_lo, s2
	s_cbranch_vccnz .LBB15_33
; %bb.3:
	s_load_b32 s23, s[0:1], 0x60
	s_lshr_b32 s8, ttmp7, 16
	s_wait_kmcnt 0x0
	s_cmp_ge_u32 s8, s23
	s_cbranch_scc1 .LBB15_33
; %bb.4:
	v_and_b32_e32 v1, 0x3ff, v0
	v_bfe_u32 v2, v0, 10, 10
	v_and_b32_e32 v16, 7, v0
	s_clause 0x4
	s_load_b32 s26, s[0:1], 0x18
	s_load_b128 s[12:15], s[0:1], 0x20
	s_load_b32 s27, s[0:1], 0x30
	s_load_b96 s[16:18], s[0:1], 0x48
	s_load_b64 s[20:21], s[0:1], 0x58
	s_lshl_b32 s3, ttmp9, 5
	v_lshl_add_u32 v0, v2, 4, v1
	s_lshl_b32 s2, ttmp7, 5
	v_lshl_add_u32 v21, v2, 5, 0x400
	s_and_b32 s2, s2, 0x1fffe0
	s_cmp_neq_f32 s22, 0
	v_lshrrev_b32_e32 v17, 5, v0
	v_lshrrev_b32_e32 v3, 3, v0
	v_and_b32_e32 v0, 31, v0
	v_add_nc_u32_e32 v5, s2, v2
	s_cselect_b32 s28, -1, 0
	s_cmp_gt_i32 s7, 0
	v_add_nc_u32_e32 v6, s2, v3
	v_or_b32_e32 v4, s3, v0
	v_lshlrev_b32_e32 v0, 2, v0
	s_cselect_b32 s29, -1, 0
	s_cmp_neq_f32 s19, 0
	v_add_nc_u32_e32 v13, 16, v5
	v_cmp_gt_i32_e64 s0, s6, v4
	v_lshl_or_b32 v18, v17, 7, v0
	v_add_nc_u32_e32 v0, s3, v1
	s_cselect_b32 s24, -1, 0
	s_wait_kmcnt 0x0
	v_mad_co_i64_i32 v[8:9], null, v5, s18, 0
	v_cmp_gt_i32_e64 s1, s6, v6
	v_cmp_le_i32_e32 vcc_lo, v5, v0
	v_cmp_gt_i32_e64 s2, s6, v0
	v_add_nc_u32_e32 v2, 16, v0
	v_mad_co_i64_i32 v[6:7], null, s27, v6, 0
	v_lshlrev_b32_e32 v14, 2, v17
	s_delay_alu instid0(VALU_DEP_4) | instskip(NEXT) | instid1(VALU_DEP_3)
	s_and_b32 s25, vcc_lo, s2
	v_cmp_le_i32_e32 vcc_lo, v5, v2
	v_mad_co_i64_i32 v[4:5], null, s26, v4, 0
	v_cmp_gt_i32_e64 s3, s6, v2
	v_lshlrev_b64_e32 v[6:7], 2, v[6:7]
	v_lshlrev_b32_e32 v12, 2, v16
	v_mad_co_i64_i32 v[10:11], null, v13, s18, 0
	s_and_b32 s6, vcc_lo, s3
	v_lshlrev_b64_e32 v[4:5], 2, v[4:5]
	v_cmp_le_i32_e32 vcc_lo, v13, v0
	v_lshl_or_b32 v3, v3, 5, v12
	v_lshlrev_b64_e32 v[8:9], 2, v[8:9]
	v_lshlrev_b32_e32 v20, 2, v1
	v_lshlrev_b64_e32 v[10:11], 2, v[10:11]
	s_and_b32 s18, vcc_lo, s2
	v_add_co_u32 v4, s2, v4, v14
	s_wait_alu 0xf1ff
	v_add_co_ci_u32_e64 v5, null, 0, v5, s2
	v_add_co_u32 v6, s2, v6, v12
	s_wait_alu 0xf1ff
	v_add_co_ci_u32_e64 v7, null, 0, v7, s2
	v_add_co_u32 v4, s2, s10, v4
	v_cmp_le_i32_e32 vcc_lo, v13, v2
	s_wait_alu 0xf1ff
	v_add_co_ci_u32_e64 v5, null, s11, v5, s2
	v_add_co_u32 v6, s2, s14, v6
	v_add_nc_u32_e32 v19, 0x400, v3
	v_ashrrev_i32_e32 v1, 31, v0
	v_ashrrev_i32_e32 v3, 31, v2
	s_wait_alu 0xf1ff
	v_add_co_ci_u32_e64 v7, null, s15, v7, s2
	s_mov_b32 s9, 0
	s_and_b32 s14, s28, s29
	s_and_b32 s15, vcc_lo, s3
	s_lshl_b64 s[2:3], s[12:13], 2
	s_lshl_b64 s[4:5], s[4:5], 2
	s_branch .LBB15_6
.LBB15_5:                               ;   in Loop: Header=BB15_6 Depth=1
	s_wait_alu 0xfffe
	s_or_b32 exec_lo, exec_lo, s10
	s_add_co_i32 s8, s8, 0x10000
	s_wait_alu 0xfffe
	s_cmp_lt_u32 s8, s23
	s_cbranch_scc0 .LBB15_33
.LBB15_6:                               ; =>This Loop Header: Depth=1
                                        ;     Child Loop BB15_9 Depth 2
	v_dual_mov_b32 v25, 0 :: v_dual_mov_b32 v24, 0
	v_dual_mov_b32 v23, 0 :: v_dual_mov_b32 v22, 0
	s_wait_alu 0xfffe
	s_and_not1_b32 vcc_lo, exec_lo, s14
	s_wait_alu 0xfffe
	s_cbranch_vccnz .LBB15_13
; %bb.7:                                ;   in Loop: Header=BB15_6 Depth=1
	v_mad_co_u64_u32 v[12:13], null, s2, s8, v[4:5]
	v_mad_co_u64_u32 v[14:15], null, s4, s8, v[6:7]
	v_dual_mov_b32 v22, 0 :: v_dual_mov_b32 v23, 0
	s_mov_b32 s10, 0
	s_delay_alu instid0(VALU_DEP_2) | instskip(NEXT) | instid1(VALU_DEP_3)
	v_mad_co_u64_u32 v[25:26], null, s3, s8, v[13:14]
	v_mad_co_u64_u32 v[26:27], null, s5, s8, v[15:16]
	s_delay_alu instid0(VALU_DEP_2) | instskip(SKIP_1) | instid1(VALU_DEP_3)
	v_dual_mov_b32 v24, 0 :: v_dual_mov_b32 v13, v25
	v_mov_b32_e32 v25, 0
	v_mov_b32_e32 v15, v26
	s_branch .LBB15_9
.LBB15_8:                               ;   in Loop: Header=BB15_9 Depth=2
	s_wait_alu 0xfffe
	s_or_b32 exec_lo, exec_lo, s11
	s_wait_loadcnt 0x0
	ds_store_b32 v19, v27
	s_wait_dscnt 0x0
	s_barrier_signal -1
	s_barrier_wait -1
	global_inv scope:SCOPE_SE
	ds_load_b128 v[26:29], v21
	ds_load_2addr_b32 v[42:43], v20 offset1:16
	ds_load_b128 v[30:33], v21 offset:512
	ds_load_2addr_b32 v[44:45], v20 offset0:32 offset1:48
	ds_load_2addr_b32 v[46:47], v20 offset0:64 offset1:80
	;; [unrolled: 1-line block ×3, first 2 shown]
	ds_load_b128 v[34:37], v21 offset:16
	ds_load_2addr_b32 v[50:51], v20 offset0:128 offset1:144
	ds_load_b128 v[38:41], v21 offset:528
	v_add_co_u32 v12, vcc_lo, v12, 32
	s_wait_alu 0xfffd
	v_add_co_ci_u32_e64 v13, null, 0, v13, vcc_lo
	v_add_co_u32 v14, vcc_lo, v14, 32
	s_wait_alu 0xfffd
	v_add_co_ci_u32_e64 v15, null, 0, v15, vcc_lo
	s_add_co_i32 s10, s10, 8
	s_wait_alu 0xfffe
	s_cmp_lt_i32 s10, s7
	s_wait_dscnt 0x7
	v_fmac_f32_e32 v24, v43, v26
	v_fmac_f32_e32 v25, v42, v26
	s_wait_dscnt 0x6
	v_fmac_f32_e32 v22, v43, v30
	v_fmac_f32_e32 v23, v42, v30
	ds_load_2addr_b32 v[42:43], v20 offset0:160 offset1:176
	s_wait_dscnt 0x6
	v_fmac_f32_e32 v24, v45, v27
	v_fmac_f32_e32 v25, v44, v27
	v_fmac_f32_e32 v22, v45, v31
	v_fmac_f32_e32 v23, v44, v31
	ds_load_2addr_b32 v[26:27], v20 offset0:192 offset1:208
	s_wait_dscnt 0x6
	v_fmac_f32_e32 v24, v47, v28
	v_fmac_f32_e32 v25, v46, v28
	;; [unrolled: 6-line block ×3, first 2 shown]
	v_fmac_f32_e32 v22, v49, v33
	v_fmac_f32_e32 v23, v48, v33
	s_wait_loadcnt_dscnt 0x0
	v_fmac_f32_e32 v24, v51, v34
	v_fmac_f32_e32 v25, v50, v34
	;; [unrolled: 1-line block ×4, first 2 shown]
	s_barrier_signal -1
	v_fmac_f32_e32 v24, v43, v35
	v_fmac_f32_e32 v25, v42, v35
	;; [unrolled: 1-line block ×4, first 2 shown]
	s_barrier_wait -1
	v_fmac_f32_e32 v24, v27, v36
	v_fmac_f32_e32 v25, v26, v36
	;; [unrolled: 1-line block ×4, first 2 shown]
	global_inv scope:SCOPE_SE
	v_fmac_f32_e32 v24, v31, v37
	v_fmac_f32_e32 v25, v30, v37
	;; [unrolled: 1-line block ×4, first 2 shown]
	s_cbranch_scc0 .LBB15_13
.LBB15_9:                               ;   Parent Loop BB15_6 Depth=1
                                        ; =>  This Inner Loop Header: Depth=2
	s_wait_alu 0xfffe
	v_add_nc_u32_e32 v26, s10, v17
	s_delay_alu instid0(VALU_DEP_1) | instskip(SKIP_2) | instid1(SALU_CYCLE_1)
	v_cmp_gt_i32_e32 vcc_lo, s7, v26
	v_mov_b32_e32 v26, 0
	s_and_b32 s12, s0, vcc_lo
	s_and_saveexec_b32 s11, s12
	s_cbranch_execz .LBB15_11
; %bb.10:                               ;   in Loop: Header=BB15_9 Depth=2
	global_load_b32 v26, v[12:13], off
.LBB15_11:                              ;   in Loop: Header=BB15_9 Depth=2
	s_wait_alu 0xfffe
	s_or_b32 exec_lo, exec_lo, s11
	v_add_nc_u32_e32 v27, s10, v16
	s_wait_loadcnt 0x0
	ds_store_b32 v18, v26
	v_cmp_gt_i32_e32 vcc_lo, s7, v27
	v_mov_b32_e32 v27, 0
	s_and_b32 s12, vcc_lo, s1
	s_delay_alu instid0(SALU_CYCLE_1)
	s_and_saveexec_b32 s11, s12
	s_cbranch_execz .LBB15_8
; %bb.12:                               ;   in Loop: Header=BB15_9 Depth=2
	global_load_b32 v27, v[14:15], off
	s_branch .LBB15_8
.LBB15_13:                              ;   in Loop: Header=BB15_6 Depth=1
	s_mul_u64 s[10:11], s[20:21], s[8:9]
	s_wait_alu 0xfffe
	s_lshl_b64 s[10:11], s[10:11], 2
	s_wait_alu 0xfffe
	s_add_nc_u64 s[10:11], s[16:17], s[10:11]
	s_wait_alu 0xfffe
	v_add_co_u32 v12, vcc_lo, s10, v8
	s_wait_alu 0xfffd
	v_add_co_ci_u32_e64 v13, null, s11, v9, vcc_lo
	s_and_saveexec_b32 s12, s25
	s_cbranch_execz .LBB15_17
; %bb.14:                               ;   in Loop: Header=BB15_6 Depth=1
	v_mul_f32_e32 v14, s22, v25
	s_and_b32 vcc_lo, exec_lo, s24
	s_wait_alu 0xfffe
	s_cbranch_vccz .LBB15_28
; %bb.15:                               ;   in Loop: Header=BB15_6 Depth=1
	v_lshlrev_b64_e32 v[25:26], 2, v[0:1]
	s_delay_alu instid0(VALU_DEP_1) | instskip(SKIP_1) | instid1(VALU_DEP_2)
	v_add_co_u32 v25, vcc_lo, v12, v25
	s_wait_alu 0xfffd
	v_add_co_ci_u32_e64 v26, null, v13, v26, vcc_lo
	global_load_b32 v15, v[25:26], off
	s_wait_loadcnt 0x0
	v_fma_f32 v15, s19, v15, v14
	global_store_b32 v[25:26], v15, off
	s_cbranch_execnz .LBB15_17
.LBB15_16:                              ;   in Loop: Header=BB15_6 Depth=1
	v_lshlrev_b64_e32 v[25:26], 2, v[0:1]
	s_delay_alu instid0(VALU_DEP_1) | instskip(SKIP_1) | instid1(VALU_DEP_2)
	v_add_co_u32 v25, vcc_lo, v12, v25
	s_wait_alu 0xfffd
	v_add_co_ci_u32_e64 v26, null, v13, v26, vcc_lo
	global_store_b32 v[25:26], v14, off
.LBB15_17:                              ;   in Loop: Header=BB15_6 Depth=1
	s_or_b32 exec_lo, exec_lo, s12
	s_and_saveexec_b32 s12, s6
	s_cbranch_execz .LBB15_21
; %bb.18:                               ;   in Loop: Header=BB15_6 Depth=1
	v_mul_f32_e32 v14, s22, v24
	s_and_not1_b32 vcc_lo, exec_lo, s24
	s_wait_alu 0xfffe
	s_cbranch_vccnz .LBB15_29
; %bb.19:                               ;   in Loop: Header=BB15_6 Depth=1
	v_lshlrev_b64_e32 v[24:25], 2, v[2:3]
	s_delay_alu instid0(VALU_DEP_1) | instskip(SKIP_1) | instid1(VALU_DEP_2)
	v_add_co_u32 v24, vcc_lo, v12, v24
	s_wait_alu 0xfffd
	v_add_co_ci_u32_e64 v25, null, v13, v25, vcc_lo
	global_load_b32 v15, v[24:25], off
	s_wait_loadcnt 0x0
	v_fma_f32 v15, s19, v15, v14
	global_store_b32 v[24:25], v15, off
	s_cbranch_execnz .LBB15_21
.LBB15_20:                              ;   in Loop: Header=BB15_6 Depth=1
	v_lshlrev_b64_e32 v[24:25], 2, v[2:3]
	s_delay_alu instid0(VALU_DEP_1) | instskip(SKIP_1) | instid1(VALU_DEP_2)
	v_add_co_u32 v12, vcc_lo, v12, v24
	s_wait_alu 0xfffd
	v_add_co_ci_u32_e64 v13, null, v13, v25, vcc_lo
	global_store_b32 v[12:13], v14, off
.LBB15_21:                              ;   in Loop: Header=BB15_6 Depth=1
	s_or_b32 exec_lo, exec_lo, s12
	v_add_co_u32 v14, vcc_lo, s10, v10
	s_wait_alu 0xfffd
	v_add_co_ci_u32_e64 v15, null, s11, v11, vcc_lo
	s_and_saveexec_b32 s10, s18
	s_cbranch_execz .LBB15_25
; %bb.22:                               ;   in Loop: Header=BB15_6 Depth=1
	v_lshlrev_b64_e32 v[12:13], 2, v[0:1]
	v_mul_f32_e32 v23, s22, v23
	s_and_not1_b32 vcc_lo, exec_lo, s24
	s_wait_alu 0xfffe
	s_cbranch_vccnz .LBB15_30
; %bb.23:                               ;   in Loop: Header=BB15_6 Depth=1
	s_delay_alu instid0(VALU_DEP_2)
	v_add_co_u32 v24, vcc_lo, v14, v12
	s_wait_alu 0xfffd
	v_add_co_ci_u32_e64 v25, null, v15, v13, vcc_lo
	global_load_b32 v26, v[24:25], off
	s_wait_loadcnt 0x0
	v_fma_f32 v26, s19, v26, v23
	global_store_b32 v[24:25], v26, off
	s_cbranch_execnz .LBB15_25
.LBB15_24:                              ;   in Loop: Header=BB15_6 Depth=1
	v_add_co_u32 v12, vcc_lo, v14, v12
	s_wait_alu 0xfffd
	v_add_co_ci_u32_e64 v13, null, v15, v13, vcc_lo
	global_store_b32 v[12:13], v23, off
.LBB15_25:                              ;   in Loop: Header=BB15_6 Depth=1
	s_wait_alu 0xfffe
	s_or_b32 exec_lo, exec_lo, s10
	s_and_saveexec_b32 s10, s15
	s_cbranch_execz .LBB15_5
; %bb.26:                               ;   in Loop: Header=BB15_6 Depth=1
	v_lshlrev_b64_e32 v[12:13], 2, v[2:3]
	v_mul_f32_e32 v22, s22, v22
	s_and_not1_b32 vcc_lo, exec_lo, s24
	s_wait_alu 0xfffe
	s_cbranch_vccnz .LBB15_31
; %bb.27:                               ;   in Loop: Header=BB15_6 Depth=1
	s_delay_alu instid0(VALU_DEP_2)
	v_add_co_u32 v23, vcc_lo, v14, v12
	s_wait_alu 0xfffd
	v_add_co_ci_u32_e64 v24, null, v15, v13, vcc_lo
	global_load_b32 v25, v[23:24], off
	s_wait_loadcnt 0x0
	v_fma_f32 v25, s19, v25, v22
	global_store_b32 v[23:24], v25, off
	s_cbranch_execnz .LBB15_5
	s_branch .LBB15_32
.LBB15_28:                              ;   in Loop: Header=BB15_6 Depth=1
	s_branch .LBB15_16
.LBB15_29:                              ;   in Loop: Header=BB15_6 Depth=1
	s_branch .LBB15_20
.LBB15_30:                              ;   in Loop: Header=BB15_6 Depth=1
	s_branch .LBB15_24
.LBB15_31:                              ;   in Loop: Header=BB15_6 Depth=1
.LBB15_32:                              ;   in Loop: Header=BB15_6 Depth=1
	s_delay_alu instid0(VALU_DEP_2)
	v_add_co_u32 v12, vcc_lo, v14, v12
	s_wait_alu 0xfffd
	v_add_co_ci_u32_e64 v13, null, v15, v13, vcc_lo
	global_store_b32 v[12:13], v22, off
	s_branch .LBB15_5
.LBB15_33:
	s_endpgm
	.section	.rodata,"a",@progbits
	.p2align	6, 0x0
	.amdhsa_kernel _ZL29rocblas_internal_gemmt_kernelIiLi16ELi32ELi8ELc67ELc78ELc76ELb0ELb0EfPKfS1_PfEviT_T9_T10_S3_lS5_S3_lS4_T11_S3_li
		.amdhsa_group_segment_fixed_size 2048
		.amdhsa_private_segment_fixed_size 0
		.amdhsa_kernarg_size 100
		.amdhsa_user_sgpr_count 2
		.amdhsa_user_sgpr_dispatch_ptr 0
		.amdhsa_user_sgpr_queue_ptr 0
		.amdhsa_user_sgpr_kernarg_segment_ptr 1
		.amdhsa_user_sgpr_dispatch_id 0
		.amdhsa_user_sgpr_private_segment_size 0
		.amdhsa_wavefront_size32 1
		.amdhsa_uses_dynamic_stack 0
		.amdhsa_enable_private_segment 0
		.amdhsa_system_sgpr_workgroup_id_x 1
		.amdhsa_system_sgpr_workgroup_id_y 1
		.amdhsa_system_sgpr_workgroup_id_z 1
		.amdhsa_system_sgpr_workgroup_info 0
		.amdhsa_system_vgpr_workitem_id 1
		.amdhsa_next_free_vgpr 52
		.amdhsa_next_free_sgpr 30
		.amdhsa_reserve_vcc 1
		.amdhsa_float_round_mode_32 0
		.amdhsa_float_round_mode_16_64 0
		.amdhsa_float_denorm_mode_32 3
		.amdhsa_float_denorm_mode_16_64 3
		.amdhsa_fp16_overflow 0
		.amdhsa_workgroup_processor_mode 1
		.amdhsa_memory_ordered 1
		.amdhsa_forward_progress 1
		.amdhsa_inst_pref_size 14
		.amdhsa_round_robin_scheduling 0
		.amdhsa_exception_fp_ieee_invalid_op 0
		.amdhsa_exception_fp_denorm_src 0
		.amdhsa_exception_fp_ieee_div_zero 0
		.amdhsa_exception_fp_ieee_overflow 0
		.amdhsa_exception_fp_ieee_underflow 0
		.amdhsa_exception_fp_ieee_inexact 0
		.amdhsa_exception_int_div_zero 0
	.end_amdhsa_kernel
	.section	.text._ZL29rocblas_internal_gemmt_kernelIiLi16ELi32ELi8ELc67ELc78ELc76ELb0ELb0EfPKfS1_PfEviT_T9_T10_S3_lS5_S3_lS4_T11_S3_li,"axG",@progbits,_ZL29rocblas_internal_gemmt_kernelIiLi16ELi32ELi8ELc67ELc78ELc76ELb0ELb0EfPKfS1_PfEviT_T9_T10_S3_lS5_S3_lS4_T11_S3_li,comdat
.Lfunc_end15:
	.size	_ZL29rocblas_internal_gemmt_kernelIiLi16ELi32ELi8ELc67ELc78ELc76ELb0ELb0EfPKfS1_PfEviT_T9_T10_S3_lS5_S3_lS4_T11_S3_li, .Lfunc_end15-_ZL29rocblas_internal_gemmt_kernelIiLi16ELi32ELi8ELc67ELc78ELc76ELb0ELb0EfPKfS1_PfEviT_T9_T10_S3_lS5_S3_lS4_T11_S3_li
                                        ; -- End function
	.set _ZL29rocblas_internal_gemmt_kernelIiLi16ELi32ELi8ELc67ELc78ELc76ELb0ELb0EfPKfS1_PfEviT_T9_T10_S3_lS5_S3_lS4_T11_S3_li.num_vgpr, 52
	.set _ZL29rocblas_internal_gemmt_kernelIiLi16ELi32ELi8ELc67ELc78ELc76ELb0ELb0EfPKfS1_PfEviT_T9_T10_S3_lS5_S3_lS4_T11_S3_li.num_agpr, 0
	.set _ZL29rocblas_internal_gemmt_kernelIiLi16ELi32ELi8ELc67ELc78ELc76ELb0ELb0EfPKfS1_PfEviT_T9_T10_S3_lS5_S3_lS4_T11_S3_li.numbered_sgpr, 30
	.set _ZL29rocblas_internal_gemmt_kernelIiLi16ELi32ELi8ELc67ELc78ELc76ELb0ELb0EfPKfS1_PfEviT_T9_T10_S3_lS5_S3_lS4_T11_S3_li.num_named_barrier, 0
	.set _ZL29rocblas_internal_gemmt_kernelIiLi16ELi32ELi8ELc67ELc78ELc76ELb0ELb0EfPKfS1_PfEviT_T9_T10_S3_lS5_S3_lS4_T11_S3_li.private_seg_size, 0
	.set _ZL29rocblas_internal_gemmt_kernelIiLi16ELi32ELi8ELc67ELc78ELc76ELb0ELb0EfPKfS1_PfEviT_T9_T10_S3_lS5_S3_lS4_T11_S3_li.uses_vcc, 1
	.set _ZL29rocblas_internal_gemmt_kernelIiLi16ELi32ELi8ELc67ELc78ELc76ELb0ELb0EfPKfS1_PfEviT_T9_T10_S3_lS5_S3_lS4_T11_S3_li.uses_flat_scratch, 0
	.set _ZL29rocblas_internal_gemmt_kernelIiLi16ELi32ELi8ELc67ELc78ELc76ELb0ELb0EfPKfS1_PfEviT_T9_T10_S3_lS5_S3_lS4_T11_S3_li.has_dyn_sized_stack, 0
	.set _ZL29rocblas_internal_gemmt_kernelIiLi16ELi32ELi8ELc67ELc78ELc76ELb0ELb0EfPKfS1_PfEviT_T9_T10_S3_lS5_S3_lS4_T11_S3_li.has_recursion, 0
	.set _ZL29rocblas_internal_gemmt_kernelIiLi16ELi32ELi8ELc67ELc78ELc76ELb0ELb0EfPKfS1_PfEviT_T9_T10_S3_lS5_S3_lS4_T11_S3_li.has_indirect_call, 0
	.section	.AMDGPU.csdata,"",@progbits
; Kernel info:
; codeLenInByte = 1788
; TotalNumSgprs: 32
; NumVgprs: 52
; ScratchSize: 0
; MemoryBound: 0
; FloatMode: 240
; IeeeMode: 1
; LDSByteSize: 2048 bytes/workgroup (compile time only)
; SGPRBlocks: 0
; VGPRBlocks: 6
; NumSGPRsForWavesPerEU: 32
; NumVGPRsForWavesPerEU: 52
; Occupancy: 16
; WaveLimiterHint : 0
; COMPUTE_PGM_RSRC2:SCRATCH_EN: 0
; COMPUTE_PGM_RSRC2:USER_SGPR: 2
; COMPUTE_PGM_RSRC2:TRAP_HANDLER: 0
; COMPUTE_PGM_RSRC2:TGID_X_EN: 1
; COMPUTE_PGM_RSRC2:TGID_Y_EN: 1
; COMPUTE_PGM_RSRC2:TGID_Z_EN: 1
; COMPUTE_PGM_RSRC2:TIDIG_COMP_CNT: 1
	.section	.text._ZL29rocblas_internal_gemmt_kernelIiLi16ELi32ELi8ELc67ELc84ELc76ELb0ELb0EfPKfS1_PfEviT_T9_T10_S3_lS5_S3_lS4_T11_S3_li,"axG",@progbits,_ZL29rocblas_internal_gemmt_kernelIiLi16ELi32ELi8ELc67ELc84ELc76ELb0ELb0EfPKfS1_PfEviT_T9_T10_S3_lS5_S3_lS4_T11_S3_li,comdat
	.globl	_ZL29rocblas_internal_gemmt_kernelIiLi16ELi32ELi8ELc67ELc84ELc76ELb0ELb0EfPKfS1_PfEviT_T9_T10_S3_lS5_S3_lS4_T11_S3_li ; -- Begin function _ZL29rocblas_internal_gemmt_kernelIiLi16ELi32ELi8ELc67ELc84ELc76ELb0ELb0EfPKfS1_PfEviT_T9_T10_S3_lS5_S3_lS4_T11_S3_li
	.p2align	8
	.type	_ZL29rocblas_internal_gemmt_kernelIiLi16ELi32ELi8ELc67ELc84ELc76ELb0ELb0EfPKfS1_PfEviT_T9_T10_S3_lS5_S3_lS4_T11_S3_li,@function
_ZL29rocblas_internal_gemmt_kernelIiLi16ELi32ELi8ELc67ELc84ELc76ELb0ELb0EfPKfS1_PfEviT_T9_T10_S3_lS5_S3_lS4_T11_S3_li: ; @_ZL29rocblas_internal_gemmt_kernelIiLi16ELi32ELi8ELc67ELc84ELc76ELb0ELb0EfPKfS1_PfEviT_T9_T10_S3_lS5_S3_lS4_T11_S3_li
; %bb.0:
	s_clause 0x1
	s_load_b128 s[8:11], s[0:1], 0x38
	s_load_b128 s[4:7], s[0:1], 0x8
	s_wait_kmcnt 0x0
	s_load_b32 s19, s[10:11], 0x0
	s_load_b64 s[10:11], s[0:1], 0x0
	s_load_b32 s26, s[4:5], 0x0
	s_wait_kmcnt 0x0
	s_cmp_neq_f32 s19, 1.0
	s_cselect_b32 s2, -1, 0
	s_delay_alu instid0(SALU_CYCLE_1)
	s_and_b32 vcc_lo, exec_lo, s2
	s_cbranch_vccnz .LBB16_2
; %bb.1:
	s_cmp_lg_u32 s11, 0
	s_cselect_b32 s2, -1, 0
	s_cmp_neq_f32 s26, 0
	s_cselect_b32 s3, -1, 0
	s_delay_alu instid0(SALU_CYCLE_1)
	s_and_b32 s2, s2, s3
.LBB16_2:
	s_delay_alu instid0(SALU_CYCLE_1)
	s_and_not1_b32 vcc_lo, exec_lo, s2
	s_cbranch_vccnz .LBB16_33
; %bb.3:
	s_load_b32 s27, s[0:1], 0x60
	s_lshr_b32 s20, ttmp7, 16
	s_wait_kmcnt 0x0
	s_cmp_ge_u32 s20, s27
	s_cbranch_scc1 .LBB16_33
; %bb.4:
	v_and_b32_e32 v1, 0x3ff, v0
	v_bfe_u32 v3, v0, 10, 10
	v_and_b32_e32 v16, 7, v0
	s_clause 0x4
	s_load_b32 s24, s[0:1], 0x30
	s_load_b32 s5, s[0:1], 0x18
	s_load_b128 s[12:15], s[0:1], 0x20
	s_load_b96 s[16:18], s[0:1], 0x48
	s_load_b64 s[22:23], s[0:1], 0x58
	v_lshl_add_u32 v0, v3, 4, v1
	v_lshlrev_b32_e32 v5, 2, v16
	s_lshl_b32 s2, ttmp9, 5
	s_lshl_b32 s0, ttmp7, 5
	v_lshlrev_b32_e32 v20, 2, v1
	v_and_b32_e32 v2, 31, v0
	v_lshrrev_b32_e32 v4, 3, v0
	v_lshrrev_b32_e32 v17, 5, v0
	s_and_b32 s3, s0, 0x1fffe0
	v_lshl_add_u32 v21, v3, 5, 0x400
	v_lshlrev_b32_e32 v0, 2, v2
	v_or_b32_e32 v6, s2, v2
	v_lshl_or_b32 v2, v4, 5, v5
	v_add_nc_u32_e32 v12, s3, v4
	v_add_nc_u32_e32 v4, s3, v3
	v_lshl_or_b32 v18, v17, 7, v0
	v_add_nc_u32_e32 v0, s2, v1
	v_add_nc_u32_e32 v19, 0x400, v2
	s_wait_kmcnt 0x0
	s_ashr_i32 s25, s24, 31
	s_cmp_neq_f32 s26, 0
	v_mad_co_i64_i32 v[8:9], null, v4, s18, 0
	v_add_nc_u32_e32 v2, 16, v0
	v_cmp_le_i32_e32 vcc_lo, v4, v0
	v_add_nc_u32_e32 v10, 16, v4
	v_cmp_gt_i32_e64 s0, s10, v6
	s_cselect_b32 s31, -1, 0
	v_cmp_le_i32_e64 s3, v4, v2
	v_mad_co_i64_i32 v[4:5], null, s5, v6, 0
	v_mad_co_i64_i32 v[6:7], null, s24, v16, 0
	s_cmp_gt_i32 s11, 0
	v_cmp_gt_i32_e64 s2, s10, v0
	s_cselect_b32 s33, -1, 0
	s_cmp_neq_f32 s19, 0
	v_lshlrev_b64_e32 v[4:5], 2, v[4:5]
	v_cmp_gt_i32_e64 s1, s10, v12
	v_cmp_gt_i32_e64 s4, s10, v2
	s_cselect_b32 s28, -1, 0
	s_and_b32 s10, vcc_lo, s2
	v_cmp_le_i32_e32 vcc_lo, v10, v0
	v_lshlrev_b32_e32 v13, 2, v17
	v_lshlrev_b64_e32 v[6:7], 2, v[6:7]
	v_lshlrev_b32_e32 v12, 2, v12
	s_and_b32 s29, s3, s4
	v_cmp_le_i32_e64 s3, v10, v2
	v_mad_co_i64_i32 v[10:11], null, v10, s18, 0
	s_and_b32 s18, vcc_lo, s2
	v_add_co_u32 v4, vcc_lo, v4, v13
	s_delay_alu instid0(VALU_DEP_1)
	v_add_co_ci_u32_e64 v5, null, 0, v5, vcc_lo
	v_add_co_u32 v6, vcc_lo, v6, v12
	s_wait_alu 0xfffd
	v_add_co_ci_u32_e64 v7, null, 0, v7, vcc_lo
	v_add_co_u32 v4, vcc_lo, s6, v4
	s_wait_alu 0xfffd
	v_add_co_ci_u32_e64 v5, null, s7, v5, vcc_lo
	v_add_co_u32 v6, vcc_lo, s14, v6
	v_lshlrev_b64_e32 v[8:9], 2, v[8:9]
	v_lshlrev_b64_e32 v[10:11], 2, v[10:11]
	v_ashrrev_i32_e32 v1, 31, v0
	v_ashrrev_i32_e32 v3, 31, v2
	s_wait_alu 0xfffd
	v_add_co_ci_u32_e64 v7, null, s15, v7, vcc_lo
	s_mov_b32 s21, 0
	s_and_b32 s30, s3, s4
	s_and_b32 s14, s31, s33
	s_lshl_b64 s[2:3], s[12:13], 2
	s_lshl_b64 s[4:5], s[8:9], 2
	;; [unrolled: 1-line block ×3, first 2 shown]
	s_branch .LBB16_6
.LBB16_5:                               ;   in Loop: Header=BB16_6 Depth=1
	s_wait_alu 0xfffe
	s_or_b32 exec_lo, exec_lo, s8
	s_add_co_i32 s20, s20, 0x10000
	s_wait_alu 0xfffe
	s_cmp_lt_u32 s20, s27
	s_cbranch_scc0 .LBB16_33
.LBB16_6:                               ; =>This Loop Header: Depth=1
                                        ;     Child Loop BB16_9 Depth 2
	v_dual_mov_b32 v25, 0 :: v_dual_mov_b32 v24, 0
	v_dual_mov_b32 v23, 0 :: v_dual_mov_b32 v22, 0
	s_wait_alu 0xfffe
	s_and_not1_b32 vcc_lo, exec_lo, s14
	s_wait_alu 0xfffe
	s_cbranch_vccnz .LBB16_13
; %bb.7:                                ;   in Loop: Header=BB16_6 Depth=1
	v_mad_co_u64_u32 v[12:13], null, s2, s20, v[4:5]
	v_mad_co_u64_u32 v[14:15], null, s4, s20, v[6:7]
	v_dual_mov_b32 v22, 0 :: v_dual_mov_b32 v23, 0
	s_mov_b32 s8, 0
	s_delay_alu instid0(VALU_DEP_2) | instskip(NEXT) | instid1(VALU_DEP_3)
	v_mad_co_u64_u32 v[25:26], null, s3, s20, v[13:14]
	v_mad_co_u64_u32 v[26:27], null, s5, s20, v[15:16]
	s_delay_alu instid0(VALU_DEP_2) | instskip(SKIP_1) | instid1(VALU_DEP_3)
	v_dual_mov_b32 v24, 0 :: v_dual_mov_b32 v13, v25
	v_mov_b32_e32 v25, 0
	v_mov_b32_e32 v15, v26
	s_branch .LBB16_9
.LBB16_8:                               ;   in Loop: Header=BB16_9 Depth=2
	s_wait_alu 0xfffe
	s_or_b32 exec_lo, exec_lo, s9
	s_wait_loadcnt 0x0
	ds_store_b32 v19, v27
	s_wait_dscnt 0x0
	s_barrier_signal -1
	s_barrier_wait -1
	global_inv scope:SCOPE_SE
	ds_load_b128 v[26:29], v21
	ds_load_2addr_b32 v[42:43], v20 offset1:16
	ds_load_b128 v[30:33], v21 offset:512
	ds_load_2addr_b32 v[44:45], v20 offset0:32 offset1:48
	ds_load_2addr_b32 v[46:47], v20 offset0:64 offset1:80
	;; [unrolled: 1-line block ×3, first 2 shown]
	ds_load_b128 v[34:37], v21 offset:16
	ds_load_2addr_b32 v[50:51], v20 offset0:128 offset1:144
	ds_load_b128 v[38:41], v21 offset:528
	v_add_co_u32 v12, vcc_lo, v12, 32
	s_wait_alu 0xfffd
	v_add_co_ci_u32_e64 v13, null, 0, v13, vcc_lo
	v_add_co_u32 v14, vcc_lo, v14, s6
	s_wait_alu 0xfffd
	v_add_co_ci_u32_e64 v15, null, s7, v15, vcc_lo
	s_add_co_i32 s8, s8, 8
	s_wait_alu 0xfffe
	s_cmp_lt_i32 s8, s11
	s_wait_dscnt 0x7
	v_fmac_f32_e32 v24, v43, v26
	v_fmac_f32_e32 v25, v42, v26
	s_wait_dscnt 0x6
	v_fmac_f32_e32 v22, v43, v30
	v_fmac_f32_e32 v23, v42, v30
	ds_load_2addr_b32 v[42:43], v20 offset0:160 offset1:176
	s_wait_dscnt 0x6
	v_fmac_f32_e32 v24, v45, v27
	v_fmac_f32_e32 v25, v44, v27
	v_fmac_f32_e32 v22, v45, v31
	v_fmac_f32_e32 v23, v44, v31
	ds_load_2addr_b32 v[26:27], v20 offset0:192 offset1:208
	s_wait_dscnt 0x6
	v_fmac_f32_e32 v24, v47, v28
	v_fmac_f32_e32 v25, v46, v28
	v_fmac_f32_e32 v22, v47, v32
	v_fmac_f32_e32 v23, v46, v32
	ds_load_2addr_b32 v[30:31], v20 offset0:224 offset1:240
	s_wait_dscnt 0x6
	v_fmac_f32_e32 v24, v49, v29
	v_fmac_f32_e32 v25, v48, v29
	v_fmac_f32_e32 v22, v49, v33
	v_fmac_f32_e32 v23, v48, v33
	s_wait_loadcnt_dscnt 0x0
	v_fmac_f32_e32 v24, v51, v34
	v_fmac_f32_e32 v25, v50, v34
	;; [unrolled: 1-line block ×4, first 2 shown]
	s_barrier_signal -1
	v_fmac_f32_e32 v24, v43, v35
	v_fmac_f32_e32 v25, v42, v35
	;; [unrolled: 1-line block ×4, first 2 shown]
	s_barrier_wait -1
	v_fmac_f32_e32 v24, v27, v36
	v_fmac_f32_e32 v25, v26, v36
	;; [unrolled: 1-line block ×4, first 2 shown]
	global_inv scope:SCOPE_SE
	v_fmac_f32_e32 v24, v31, v37
	v_fmac_f32_e32 v25, v30, v37
	;; [unrolled: 1-line block ×4, first 2 shown]
	s_cbranch_scc0 .LBB16_13
.LBB16_9:                               ;   Parent Loop BB16_6 Depth=1
                                        ; =>  This Inner Loop Header: Depth=2
	s_wait_alu 0xfffe
	v_add_nc_u32_e32 v26, s8, v17
	s_delay_alu instid0(VALU_DEP_1) | instskip(SKIP_2) | instid1(SALU_CYCLE_1)
	v_cmp_gt_i32_e32 vcc_lo, s11, v26
	v_mov_b32_e32 v26, 0
	s_and_b32 s12, s0, vcc_lo
	s_and_saveexec_b32 s9, s12
	s_cbranch_execz .LBB16_11
; %bb.10:                               ;   in Loop: Header=BB16_9 Depth=2
	global_load_b32 v26, v[12:13], off
.LBB16_11:                              ;   in Loop: Header=BB16_9 Depth=2
	s_wait_alu 0xfffe
	s_or_b32 exec_lo, exec_lo, s9
	v_add_nc_u32_e32 v27, s8, v16
	s_wait_loadcnt 0x0
	ds_store_b32 v18, v26
	v_cmp_gt_i32_e32 vcc_lo, s11, v27
	v_mov_b32_e32 v27, 0
	s_and_b32 s12, vcc_lo, s1
	s_delay_alu instid0(SALU_CYCLE_1)
	s_and_saveexec_b32 s9, s12
	s_cbranch_execz .LBB16_8
; %bb.12:                               ;   in Loop: Header=BB16_9 Depth=2
	global_load_b32 v27, v[14:15], off
	s_branch .LBB16_8
.LBB16_13:                              ;   in Loop: Header=BB16_6 Depth=1
	s_mul_u64 s[8:9], s[22:23], s[20:21]
	s_wait_alu 0xfffe
	s_lshl_b64 s[8:9], s[8:9], 2
	s_wait_alu 0xfffe
	s_add_nc_u64 s[8:9], s[16:17], s[8:9]
	s_wait_alu 0xfffe
	v_add_co_u32 v12, vcc_lo, s8, v8
	s_wait_alu 0xfffd
	v_add_co_ci_u32_e64 v13, null, s9, v9, vcc_lo
	s_and_saveexec_b32 s12, s10
	s_cbranch_execz .LBB16_17
; %bb.14:                               ;   in Loop: Header=BB16_6 Depth=1
	v_mul_f32_e32 v14, s26, v25
	s_and_b32 vcc_lo, exec_lo, s28
	s_wait_alu 0xfffe
	s_cbranch_vccz .LBB16_28
; %bb.15:                               ;   in Loop: Header=BB16_6 Depth=1
	v_lshlrev_b64_e32 v[25:26], 2, v[0:1]
	s_delay_alu instid0(VALU_DEP_1) | instskip(SKIP_1) | instid1(VALU_DEP_2)
	v_add_co_u32 v25, vcc_lo, v12, v25
	s_wait_alu 0xfffd
	v_add_co_ci_u32_e64 v26, null, v13, v26, vcc_lo
	global_load_b32 v15, v[25:26], off
	s_wait_loadcnt 0x0
	v_fma_f32 v15, s19, v15, v14
	global_store_b32 v[25:26], v15, off
	s_cbranch_execnz .LBB16_17
.LBB16_16:                              ;   in Loop: Header=BB16_6 Depth=1
	v_lshlrev_b64_e32 v[25:26], 2, v[0:1]
	s_delay_alu instid0(VALU_DEP_1) | instskip(SKIP_1) | instid1(VALU_DEP_2)
	v_add_co_u32 v25, vcc_lo, v12, v25
	s_wait_alu 0xfffd
	v_add_co_ci_u32_e64 v26, null, v13, v26, vcc_lo
	global_store_b32 v[25:26], v14, off
.LBB16_17:                              ;   in Loop: Header=BB16_6 Depth=1
	s_or_b32 exec_lo, exec_lo, s12
	s_and_saveexec_b32 s12, s29
	s_cbranch_execz .LBB16_21
; %bb.18:                               ;   in Loop: Header=BB16_6 Depth=1
	v_mul_f32_e32 v14, s26, v24
	s_and_not1_b32 vcc_lo, exec_lo, s28
	s_wait_alu 0xfffe
	s_cbranch_vccnz .LBB16_29
; %bb.19:                               ;   in Loop: Header=BB16_6 Depth=1
	v_lshlrev_b64_e32 v[24:25], 2, v[2:3]
	s_delay_alu instid0(VALU_DEP_1) | instskip(SKIP_1) | instid1(VALU_DEP_2)
	v_add_co_u32 v24, vcc_lo, v12, v24
	s_wait_alu 0xfffd
	v_add_co_ci_u32_e64 v25, null, v13, v25, vcc_lo
	global_load_b32 v15, v[24:25], off
	s_wait_loadcnt 0x0
	v_fma_f32 v15, s19, v15, v14
	global_store_b32 v[24:25], v15, off
	s_cbranch_execnz .LBB16_21
.LBB16_20:                              ;   in Loop: Header=BB16_6 Depth=1
	v_lshlrev_b64_e32 v[24:25], 2, v[2:3]
	s_delay_alu instid0(VALU_DEP_1) | instskip(SKIP_1) | instid1(VALU_DEP_2)
	v_add_co_u32 v12, vcc_lo, v12, v24
	s_wait_alu 0xfffd
	v_add_co_ci_u32_e64 v13, null, v13, v25, vcc_lo
	global_store_b32 v[12:13], v14, off
.LBB16_21:                              ;   in Loop: Header=BB16_6 Depth=1
	s_or_b32 exec_lo, exec_lo, s12
	v_add_co_u32 v14, vcc_lo, s8, v10
	s_wait_alu 0xfffd
	v_add_co_ci_u32_e64 v15, null, s9, v11, vcc_lo
	s_and_saveexec_b32 s8, s18
	s_cbranch_execz .LBB16_25
; %bb.22:                               ;   in Loop: Header=BB16_6 Depth=1
	v_lshlrev_b64_e32 v[12:13], 2, v[0:1]
	v_mul_f32_e32 v23, s26, v23
	s_and_not1_b32 vcc_lo, exec_lo, s28
	s_wait_alu 0xfffe
	s_cbranch_vccnz .LBB16_30
; %bb.23:                               ;   in Loop: Header=BB16_6 Depth=1
	s_delay_alu instid0(VALU_DEP_2)
	v_add_co_u32 v24, vcc_lo, v14, v12
	s_wait_alu 0xfffd
	v_add_co_ci_u32_e64 v25, null, v15, v13, vcc_lo
	global_load_b32 v26, v[24:25], off
	s_wait_loadcnt 0x0
	v_fma_f32 v26, s19, v26, v23
	global_store_b32 v[24:25], v26, off
	s_cbranch_execnz .LBB16_25
.LBB16_24:                              ;   in Loop: Header=BB16_6 Depth=1
	v_add_co_u32 v12, vcc_lo, v14, v12
	s_wait_alu 0xfffd
	v_add_co_ci_u32_e64 v13, null, v15, v13, vcc_lo
	global_store_b32 v[12:13], v23, off
.LBB16_25:                              ;   in Loop: Header=BB16_6 Depth=1
	s_wait_alu 0xfffe
	s_or_b32 exec_lo, exec_lo, s8
	s_and_saveexec_b32 s8, s30
	s_cbranch_execz .LBB16_5
; %bb.26:                               ;   in Loop: Header=BB16_6 Depth=1
	v_lshlrev_b64_e32 v[12:13], 2, v[2:3]
	v_mul_f32_e32 v22, s26, v22
	s_and_not1_b32 vcc_lo, exec_lo, s28
	s_wait_alu 0xfffe
	s_cbranch_vccnz .LBB16_31
; %bb.27:                               ;   in Loop: Header=BB16_6 Depth=1
	s_delay_alu instid0(VALU_DEP_2)
	v_add_co_u32 v23, vcc_lo, v14, v12
	s_wait_alu 0xfffd
	v_add_co_ci_u32_e64 v24, null, v15, v13, vcc_lo
	global_load_b32 v25, v[23:24], off
	s_wait_loadcnt 0x0
	v_fma_f32 v25, s19, v25, v22
	global_store_b32 v[23:24], v25, off
	s_cbranch_execnz .LBB16_5
	s_branch .LBB16_32
.LBB16_28:                              ;   in Loop: Header=BB16_6 Depth=1
	s_branch .LBB16_16
.LBB16_29:                              ;   in Loop: Header=BB16_6 Depth=1
	s_branch .LBB16_20
.LBB16_30:                              ;   in Loop: Header=BB16_6 Depth=1
	s_branch .LBB16_24
.LBB16_31:                              ;   in Loop: Header=BB16_6 Depth=1
.LBB16_32:                              ;   in Loop: Header=BB16_6 Depth=1
	s_delay_alu instid0(VALU_DEP_2)
	v_add_co_u32 v12, vcc_lo, v14, v12
	s_wait_alu 0xfffd
	v_add_co_ci_u32_e64 v13, null, v15, v13, vcc_lo
	global_store_b32 v[12:13], v22, off
	s_branch .LBB16_5
.LBB16_33:
	s_endpgm
	.section	.rodata,"a",@progbits
	.p2align	6, 0x0
	.amdhsa_kernel _ZL29rocblas_internal_gemmt_kernelIiLi16ELi32ELi8ELc67ELc84ELc76ELb0ELb0EfPKfS1_PfEviT_T9_T10_S3_lS5_S3_lS4_T11_S3_li
		.amdhsa_group_segment_fixed_size 2048
		.amdhsa_private_segment_fixed_size 0
		.amdhsa_kernarg_size 100
		.amdhsa_user_sgpr_count 2
		.amdhsa_user_sgpr_dispatch_ptr 0
		.amdhsa_user_sgpr_queue_ptr 0
		.amdhsa_user_sgpr_kernarg_segment_ptr 1
		.amdhsa_user_sgpr_dispatch_id 0
		.amdhsa_user_sgpr_private_segment_size 0
		.amdhsa_wavefront_size32 1
		.amdhsa_uses_dynamic_stack 0
		.amdhsa_enable_private_segment 0
		.amdhsa_system_sgpr_workgroup_id_x 1
		.amdhsa_system_sgpr_workgroup_id_y 1
		.amdhsa_system_sgpr_workgroup_id_z 1
		.amdhsa_system_sgpr_workgroup_info 0
		.amdhsa_system_vgpr_workitem_id 1
		.amdhsa_next_free_vgpr 52
		.amdhsa_next_free_sgpr 34
		.amdhsa_reserve_vcc 1
		.amdhsa_float_round_mode_32 0
		.amdhsa_float_round_mode_16_64 0
		.amdhsa_float_denorm_mode_32 3
		.amdhsa_float_denorm_mode_16_64 3
		.amdhsa_fp16_overflow 0
		.amdhsa_workgroup_processor_mode 1
		.amdhsa_memory_ordered 1
		.amdhsa_forward_progress 1
		.amdhsa_inst_pref_size 15
		.amdhsa_round_robin_scheduling 0
		.amdhsa_exception_fp_ieee_invalid_op 0
		.amdhsa_exception_fp_denorm_src 0
		.amdhsa_exception_fp_ieee_div_zero 0
		.amdhsa_exception_fp_ieee_overflow 0
		.amdhsa_exception_fp_ieee_underflow 0
		.amdhsa_exception_fp_ieee_inexact 0
		.amdhsa_exception_int_div_zero 0
	.end_amdhsa_kernel
	.section	.text._ZL29rocblas_internal_gemmt_kernelIiLi16ELi32ELi8ELc67ELc84ELc76ELb0ELb0EfPKfS1_PfEviT_T9_T10_S3_lS5_S3_lS4_T11_S3_li,"axG",@progbits,_ZL29rocblas_internal_gemmt_kernelIiLi16ELi32ELi8ELc67ELc84ELc76ELb0ELb0EfPKfS1_PfEviT_T9_T10_S3_lS5_S3_lS4_T11_S3_li,comdat
.Lfunc_end16:
	.size	_ZL29rocblas_internal_gemmt_kernelIiLi16ELi32ELi8ELc67ELc84ELc76ELb0ELb0EfPKfS1_PfEviT_T9_T10_S3_lS5_S3_lS4_T11_S3_li, .Lfunc_end16-_ZL29rocblas_internal_gemmt_kernelIiLi16ELi32ELi8ELc67ELc84ELc76ELb0ELb0EfPKfS1_PfEviT_T9_T10_S3_lS5_S3_lS4_T11_S3_li
                                        ; -- End function
	.set _ZL29rocblas_internal_gemmt_kernelIiLi16ELi32ELi8ELc67ELc84ELc76ELb0ELb0EfPKfS1_PfEviT_T9_T10_S3_lS5_S3_lS4_T11_S3_li.num_vgpr, 52
	.set _ZL29rocblas_internal_gemmt_kernelIiLi16ELi32ELi8ELc67ELc84ELc76ELb0ELb0EfPKfS1_PfEviT_T9_T10_S3_lS5_S3_lS4_T11_S3_li.num_agpr, 0
	.set _ZL29rocblas_internal_gemmt_kernelIiLi16ELi32ELi8ELc67ELc84ELc76ELb0ELb0EfPKfS1_PfEviT_T9_T10_S3_lS5_S3_lS4_T11_S3_li.numbered_sgpr, 34
	.set _ZL29rocblas_internal_gemmt_kernelIiLi16ELi32ELi8ELc67ELc84ELc76ELb0ELb0EfPKfS1_PfEviT_T9_T10_S3_lS5_S3_lS4_T11_S3_li.num_named_barrier, 0
	.set _ZL29rocblas_internal_gemmt_kernelIiLi16ELi32ELi8ELc67ELc84ELc76ELb0ELb0EfPKfS1_PfEviT_T9_T10_S3_lS5_S3_lS4_T11_S3_li.private_seg_size, 0
	.set _ZL29rocblas_internal_gemmt_kernelIiLi16ELi32ELi8ELc67ELc84ELc76ELb0ELb0EfPKfS1_PfEviT_T9_T10_S3_lS5_S3_lS4_T11_S3_li.uses_vcc, 1
	.set _ZL29rocblas_internal_gemmt_kernelIiLi16ELi32ELi8ELc67ELc84ELc76ELb0ELb0EfPKfS1_PfEviT_T9_T10_S3_lS5_S3_lS4_T11_S3_li.uses_flat_scratch, 0
	.set _ZL29rocblas_internal_gemmt_kernelIiLi16ELi32ELi8ELc67ELc84ELc76ELb0ELb0EfPKfS1_PfEviT_T9_T10_S3_lS5_S3_lS4_T11_S3_li.has_dyn_sized_stack, 0
	.set _ZL29rocblas_internal_gemmt_kernelIiLi16ELi32ELi8ELc67ELc84ELc76ELb0ELb0EfPKfS1_PfEviT_T9_T10_S3_lS5_S3_lS4_T11_S3_li.has_recursion, 0
	.set _ZL29rocblas_internal_gemmt_kernelIiLi16ELi32ELi8ELc67ELc84ELc76ELb0ELb0EfPKfS1_PfEviT_T9_T10_S3_lS5_S3_lS4_T11_S3_li.has_indirect_call, 0
	.section	.AMDGPU.csdata,"",@progbits
; Kernel info:
; codeLenInByte = 1804
; TotalNumSgprs: 36
; NumVgprs: 52
; ScratchSize: 0
; MemoryBound: 0
; FloatMode: 240
; IeeeMode: 1
; LDSByteSize: 2048 bytes/workgroup (compile time only)
; SGPRBlocks: 0
; VGPRBlocks: 6
; NumSGPRsForWavesPerEU: 36
; NumVGPRsForWavesPerEU: 52
; Occupancy: 16
; WaveLimiterHint : 0
; COMPUTE_PGM_RSRC2:SCRATCH_EN: 0
; COMPUTE_PGM_RSRC2:USER_SGPR: 2
; COMPUTE_PGM_RSRC2:TRAP_HANDLER: 0
; COMPUTE_PGM_RSRC2:TGID_X_EN: 1
; COMPUTE_PGM_RSRC2:TGID_Y_EN: 1
; COMPUTE_PGM_RSRC2:TGID_Z_EN: 1
; COMPUTE_PGM_RSRC2:TIDIG_COMP_CNT: 1
	.section	.text._ZL29rocblas_internal_gemmt_kernelIiLi16ELi32ELi8ELc67ELc67ELc76ELb0ELb0EfPKfS1_PfEviT_T9_T10_S3_lS5_S3_lS4_T11_S3_li,"axG",@progbits,_ZL29rocblas_internal_gemmt_kernelIiLi16ELi32ELi8ELc67ELc67ELc76ELb0ELb0EfPKfS1_PfEviT_T9_T10_S3_lS5_S3_lS4_T11_S3_li,comdat
	.globl	_ZL29rocblas_internal_gemmt_kernelIiLi16ELi32ELi8ELc67ELc67ELc76ELb0ELb0EfPKfS1_PfEviT_T9_T10_S3_lS5_S3_lS4_T11_S3_li ; -- Begin function _ZL29rocblas_internal_gemmt_kernelIiLi16ELi32ELi8ELc67ELc67ELc76ELb0ELb0EfPKfS1_PfEviT_T9_T10_S3_lS5_S3_lS4_T11_S3_li
	.p2align	8
	.type	_ZL29rocblas_internal_gemmt_kernelIiLi16ELi32ELi8ELc67ELc67ELc76ELb0ELb0EfPKfS1_PfEviT_T9_T10_S3_lS5_S3_lS4_T11_S3_li,@function
_ZL29rocblas_internal_gemmt_kernelIiLi16ELi32ELi8ELc67ELc67ELc76ELb0ELb0EfPKfS1_PfEviT_T9_T10_S3_lS5_S3_lS4_T11_S3_li: ; @_ZL29rocblas_internal_gemmt_kernelIiLi16ELi32ELi8ELc67ELc67ELc76ELb0ELb0EfPKfS1_PfEviT_T9_T10_S3_lS5_S3_lS4_T11_S3_li
; %bb.0:
	s_clause 0x1
	s_load_b128 s[8:11], s[0:1], 0x38
	s_load_b128 s[4:7], s[0:1], 0x8
	s_wait_kmcnt 0x0
	s_load_b32 s19, s[10:11], 0x0
	s_load_b64 s[10:11], s[0:1], 0x0
	s_load_b32 s26, s[4:5], 0x0
	s_wait_kmcnt 0x0
	s_cmp_neq_f32 s19, 1.0
	s_cselect_b32 s2, -1, 0
	s_delay_alu instid0(SALU_CYCLE_1)
	s_and_b32 vcc_lo, exec_lo, s2
	s_cbranch_vccnz .LBB17_2
; %bb.1:
	s_cmp_lg_u32 s11, 0
	s_cselect_b32 s2, -1, 0
	s_cmp_neq_f32 s26, 0
	s_cselect_b32 s3, -1, 0
	s_delay_alu instid0(SALU_CYCLE_1)
	s_and_b32 s2, s2, s3
.LBB17_2:
	s_delay_alu instid0(SALU_CYCLE_1)
	s_and_not1_b32 vcc_lo, exec_lo, s2
	s_cbranch_vccnz .LBB17_33
; %bb.3:
	s_load_b32 s27, s[0:1], 0x60
	s_lshr_b32 s20, ttmp7, 16
	s_wait_kmcnt 0x0
	s_cmp_ge_u32 s20, s27
	s_cbranch_scc1 .LBB17_33
; %bb.4:
	v_and_b32_e32 v1, 0x3ff, v0
	v_bfe_u32 v3, v0, 10, 10
	v_and_b32_e32 v16, 7, v0
	s_clause 0x4
	s_load_b32 s24, s[0:1], 0x30
	s_load_b32 s5, s[0:1], 0x18
	s_load_b128 s[12:15], s[0:1], 0x20
	s_load_b96 s[16:18], s[0:1], 0x48
	s_load_b64 s[22:23], s[0:1], 0x58
	v_lshl_add_u32 v0, v3, 4, v1
	v_lshlrev_b32_e32 v5, 2, v16
	s_lshl_b32 s2, ttmp9, 5
	s_lshl_b32 s0, ttmp7, 5
	v_lshlrev_b32_e32 v20, 2, v1
	v_and_b32_e32 v2, 31, v0
	v_lshrrev_b32_e32 v4, 3, v0
	v_lshrrev_b32_e32 v17, 5, v0
	s_and_b32 s3, s0, 0x1fffe0
	v_lshl_add_u32 v21, v3, 5, 0x400
	v_lshlrev_b32_e32 v0, 2, v2
	v_or_b32_e32 v6, s2, v2
	v_lshl_or_b32 v2, v4, 5, v5
	v_add_nc_u32_e32 v12, s3, v4
	v_add_nc_u32_e32 v4, s3, v3
	v_lshl_or_b32 v18, v17, 7, v0
	v_add_nc_u32_e32 v0, s2, v1
	v_add_nc_u32_e32 v19, 0x400, v2
	s_wait_kmcnt 0x0
	s_ashr_i32 s25, s24, 31
	s_cmp_neq_f32 s26, 0
	v_mad_co_i64_i32 v[8:9], null, v4, s18, 0
	v_add_nc_u32_e32 v2, 16, v0
	v_cmp_le_i32_e32 vcc_lo, v4, v0
	v_add_nc_u32_e32 v10, 16, v4
	v_cmp_gt_i32_e64 s0, s10, v6
	s_cselect_b32 s31, -1, 0
	v_cmp_le_i32_e64 s3, v4, v2
	v_mad_co_i64_i32 v[4:5], null, s5, v6, 0
	v_mad_co_i64_i32 v[6:7], null, s24, v16, 0
	s_cmp_gt_i32 s11, 0
	v_cmp_gt_i32_e64 s2, s10, v0
	s_cselect_b32 s33, -1, 0
	s_cmp_neq_f32 s19, 0
	v_lshlrev_b64_e32 v[4:5], 2, v[4:5]
	v_cmp_gt_i32_e64 s1, s10, v12
	v_cmp_gt_i32_e64 s4, s10, v2
	s_cselect_b32 s28, -1, 0
	s_and_b32 s10, vcc_lo, s2
	v_cmp_le_i32_e32 vcc_lo, v10, v0
	v_lshlrev_b32_e32 v13, 2, v17
	v_lshlrev_b64_e32 v[6:7], 2, v[6:7]
	v_lshlrev_b32_e32 v12, 2, v12
	s_and_b32 s29, s3, s4
	v_cmp_le_i32_e64 s3, v10, v2
	v_mad_co_i64_i32 v[10:11], null, v10, s18, 0
	s_and_b32 s18, vcc_lo, s2
	v_add_co_u32 v4, vcc_lo, v4, v13
	s_delay_alu instid0(VALU_DEP_1)
	v_add_co_ci_u32_e64 v5, null, 0, v5, vcc_lo
	v_add_co_u32 v6, vcc_lo, v6, v12
	s_wait_alu 0xfffd
	v_add_co_ci_u32_e64 v7, null, 0, v7, vcc_lo
	v_add_co_u32 v4, vcc_lo, s6, v4
	s_wait_alu 0xfffd
	v_add_co_ci_u32_e64 v5, null, s7, v5, vcc_lo
	v_add_co_u32 v6, vcc_lo, s14, v6
	v_lshlrev_b64_e32 v[8:9], 2, v[8:9]
	v_lshlrev_b64_e32 v[10:11], 2, v[10:11]
	v_ashrrev_i32_e32 v1, 31, v0
	v_ashrrev_i32_e32 v3, 31, v2
	s_wait_alu 0xfffd
	v_add_co_ci_u32_e64 v7, null, s15, v7, vcc_lo
	s_mov_b32 s21, 0
	s_and_b32 s30, s3, s4
	s_and_b32 s14, s31, s33
	s_lshl_b64 s[2:3], s[12:13], 2
	s_lshl_b64 s[4:5], s[8:9], 2
	s_lshl_b64 s[6:7], s[24:25], 5
	s_branch .LBB17_6
.LBB17_5:                               ;   in Loop: Header=BB17_6 Depth=1
	s_wait_alu 0xfffe
	s_or_b32 exec_lo, exec_lo, s8
	s_add_co_i32 s20, s20, 0x10000
	s_wait_alu 0xfffe
	s_cmp_lt_u32 s20, s27
	s_cbranch_scc0 .LBB17_33
.LBB17_6:                               ; =>This Loop Header: Depth=1
                                        ;     Child Loop BB17_9 Depth 2
	v_dual_mov_b32 v25, 0 :: v_dual_mov_b32 v24, 0
	v_dual_mov_b32 v23, 0 :: v_dual_mov_b32 v22, 0
	s_wait_alu 0xfffe
	s_and_not1_b32 vcc_lo, exec_lo, s14
	s_wait_alu 0xfffe
	s_cbranch_vccnz .LBB17_13
; %bb.7:                                ;   in Loop: Header=BB17_6 Depth=1
	v_mad_co_u64_u32 v[12:13], null, s2, s20, v[4:5]
	v_mad_co_u64_u32 v[14:15], null, s4, s20, v[6:7]
	v_dual_mov_b32 v22, 0 :: v_dual_mov_b32 v23, 0
	s_mov_b32 s8, 0
	s_delay_alu instid0(VALU_DEP_2) | instskip(NEXT) | instid1(VALU_DEP_3)
	v_mad_co_u64_u32 v[25:26], null, s3, s20, v[13:14]
	v_mad_co_u64_u32 v[26:27], null, s5, s20, v[15:16]
	s_delay_alu instid0(VALU_DEP_2) | instskip(SKIP_1) | instid1(VALU_DEP_3)
	v_dual_mov_b32 v24, 0 :: v_dual_mov_b32 v13, v25
	v_mov_b32_e32 v25, 0
	v_mov_b32_e32 v15, v26
	s_branch .LBB17_9
.LBB17_8:                               ;   in Loop: Header=BB17_9 Depth=2
	s_wait_alu 0xfffe
	s_or_b32 exec_lo, exec_lo, s9
	s_wait_loadcnt 0x0
	ds_store_b32 v19, v27
	s_wait_dscnt 0x0
	s_barrier_signal -1
	s_barrier_wait -1
	global_inv scope:SCOPE_SE
	ds_load_b128 v[26:29], v21
	ds_load_2addr_b32 v[42:43], v20 offset1:16
	ds_load_b128 v[30:33], v21 offset:512
	ds_load_2addr_b32 v[44:45], v20 offset0:32 offset1:48
	ds_load_2addr_b32 v[46:47], v20 offset0:64 offset1:80
	;; [unrolled: 1-line block ×3, first 2 shown]
	ds_load_b128 v[34:37], v21 offset:16
	ds_load_2addr_b32 v[50:51], v20 offset0:128 offset1:144
	ds_load_b128 v[38:41], v21 offset:528
	v_add_co_u32 v12, vcc_lo, v12, 32
	s_wait_alu 0xfffd
	v_add_co_ci_u32_e64 v13, null, 0, v13, vcc_lo
	v_add_co_u32 v14, vcc_lo, v14, s6
	s_wait_alu 0xfffd
	v_add_co_ci_u32_e64 v15, null, s7, v15, vcc_lo
	s_add_co_i32 s8, s8, 8
	s_wait_alu 0xfffe
	s_cmp_lt_i32 s8, s11
	s_wait_dscnt 0x7
	v_fmac_f32_e32 v24, v43, v26
	v_fmac_f32_e32 v25, v42, v26
	s_wait_dscnt 0x6
	v_fmac_f32_e32 v22, v43, v30
	v_fmac_f32_e32 v23, v42, v30
	ds_load_2addr_b32 v[42:43], v20 offset0:160 offset1:176
	s_wait_dscnt 0x6
	v_fmac_f32_e32 v24, v45, v27
	v_fmac_f32_e32 v25, v44, v27
	v_fmac_f32_e32 v22, v45, v31
	v_fmac_f32_e32 v23, v44, v31
	ds_load_2addr_b32 v[26:27], v20 offset0:192 offset1:208
	s_wait_dscnt 0x6
	v_fmac_f32_e32 v24, v47, v28
	v_fmac_f32_e32 v25, v46, v28
	;; [unrolled: 6-line block ×3, first 2 shown]
	v_fmac_f32_e32 v22, v49, v33
	v_fmac_f32_e32 v23, v48, v33
	s_wait_loadcnt_dscnt 0x0
	v_fmac_f32_e32 v24, v51, v34
	v_fmac_f32_e32 v25, v50, v34
	;; [unrolled: 1-line block ×4, first 2 shown]
	s_barrier_signal -1
	v_fmac_f32_e32 v24, v43, v35
	v_fmac_f32_e32 v25, v42, v35
	;; [unrolled: 1-line block ×4, first 2 shown]
	s_barrier_wait -1
	v_fmac_f32_e32 v24, v27, v36
	v_fmac_f32_e32 v25, v26, v36
	;; [unrolled: 1-line block ×4, first 2 shown]
	global_inv scope:SCOPE_SE
	v_fmac_f32_e32 v24, v31, v37
	v_fmac_f32_e32 v25, v30, v37
	;; [unrolled: 1-line block ×4, first 2 shown]
	s_cbranch_scc0 .LBB17_13
.LBB17_9:                               ;   Parent Loop BB17_6 Depth=1
                                        ; =>  This Inner Loop Header: Depth=2
	s_wait_alu 0xfffe
	v_add_nc_u32_e32 v26, s8, v17
	s_delay_alu instid0(VALU_DEP_1) | instskip(SKIP_2) | instid1(SALU_CYCLE_1)
	v_cmp_gt_i32_e32 vcc_lo, s11, v26
	v_mov_b32_e32 v26, 0
	s_and_b32 s12, s0, vcc_lo
	s_and_saveexec_b32 s9, s12
	s_cbranch_execz .LBB17_11
; %bb.10:                               ;   in Loop: Header=BB17_9 Depth=2
	global_load_b32 v26, v[12:13], off
.LBB17_11:                              ;   in Loop: Header=BB17_9 Depth=2
	s_wait_alu 0xfffe
	s_or_b32 exec_lo, exec_lo, s9
	v_add_nc_u32_e32 v27, s8, v16
	s_wait_loadcnt 0x0
	ds_store_b32 v18, v26
	v_cmp_gt_i32_e32 vcc_lo, s11, v27
	v_mov_b32_e32 v27, 0
	s_and_b32 s12, vcc_lo, s1
	s_delay_alu instid0(SALU_CYCLE_1)
	s_and_saveexec_b32 s9, s12
	s_cbranch_execz .LBB17_8
; %bb.12:                               ;   in Loop: Header=BB17_9 Depth=2
	global_load_b32 v27, v[14:15], off
	s_branch .LBB17_8
.LBB17_13:                              ;   in Loop: Header=BB17_6 Depth=1
	s_mul_u64 s[8:9], s[22:23], s[20:21]
	s_wait_alu 0xfffe
	s_lshl_b64 s[8:9], s[8:9], 2
	s_wait_alu 0xfffe
	s_add_nc_u64 s[8:9], s[16:17], s[8:9]
	s_wait_alu 0xfffe
	v_add_co_u32 v12, vcc_lo, s8, v8
	s_wait_alu 0xfffd
	v_add_co_ci_u32_e64 v13, null, s9, v9, vcc_lo
	s_and_saveexec_b32 s12, s10
	s_cbranch_execz .LBB17_17
; %bb.14:                               ;   in Loop: Header=BB17_6 Depth=1
	v_mul_f32_e32 v14, s26, v25
	s_and_b32 vcc_lo, exec_lo, s28
	s_wait_alu 0xfffe
	s_cbranch_vccz .LBB17_28
; %bb.15:                               ;   in Loop: Header=BB17_6 Depth=1
	v_lshlrev_b64_e32 v[25:26], 2, v[0:1]
	s_delay_alu instid0(VALU_DEP_1) | instskip(SKIP_1) | instid1(VALU_DEP_2)
	v_add_co_u32 v25, vcc_lo, v12, v25
	s_wait_alu 0xfffd
	v_add_co_ci_u32_e64 v26, null, v13, v26, vcc_lo
	global_load_b32 v15, v[25:26], off
	s_wait_loadcnt 0x0
	v_fma_f32 v15, s19, v15, v14
	global_store_b32 v[25:26], v15, off
	s_cbranch_execnz .LBB17_17
.LBB17_16:                              ;   in Loop: Header=BB17_6 Depth=1
	v_lshlrev_b64_e32 v[25:26], 2, v[0:1]
	s_delay_alu instid0(VALU_DEP_1) | instskip(SKIP_1) | instid1(VALU_DEP_2)
	v_add_co_u32 v25, vcc_lo, v12, v25
	s_wait_alu 0xfffd
	v_add_co_ci_u32_e64 v26, null, v13, v26, vcc_lo
	global_store_b32 v[25:26], v14, off
.LBB17_17:                              ;   in Loop: Header=BB17_6 Depth=1
	s_or_b32 exec_lo, exec_lo, s12
	s_and_saveexec_b32 s12, s29
	s_cbranch_execz .LBB17_21
; %bb.18:                               ;   in Loop: Header=BB17_6 Depth=1
	v_mul_f32_e32 v14, s26, v24
	s_and_not1_b32 vcc_lo, exec_lo, s28
	s_wait_alu 0xfffe
	s_cbranch_vccnz .LBB17_29
; %bb.19:                               ;   in Loop: Header=BB17_6 Depth=1
	v_lshlrev_b64_e32 v[24:25], 2, v[2:3]
	s_delay_alu instid0(VALU_DEP_1) | instskip(SKIP_1) | instid1(VALU_DEP_2)
	v_add_co_u32 v24, vcc_lo, v12, v24
	s_wait_alu 0xfffd
	v_add_co_ci_u32_e64 v25, null, v13, v25, vcc_lo
	global_load_b32 v15, v[24:25], off
	s_wait_loadcnt 0x0
	v_fma_f32 v15, s19, v15, v14
	global_store_b32 v[24:25], v15, off
	s_cbranch_execnz .LBB17_21
.LBB17_20:                              ;   in Loop: Header=BB17_6 Depth=1
	v_lshlrev_b64_e32 v[24:25], 2, v[2:3]
	s_delay_alu instid0(VALU_DEP_1) | instskip(SKIP_1) | instid1(VALU_DEP_2)
	v_add_co_u32 v12, vcc_lo, v12, v24
	s_wait_alu 0xfffd
	v_add_co_ci_u32_e64 v13, null, v13, v25, vcc_lo
	global_store_b32 v[12:13], v14, off
.LBB17_21:                              ;   in Loop: Header=BB17_6 Depth=1
	s_or_b32 exec_lo, exec_lo, s12
	v_add_co_u32 v14, vcc_lo, s8, v10
	s_wait_alu 0xfffd
	v_add_co_ci_u32_e64 v15, null, s9, v11, vcc_lo
	s_and_saveexec_b32 s8, s18
	s_cbranch_execz .LBB17_25
; %bb.22:                               ;   in Loop: Header=BB17_6 Depth=1
	v_lshlrev_b64_e32 v[12:13], 2, v[0:1]
	v_mul_f32_e32 v23, s26, v23
	s_and_not1_b32 vcc_lo, exec_lo, s28
	s_wait_alu 0xfffe
	s_cbranch_vccnz .LBB17_30
; %bb.23:                               ;   in Loop: Header=BB17_6 Depth=1
	s_delay_alu instid0(VALU_DEP_2)
	v_add_co_u32 v24, vcc_lo, v14, v12
	s_wait_alu 0xfffd
	v_add_co_ci_u32_e64 v25, null, v15, v13, vcc_lo
	global_load_b32 v26, v[24:25], off
	s_wait_loadcnt 0x0
	v_fma_f32 v26, s19, v26, v23
	global_store_b32 v[24:25], v26, off
	s_cbranch_execnz .LBB17_25
.LBB17_24:                              ;   in Loop: Header=BB17_6 Depth=1
	v_add_co_u32 v12, vcc_lo, v14, v12
	s_wait_alu 0xfffd
	v_add_co_ci_u32_e64 v13, null, v15, v13, vcc_lo
	global_store_b32 v[12:13], v23, off
.LBB17_25:                              ;   in Loop: Header=BB17_6 Depth=1
	s_wait_alu 0xfffe
	s_or_b32 exec_lo, exec_lo, s8
	s_and_saveexec_b32 s8, s30
	s_cbranch_execz .LBB17_5
; %bb.26:                               ;   in Loop: Header=BB17_6 Depth=1
	v_lshlrev_b64_e32 v[12:13], 2, v[2:3]
	v_mul_f32_e32 v22, s26, v22
	s_and_not1_b32 vcc_lo, exec_lo, s28
	s_wait_alu 0xfffe
	s_cbranch_vccnz .LBB17_31
; %bb.27:                               ;   in Loop: Header=BB17_6 Depth=1
	s_delay_alu instid0(VALU_DEP_2)
	v_add_co_u32 v23, vcc_lo, v14, v12
	s_wait_alu 0xfffd
	v_add_co_ci_u32_e64 v24, null, v15, v13, vcc_lo
	global_load_b32 v25, v[23:24], off
	s_wait_loadcnt 0x0
	v_fma_f32 v25, s19, v25, v22
	global_store_b32 v[23:24], v25, off
	s_cbranch_execnz .LBB17_5
	s_branch .LBB17_32
.LBB17_28:                              ;   in Loop: Header=BB17_6 Depth=1
	s_branch .LBB17_16
.LBB17_29:                              ;   in Loop: Header=BB17_6 Depth=1
	s_branch .LBB17_20
.LBB17_30:                              ;   in Loop: Header=BB17_6 Depth=1
	s_branch .LBB17_24
.LBB17_31:                              ;   in Loop: Header=BB17_6 Depth=1
.LBB17_32:                              ;   in Loop: Header=BB17_6 Depth=1
	s_delay_alu instid0(VALU_DEP_2)
	v_add_co_u32 v12, vcc_lo, v14, v12
	s_wait_alu 0xfffd
	v_add_co_ci_u32_e64 v13, null, v15, v13, vcc_lo
	global_store_b32 v[12:13], v22, off
	s_branch .LBB17_5
.LBB17_33:
	s_endpgm
	.section	.rodata,"a",@progbits
	.p2align	6, 0x0
	.amdhsa_kernel _ZL29rocblas_internal_gemmt_kernelIiLi16ELi32ELi8ELc67ELc67ELc76ELb0ELb0EfPKfS1_PfEviT_T9_T10_S3_lS5_S3_lS4_T11_S3_li
		.amdhsa_group_segment_fixed_size 2048
		.amdhsa_private_segment_fixed_size 0
		.amdhsa_kernarg_size 100
		.amdhsa_user_sgpr_count 2
		.amdhsa_user_sgpr_dispatch_ptr 0
		.amdhsa_user_sgpr_queue_ptr 0
		.amdhsa_user_sgpr_kernarg_segment_ptr 1
		.amdhsa_user_sgpr_dispatch_id 0
		.amdhsa_user_sgpr_private_segment_size 0
		.amdhsa_wavefront_size32 1
		.amdhsa_uses_dynamic_stack 0
		.amdhsa_enable_private_segment 0
		.amdhsa_system_sgpr_workgroup_id_x 1
		.amdhsa_system_sgpr_workgroup_id_y 1
		.amdhsa_system_sgpr_workgroup_id_z 1
		.amdhsa_system_sgpr_workgroup_info 0
		.amdhsa_system_vgpr_workitem_id 1
		.amdhsa_next_free_vgpr 52
		.amdhsa_next_free_sgpr 34
		.amdhsa_reserve_vcc 1
		.amdhsa_float_round_mode_32 0
		.amdhsa_float_round_mode_16_64 0
		.amdhsa_float_denorm_mode_32 3
		.amdhsa_float_denorm_mode_16_64 3
		.amdhsa_fp16_overflow 0
		.amdhsa_workgroup_processor_mode 1
		.amdhsa_memory_ordered 1
		.amdhsa_forward_progress 1
		.amdhsa_inst_pref_size 15
		.amdhsa_round_robin_scheduling 0
		.amdhsa_exception_fp_ieee_invalid_op 0
		.amdhsa_exception_fp_denorm_src 0
		.amdhsa_exception_fp_ieee_div_zero 0
		.amdhsa_exception_fp_ieee_overflow 0
		.amdhsa_exception_fp_ieee_underflow 0
		.amdhsa_exception_fp_ieee_inexact 0
		.amdhsa_exception_int_div_zero 0
	.end_amdhsa_kernel
	.section	.text._ZL29rocblas_internal_gemmt_kernelIiLi16ELi32ELi8ELc67ELc67ELc76ELb0ELb0EfPKfS1_PfEviT_T9_T10_S3_lS5_S3_lS4_T11_S3_li,"axG",@progbits,_ZL29rocblas_internal_gemmt_kernelIiLi16ELi32ELi8ELc67ELc67ELc76ELb0ELb0EfPKfS1_PfEviT_T9_T10_S3_lS5_S3_lS4_T11_S3_li,comdat
.Lfunc_end17:
	.size	_ZL29rocblas_internal_gemmt_kernelIiLi16ELi32ELi8ELc67ELc67ELc76ELb0ELb0EfPKfS1_PfEviT_T9_T10_S3_lS5_S3_lS4_T11_S3_li, .Lfunc_end17-_ZL29rocblas_internal_gemmt_kernelIiLi16ELi32ELi8ELc67ELc67ELc76ELb0ELb0EfPKfS1_PfEviT_T9_T10_S3_lS5_S3_lS4_T11_S3_li
                                        ; -- End function
	.set _ZL29rocblas_internal_gemmt_kernelIiLi16ELi32ELi8ELc67ELc67ELc76ELb0ELb0EfPKfS1_PfEviT_T9_T10_S3_lS5_S3_lS4_T11_S3_li.num_vgpr, 52
	.set _ZL29rocblas_internal_gemmt_kernelIiLi16ELi32ELi8ELc67ELc67ELc76ELb0ELb0EfPKfS1_PfEviT_T9_T10_S3_lS5_S3_lS4_T11_S3_li.num_agpr, 0
	.set _ZL29rocblas_internal_gemmt_kernelIiLi16ELi32ELi8ELc67ELc67ELc76ELb0ELb0EfPKfS1_PfEviT_T9_T10_S3_lS5_S3_lS4_T11_S3_li.numbered_sgpr, 34
	.set _ZL29rocblas_internal_gemmt_kernelIiLi16ELi32ELi8ELc67ELc67ELc76ELb0ELb0EfPKfS1_PfEviT_T9_T10_S3_lS5_S3_lS4_T11_S3_li.num_named_barrier, 0
	.set _ZL29rocblas_internal_gemmt_kernelIiLi16ELi32ELi8ELc67ELc67ELc76ELb0ELb0EfPKfS1_PfEviT_T9_T10_S3_lS5_S3_lS4_T11_S3_li.private_seg_size, 0
	.set _ZL29rocblas_internal_gemmt_kernelIiLi16ELi32ELi8ELc67ELc67ELc76ELb0ELb0EfPKfS1_PfEviT_T9_T10_S3_lS5_S3_lS4_T11_S3_li.uses_vcc, 1
	.set _ZL29rocblas_internal_gemmt_kernelIiLi16ELi32ELi8ELc67ELc67ELc76ELb0ELb0EfPKfS1_PfEviT_T9_T10_S3_lS5_S3_lS4_T11_S3_li.uses_flat_scratch, 0
	.set _ZL29rocblas_internal_gemmt_kernelIiLi16ELi32ELi8ELc67ELc67ELc76ELb0ELb0EfPKfS1_PfEviT_T9_T10_S3_lS5_S3_lS4_T11_S3_li.has_dyn_sized_stack, 0
	.set _ZL29rocblas_internal_gemmt_kernelIiLi16ELi32ELi8ELc67ELc67ELc76ELb0ELb0EfPKfS1_PfEviT_T9_T10_S3_lS5_S3_lS4_T11_S3_li.has_recursion, 0
	.set _ZL29rocblas_internal_gemmt_kernelIiLi16ELi32ELi8ELc67ELc67ELc76ELb0ELb0EfPKfS1_PfEviT_T9_T10_S3_lS5_S3_lS4_T11_S3_li.has_indirect_call, 0
	.section	.AMDGPU.csdata,"",@progbits
; Kernel info:
; codeLenInByte = 1804
; TotalNumSgprs: 36
; NumVgprs: 52
; ScratchSize: 0
; MemoryBound: 0
; FloatMode: 240
; IeeeMode: 1
; LDSByteSize: 2048 bytes/workgroup (compile time only)
; SGPRBlocks: 0
; VGPRBlocks: 6
; NumSGPRsForWavesPerEU: 36
; NumVGPRsForWavesPerEU: 52
; Occupancy: 16
; WaveLimiterHint : 0
; COMPUTE_PGM_RSRC2:SCRATCH_EN: 0
; COMPUTE_PGM_RSRC2:USER_SGPR: 2
; COMPUTE_PGM_RSRC2:TRAP_HANDLER: 0
; COMPUTE_PGM_RSRC2:TGID_X_EN: 1
; COMPUTE_PGM_RSRC2:TGID_Y_EN: 1
; COMPUTE_PGM_RSRC2:TGID_Z_EN: 1
; COMPUTE_PGM_RSRC2:TIDIG_COMP_CNT: 1
	.section	.text._ZL29rocblas_internal_gemmt_kernelIiLi16ELi32ELi8ELc78ELc78ELc85ELb0ELb0EffPKfPfEviT_T9_T10_S3_lS5_S3_lS4_T11_S3_li,"axG",@progbits,_ZL29rocblas_internal_gemmt_kernelIiLi16ELi32ELi8ELc78ELc78ELc85ELb0ELb0EffPKfPfEviT_T9_T10_S3_lS5_S3_lS4_T11_S3_li,comdat
	.globl	_ZL29rocblas_internal_gemmt_kernelIiLi16ELi32ELi8ELc78ELc78ELc85ELb0ELb0EffPKfPfEviT_T9_T10_S3_lS5_S3_lS4_T11_S3_li ; -- Begin function _ZL29rocblas_internal_gemmt_kernelIiLi16ELi32ELi8ELc78ELc78ELc85ELb0ELb0EffPKfPfEviT_T9_T10_S3_lS5_S3_lS4_T11_S3_li
	.p2align	8
	.type	_ZL29rocblas_internal_gemmt_kernelIiLi16ELi32ELi8ELc78ELc78ELc85ELb0ELb0EffPKfPfEviT_T9_T10_S3_lS5_S3_lS4_T11_S3_li,@function
_ZL29rocblas_internal_gemmt_kernelIiLi16ELi32ELi8ELc78ELc78ELc85ELb0ELb0EffPKfPfEviT_T9_T10_S3_lS5_S3_lS4_T11_S3_li: ; @_ZL29rocblas_internal_gemmt_kernelIiLi16ELi32ELi8ELc78ELc78ELc85ELb0ELb0EffPKfPfEviT_T9_T10_S3_lS5_S3_lS4_T11_S3_li
; %bb.0:
	s_clause 0x1
	s_load_b32 s11, s[0:1], 0x40
	s_load_b96 s[8:10], s[0:1], 0x0
	s_wait_kmcnt 0x0
	s_cmp_neq_f32 s11, 1.0
	s_cselect_b32 s2, -1, 0
	s_delay_alu instid0(SALU_CYCLE_1)
	s_and_b32 vcc_lo, exec_lo, s2
	s_cbranch_vccnz .LBB18_2
; %bb.1:
	s_cmp_lg_u32 s9, 0
	s_cselect_b32 s2, -1, 0
	s_cmp_neq_f32 s10, 0
	s_cselect_b32 s3, -1, 0
	s_delay_alu instid0(SALU_CYCLE_1)
	s_and_b32 s2, s2, s3
.LBB18_2:
	s_delay_alu instid0(SALU_CYCLE_1)
	s_and_not1_b32 vcc_lo, exec_lo, s2
	s_cbranch_vccnz .LBB18_33
; %bb.3:
	s_load_b32 s19, s[0:1], 0x60
	s_lshr_b32 s20, ttmp7, 16
	s_wait_kmcnt 0x0
	s_cmp_ge_u32 s20, s19
	s_cbranch_scc1 .LBB18_33
; %bb.4:
	v_and_b32_e32 v1, 0x3ff, v0
	v_bfe_u32 v3, v0, 10, 10
	s_clause 0x1
	s_load_b96 s[16:18], s[0:1], 0x10
	s_load_b128 s[4:7], s[0:1], 0x20
	v_and_b32_e32 v16, 7, v0
	s_clause 0x3
	s_load_b32 s15, s[0:1], 0x30
	s_load_b64 s[24:25], s[0:1], 0x38
	s_load_b96 s[12:14], s[0:1], 0x48
	s_load_b64 s[22:23], s[0:1], 0x58
	v_lshl_add_u32 v0, v3, 4, v1
	s_lshl_b32 s2, ttmp9, 5
	s_lshl_b32 s0, ttmp7, 5
	v_lshlrev_b32_e32 v14, 2, v16
	s_and_b32 s3, s0, 0x1fffe0
	v_and_b32_e32 v2, 31, v0
	v_lshrrev_b32_e32 v5, 3, v0
	v_lshrrev_b32_e32 v17, 5, v0
	v_lshlrev_b32_e32 v20, 2, v1
	v_lshl_add_u32 v21, v3, 5, 0x400
	v_lshlrev_b32_e32 v0, 2, v2
	v_or_b32_e32 v4, s2, v2
	v_lshl_or_b32 v2, v5, 5, v14
	v_add_nc_u32_e32 v10, s3, v5
	v_add_nc_u32_e32 v5, s3, v3
	v_lshl_or_b32 v18, v17, 7, v0
	v_add_nc_u32_e32 v0, s2, v1
	s_wait_kmcnt 0x0
	s_ashr_i32 s31, s18, 31
	v_add_nc_u32_e32 v19, 0x400, v2
	s_cmp_neq_f32 s10, 0
	v_mad_co_i64_i32 v[6:7], null, v17, s18, 0
	v_add_nc_u32_e32 v2, 16, v0
	v_cmp_gt_i32_e64 s1, s8, v10
	v_mad_co_i64_i32 v[10:11], null, s15, v10, 0
	s_cselect_b32 s29, -1, 0
	s_cmp_gt_i32 s9, 0
	v_cmp_gt_i32_e32 vcc_lo, s8, v5
	v_cmp_le_i32_e64 s2, v0, v5
	v_cmp_le_i32_e64 s3, v2, v5
	v_mad_co_i64_i32 v[8:9], null, v5, s14, 0
	v_add_nc_u32_e32 v12, 16, v5
	v_ashrrev_i32_e32 v5, 31, v4
	s_cselect_b32 s33, -1, 0
	s_cmp_neq_f32 s11, 0
	v_cmp_gt_i32_e64 s0, s8, v4
	v_lshlrev_b64_e32 v[6:7], 2, v[6:7]
	v_lshlrev_b64_e32 v[4:5], 2, v[4:5]
	s_cselect_b32 s26, -1, 0
	s_and_b32 s27, vcc_lo, s2
	s_and_b32 s28, vcc_lo, s3
	v_cmp_gt_i32_e32 vcc_lo, s8, v12
	v_cmp_le_i32_e64 s2, v0, v12
	v_cmp_le_i32_e64 s3, v2, v12
	v_lshlrev_b64_e32 v[10:11], 2, v[10:11]
	s_mov_b32 s30, s18
	v_mad_co_i64_i32 v[12:13], null, v12, s14, 0
	s_and_b32 s8, vcc_lo, s2
	s_and_b32 s18, vcc_lo, s3
	v_add_co_u32 v4, vcc_lo, v6, v4
	s_delay_alu instid0(VALU_DEP_1)
	v_add_co_ci_u32_e64 v5, null, v7, v5, vcc_lo
	v_add_co_u32 v6, vcc_lo, v10, v14
	s_wait_alu 0xfffd
	v_add_co_ci_u32_e64 v7, null, 0, v11, vcc_lo
	v_add_co_u32 v4, vcc_lo, s16, v4
	s_wait_alu 0xfffd
	v_add_co_ci_u32_e64 v5, null, s17, v5, vcc_lo
	v_add_co_u32 v6, vcc_lo, s6, v6
	v_lshlrev_b64_e32 v[8:9], 2, v[8:9]
	v_lshlrev_b64_e32 v[10:11], 2, v[12:13]
	v_ashrrev_i32_e32 v1, 31, v0
	v_ashrrev_i32_e32 v3, 31, v2
	s_wait_alu 0xfffd
	v_add_co_ci_u32_e64 v7, null, s7, v7, vcc_lo
	s_mov_b32 s21, 0
	s_and_b32 s16, s29, s33
	s_lshl_b64 s[2:3], s[4:5], 2
	s_lshl_b64 s[4:5], s[30:31], 5
	;; [unrolled: 1-line block ×3, first 2 shown]
	s_branch .LBB18_6
.LBB18_5:                               ;   in Loop: Header=BB18_6 Depth=1
	s_wait_alu 0xfffe
	s_or_b32 exec_lo, exec_lo, s14
	s_add_co_i32 s20, s20, 0x10000
	s_wait_alu 0xfffe
	s_cmp_lt_u32 s20, s19
	s_cbranch_scc0 .LBB18_33
.LBB18_6:                               ; =>This Loop Header: Depth=1
                                        ;     Child Loop BB18_9 Depth 2
	v_dual_mov_b32 v25, 0 :: v_dual_mov_b32 v24, 0
	v_dual_mov_b32 v23, 0 :: v_dual_mov_b32 v22, 0
	s_wait_alu 0xfffe
	s_and_not1_b32 vcc_lo, exec_lo, s16
	s_wait_alu 0xfffe
	s_cbranch_vccnz .LBB18_13
; %bb.7:                                ;   in Loop: Header=BB18_6 Depth=1
	v_mad_co_u64_u32 v[12:13], null, s2, s20, v[4:5]
	v_mad_co_u64_u32 v[14:15], null, s6, s20, v[6:7]
	v_dual_mov_b32 v22, 0 :: v_dual_mov_b32 v23, 0
	s_mov_b32 s14, 0
	s_delay_alu instid0(VALU_DEP_2) | instskip(NEXT) | instid1(VALU_DEP_3)
	v_mad_co_u64_u32 v[25:26], null, s3, s20, v[13:14]
	v_mad_co_u64_u32 v[26:27], null, s7, s20, v[15:16]
	s_delay_alu instid0(VALU_DEP_2) | instskip(SKIP_1) | instid1(VALU_DEP_3)
	v_dual_mov_b32 v24, 0 :: v_dual_mov_b32 v13, v25
	v_mov_b32_e32 v25, 0
	v_mov_b32_e32 v15, v26
	s_branch .LBB18_9
.LBB18_8:                               ;   in Loop: Header=BB18_9 Depth=2
	s_wait_alu 0xfffe
	s_or_b32 exec_lo, exec_lo, s15
	s_wait_loadcnt 0x0
	ds_store_b32 v19, v27
	s_wait_dscnt 0x0
	s_barrier_signal -1
	s_barrier_wait -1
	global_inv scope:SCOPE_SE
	ds_load_b128 v[26:29], v21
	ds_load_2addr_b32 v[42:43], v20 offset1:16
	ds_load_b128 v[30:33], v21 offset:512
	ds_load_2addr_b32 v[44:45], v20 offset0:32 offset1:48
	ds_load_2addr_b32 v[46:47], v20 offset0:64 offset1:80
	;; [unrolled: 1-line block ×3, first 2 shown]
	ds_load_b128 v[34:37], v21 offset:16
	ds_load_2addr_b32 v[50:51], v20 offset0:128 offset1:144
	ds_load_b128 v[38:41], v21 offset:528
	v_add_co_u32 v12, vcc_lo, v12, s4
	s_wait_alu 0xfffd
	v_add_co_ci_u32_e64 v13, null, s5, v13, vcc_lo
	v_add_co_u32 v14, vcc_lo, v14, 32
	s_wait_alu 0xfffd
	v_add_co_ci_u32_e64 v15, null, 0, v15, vcc_lo
	s_add_co_i32 s14, s14, 8
	s_wait_alu 0xfffe
	s_cmp_lt_i32 s14, s9
	s_wait_dscnt 0x7
	v_fmac_f32_e32 v24, v43, v26
	v_fmac_f32_e32 v25, v42, v26
	s_wait_dscnt 0x6
	v_fmac_f32_e32 v22, v43, v30
	v_fmac_f32_e32 v23, v42, v30
	ds_load_2addr_b32 v[42:43], v20 offset0:160 offset1:176
	s_wait_dscnt 0x6
	v_fmac_f32_e32 v24, v45, v27
	v_fmac_f32_e32 v25, v44, v27
	v_fmac_f32_e32 v22, v45, v31
	v_fmac_f32_e32 v23, v44, v31
	ds_load_2addr_b32 v[26:27], v20 offset0:192 offset1:208
	s_wait_dscnt 0x6
	v_fmac_f32_e32 v24, v47, v28
	v_fmac_f32_e32 v25, v46, v28
	;; [unrolled: 6-line block ×3, first 2 shown]
	v_fmac_f32_e32 v22, v49, v33
	v_fmac_f32_e32 v23, v48, v33
	s_wait_loadcnt_dscnt 0x0
	v_fmac_f32_e32 v24, v51, v34
	v_fmac_f32_e32 v25, v50, v34
	;; [unrolled: 1-line block ×4, first 2 shown]
	s_barrier_signal -1
	v_fmac_f32_e32 v24, v43, v35
	v_fmac_f32_e32 v25, v42, v35
	;; [unrolled: 1-line block ×4, first 2 shown]
	s_barrier_wait -1
	v_fmac_f32_e32 v24, v27, v36
	v_fmac_f32_e32 v25, v26, v36
	;; [unrolled: 1-line block ×4, first 2 shown]
	global_inv scope:SCOPE_SE
	v_fmac_f32_e32 v24, v31, v37
	v_fmac_f32_e32 v25, v30, v37
	;; [unrolled: 1-line block ×4, first 2 shown]
	s_cbranch_scc0 .LBB18_13
.LBB18_9:                               ;   Parent Loop BB18_6 Depth=1
                                        ; =>  This Inner Loop Header: Depth=2
	s_wait_alu 0xfffe
	v_add_nc_u32_e32 v26, s14, v17
	s_delay_alu instid0(VALU_DEP_1)
	v_cmp_gt_i32_e32 vcc_lo, s9, v26
	v_mov_b32_e32 v26, 0
	s_and_b32 s17, s0, vcc_lo
	s_wait_alu 0xfffe
	s_and_saveexec_b32 s15, s17
	s_cbranch_execz .LBB18_11
; %bb.10:                               ;   in Loop: Header=BB18_9 Depth=2
	global_load_b32 v26, v[12:13], off
.LBB18_11:                              ;   in Loop: Header=BB18_9 Depth=2
	s_wait_alu 0xfffe
	s_or_b32 exec_lo, exec_lo, s15
	v_add_nc_u32_e32 v27, s14, v16
	s_wait_loadcnt 0x0
	ds_store_b32 v18, v26
	v_cmp_gt_i32_e32 vcc_lo, s9, v27
	v_mov_b32_e32 v27, 0
	s_and_b32 s17, vcc_lo, s1
	s_wait_alu 0xfffe
	s_and_saveexec_b32 s15, s17
	s_cbranch_execz .LBB18_8
; %bb.12:                               ;   in Loop: Header=BB18_9 Depth=2
	global_load_b32 v27, v[14:15], off
	s_branch .LBB18_8
.LBB18_13:                              ;   in Loop: Header=BB18_6 Depth=1
	s_mul_u64 s[14:15], s[22:23], s[20:21]
	s_wait_alu 0xfffe
	s_lshl_b64 s[14:15], s[14:15], 2
	s_wait_alu 0xfffe
	s_add_nc_u64 s[14:15], s[12:13], s[14:15]
	s_wait_alu 0xfffe
	v_add_co_u32 v12, vcc_lo, s14, v8
	s_wait_alu 0xfffd
	v_add_co_ci_u32_e64 v13, null, s15, v9, vcc_lo
	s_and_saveexec_b32 s17, s27
	s_cbranch_execz .LBB18_17
; %bb.14:                               ;   in Loop: Header=BB18_6 Depth=1
	v_mul_f32_e32 v14, s10, v25
	s_and_b32 vcc_lo, exec_lo, s26
	s_wait_alu 0xfffe
	s_cbranch_vccz .LBB18_28
; %bb.15:                               ;   in Loop: Header=BB18_6 Depth=1
	v_lshlrev_b64_e32 v[25:26], 2, v[0:1]
	s_delay_alu instid0(VALU_DEP_1) | instskip(SKIP_1) | instid1(VALU_DEP_2)
	v_add_co_u32 v25, vcc_lo, v12, v25
	s_wait_alu 0xfffd
	v_add_co_ci_u32_e64 v26, null, v13, v26, vcc_lo
	global_load_b32 v15, v[25:26], off
	s_wait_loadcnt 0x0
	v_fma_f32 v15, s11, v15, v14
	global_store_b32 v[25:26], v15, off
	s_cbranch_execnz .LBB18_17
.LBB18_16:                              ;   in Loop: Header=BB18_6 Depth=1
	v_lshlrev_b64_e32 v[25:26], 2, v[0:1]
	s_delay_alu instid0(VALU_DEP_1) | instskip(SKIP_1) | instid1(VALU_DEP_2)
	v_add_co_u32 v25, vcc_lo, v12, v25
	s_wait_alu 0xfffd
	v_add_co_ci_u32_e64 v26, null, v13, v26, vcc_lo
	global_store_b32 v[25:26], v14, off
.LBB18_17:                              ;   in Loop: Header=BB18_6 Depth=1
	s_wait_alu 0xfffe
	s_or_b32 exec_lo, exec_lo, s17
	s_and_saveexec_b32 s17, s28
	s_cbranch_execz .LBB18_21
; %bb.18:                               ;   in Loop: Header=BB18_6 Depth=1
	v_mul_f32_e32 v14, s10, v24
	s_and_not1_b32 vcc_lo, exec_lo, s26
	s_wait_alu 0xfffe
	s_cbranch_vccnz .LBB18_29
; %bb.19:                               ;   in Loop: Header=BB18_6 Depth=1
	v_lshlrev_b64_e32 v[24:25], 2, v[2:3]
	s_delay_alu instid0(VALU_DEP_1) | instskip(SKIP_1) | instid1(VALU_DEP_2)
	v_add_co_u32 v24, vcc_lo, v12, v24
	s_wait_alu 0xfffd
	v_add_co_ci_u32_e64 v25, null, v13, v25, vcc_lo
	global_load_b32 v15, v[24:25], off
	s_wait_loadcnt 0x0
	v_fma_f32 v15, s11, v15, v14
	global_store_b32 v[24:25], v15, off
	s_cbranch_execnz .LBB18_21
.LBB18_20:                              ;   in Loop: Header=BB18_6 Depth=1
	v_lshlrev_b64_e32 v[24:25], 2, v[2:3]
	s_delay_alu instid0(VALU_DEP_1) | instskip(SKIP_1) | instid1(VALU_DEP_2)
	v_add_co_u32 v12, vcc_lo, v12, v24
	s_wait_alu 0xfffd
	v_add_co_ci_u32_e64 v13, null, v13, v25, vcc_lo
	global_store_b32 v[12:13], v14, off
.LBB18_21:                              ;   in Loop: Header=BB18_6 Depth=1
	s_wait_alu 0xfffe
	s_or_b32 exec_lo, exec_lo, s17
	v_add_co_u32 v14, vcc_lo, s14, v10
	s_wait_alu 0xfffd
	v_add_co_ci_u32_e64 v15, null, s15, v11, vcc_lo
	s_and_saveexec_b32 s14, s8
	s_cbranch_execz .LBB18_25
; %bb.22:                               ;   in Loop: Header=BB18_6 Depth=1
	v_lshlrev_b64_e32 v[12:13], 2, v[0:1]
	v_mul_f32_e32 v23, s10, v23
	s_and_not1_b32 vcc_lo, exec_lo, s26
	s_wait_alu 0xfffe
	s_cbranch_vccnz .LBB18_30
; %bb.23:                               ;   in Loop: Header=BB18_6 Depth=1
	s_delay_alu instid0(VALU_DEP_2)
	v_add_co_u32 v24, vcc_lo, v14, v12
	s_wait_alu 0xfffd
	v_add_co_ci_u32_e64 v25, null, v15, v13, vcc_lo
	global_load_b32 v26, v[24:25], off
	s_wait_loadcnt 0x0
	v_fma_f32 v26, s11, v26, v23
	global_store_b32 v[24:25], v26, off
	s_cbranch_execnz .LBB18_25
.LBB18_24:                              ;   in Loop: Header=BB18_6 Depth=1
	v_add_co_u32 v12, vcc_lo, v14, v12
	s_wait_alu 0xfffd
	v_add_co_ci_u32_e64 v13, null, v15, v13, vcc_lo
	global_store_b32 v[12:13], v23, off
.LBB18_25:                              ;   in Loop: Header=BB18_6 Depth=1
	s_wait_alu 0xfffe
	s_or_b32 exec_lo, exec_lo, s14
	s_and_saveexec_b32 s14, s18
	s_cbranch_execz .LBB18_5
; %bb.26:                               ;   in Loop: Header=BB18_6 Depth=1
	v_lshlrev_b64_e32 v[12:13], 2, v[2:3]
	v_mul_f32_e32 v22, s10, v22
	s_and_not1_b32 vcc_lo, exec_lo, s26
	s_wait_alu 0xfffe
	s_cbranch_vccnz .LBB18_31
; %bb.27:                               ;   in Loop: Header=BB18_6 Depth=1
	s_delay_alu instid0(VALU_DEP_2)
	v_add_co_u32 v23, vcc_lo, v14, v12
	s_wait_alu 0xfffd
	v_add_co_ci_u32_e64 v24, null, v15, v13, vcc_lo
	global_load_b32 v25, v[23:24], off
	s_wait_loadcnt 0x0
	v_fma_f32 v25, s11, v25, v22
	global_store_b32 v[23:24], v25, off
	s_cbranch_execnz .LBB18_5
	s_branch .LBB18_32
.LBB18_28:                              ;   in Loop: Header=BB18_6 Depth=1
	s_branch .LBB18_16
.LBB18_29:                              ;   in Loop: Header=BB18_6 Depth=1
	s_branch .LBB18_20
.LBB18_30:                              ;   in Loop: Header=BB18_6 Depth=1
	s_branch .LBB18_24
.LBB18_31:                              ;   in Loop: Header=BB18_6 Depth=1
.LBB18_32:                              ;   in Loop: Header=BB18_6 Depth=1
	s_delay_alu instid0(VALU_DEP_2)
	v_add_co_u32 v12, vcc_lo, v14, v12
	s_wait_alu 0xfffd
	v_add_co_ci_u32_e64 v13, null, v15, v13, vcc_lo
	global_store_b32 v[12:13], v22, off
	s_branch .LBB18_5
.LBB18_33:
	s_endpgm
	.section	.rodata,"a",@progbits
	.p2align	6, 0x0
	.amdhsa_kernel _ZL29rocblas_internal_gemmt_kernelIiLi16ELi32ELi8ELc78ELc78ELc85ELb0ELb0EffPKfPfEviT_T9_T10_S3_lS5_S3_lS4_T11_S3_li
		.amdhsa_group_segment_fixed_size 2048
		.amdhsa_private_segment_fixed_size 0
		.amdhsa_kernarg_size 100
		.amdhsa_user_sgpr_count 2
		.amdhsa_user_sgpr_dispatch_ptr 0
		.amdhsa_user_sgpr_queue_ptr 0
		.amdhsa_user_sgpr_kernarg_segment_ptr 1
		.amdhsa_user_sgpr_dispatch_id 0
		.amdhsa_user_sgpr_private_segment_size 0
		.amdhsa_wavefront_size32 1
		.amdhsa_uses_dynamic_stack 0
		.amdhsa_enable_private_segment 0
		.amdhsa_system_sgpr_workgroup_id_x 1
		.amdhsa_system_sgpr_workgroup_id_y 1
		.amdhsa_system_sgpr_workgroup_id_z 1
		.amdhsa_system_sgpr_workgroup_info 0
		.amdhsa_system_vgpr_workitem_id 1
		.amdhsa_next_free_vgpr 52
		.amdhsa_next_free_sgpr 34
		.amdhsa_reserve_vcc 1
		.amdhsa_float_round_mode_32 0
		.amdhsa_float_round_mode_16_64 0
		.amdhsa_float_denorm_mode_32 3
		.amdhsa_float_denorm_mode_16_64 3
		.amdhsa_fp16_overflow 0
		.amdhsa_workgroup_processor_mode 1
		.amdhsa_memory_ordered 1
		.amdhsa_forward_progress 1
		.amdhsa_inst_pref_size 15
		.amdhsa_round_robin_scheduling 0
		.amdhsa_exception_fp_ieee_invalid_op 0
		.amdhsa_exception_fp_denorm_src 0
		.amdhsa_exception_fp_ieee_div_zero 0
		.amdhsa_exception_fp_ieee_overflow 0
		.amdhsa_exception_fp_ieee_underflow 0
		.amdhsa_exception_fp_ieee_inexact 0
		.amdhsa_exception_int_div_zero 0
	.end_amdhsa_kernel
	.section	.text._ZL29rocblas_internal_gemmt_kernelIiLi16ELi32ELi8ELc78ELc78ELc85ELb0ELb0EffPKfPfEviT_T9_T10_S3_lS5_S3_lS4_T11_S3_li,"axG",@progbits,_ZL29rocblas_internal_gemmt_kernelIiLi16ELi32ELi8ELc78ELc78ELc85ELb0ELb0EffPKfPfEviT_T9_T10_S3_lS5_S3_lS4_T11_S3_li,comdat
.Lfunc_end18:
	.size	_ZL29rocblas_internal_gemmt_kernelIiLi16ELi32ELi8ELc78ELc78ELc85ELb0ELb0EffPKfPfEviT_T9_T10_S3_lS5_S3_lS4_T11_S3_li, .Lfunc_end18-_ZL29rocblas_internal_gemmt_kernelIiLi16ELi32ELi8ELc78ELc78ELc85ELb0ELb0EffPKfPfEviT_T9_T10_S3_lS5_S3_lS4_T11_S3_li
                                        ; -- End function
	.set _ZL29rocblas_internal_gemmt_kernelIiLi16ELi32ELi8ELc78ELc78ELc85ELb0ELb0EffPKfPfEviT_T9_T10_S3_lS5_S3_lS4_T11_S3_li.num_vgpr, 52
	.set _ZL29rocblas_internal_gemmt_kernelIiLi16ELi32ELi8ELc78ELc78ELc85ELb0ELb0EffPKfPfEviT_T9_T10_S3_lS5_S3_lS4_T11_S3_li.num_agpr, 0
	.set _ZL29rocblas_internal_gemmt_kernelIiLi16ELi32ELi8ELc78ELc78ELc85ELb0ELb0EffPKfPfEviT_T9_T10_S3_lS5_S3_lS4_T11_S3_li.numbered_sgpr, 34
	.set _ZL29rocblas_internal_gemmt_kernelIiLi16ELi32ELi8ELc78ELc78ELc85ELb0ELb0EffPKfPfEviT_T9_T10_S3_lS5_S3_lS4_T11_S3_li.num_named_barrier, 0
	.set _ZL29rocblas_internal_gemmt_kernelIiLi16ELi32ELi8ELc78ELc78ELc85ELb0ELb0EffPKfPfEviT_T9_T10_S3_lS5_S3_lS4_T11_S3_li.private_seg_size, 0
	.set _ZL29rocblas_internal_gemmt_kernelIiLi16ELi32ELi8ELc78ELc78ELc85ELb0ELb0EffPKfPfEviT_T9_T10_S3_lS5_S3_lS4_T11_S3_li.uses_vcc, 1
	.set _ZL29rocblas_internal_gemmt_kernelIiLi16ELi32ELi8ELc78ELc78ELc85ELb0ELb0EffPKfPfEviT_T9_T10_S3_lS5_S3_lS4_T11_S3_li.uses_flat_scratch, 0
	.set _ZL29rocblas_internal_gemmt_kernelIiLi16ELi32ELi8ELc78ELc78ELc85ELb0ELb0EffPKfPfEviT_T9_T10_S3_lS5_S3_lS4_T11_S3_li.has_dyn_sized_stack, 0
	.set _ZL29rocblas_internal_gemmt_kernelIiLi16ELi32ELi8ELc78ELc78ELc85ELb0ELb0EffPKfPfEviT_T9_T10_S3_lS5_S3_lS4_T11_S3_li.has_recursion, 0
	.set _ZL29rocblas_internal_gemmt_kernelIiLi16ELi32ELi8ELc78ELc78ELc85ELb0ELb0EffPKfPfEviT_T9_T10_S3_lS5_S3_lS4_T11_S3_li.has_indirect_call, 0
	.section	.AMDGPU.csdata,"",@progbits
; Kernel info:
; codeLenInByte = 1804
; TotalNumSgprs: 36
; NumVgprs: 52
; ScratchSize: 0
; MemoryBound: 0
; FloatMode: 240
; IeeeMode: 1
; LDSByteSize: 2048 bytes/workgroup (compile time only)
; SGPRBlocks: 0
; VGPRBlocks: 6
; NumSGPRsForWavesPerEU: 36
; NumVGPRsForWavesPerEU: 52
; Occupancy: 16
; WaveLimiterHint : 0
; COMPUTE_PGM_RSRC2:SCRATCH_EN: 0
; COMPUTE_PGM_RSRC2:USER_SGPR: 2
; COMPUTE_PGM_RSRC2:TRAP_HANDLER: 0
; COMPUTE_PGM_RSRC2:TGID_X_EN: 1
; COMPUTE_PGM_RSRC2:TGID_Y_EN: 1
; COMPUTE_PGM_RSRC2:TGID_Z_EN: 1
; COMPUTE_PGM_RSRC2:TIDIG_COMP_CNT: 1
	.section	.text._ZL29rocblas_internal_gemmt_kernelIiLi16ELi32ELi8ELc78ELc84ELc85ELb0ELb0EffPKfPfEviT_T9_T10_S3_lS5_S3_lS4_T11_S3_li,"axG",@progbits,_ZL29rocblas_internal_gemmt_kernelIiLi16ELi32ELi8ELc78ELc84ELc85ELb0ELb0EffPKfPfEviT_T9_T10_S3_lS5_S3_lS4_T11_S3_li,comdat
	.globl	_ZL29rocblas_internal_gemmt_kernelIiLi16ELi32ELi8ELc78ELc84ELc85ELb0ELb0EffPKfPfEviT_T9_T10_S3_lS5_S3_lS4_T11_S3_li ; -- Begin function _ZL29rocblas_internal_gemmt_kernelIiLi16ELi32ELi8ELc78ELc84ELc85ELb0ELb0EffPKfPfEviT_T9_T10_S3_lS5_S3_lS4_T11_S3_li
	.p2align	8
	.type	_ZL29rocblas_internal_gemmt_kernelIiLi16ELi32ELi8ELc78ELc84ELc85ELb0ELb0EffPKfPfEviT_T9_T10_S3_lS5_S3_lS4_T11_S3_li,@function
_ZL29rocblas_internal_gemmt_kernelIiLi16ELi32ELi8ELc78ELc84ELc85ELb0ELb0EffPKfPfEviT_T9_T10_S3_lS5_S3_lS4_T11_S3_li: ; @_ZL29rocblas_internal_gemmt_kernelIiLi16ELi32ELi8ELc78ELc84ELc85ELb0ELb0EffPKfPfEviT_T9_T10_S3_lS5_S3_lS4_T11_S3_li
; %bb.0:
	s_clause 0x1
	s_load_b32 s11, s[0:1], 0x40
	s_load_b96 s[8:10], s[0:1], 0x0
	s_wait_kmcnt 0x0
	s_cmp_neq_f32 s11, 1.0
	s_cselect_b32 s2, -1, 0
	s_delay_alu instid0(SALU_CYCLE_1)
	s_and_b32 vcc_lo, exec_lo, s2
	s_cbranch_vccnz .LBB19_2
; %bb.1:
	s_cmp_lg_u32 s9, 0
	s_cselect_b32 s2, -1, 0
	s_cmp_neq_f32 s10, 0
	s_cselect_b32 s3, -1, 0
	s_delay_alu instid0(SALU_CYCLE_1)
	s_and_b32 s2, s2, s3
.LBB19_2:
	s_delay_alu instid0(SALU_CYCLE_1)
	s_and_not1_b32 vcc_lo, exec_lo, s2
	s_cbranch_vccnz .LBB19_33
; %bb.3:
	s_load_b32 s19, s[0:1], 0x60
	s_lshr_b32 s20, ttmp7, 16
	s_wait_kmcnt 0x0
	s_cmp_ge_u32 s20, s19
	s_cbranch_scc1 .LBB19_33
; %bb.4:
	s_clause 0x1
	s_load_b96 s[16:18], s[0:1], 0x10
	s_load_b32 s24, s[0:1], 0x30
	v_and_b32_e32 v1, 0x3ff, v0
	v_bfe_u32 v2, v0, 10, 10
	v_and_b32_e32 v16, 7, v0
	s_clause 0x3
	s_load_b128 s[4:7], s[0:1], 0x20
	s_load_b64 s[26:27], s[0:1], 0x38
	s_load_b96 s[12:14], s[0:1], 0x48
	s_load_b64 s[22:23], s[0:1], 0x58
	s_lshl_b32 s0, ttmp7, 5
	v_lshl_add_u32 v0, v2, 4, v1
	v_lshlrev_b32_e32 v5, 2, v16
	s_lshl_b32 s2, ttmp9, 5
	s_and_b32 s3, s0, 0x1fffe0
	v_lshl_add_u32 v21, v2, 5, 0x400
	v_and_b32_e32 v3, 31, v0
	v_lshrrev_b32_e32 v17, 5, v0
	v_lshrrev_b32_e32 v0, 3, v0
	v_lshlrev_b32_e32 v20, 2, v1
	s_mov_b32 s21, 0
	v_or_b32_e32 v4, s2, v3
	v_lshlrev_b32_e32 v3, 2, v3
	v_add_nc_u32_e32 v14, s3, v0
	v_lshl_or_b32 v0, v0, 5, v5
	s_wait_kmcnt 0x0
	s_ashr_i32 s35, s18, 31
	s_ashr_i32 s25, s24, 31
	s_cmp_neq_f32 s10, 0
	v_lshl_or_b32 v18, v17, 7, v3
	v_add_nc_u32_e32 v19, 0x400, v0
	v_add_nc_u32_e32 v3, s3, v2
	;; [unrolled: 1-line block ×3, first 2 shown]
	s_cselect_b32 s15, -1, 0
	s_cmp_gt_i32 s9, 0
	v_mad_co_i64_i32 v[6:7], null, v17, s18, 0
	v_cmp_gt_i32_e32 vcc_lo, s8, v3
	v_cmp_le_i32_e64 s2, v0, v3
	v_add_nc_u32_e32 v2, 16, v0
	s_cselect_b32 s31, -1, 0
	s_cmp_neq_f32 s11, 0
	v_ashrrev_i32_e32 v5, 31, v4
	v_add_nc_u32_e32 v12, 16, v3
	v_cmp_gt_i32_e64 s0, s8, v4
	s_cselect_b32 s28, -1, 0
	s_and_b32 s29, vcc_lo, s2
	v_cmp_le_i32_e64 s2, v2, v3
	v_lshlrev_b64_e32 v[6:7], 2, v[6:7]
	v_lshlrev_b64_e32 v[4:5], 2, v[4:5]
	v_mad_co_i64_i32 v[10:11], null, s24, v16, 0
	s_mov_b32 s34, s18
	s_and_b32 s18, vcc_lo, s2
	v_cmp_gt_i32_e32 vcc_lo, s8, v12
	v_cmp_le_i32_e64 s2, v0, v12
	v_cmp_le_i32_e64 s3, v2, v12
	v_cmp_gt_i32_e64 s1, s8, v14
	v_mad_co_i64_i32 v[8:9], null, v3, s14, 0
	s_and_b32 s8, vcc_lo, s2
	s_and_b32 s30, vcc_lo, s3
	v_add_co_u32 v4, vcc_lo, v6, v4
	s_delay_alu instid0(VALU_DEP_1)
	v_add_co_ci_u32_e64 v5, null, v7, v5, vcc_lo
	v_lshlrev_b64_e32 v[6:7], 2, v[10:11]
	v_lshlrev_b32_e32 v10, 2, v14
	v_mad_co_i64_i32 v[12:13], null, v12, s14, 0
	v_add_co_u32 v4, vcc_lo, s16, v4
	s_wait_alu 0xfffd
	v_add_co_ci_u32_e64 v5, null, s17, v5, vcc_lo
	v_add_co_u32 v6, vcc_lo, v6, v10
	s_wait_alu 0xfffd
	v_add_co_ci_u32_e64 v7, null, 0, v7, vcc_lo
	v_lshlrev_b64_e32 v[8:9], 2, v[8:9]
	s_delay_alu instid0(VALU_DEP_3)
	v_add_co_u32 v6, vcc_lo, s6, v6
	v_lshlrev_b64_e32 v[10:11], 2, v[12:13]
	v_ashrrev_i32_e32 v1, 31, v0
	v_ashrrev_i32_e32 v3, 31, v2
	s_wait_alu 0xfffd
	v_add_co_ci_u32_e64 v7, null, s7, v7, vcc_lo
	s_lshl_b64 s[2:3], s[4:5], 2
	s_and_b32 s31, s15, s31
	s_lshl_b64 s[4:5], s[34:35], 5
	s_lshl_b64 s[6:7], s[26:27], 2
	;; [unrolled: 1-line block ×3, first 2 shown]
	s_branch .LBB19_6
.LBB19_5:                               ;   in Loop: Header=BB19_6 Depth=1
	s_wait_alu 0xfffe
	s_or_b32 exec_lo, exec_lo, s16
	s_add_co_i32 s20, s20, 0x10000
	s_wait_alu 0xfffe
	s_cmp_lt_u32 s20, s19
	s_cbranch_scc0 .LBB19_33
.LBB19_6:                               ; =>This Loop Header: Depth=1
                                        ;     Child Loop BB19_9 Depth 2
	v_dual_mov_b32 v25, 0 :: v_dual_mov_b32 v24, 0
	v_dual_mov_b32 v23, 0 :: v_dual_mov_b32 v22, 0
	s_and_not1_b32 vcc_lo, exec_lo, s31
	s_wait_alu 0xfffe
	s_cbranch_vccnz .LBB19_13
; %bb.7:                                ;   in Loop: Header=BB19_6 Depth=1
	v_mad_co_u64_u32 v[12:13], null, s2, s20, v[4:5]
	v_mad_co_u64_u32 v[14:15], null, s6, s20, v[6:7]
	v_dual_mov_b32 v22, 0 :: v_dual_mov_b32 v23, 0
	s_mov_b32 s16, 0
	s_delay_alu instid0(VALU_DEP_2) | instskip(NEXT) | instid1(VALU_DEP_3)
	v_mad_co_u64_u32 v[25:26], null, s3, s20, v[13:14]
	v_mad_co_u64_u32 v[26:27], null, s7, s20, v[15:16]
	s_delay_alu instid0(VALU_DEP_2) | instskip(SKIP_1) | instid1(VALU_DEP_3)
	v_dual_mov_b32 v24, 0 :: v_dual_mov_b32 v13, v25
	v_mov_b32_e32 v25, 0
	v_mov_b32_e32 v15, v26
	s_branch .LBB19_9
.LBB19_8:                               ;   in Loop: Header=BB19_9 Depth=2
	s_wait_alu 0xfffe
	s_or_b32 exec_lo, exec_lo, s17
	s_wait_loadcnt 0x0
	ds_store_b32 v19, v27
	s_wait_dscnt 0x0
	s_barrier_signal -1
	s_barrier_wait -1
	global_inv scope:SCOPE_SE
	ds_load_b128 v[26:29], v21
	ds_load_2addr_b32 v[42:43], v20 offset1:16
	ds_load_b128 v[30:33], v21 offset:512
	ds_load_2addr_b32 v[44:45], v20 offset0:32 offset1:48
	ds_load_2addr_b32 v[46:47], v20 offset0:64 offset1:80
	;; [unrolled: 1-line block ×3, first 2 shown]
	ds_load_b128 v[34:37], v21 offset:16
	ds_load_2addr_b32 v[50:51], v20 offset0:128 offset1:144
	ds_load_b128 v[38:41], v21 offset:528
	v_add_co_u32 v12, vcc_lo, v12, s4
	s_wait_alu 0xfffd
	v_add_co_ci_u32_e64 v13, null, s5, v13, vcc_lo
	v_add_co_u32 v14, vcc_lo, v14, s14
	s_wait_alu 0xfffd
	v_add_co_ci_u32_e64 v15, null, s15, v15, vcc_lo
	s_add_co_i32 s16, s16, 8
	s_wait_alu 0xfffe
	s_cmp_lt_i32 s16, s9
	s_wait_dscnt 0x7
	v_fmac_f32_e32 v24, v43, v26
	v_fmac_f32_e32 v25, v42, v26
	s_wait_dscnt 0x6
	v_fmac_f32_e32 v22, v43, v30
	v_fmac_f32_e32 v23, v42, v30
	ds_load_2addr_b32 v[42:43], v20 offset0:160 offset1:176
	s_wait_dscnt 0x6
	v_fmac_f32_e32 v24, v45, v27
	v_fmac_f32_e32 v25, v44, v27
	v_fmac_f32_e32 v22, v45, v31
	v_fmac_f32_e32 v23, v44, v31
	ds_load_2addr_b32 v[26:27], v20 offset0:192 offset1:208
	s_wait_dscnt 0x6
	v_fmac_f32_e32 v24, v47, v28
	v_fmac_f32_e32 v25, v46, v28
	;; [unrolled: 6-line block ×3, first 2 shown]
	v_fmac_f32_e32 v22, v49, v33
	v_fmac_f32_e32 v23, v48, v33
	s_wait_loadcnt_dscnt 0x0
	v_fmac_f32_e32 v24, v51, v34
	v_fmac_f32_e32 v25, v50, v34
	v_fmac_f32_e32 v22, v51, v38
	v_fmac_f32_e32 v23, v50, v38
	s_barrier_signal -1
	v_fmac_f32_e32 v24, v43, v35
	v_fmac_f32_e32 v25, v42, v35
	;; [unrolled: 1-line block ×4, first 2 shown]
	s_barrier_wait -1
	v_fmac_f32_e32 v24, v27, v36
	v_fmac_f32_e32 v25, v26, v36
	;; [unrolled: 1-line block ×4, first 2 shown]
	global_inv scope:SCOPE_SE
	v_fmac_f32_e32 v24, v31, v37
	v_fmac_f32_e32 v25, v30, v37
	;; [unrolled: 1-line block ×4, first 2 shown]
	s_cbranch_scc0 .LBB19_13
.LBB19_9:                               ;   Parent Loop BB19_6 Depth=1
                                        ; =>  This Inner Loop Header: Depth=2
	s_wait_alu 0xfffe
	v_add_nc_u32_e32 v26, s16, v17
	s_delay_alu instid0(VALU_DEP_1)
	v_cmp_gt_i32_e32 vcc_lo, s9, v26
	v_mov_b32_e32 v26, 0
	s_and_b32 s24, s0, vcc_lo
	s_wait_alu 0xfffe
	s_and_saveexec_b32 s17, s24
	s_cbranch_execz .LBB19_11
; %bb.10:                               ;   in Loop: Header=BB19_9 Depth=2
	global_load_b32 v26, v[12:13], off
.LBB19_11:                              ;   in Loop: Header=BB19_9 Depth=2
	s_wait_alu 0xfffe
	s_or_b32 exec_lo, exec_lo, s17
	v_add_nc_u32_e32 v27, s16, v16
	s_wait_loadcnt 0x0
	ds_store_b32 v18, v26
	v_cmp_gt_i32_e32 vcc_lo, s9, v27
	v_mov_b32_e32 v27, 0
	s_and_b32 s24, vcc_lo, s1
	s_wait_alu 0xfffe
	s_and_saveexec_b32 s17, s24
	s_cbranch_execz .LBB19_8
; %bb.12:                               ;   in Loop: Header=BB19_9 Depth=2
	global_load_b32 v27, v[14:15], off
	s_branch .LBB19_8
.LBB19_13:                              ;   in Loop: Header=BB19_6 Depth=1
	s_mul_u64 s[16:17], s[22:23], s[20:21]
	s_wait_alu 0xfffe
	s_lshl_b64 s[16:17], s[16:17], 2
	s_wait_alu 0xfffe
	s_add_nc_u64 s[16:17], s[12:13], s[16:17]
	s_wait_alu 0xfffe
	v_add_co_u32 v12, vcc_lo, s16, v8
	s_wait_alu 0xfffd
	v_add_co_ci_u32_e64 v13, null, s17, v9, vcc_lo
	s_and_saveexec_b32 s24, s29
	s_cbranch_execz .LBB19_17
; %bb.14:                               ;   in Loop: Header=BB19_6 Depth=1
	v_mul_f32_e32 v14, s10, v25
	s_and_b32 vcc_lo, exec_lo, s28
	s_wait_alu 0xfffe
	s_cbranch_vccz .LBB19_28
; %bb.15:                               ;   in Loop: Header=BB19_6 Depth=1
	v_lshlrev_b64_e32 v[25:26], 2, v[0:1]
	s_delay_alu instid0(VALU_DEP_1) | instskip(SKIP_1) | instid1(VALU_DEP_2)
	v_add_co_u32 v25, vcc_lo, v12, v25
	s_wait_alu 0xfffd
	v_add_co_ci_u32_e64 v26, null, v13, v26, vcc_lo
	global_load_b32 v15, v[25:26], off
	s_wait_loadcnt 0x0
	v_fma_f32 v15, s11, v15, v14
	global_store_b32 v[25:26], v15, off
	s_cbranch_execnz .LBB19_17
.LBB19_16:                              ;   in Loop: Header=BB19_6 Depth=1
	v_lshlrev_b64_e32 v[25:26], 2, v[0:1]
	s_delay_alu instid0(VALU_DEP_1) | instskip(SKIP_1) | instid1(VALU_DEP_2)
	v_add_co_u32 v25, vcc_lo, v12, v25
	s_wait_alu 0xfffd
	v_add_co_ci_u32_e64 v26, null, v13, v26, vcc_lo
	global_store_b32 v[25:26], v14, off
.LBB19_17:                              ;   in Loop: Header=BB19_6 Depth=1
	s_wait_alu 0xfffe
	s_or_b32 exec_lo, exec_lo, s24
	s_and_saveexec_b32 s24, s18
	s_cbranch_execz .LBB19_21
; %bb.18:                               ;   in Loop: Header=BB19_6 Depth=1
	v_mul_f32_e32 v14, s10, v24
	s_and_not1_b32 vcc_lo, exec_lo, s28
	s_wait_alu 0xfffe
	s_cbranch_vccnz .LBB19_29
; %bb.19:                               ;   in Loop: Header=BB19_6 Depth=1
	v_lshlrev_b64_e32 v[24:25], 2, v[2:3]
	s_delay_alu instid0(VALU_DEP_1) | instskip(SKIP_1) | instid1(VALU_DEP_2)
	v_add_co_u32 v24, vcc_lo, v12, v24
	s_wait_alu 0xfffd
	v_add_co_ci_u32_e64 v25, null, v13, v25, vcc_lo
	global_load_b32 v15, v[24:25], off
	s_wait_loadcnt 0x0
	v_fma_f32 v15, s11, v15, v14
	global_store_b32 v[24:25], v15, off
	s_cbranch_execnz .LBB19_21
.LBB19_20:                              ;   in Loop: Header=BB19_6 Depth=1
	v_lshlrev_b64_e32 v[24:25], 2, v[2:3]
	s_delay_alu instid0(VALU_DEP_1) | instskip(SKIP_1) | instid1(VALU_DEP_2)
	v_add_co_u32 v12, vcc_lo, v12, v24
	s_wait_alu 0xfffd
	v_add_co_ci_u32_e64 v13, null, v13, v25, vcc_lo
	global_store_b32 v[12:13], v14, off
.LBB19_21:                              ;   in Loop: Header=BB19_6 Depth=1
	s_wait_alu 0xfffe
	s_or_b32 exec_lo, exec_lo, s24
	v_add_co_u32 v14, vcc_lo, s16, v10
	s_wait_alu 0xfffd
	v_add_co_ci_u32_e64 v15, null, s17, v11, vcc_lo
	s_and_saveexec_b32 s16, s8
	s_cbranch_execz .LBB19_25
; %bb.22:                               ;   in Loop: Header=BB19_6 Depth=1
	v_lshlrev_b64_e32 v[12:13], 2, v[0:1]
	v_mul_f32_e32 v23, s10, v23
	s_and_not1_b32 vcc_lo, exec_lo, s28
	s_wait_alu 0xfffe
	s_cbranch_vccnz .LBB19_30
; %bb.23:                               ;   in Loop: Header=BB19_6 Depth=1
	s_delay_alu instid0(VALU_DEP_2)
	v_add_co_u32 v24, vcc_lo, v14, v12
	s_wait_alu 0xfffd
	v_add_co_ci_u32_e64 v25, null, v15, v13, vcc_lo
	global_load_b32 v26, v[24:25], off
	s_wait_loadcnt 0x0
	v_fma_f32 v26, s11, v26, v23
	global_store_b32 v[24:25], v26, off
	s_cbranch_execnz .LBB19_25
.LBB19_24:                              ;   in Loop: Header=BB19_6 Depth=1
	v_add_co_u32 v12, vcc_lo, v14, v12
	s_wait_alu 0xfffd
	v_add_co_ci_u32_e64 v13, null, v15, v13, vcc_lo
	global_store_b32 v[12:13], v23, off
.LBB19_25:                              ;   in Loop: Header=BB19_6 Depth=1
	s_wait_alu 0xfffe
	s_or_b32 exec_lo, exec_lo, s16
	s_and_saveexec_b32 s16, s30
	s_cbranch_execz .LBB19_5
; %bb.26:                               ;   in Loop: Header=BB19_6 Depth=1
	v_lshlrev_b64_e32 v[12:13], 2, v[2:3]
	v_mul_f32_e32 v22, s10, v22
	s_and_not1_b32 vcc_lo, exec_lo, s28
	s_wait_alu 0xfffe
	s_cbranch_vccnz .LBB19_31
; %bb.27:                               ;   in Loop: Header=BB19_6 Depth=1
	s_delay_alu instid0(VALU_DEP_2)
	v_add_co_u32 v23, vcc_lo, v14, v12
	s_wait_alu 0xfffd
	v_add_co_ci_u32_e64 v24, null, v15, v13, vcc_lo
	global_load_b32 v25, v[23:24], off
	s_wait_loadcnt 0x0
	v_fma_f32 v25, s11, v25, v22
	global_store_b32 v[23:24], v25, off
	s_cbranch_execnz .LBB19_5
	s_branch .LBB19_32
.LBB19_28:                              ;   in Loop: Header=BB19_6 Depth=1
	s_branch .LBB19_16
.LBB19_29:                              ;   in Loop: Header=BB19_6 Depth=1
	s_branch .LBB19_20
.LBB19_30:                              ;   in Loop: Header=BB19_6 Depth=1
	s_branch .LBB19_24
.LBB19_31:                              ;   in Loop: Header=BB19_6 Depth=1
.LBB19_32:                              ;   in Loop: Header=BB19_6 Depth=1
	s_delay_alu instid0(VALU_DEP_2)
	v_add_co_u32 v12, vcc_lo, v14, v12
	s_wait_alu 0xfffd
	v_add_co_ci_u32_e64 v13, null, v15, v13, vcc_lo
	global_store_b32 v[12:13], v22, off
	s_branch .LBB19_5
.LBB19_33:
	s_endpgm
	.section	.rodata,"a",@progbits
	.p2align	6, 0x0
	.amdhsa_kernel _ZL29rocblas_internal_gemmt_kernelIiLi16ELi32ELi8ELc78ELc84ELc85ELb0ELb0EffPKfPfEviT_T9_T10_S3_lS5_S3_lS4_T11_S3_li
		.amdhsa_group_segment_fixed_size 2048
		.amdhsa_private_segment_fixed_size 0
		.amdhsa_kernarg_size 100
		.amdhsa_user_sgpr_count 2
		.amdhsa_user_sgpr_dispatch_ptr 0
		.amdhsa_user_sgpr_queue_ptr 0
		.amdhsa_user_sgpr_kernarg_segment_ptr 1
		.amdhsa_user_sgpr_dispatch_id 0
		.amdhsa_user_sgpr_private_segment_size 0
		.amdhsa_wavefront_size32 1
		.amdhsa_uses_dynamic_stack 0
		.amdhsa_enable_private_segment 0
		.amdhsa_system_sgpr_workgroup_id_x 1
		.amdhsa_system_sgpr_workgroup_id_y 1
		.amdhsa_system_sgpr_workgroup_id_z 1
		.amdhsa_system_sgpr_workgroup_info 0
		.amdhsa_system_vgpr_workitem_id 1
		.amdhsa_next_free_vgpr 52
		.amdhsa_next_free_sgpr 36
		.amdhsa_reserve_vcc 1
		.amdhsa_float_round_mode_32 0
		.amdhsa_float_round_mode_16_64 0
		.amdhsa_float_denorm_mode_32 3
		.amdhsa_float_denorm_mode_16_64 3
		.amdhsa_fp16_overflow 0
		.amdhsa_workgroup_processor_mode 1
		.amdhsa_memory_ordered 1
		.amdhsa_forward_progress 1
		.amdhsa_inst_pref_size 15
		.amdhsa_round_robin_scheduling 0
		.amdhsa_exception_fp_ieee_invalid_op 0
		.amdhsa_exception_fp_denorm_src 0
		.amdhsa_exception_fp_ieee_div_zero 0
		.amdhsa_exception_fp_ieee_overflow 0
		.amdhsa_exception_fp_ieee_underflow 0
		.amdhsa_exception_fp_ieee_inexact 0
		.amdhsa_exception_int_div_zero 0
	.end_amdhsa_kernel
	.section	.text._ZL29rocblas_internal_gemmt_kernelIiLi16ELi32ELi8ELc78ELc84ELc85ELb0ELb0EffPKfPfEviT_T9_T10_S3_lS5_S3_lS4_T11_S3_li,"axG",@progbits,_ZL29rocblas_internal_gemmt_kernelIiLi16ELi32ELi8ELc78ELc84ELc85ELb0ELb0EffPKfPfEviT_T9_T10_S3_lS5_S3_lS4_T11_S3_li,comdat
.Lfunc_end19:
	.size	_ZL29rocblas_internal_gemmt_kernelIiLi16ELi32ELi8ELc78ELc84ELc85ELb0ELb0EffPKfPfEviT_T9_T10_S3_lS5_S3_lS4_T11_S3_li, .Lfunc_end19-_ZL29rocblas_internal_gemmt_kernelIiLi16ELi32ELi8ELc78ELc84ELc85ELb0ELb0EffPKfPfEviT_T9_T10_S3_lS5_S3_lS4_T11_S3_li
                                        ; -- End function
	.set _ZL29rocblas_internal_gemmt_kernelIiLi16ELi32ELi8ELc78ELc84ELc85ELb0ELb0EffPKfPfEviT_T9_T10_S3_lS5_S3_lS4_T11_S3_li.num_vgpr, 52
	.set _ZL29rocblas_internal_gemmt_kernelIiLi16ELi32ELi8ELc78ELc84ELc85ELb0ELb0EffPKfPfEviT_T9_T10_S3_lS5_S3_lS4_T11_S3_li.num_agpr, 0
	.set _ZL29rocblas_internal_gemmt_kernelIiLi16ELi32ELi8ELc78ELc84ELc85ELb0ELb0EffPKfPfEviT_T9_T10_S3_lS5_S3_lS4_T11_S3_li.numbered_sgpr, 36
	.set _ZL29rocblas_internal_gemmt_kernelIiLi16ELi32ELi8ELc78ELc84ELc85ELb0ELb0EffPKfPfEviT_T9_T10_S3_lS5_S3_lS4_T11_S3_li.num_named_barrier, 0
	.set _ZL29rocblas_internal_gemmt_kernelIiLi16ELi32ELi8ELc78ELc84ELc85ELb0ELb0EffPKfPfEviT_T9_T10_S3_lS5_S3_lS4_T11_S3_li.private_seg_size, 0
	.set _ZL29rocblas_internal_gemmt_kernelIiLi16ELi32ELi8ELc78ELc84ELc85ELb0ELb0EffPKfPfEviT_T9_T10_S3_lS5_S3_lS4_T11_S3_li.uses_vcc, 1
	.set _ZL29rocblas_internal_gemmt_kernelIiLi16ELi32ELi8ELc78ELc84ELc85ELb0ELb0EffPKfPfEviT_T9_T10_S3_lS5_S3_lS4_T11_S3_li.uses_flat_scratch, 0
	.set _ZL29rocblas_internal_gemmt_kernelIiLi16ELi32ELi8ELc78ELc84ELc85ELb0ELb0EffPKfPfEviT_T9_T10_S3_lS5_S3_lS4_T11_S3_li.has_dyn_sized_stack, 0
	.set _ZL29rocblas_internal_gemmt_kernelIiLi16ELi32ELi8ELc78ELc84ELc85ELb0ELb0EffPKfPfEviT_T9_T10_S3_lS5_S3_lS4_T11_S3_li.has_recursion, 0
	.set _ZL29rocblas_internal_gemmt_kernelIiLi16ELi32ELi8ELc78ELc84ELc85ELb0ELb0EffPKfPfEviT_T9_T10_S3_lS5_S3_lS4_T11_S3_li.has_indirect_call, 0
	.section	.AMDGPU.csdata,"",@progbits
; Kernel info:
; codeLenInByte = 1816
; TotalNumSgprs: 38
; NumVgprs: 52
; ScratchSize: 0
; MemoryBound: 0
; FloatMode: 240
; IeeeMode: 1
; LDSByteSize: 2048 bytes/workgroup (compile time only)
; SGPRBlocks: 0
; VGPRBlocks: 6
; NumSGPRsForWavesPerEU: 38
; NumVGPRsForWavesPerEU: 52
; Occupancy: 16
; WaveLimiterHint : 0
; COMPUTE_PGM_RSRC2:SCRATCH_EN: 0
; COMPUTE_PGM_RSRC2:USER_SGPR: 2
; COMPUTE_PGM_RSRC2:TRAP_HANDLER: 0
; COMPUTE_PGM_RSRC2:TGID_X_EN: 1
; COMPUTE_PGM_RSRC2:TGID_Y_EN: 1
; COMPUTE_PGM_RSRC2:TGID_Z_EN: 1
; COMPUTE_PGM_RSRC2:TIDIG_COMP_CNT: 1
	.section	.text._ZL29rocblas_internal_gemmt_kernelIiLi16ELi32ELi8ELc78ELc67ELc85ELb0ELb0EffPKfPfEviT_T9_T10_S3_lS5_S3_lS4_T11_S3_li,"axG",@progbits,_ZL29rocblas_internal_gemmt_kernelIiLi16ELi32ELi8ELc78ELc67ELc85ELb0ELb0EffPKfPfEviT_T9_T10_S3_lS5_S3_lS4_T11_S3_li,comdat
	.globl	_ZL29rocblas_internal_gemmt_kernelIiLi16ELi32ELi8ELc78ELc67ELc85ELb0ELb0EffPKfPfEviT_T9_T10_S3_lS5_S3_lS4_T11_S3_li ; -- Begin function _ZL29rocblas_internal_gemmt_kernelIiLi16ELi32ELi8ELc78ELc67ELc85ELb0ELb0EffPKfPfEviT_T9_T10_S3_lS5_S3_lS4_T11_S3_li
	.p2align	8
	.type	_ZL29rocblas_internal_gemmt_kernelIiLi16ELi32ELi8ELc78ELc67ELc85ELb0ELb0EffPKfPfEviT_T9_T10_S3_lS5_S3_lS4_T11_S3_li,@function
_ZL29rocblas_internal_gemmt_kernelIiLi16ELi32ELi8ELc78ELc67ELc85ELb0ELb0EffPKfPfEviT_T9_T10_S3_lS5_S3_lS4_T11_S3_li: ; @_ZL29rocblas_internal_gemmt_kernelIiLi16ELi32ELi8ELc78ELc67ELc85ELb0ELb0EffPKfPfEviT_T9_T10_S3_lS5_S3_lS4_T11_S3_li
; %bb.0:
	s_clause 0x1
	s_load_b32 s11, s[0:1], 0x40
	s_load_b96 s[8:10], s[0:1], 0x0
	s_wait_kmcnt 0x0
	s_cmp_neq_f32 s11, 1.0
	s_cselect_b32 s2, -1, 0
	s_delay_alu instid0(SALU_CYCLE_1)
	s_and_b32 vcc_lo, exec_lo, s2
	s_cbranch_vccnz .LBB20_2
; %bb.1:
	s_cmp_lg_u32 s9, 0
	s_cselect_b32 s2, -1, 0
	s_cmp_neq_f32 s10, 0
	s_cselect_b32 s3, -1, 0
	s_delay_alu instid0(SALU_CYCLE_1)
	s_and_b32 s2, s2, s3
.LBB20_2:
	s_delay_alu instid0(SALU_CYCLE_1)
	s_and_not1_b32 vcc_lo, exec_lo, s2
	s_cbranch_vccnz .LBB20_33
; %bb.3:
	s_load_b32 s19, s[0:1], 0x60
	s_lshr_b32 s20, ttmp7, 16
	s_wait_kmcnt 0x0
	s_cmp_ge_u32 s20, s19
	s_cbranch_scc1 .LBB20_33
; %bb.4:
	s_clause 0x1
	s_load_b96 s[16:18], s[0:1], 0x10
	s_load_b32 s24, s[0:1], 0x30
	v_and_b32_e32 v1, 0x3ff, v0
	v_bfe_u32 v2, v0, 10, 10
	v_and_b32_e32 v16, 7, v0
	s_clause 0x3
	s_load_b128 s[4:7], s[0:1], 0x20
	s_load_b64 s[26:27], s[0:1], 0x38
	s_load_b96 s[12:14], s[0:1], 0x48
	s_load_b64 s[22:23], s[0:1], 0x58
	s_lshl_b32 s0, ttmp7, 5
	v_lshl_add_u32 v0, v2, 4, v1
	v_lshlrev_b32_e32 v5, 2, v16
	s_lshl_b32 s2, ttmp9, 5
	s_and_b32 s3, s0, 0x1fffe0
	v_lshl_add_u32 v21, v2, 5, 0x400
	v_and_b32_e32 v3, 31, v0
	v_lshrrev_b32_e32 v17, 5, v0
	v_lshrrev_b32_e32 v0, 3, v0
	v_lshlrev_b32_e32 v20, 2, v1
	s_mov_b32 s21, 0
	v_or_b32_e32 v4, s2, v3
	v_lshlrev_b32_e32 v3, 2, v3
	v_add_nc_u32_e32 v14, s3, v0
	v_lshl_or_b32 v0, v0, 5, v5
	s_wait_kmcnt 0x0
	s_ashr_i32 s35, s18, 31
	s_ashr_i32 s25, s24, 31
	s_cmp_neq_f32 s10, 0
	v_lshl_or_b32 v18, v17, 7, v3
	v_add_nc_u32_e32 v19, 0x400, v0
	v_add_nc_u32_e32 v3, s3, v2
	;; [unrolled: 1-line block ×3, first 2 shown]
	s_cselect_b32 s15, -1, 0
	s_cmp_gt_i32 s9, 0
	v_mad_co_i64_i32 v[6:7], null, v17, s18, 0
	v_cmp_gt_i32_e32 vcc_lo, s8, v3
	v_cmp_le_i32_e64 s2, v0, v3
	v_add_nc_u32_e32 v2, 16, v0
	s_cselect_b32 s31, -1, 0
	s_cmp_neq_f32 s11, 0
	v_ashrrev_i32_e32 v5, 31, v4
	v_add_nc_u32_e32 v12, 16, v3
	v_cmp_gt_i32_e64 s0, s8, v4
	s_cselect_b32 s28, -1, 0
	s_and_b32 s29, vcc_lo, s2
	v_cmp_le_i32_e64 s2, v2, v3
	v_lshlrev_b64_e32 v[6:7], 2, v[6:7]
	v_lshlrev_b64_e32 v[4:5], 2, v[4:5]
	v_mad_co_i64_i32 v[10:11], null, s24, v16, 0
	s_mov_b32 s34, s18
	s_and_b32 s18, vcc_lo, s2
	v_cmp_gt_i32_e32 vcc_lo, s8, v12
	v_cmp_le_i32_e64 s2, v0, v12
	v_cmp_le_i32_e64 s3, v2, v12
	v_cmp_gt_i32_e64 s1, s8, v14
	v_mad_co_i64_i32 v[8:9], null, v3, s14, 0
	s_and_b32 s8, vcc_lo, s2
	s_and_b32 s30, vcc_lo, s3
	v_add_co_u32 v4, vcc_lo, v6, v4
	s_delay_alu instid0(VALU_DEP_1)
	v_add_co_ci_u32_e64 v5, null, v7, v5, vcc_lo
	v_lshlrev_b64_e32 v[6:7], 2, v[10:11]
	v_lshlrev_b32_e32 v10, 2, v14
	v_mad_co_i64_i32 v[12:13], null, v12, s14, 0
	v_add_co_u32 v4, vcc_lo, s16, v4
	s_wait_alu 0xfffd
	v_add_co_ci_u32_e64 v5, null, s17, v5, vcc_lo
	v_add_co_u32 v6, vcc_lo, v6, v10
	s_wait_alu 0xfffd
	v_add_co_ci_u32_e64 v7, null, 0, v7, vcc_lo
	v_lshlrev_b64_e32 v[8:9], 2, v[8:9]
	s_delay_alu instid0(VALU_DEP_3)
	v_add_co_u32 v6, vcc_lo, s6, v6
	v_lshlrev_b64_e32 v[10:11], 2, v[12:13]
	v_ashrrev_i32_e32 v1, 31, v0
	v_ashrrev_i32_e32 v3, 31, v2
	s_wait_alu 0xfffd
	v_add_co_ci_u32_e64 v7, null, s7, v7, vcc_lo
	s_lshl_b64 s[2:3], s[4:5], 2
	s_and_b32 s31, s15, s31
	s_lshl_b64 s[4:5], s[34:35], 5
	s_lshl_b64 s[6:7], s[26:27], 2
	;; [unrolled: 1-line block ×3, first 2 shown]
	s_branch .LBB20_6
.LBB20_5:                               ;   in Loop: Header=BB20_6 Depth=1
	s_wait_alu 0xfffe
	s_or_b32 exec_lo, exec_lo, s16
	s_add_co_i32 s20, s20, 0x10000
	s_wait_alu 0xfffe
	s_cmp_lt_u32 s20, s19
	s_cbranch_scc0 .LBB20_33
.LBB20_6:                               ; =>This Loop Header: Depth=1
                                        ;     Child Loop BB20_9 Depth 2
	v_dual_mov_b32 v25, 0 :: v_dual_mov_b32 v24, 0
	v_dual_mov_b32 v23, 0 :: v_dual_mov_b32 v22, 0
	s_and_not1_b32 vcc_lo, exec_lo, s31
	s_wait_alu 0xfffe
	s_cbranch_vccnz .LBB20_13
; %bb.7:                                ;   in Loop: Header=BB20_6 Depth=1
	v_mad_co_u64_u32 v[12:13], null, s2, s20, v[4:5]
	v_mad_co_u64_u32 v[14:15], null, s6, s20, v[6:7]
	v_dual_mov_b32 v22, 0 :: v_dual_mov_b32 v23, 0
	s_mov_b32 s16, 0
	s_delay_alu instid0(VALU_DEP_2) | instskip(NEXT) | instid1(VALU_DEP_3)
	v_mad_co_u64_u32 v[25:26], null, s3, s20, v[13:14]
	v_mad_co_u64_u32 v[26:27], null, s7, s20, v[15:16]
	s_delay_alu instid0(VALU_DEP_2) | instskip(SKIP_1) | instid1(VALU_DEP_3)
	v_dual_mov_b32 v24, 0 :: v_dual_mov_b32 v13, v25
	v_mov_b32_e32 v25, 0
	v_mov_b32_e32 v15, v26
	s_branch .LBB20_9
.LBB20_8:                               ;   in Loop: Header=BB20_9 Depth=2
	s_wait_alu 0xfffe
	s_or_b32 exec_lo, exec_lo, s17
	s_wait_loadcnt 0x0
	ds_store_b32 v19, v27
	s_wait_dscnt 0x0
	s_barrier_signal -1
	s_barrier_wait -1
	global_inv scope:SCOPE_SE
	ds_load_b128 v[26:29], v21
	ds_load_2addr_b32 v[42:43], v20 offset1:16
	ds_load_b128 v[30:33], v21 offset:512
	ds_load_2addr_b32 v[44:45], v20 offset0:32 offset1:48
	ds_load_2addr_b32 v[46:47], v20 offset0:64 offset1:80
	;; [unrolled: 1-line block ×3, first 2 shown]
	ds_load_b128 v[34:37], v21 offset:16
	ds_load_2addr_b32 v[50:51], v20 offset0:128 offset1:144
	ds_load_b128 v[38:41], v21 offset:528
	v_add_co_u32 v12, vcc_lo, v12, s4
	s_wait_alu 0xfffd
	v_add_co_ci_u32_e64 v13, null, s5, v13, vcc_lo
	v_add_co_u32 v14, vcc_lo, v14, s14
	s_wait_alu 0xfffd
	v_add_co_ci_u32_e64 v15, null, s15, v15, vcc_lo
	s_add_co_i32 s16, s16, 8
	s_wait_alu 0xfffe
	s_cmp_lt_i32 s16, s9
	s_wait_dscnt 0x7
	v_fmac_f32_e32 v24, v43, v26
	v_fmac_f32_e32 v25, v42, v26
	s_wait_dscnt 0x6
	v_fmac_f32_e32 v22, v43, v30
	v_fmac_f32_e32 v23, v42, v30
	ds_load_2addr_b32 v[42:43], v20 offset0:160 offset1:176
	s_wait_dscnt 0x6
	v_fmac_f32_e32 v24, v45, v27
	v_fmac_f32_e32 v25, v44, v27
	v_fmac_f32_e32 v22, v45, v31
	v_fmac_f32_e32 v23, v44, v31
	ds_load_2addr_b32 v[26:27], v20 offset0:192 offset1:208
	s_wait_dscnt 0x6
	v_fmac_f32_e32 v24, v47, v28
	v_fmac_f32_e32 v25, v46, v28
	;; [unrolled: 6-line block ×3, first 2 shown]
	v_fmac_f32_e32 v22, v49, v33
	v_fmac_f32_e32 v23, v48, v33
	s_wait_loadcnt_dscnt 0x0
	v_fmac_f32_e32 v24, v51, v34
	v_fmac_f32_e32 v25, v50, v34
	;; [unrolled: 1-line block ×4, first 2 shown]
	s_barrier_signal -1
	v_fmac_f32_e32 v24, v43, v35
	v_fmac_f32_e32 v25, v42, v35
	;; [unrolled: 1-line block ×4, first 2 shown]
	s_barrier_wait -1
	v_fmac_f32_e32 v24, v27, v36
	v_fmac_f32_e32 v25, v26, v36
	;; [unrolled: 1-line block ×4, first 2 shown]
	global_inv scope:SCOPE_SE
	v_fmac_f32_e32 v24, v31, v37
	v_fmac_f32_e32 v25, v30, v37
	;; [unrolled: 1-line block ×4, first 2 shown]
	s_cbranch_scc0 .LBB20_13
.LBB20_9:                               ;   Parent Loop BB20_6 Depth=1
                                        ; =>  This Inner Loop Header: Depth=2
	s_wait_alu 0xfffe
	v_add_nc_u32_e32 v26, s16, v17
	s_delay_alu instid0(VALU_DEP_1)
	v_cmp_gt_i32_e32 vcc_lo, s9, v26
	v_mov_b32_e32 v26, 0
	s_and_b32 s24, s0, vcc_lo
	s_wait_alu 0xfffe
	s_and_saveexec_b32 s17, s24
	s_cbranch_execz .LBB20_11
; %bb.10:                               ;   in Loop: Header=BB20_9 Depth=2
	global_load_b32 v26, v[12:13], off
.LBB20_11:                              ;   in Loop: Header=BB20_9 Depth=2
	s_wait_alu 0xfffe
	s_or_b32 exec_lo, exec_lo, s17
	v_add_nc_u32_e32 v27, s16, v16
	s_wait_loadcnt 0x0
	ds_store_b32 v18, v26
	v_cmp_gt_i32_e32 vcc_lo, s9, v27
	v_mov_b32_e32 v27, 0
	s_and_b32 s24, vcc_lo, s1
	s_wait_alu 0xfffe
	s_and_saveexec_b32 s17, s24
	s_cbranch_execz .LBB20_8
; %bb.12:                               ;   in Loop: Header=BB20_9 Depth=2
	global_load_b32 v27, v[14:15], off
	s_branch .LBB20_8
.LBB20_13:                              ;   in Loop: Header=BB20_6 Depth=1
	s_mul_u64 s[16:17], s[22:23], s[20:21]
	s_wait_alu 0xfffe
	s_lshl_b64 s[16:17], s[16:17], 2
	s_wait_alu 0xfffe
	s_add_nc_u64 s[16:17], s[12:13], s[16:17]
	s_wait_alu 0xfffe
	v_add_co_u32 v12, vcc_lo, s16, v8
	s_wait_alu 0xfffd
	v_add_co_ci_u32_e64 v13, null, s17, v9, vcc_lo
	s_and_saveexec_b32 s24, s29
	s_cbranch_execz .LBB20_17
; %bb.14:                               ;   in Loop: Header=BB20_6 Depth=1
	v_mul_f32_e32 v14, s10, v25
	s_and_b32 vcc_lo, exec_lo, s28
	s_wait_alu 0xfffe
	s_cbranch_vccz .LBB20_28
; %bb.15:                               ;   in Loop: Header=BB20_6 Depth=1
	v_lshlrev_b64_e32 v[25:26], 2, v[0:1]
	s_delay_alu instid0(VALU_DEP_1) | instskip(SKIP_1) | instid1(VALU_DEP_2)
	v_add_co_u32 v25, vcc_lo, v12, v25
	s_wait_alu 0xfffd
	v_add_co_ci_u32_e64 v26, null, v13, v26, vcc_lo
	global_load_b32 v15, v[25:26], off
	s_wait_loadcnt 0x0
	v_fma_f32 v15, s11, v15, v14
	global_store_b32 v[25:26], v15, off
	s_cbranch_execnz .LBB20_17
.LBB20_16:                              ;   in Loop: Header=BB20_6 Depth=1
	v_lshlrev_b64_e32 v[25:26], 2, v[0:1]
	s_delay_alu instid0(VALU_DEP_1) | instskip(SKIP_1) | instid1(VALU_DEP_2)
	v_add_co_u32 v25, vcc_lo, v12, v25
	s_wait_alu 0xfffd
	v_add_co_ci_u32_e64 v26, null, v13, v26, vcc_lo
	global_store_b32 v[25:26], v14, off
.LBB20_17:                              ;   in Loop: Header=BB20_6 Depth=1
	s_wait_alu 0xfffe
	s_or_b32 exec_lo, exec_lo, s24
	s_and_saveexec_b32 s24, s18
	s_cbranch_execz .LBB20_21
; %bb.18:                               ;   in Loop: Header=BB20_6 Depth=1
	v_mul_f32_e32 v14, s10, v24
	s_and_not1_b32 vcc_lo, exec_lo, s28
	s_wait_alu 0xfffe
	s_cbranch_vccnz .LBB20_29
; %bb.19:                               ;   in Loop: Header=BB20_6 Depth=1
	v_lshlrev_b64_e32 v[24:25], 2, v[2:3]
	s_delay_alu instid0(VALU_DEP_1) | instskip(SKIP_1) | instid1(VALU_DEP_2)
	v_add_co_u32 v24, vcc_lo, v12, v24
	s_wait_alu 0xfffd
	v_add_co_ci_u32_e64 v25, null, v13, v25, vcc_lo
	global_load_b32 v15, v[24:25], off
	s_wait_loadcnt 0x0
	v_fma_f32 v15, s11, v15, v14
	global_store_b32 v[24:25], v15, off
	s_cbranch_execnz .LBB20_21
.LBB20_20:                              ;   in Loop: Header=BB20_6 Depth=1
	v_lshlrev_b64_e32 v[24:25], 2, v[2:3]
	s_delay_alu instid0(VALU_DEP_1) | instskip(SKIP_1) | instid1(VALU_DEP_2)
	v_add_co_u32 v12, vcc_lo, v12, v24
	s_wait_alu 0xfffd
	v_add_co_ci_u32_e64 v13, null, v13, v25, vcc_lo
	global_store_b32 v[12:13], v14, off
.LBB20_21:                              ;   in Loop: Header=BB20_6 Depth=1
	s_wait_alu 0xfffe
	s_or_b32 exec_lo, exec_lo, s24
	v_add_co_u32 v14, vcc_lo, s16, v10
	s_wait_alu 0xfffd
	v_add_co_ci_u32_e64 v15, null, s17, v11, vcc_lo
	s_and_saveexec_b32 s16, s8
	s_cbranch_execz .LBB20_25
; %bb.22:                               ;   in Loop: Header=BB20_6 Depth=1
	v_lshlrev_b64_e32 v[12:13], 2, v[0:1]
	v_mul_f32_e32 v23, s10, v23
	s_and_not1_b32 vcc_lo, exec_lo, s28
	s_wait_alu 0xfffe
	s_cbranch_vccnz .LBB20_30
; %bb.23:                               ;   in Loop: Header=BB20_6 Depth=1
	s_delay_alu instid0(VALU_DEP_2)
	v_add_co_u32 v24, vcc_lo, v14, v12
	s_wait_alu 0xfffd
	v_add_co_ci_u32_e64 v25, null, v15, v13, vcc_lo
	global_load_b32 v26, v[24:25], off
	s_wait_loadcnt 0x0
	v_fma_f32 v26, s11, v26, v23
	global_store_b32 v[24:25], v26, off
	s_cbranch_execnz .LBB20_25
.LBB20_24:                              ;   in Loop: Header=BB20_6 Depth=1
	v_add_co_u32 v12, vcc_lo, v14, v12
	s_wait_alu 0xfffd
	v_add_co_ci_u32_e64 v13, null, v15, v13, vcc_lo
	global_store_b32 v[12:13], v23, off
.LBB20_25:                              ;   in Loop: Header=BB20_6 Depth=1
	s_wait_alu 0xfffe
	s_or_b32 exec_lo, exec_lo, s16
	s_and_saveexec_b32 s16, s30
	s_cbranch_execz .LBB20_5
; %bb.26:                               ;   in Loop: Header=BB20_6 Depth=1
	v_lshlrev_b64_e32 v[12:13], 2, v[2:3]
	v_mul_f32_e32 v22, s10, v22
	s_and_not1_b32 vcc_lo, exec_lo, s28
	s_wait_alu 0xfffe
	s_cbranch_vccnz .LBB20_31
; %bb.27:                               ;   in Loop: Header=BB20_6 Depth=1
	s_delay_alu instid0(VALU_DEP_2)
	v_add_co_u32 v23, vcc_lo, v14, v12
	s_wait_alu 0xfffd
	v_add_co_ci_u32_e64 v24, null, v15, v13, vcc_lo
	global_load_b32 v25, v[23:24], off
	s_wait_loadcnt 0x0
	v_fma_f32 v25, s11, v25, v22
	global_store_b32 v[23:24], v25, off
	s_cbranch_execnz .LBB20_5
	s_branch .LBB20_32
.LBB20_28:                              ;   in Loop: Header=BB20_6 Depth=1
	s_branch .LBB20_16
.LBB20_29:                              ;   in Loop: Header=BB20_6 Depth=1
	s_branch .LBB20_20
.LBB20_30:                              ;   in Loop: Header=BB20_6 Depth=1
	s_branch .LBB20_24
.LBB20_31:                              ;   in Loop: Header=BB20_6 Depth=1
.LBB20_32:                              ;   in Loop: Header=BB20_6 Depth=1
	s_delay_alu instid0(VALU_DEP_2)
	v_add_co_u32 v12, vcc_lo, v14, v12
	s_wait_alu 0xfffd
	v_add_co_ci_u32_e64 v13, null, v15, v13, vcc_lo
	global_store_b32 v[12:13], v22, off
	s_branch .LBB20_5
.LBB20_33:
	s_endpgm
	.section	.rodata,"a",@progbits
	.p2align	6, 0x0
	.amdhsa_kernel _ZL29rocblas_internal_gemmt_kernelIiLi16ELi32ELi8ELc78ELc67ELc85ELb0ELb0EffPKfPfEviT_T9_T10_S3_lS5_S3_lS4_T11_S3_li
		.amdhsa_group_segment_fixed_size 2048
		.amdhsa_private_segment_fixed_size 0
		.amdhsa_kernarg_size 100
		.amdhsa_user_sgpr_count 2
		.amdhsa_user_sgpr_dispatch_ptr 0
		.amdhsa_user_sgpr_queue_ptr 0
		.amdhsa_user_sgpr_kernarg_segment_ptr 1
		.amdhsa_user_sgpr_dispatch_id 0
		.amdhsa_user_sgpr_private_segment_size 0
		.amdhsa_wavefront_size32 1
		.amdhsa_uses_dynamic_stack 0
		.amdhsa_enable_private_segment 0
		.amdhsa_system_sgpr_workgroup_id_x 1
		.amdhsa_system_sgpr_workgroup_id_y 1
		.amdhsa_system_sgpr_workgroup_id_z 1
		.amdhsa_system_sgpr_workgroup_info 0
		.amdhsa_system_vgpr_workitem_id 1
		.amdhsa_next_free_vgpr 52
		.amdhsa_next_free_sgpr 36
		.amdhsa_reserve_vcc 1
		.amdhsa_float_round_mode_32 0
		.amdhsa_float_round_mode_16_64 0
		.amdhsa_float_denorm_mode_32 3
		.amdhsa_float_denorm_mode_16_64 3
		.amdhsa_fp16_overflow 0
		.amdhsa_workgroup_processor_mode 1
		.amdhsa_memory_ordered 1
		.amdhsa_forward_progress 1
		.amdhsa_inst_pref_size 15
		.amdhsa_round_robin_scheduling 0
		.amdhsa_exception_fp_ieee_invalid_op 0
		.amdhsa_exception_fp_denorm_src 0
		.amdhsa_exception_fp_ieee_div_zero 0
		.amdhsa_exception_fp_ieee_overflow 0
		.amdhsa_exception_fp_ieee_underflow 0
		.amdhsa_exception_fp_ieee_inexact 0
		.amdhsa_exception_int_div_zero 0
	.end_amdhsa_kernel
	.section	.text._ZL29rocblas_internal_gemmt_kernelIiLi16ELi32ELi8ELc78ELc67ELc85ELb0ELb0EffPKfPfEviT_T9_T10_S3_lS5_S3_lS4_T11_S3_li,"axG",@progbits,_ZL29rocblas_internal_gemmt_kernelIiLi16ELi32ELi8ELc78ELc67ELc85ELb0ELb0EffPKfPfEviT_T9_T10_S3_lS5_S3_lS4_T11_S3_li,comdat
.Lfunc_end20:
	.size	_ZL29rocblas_internal_gemmt_kernelIiLi16ELi32ELi8ELc78ELc67ELc85ELb0ELb0EffPKfPfEviT_T9_T10_S3_lS5_S3_lS4_T11_S3_li, .Lfunc_end20-_ZL29rocblas_internal_gemmt_kernelIiLi16ELi32ELi8ELc78ELc67ELc85ELb0ELb0EffPKfPfEviT_T9_T10_S3_lS5_S3_lS4_T11_S3_li
                                        ; -- End function
	.set _ZL29rocblas_internal_gemmt_kernelIiLi16ELi32ELi8ELc78ELc67ELc85ELb0ELb0EffPKfPfEviT_T9_T10_S3_lS5_S3_lS4_T11_S3_li.num_vgpr, 52
	.set _ZL29rocblas_internal_gemmt_kernelIiLi16ELi32ELi8ELc78ELc67ELc85ELb0ELb0EffPKfPfEviT_T9_T10_S3_lS5_S3_lS4_T11_S3_li.num_agpr, 0
	.set _ZL29rocblas_internal_gemmt_kernelIiLi16ELi32ELi8ELc78ELc67ELc85ELb0ELb0EffPKfPfEviT_T9_T10_S3_lS5_S3_lS4_T11_S3_li.numbered_sgpr, 36
	.set _ZL29rocblas_internal_gemmt_kernelIiLi16ELi32ELi8ELc78ELc67ELc85ELb0ELb0EffPKfPfEviT_T9_T10_S3_lS5_S3_lS4_T11_S3_li.num_named_barrier, 0
	.set _ZL29rocblas_internal_gemmt_kernelIiLi16ELi32ELi8ELc78ELc67ELc85ELb0ELb0EffPKfPfEviT_T9_T10_S3_lS5_S3_lS4_T11_S3_li.private_seg_size, 0
	.set _ZL29rocblas_internal_gemmt_kernelIiLi16ELi32ELi8ELc78ELc67ELc85ELb0ELb0EffPKfPfEviT_T9_T10_S3_lS5_S3_lS4_T11_S3_li.uses_vcc, 1
	.set _ZL29rocblas_internal_gemmt_kernelIiLi16ELi32ELi8ELc78ELc67ELc85ELb0ELb0EffPKfPfEviT_T9_T10_S3_lS5_S3_lS4_T11_S3_li.uses_flat_scratch, 0
	.set _ZL29rocblas_internal_gemmt_kernelIiLi16ELi32ELi8ELc78ELc67ELc85ELb0ELb0EffPKfPfEviT_T9_T10_S3_lS5_S3_lS4_T11_S3_li.has_dyn_sized_stack, 0
	.set _ZL29rocblas_internal_gemmt_kernelIiLi16ELi32ELi8ELc78ELc67ELc85ELb0ELb0EffPKfPfEviT_T9_T10_S3_lS5_S3_lS4_T11_S3_li.has_recursion, 0
	.set _ZL29rocblas_internal_gemmt_kernelIiLi16ELi32ELi8ELc78ELc67ELc85ELb0ELb0EffPKfPfEviT_T9_T10_S3_lS5_S3_lS4_T11_S3_li.has_indirect_call, 0
	.section	.AMDGPU.csdata,"",@progbits
; Kernel info:
; codeLenInByte = 1816
; TotalNumSgprs: 38
; NumVgprs: 52
; ScratchSize: 0
; MemoryBound: 0
; FloatMode: 240
; IeeeMode: 1
; LDSByteSize: 2048 bytes/workgroup (compile time only)
; SGPRBlocks: 0
; VGPRBlocks: 6
; NumSGPRsForWavesPerEU: 38
; NumVGPRsForWavesPerEU: 52
; Occupancy: 16
; WaveLimiterHint : 0
; COMPUTE_PGM_RSRC2:SCRATCH_EN: 0
; COMPUTE_PGM_RSRC2:USER_SGPR: 2
; COMPUTE_PGM_RSRC2:TRAP_HANDLER: 0
; COMPUTE_PGM_RSRC2:TGID_X_EN: 1
; COMPUTE_PGM_RSRC2:TGID_Y_EN: 1
; COMPUTE_PGM_RSRC2:TGID_Z_EN: 1
; COMPUTE_PGM_RSRC2:TIDIG_COMP_CNT: 1
	.section	.text._ZL29rocblas_internal_gemmt_kernelIiLi16ELi32ELi8ELc84ELc78ELc85ELb0ELb0EffPKfPfEviT_T9_T10_S3_lS5_S3_lS4_T11_S3_li,"axG",@progbits,_ZL29rocblas_internal_gemmt_kernelIiLi16ELi32ELi8ELc84ELc78ELc85ELb0ELb0EffPKfPfEviT_T9_T10_S3_lS5_S3_lS4_T11_S3_li,comdat
	.globl	_ZL29rocblas_internal_gemmt_kernelIiLi16ELi32ELi8ELc84ELc78ELc85ELb0ELb0EffPKfPfEviT_T9_T10_S3_lS5_S3_lS4_T11_S3_li ; -- Begin function _ZL29rocblas_internal_gemmt_kernelIiLi16ELi32ELi8ELc84ELc78ELc85ELb0ELb0EffPKfPfEviT_T9_T10_S3_lS5_S3_lS4_T11_S3_li
	.p2align	8
	.type	_ZL29rocblas_internal_gemmt_kernelIiLi16ELi32ELi8ELc84ELc78ELc85ELb0ELb0EffPKfPfEviT_T9_T10_S3_lS5_S3_lS4_T11_S3_li,@function
_ZL29rocblas_internal_gemmt_kernelIiLi16ELi32ELi8ELc84ELc78ELc85ELb0ELb0EffPKfPfEviT_T9_T10_S3_lS5_S3_lS4_T11_S3_li: ; @_ZL29rocblas_internal_gemmt_kernelIiLi16ELi32ELi8ELc84ELc78ELc85ELb0ELb0EffPKfPfEviT_T9_T10_S3_lS5_S3_lS4_T11_S3_li
; %bb.0:
	s_clause 0x1
	s_load_b32 s11, s[0:1], 0x40
	s_load_b96 s[8:10], s[0:1], 0x0
	s_wait_kmcnt 0x0
	s_cmp_neq_f32 s11, 1.0
	s_cselect_b32 s2, -1, 0
	s_delay_alu instid0(SALU_CYCLE_1)
	s_and_b32 vcc_lo, exec_lo, s2
	s_cbranch_vccnz .LBB21_2
; %bb.1:
	s_cmp_lg_u32 s9, 0
	s_cselect_b32 s2, -1, 0
	s_cmp_neq_f32 s10, 0
	s_cselect_b32 s3, -1, 0
	s_delay_alu instid0(SALU_CYCLE_1)
	s_and_b32 s2, s2, s3
.LBB21_2:
	s_delay_alu instid0(SALU_CYCLE_1)
	s_and_not1_b32 vcc_lo, exec_lo, s2
	s_cbranch_vccnz .LBB21_33
; %bb.3:
	s_load_b32 s15, s[0:1], 0x60
	s_lshr_b32 s20, ttmp7, 16
	s_wait_kmcnt 0x0
	s_cmp_ge_u32 s20, s15
	s_cbranch_scc1 .LBB21_33
; %bb.4:
	v_and_b32_e32 v1, 0x3ff, v0
	v_bfe_u32 v3, v0, 10, 10
	v_and_b32_e32 v16, 7, v0
	s_clause 0x5
	s_load_b96 s[16:18], s[0:1], 0x10
	s_load_b128 s[4:7], s[0:1], 0x20
	s_load_b32 s28, s[0:1], 0x30
	s_load_b64 s[24:25], s[0:1], 0x38
	s_load_b96 s[12:14], s[0:1], 0x48
	s_load_b64 s[22:23], s[0:1], 0x58
	s_lshl_b32 s2, ttmp9, 5
	v_lshl_add_u32 v0, v3, 4, v1
	v_lshlrev_b32_e32 v12, 2, v16
	s_lshl_b32 s3, ttmp7, 5
	v_lshlrev_b32_e32 v20, 2, v1
	s_and_b32 s3, s3, 0x1fffe0
	v_lshrrev_b32_e32 v17, 5, v0
	v_lshrrev_b32_e32 v2, 3, v0
	v_and_b32_e32 v0, 31, v0
	v_add_nc_u32_e32 v5, s3, v3
	s_cmp_neq_f32 s10, 0
	v_lshlrev_b32_e32 v14, 2, v17
	v_add_nc_u32_e32 v6, s3, v2
	v_or_b32_e32 v4, s2, v0
	v_lshlrev_b32_e32 v0, 2, v0
	v_lshl_or_b32 v2, v2, 5, v12
	v_cmp_gt_i32_e32 vcc_lo, s8, v5
	v_add_nc_u32_e32 v13, 16, v5
	v_cmp_gt_i32_e64 s0, s8, v4
	v_lshl_or_b32 v18, v17, 7, v0
	v_add_nc_u32_e32 v0, s2, v1
	v_add_nc_u32_e32 v19, 0x400, v2
	s_wait_kmcnt 0x0
	v_mad_co_i64_i32 v[8:9], null, v5, s14, 0
	v_cmp_gt_i32_e64 s1, s8, v6
	v_add_nc_u32_e32 v2, 16, v0
	v_cmp_le_i32_e64 s2, v0, v5
	v_mad_co_i64_i32 v[6:7], null, s28, v6, 0
	s_cselect_b32 s29, -1, 0
	v_cmp_le_i32_e64 s3, v2, v5
	v_mad_co_i64_i32 v[4:5], null, s18, v4, 0
	s_cmp_gt_i32 s9, 0
	v_mad_co_i64_i32 v[10:11], null, v13, s14, 0
	s_cselect_b32 s30, -1, 0
	s_cmp_neq_f32 s11, 0
	v_lshlrev_b64_e32 v[6:7], 2, v[6:7]
	v_lshlrev_b64_e32 v[4:5], 2, v[4:5]
	v_lshlrev_b64_e32 v[8:9], 2, v[8:9]
	s_cselect_b32 s19, -1, 0
	s_and_b32 s27, vcc_lo, s3
	s_and_b32 s26, vcc_lo, s2
	v_cmp_gt_i32_e32 vcc_lo, s8, v13
	v_add_co_u32 v4, s3, v4, v14
	v_cmp_le_i32_e64 s2, v0, v13
	s_wait_alu 0xf1ff
	v_add_co_ci_u32_e64 v5, null, 0, v5, s3
	v_add_co_u32 v6, s3, v6, v12
	s_wait_alu 0xf1ff
	v_add_co_ci_u32_e64 v7, null, 0, v7, s3
	v_add_co_u32 v4, s3, s16, v4
	s_and_b32 s8, vcc_lo, s2
	v_cmp_le_i32_e64 s2, v2, v13
	v_add_co_ci_u32_e64 v5, null, s17, v5, s3
	v_add_co_u32 v6, s3, s6, v6
	v_lshlrev_b64_e32 v[10:11], 2, v[10:11]
	v_lshl_add_u32 v21, v3, 5, 0x400
	v_ashrrev_i32_e32 v1, 31, v0
	v_ashrrev_i32_e32 v3, 31, v2
	s_wait_alu 0xf1ff
	v_add_co_ci_u32_e64 v7, null, s7, v7, s3
	s_mov_b32 s21, 0
	s_wait_alu 0xfffe
	s_and_b32 s14, s29, s30
	s_and_b32 s16, vcc_lo, s2
	s_lshl_b64 s[2:3], s[4:5], 2
	s_lshl_b64 s[4:5], s[24:25], 2
	s_branch .LBB21_6
.LBB21_5:                               ;   in Loop: Header=BB21_6 Depth=1
	s_wait_alu 0xfffe
	s_or_b32 exec_lo, exec_lo, s6
	s_add_co_i32 s20, s20, 0x10000
	s_wait_alu 0xfffe
	s_cmp_lt_u32 s20, s15
	s_cbranch_scc0 .LBB21_33
.LBB21_6:                               ; =>This Loop Header: Depth=1
                                        ;     Child Loop BB21_9 Depth 2
	v_dual_mov_b32 v25, 0 :: v_dual_mov_b32 v24, 0
	v_dual_mov_b32 v23, 0 :: v_dual_mov_b32 v22, 0
	s_wait_alu 0xfffe
	s_and_not1_b32 vcc_lo, exec_lo, s14
	s_wait_alu 0xfffe
	s_cbranch_vccnz .LBB21_13
; %bb.7:                                ;   in Loop: Header=BB21_6 Depth=1
	v_mad_co_u64_u32 v[12:13], null, s2, s20, v[4:5]
	v_mad_co_u64_u32 v[14:15], null, s4, s20, v[6:7]
	v_dual_mov_b32 v22, 0 :: v_dual_mov_b32 v23, 0
	s_mov_b32 s6, 0
	s_delay_alu instid0(VALU_DEP_2) | instskip(NEXT) | instid1(VALU_DEP_3)
	v_mad_co_u64_u32 v[25:26], null, s3, s20, v[13:14]
	v_mad_co_u64_u32 v[26:27], null, s5, s20, v[15:16]
	s_delay_alu instid0(VALU_DEP_2) | instskip(SKIP_1) | instid1(VALU_DEP_3)
	v_dual_mov_b32 v24, 0 :: v_dual_mov_b32 v13, v25
	v_mov_b32_e32 v25, 0
	v_mov_b32_e32 v15, v26
	s_branch .LBB21_9
.LBB21_8:                               ;   in Loop: Header=BB21_9 Depth=2
	s_wait_alu 0xfffe
	s_or_b32 exec_lo, exec_lo, s7
	s_wait_loadcnt 0x0
	ds_store_b32 v19, v27
	s_wait_dscnt 0x0
	s_barrier_signal -1
	s_barrier_wait -1
	global_inv scope:SCOPE_SE
	ds_load_b128 v[26:29], v21
	ds_load_2addr_b32 v[42:43], v20 offset1:16
	ds_load_b128 v[30:33], v21 offset:512
	ds_load_2addr_b32 v[44:45], v20 offset0:32 offset1:48
	ds_load_2addr_b32 v[46:47], v20 offset0:64 offset1:80
	ds_load_2addr_b32 v[48:49], v20 offset0:96 offset1:112
	ds_load_b128 v[34:37], v21 offset:16
	ds_load_2addr_b32 v[50:51], v20 offset0:128 offset1:144
	ds_load_b128 v[38:41], v21 offset:528
	v_add_co_u32 v12, vcc_lo, v12, 32
	s_wait_alu 0xfffd
	v_add_co_ci_u32_e64 v13, null, 0, v13, vcc_lo
	v_add_co_u32 v14, vcc_lo, v14, 32
	s_wait_alu 0xfffd
	v_add_co_ci_u32_e64 v15, null, 0, v15, vcc_lo
	s_add_co_i32 s6, s6, 8
	s_wait_alu 0xfffe
	s_cmp_lt_i32 s6, s9
	s_wait_dscnt 0x7
	v_fmac_f32_e32 v24, v43, v26
	v_fmac_f32_e32 v25, v42, v26
	s_wait_dscnt 0x6
	v_fmac_f32_e32 v22, v43, v30
	v_fmac_f32_e32 v23, v42, v30
	ds_load_2addr_b32 v[42:43], v20 offset0:160 offset1:176
	s_wait_dscnt 0x6
	v_fmac_f32_e32 v24, v45, v27
	v_fmac_f32_e32 v25, v44, v27
	v_fmac_f32_e32 v22, v45, v31
	v_fmac_f32_e32 v23, v44, v31
	ds_load_2addr_b32 v[26:27], v20 offset0:192 offset1:208
	s_wait_dscnt 0x6
	v_fmac_f32_e32 v24, v47, v28
	v_fmac_f32_e32 v25, v46, v28
	;; [unrolled: 6-line block ×3, first 2 shown]
	v_fmac_f32_e32 v22, v49, v33
	v_fmac_f32_e32 v23, v48, v33
	s_wait_loadcnt_dscnt 0x0
	v_fmac_f32_e32 v24, v51, v34
	v_fmac_f32_e32 v25, v50, v34
	;; [unrolled: 1-line block ×4, first 2 shown]
	s_barrier_signal -1
	v_fmac_f32_e32 v24, v43, v35
	v_fmac_f32_e32 v25, v42, v35
	;; [unrolled: 1-line block ×4, first 2 shown]
	s_barrier_wait -1
	v_fmac_f32_e32 v24, v27, v36
	v_fmac_f32_e32 v25, v26, v36
	;; [unrolled: 1-line block ×4, first 2 shown]
	global_inv scope:SCOPE_SE
	v_fmac_f32_e32 v24, v31, v37
	v_fmac_f32_e32 v25, v30, v37
	;; [unrolled: 1-line block ×4, first 2 shown]
	s_cbranch_scc0 .LBB21_13
.LBB21_9:                               ;   Parent Loop BB21_6 Depth=1
                                        ; =>  This Inner Loop Header: Depth=2
	s_wait_alu 0xfffe
	v_add_nc_u32_e32 v26, s6, v17
	s_delay_alu instid0(VALU_DEP_1)
	v_cmp_gt_i32_e32 vcc_lo, s9, v26
	v_mov_b32_e32 v26, 0
	s_and_b32 s17, s0, vcc_lo
	s_wait_alu 0xfffe
	s_and_saveexec_b32 s7, s17
	s_cbranch_execz .LBB21_11
; %bb.10:                               ;   in Loop: Header=BB21_9 Depth=2
	global_load_b32 v26, v[12:13], off
.LBB21_11:                              ;   in Loop: Header=BB21_9 Depth=2
	s_wait_alu 0xfffe
	s_or_b32 exec_lo, exec_lo, s7
	v_add_nc_u32_e32 v27, s6, v16
	s_wait_loadcnt 0x0
	ds_store_b32 v18, v26
	v_cmp_gt_i32_e32 vcc_lo, s9, v27
	v_mov_b32_e32 v27, 0
	s_and_b32 s17, vcc_lo, s1
	s_wait_alu 0xfffe
	s_and_saveexec_b32 s7, s17
	s_cbranch_execz .LBB21_8
; %bb.12:                               ;   in Loop: Header=BB21_9 Depth=2
	global_load_b32 v27, v[14:15], off
	s_branch .LBB21_8
.LBB21_13:                              ;   in Loop: Header=BB21_6 Depth=1
	s_mul_u64 s[6:7], s[22:23], s[20:21]
	s_wait_alu 0xfffe
	s_lshl_b64 s[6:7], s[6:7], 2
	s_wait_alu 0xfffe
	s_add_nc_u64 s[6:7], s[12:13], s[6:7]
	s_wait_alu 0xfffe
	v_add_co_u32 v12, vcc_lo, s6, v8
	s_wait_alu 0xfffd
	v_add_co_ci_u32_e64 v13, null, s7, v9, vcc_lo
	s_and_saveexec_b32 s17, s26
	s_cbranch_execz .LBB21_17
; %bb.14:                               ;   in Loop: Header=BB21_6 Depth=1
	v_mul_f32_e32 v14, s10, v25
	s_and_b32 vcc_lo, exec_lo, s19
	s_wait_alu 0xfffe
	s_cbranch_vccz .LBB21_28
; %bb.15:                               ;   in Loop: Header=BB21_6 Depth=1
	v_lshlrev_b64_e32 v[25:26], 2, v[0:1]
	s_delay_alu instid0(VALU_DEP_1) | instskip(SKIP_1) | instid1(VALU_DEP_2)
	v_add_co_u32 v25, vcc_lo, v12, v25
	s_wait_alu 0xfffd
	v_add_co_ci_u32_e64 v26, null, v13, v26, vcc_lo
	global_load_b32 v15, v[25:26], off
	s_wait_loadcnt 0x0
	v_fma_f32 v15, s11, v15, v14
	global_store_b32 v[25:26], v15, off
	s_cbranch_execnz .LBB21_17
.LBB21_16:                              ;   in Loop: Header=BB21_6 Depth=1
	v_lshlrev_b64_e32 v[25:26], 2, v[0:1]
	s_delay_alu instid0(VALU_DEP_1) | instskip(SKIP_1) | instid1(VALU_DEP_2)
	v_add_co_u32 v25, vcc_lo, v12, v25
	s_wait_alu 0xfffd
	v_add_co_ci_u32_e64 v26, null, v13, v26, vcc_lo
	global_store_b32 v[25:26], v14, off
.LBB21_17:                              ;   in Loop: Header=BB21_6 Depth=1
	s_wait_alu 0xfffe
	s_or_b32 exec_lo, exec_lo, s17
	s_and_saveexec_b32 s17, s27
	s_cbranch_execz .LBB21_21
; %bb.18:                               ;   in Loop: Header=BB21_6 Depth=1
	v_mul_f32_e32 v14, s10, v24
	s_and_not1_b32 vcc_lo, exec_lo, s19
	s_wait_alu 0xfffe
	s_cbranch_vccnz .LBB21_29
; %bb.19:                               ;   in Loop: Header=BB21_6 Depth=1
	v_lshlrev_b64_e32 v[24:25], 2, v[2:3]
	s_delay_alu instid0(VALU_DEP_1) | instskip(SKIP_1) | instid1(VALU_DEP_2)
	v_add_co_u32 v24, vcc_lo, v12, v24
	s_wait_alu 0xfffd
	v_add_co_ci_u32_e64 v25, null, v13, v25, vcc_lo
	global_load_b32 v15, v[24:25], off
	s_wait_loadcnt 0x0
	v_fma_f32 v15, s11, v15, v14
	global_store_b32 v[24:25], v15, off
	s_cbranch_execnz .LBB21_21
.LBB21_20:                              ;   in Loop: Header=BB21_6 Depth=1
	v_lshlrev_b64_e32 v[24:25], 2, v[2:3]
	s_delay_alu instid0(VALU_DEP_1) | instskip(SKIP_1) | instid1(VALU_DEP_2)
	v_add_co_u32 v12, vcc_lo, v12, v24
	s_wait_alu 0xfffd
	v_add_co_ci_u32_e64 v13, null, v13, v25, vcc_lo
	global_store_b32 v[12:13], v14, off
.LBB21_21:                              ;   in Loop: Header=BB21_6 Depth=1
	s_wait_alu 0xfffe
	s_or_b32 exec_lo, exec_lo, s17
	v_add_co_u32 v14, vcc_lo, s6, v10
	s_wait_alu 0xfffd
	v_add_co_ci_u32_e64 v15, null, s7, v11, vcc_lo
	s_and_saveexec_b32 s6, s8
	s_cbranch_execz .LBB21_25
; %bb.22:                               ;   in Loop: Header=BB21_6 Depth=1
	v_lshlrev_b64_e32 v[12:13], 2, v[0:1]
	v_mul_f32_e32 v23, s10, v23
	s_and_not1_b32 vcc_lo, exec_lo, s19
	s_wait_alu 0xfffe
	s_cbranch_vccnz .LBB21_30
; %bb.23:                               ;   in Loop: Header=BB21_6 Depth=1
	s_delay_alu instid0(VALU_DEP_2)
	v_add_co_u32 v24, vcc_lo, v14, v12
	s_wait_alu 0xfffd
	v_add_co_ci_u32_e64 v25, null, v15, v13, vcc_lo
	global_load_b32 v26, v[24:25], off
	s_wait_loadcnt 0x0
	v_fma_f32 v26, s11, v26, v23
	global_store_b32 v[24:25], v26, off
	s_cbranch_execnz .LBB21_25
.LBB21_24:                              ;   in Loop: Header=BB21_6 Depth=1
	v_add_co_u32 v12, vcc_lo, v14, v12
	s_wait_alu 0xfffd
	v_add_co_ci_u32_e64 v13, null, v15, v13, vcc_lo
	global_store_b32 v[12:13], v23, off
.LBB21_25:                              ;   in Loop: Header=BB21_6 Depth=1
	s_wait_alu 0xfffe
	s_or_b32 exec_lo, exec_lo, s6
	s_and_saveexec_b32 s6, s16
	s_cbranch_execz .LBB21_5
; %bb.26:                               ;   in Loop: Header=BB21_6 Depth=1
	v_lshlrev_b64_e32 v[12:13], 2, v[2:3]
	v_mul_f32_e32 v22, s10, v22
	s_and_not1_b32 vcc_lo, exec_lo, s19
	s_wait_alu 0xfffe
	s_cbranch_vccnz .LBB21_31
; %bb.27:                               ;   in Loop: Header=BB21_6 Depth=1
	s_delay_alu instid0(VALU_DEP_2)
	v_add_co_u32 v23, vcc_lo, v14, v12
	s_wait_alu 0xfffd
	v_add_co_ci_u32_e64 v24, null, v15, v13, vcc_lo
	global_load_b32 v25, v[23:24], off
	s_wait_loadcnt 0x0
	v_fma_f32 v25, s11, v25, v22
	global_store_b32 v[23:24], v25, off
	s_cbranch_execnz .LBB21_5
	s_branch .LBB21_32
.LBB21_28:                              ;   in Loop: Header=BB21_6 Depth=1
	s_branch .LBB21_16
.LBB21_29:                              ;   in Loop: Header=BB21_6 Depth=1
	s_branch .LBB21_20
.LBB21_30:                              ;   in Loop: Header=BB21_6 Depth=1
	s_branch .LBB21_24
.LBB21_31:                              ;   in Loop: Header=BB21_6 Depth=1
.LBB21_32:                              ;   in Loop: Header=BB21_6 Depth=1
	s_delay_alu instid0(VALU_DEP_2)
	v_add_co_u32 v12, vcc_lo, v14, v12
	s_wait_alu 0xfffd
	v_add_co_ci_u32_e64 v13, null, v15, v13, vcc_lo
	global_store_b32 v[12:13], v22, off
	s_branch .LBB21_5
.LBB21_33:
	s_endpgm
	.section	.rodata,"a",@progbits
	.p2align	6, 0x0
	.amdhsa_kernel _ZL29rocblas_internal_gemmt_kernelIiLi16ELi32ELi8ELc84ELc78ELc85ELb0ELb0EffPKfPfEviT_T9_T10_S3_lS5_S3_lS4_T11_S3_li
		.amdhsa_group_segment_fixed_size 2048
		.amdhsa_private_segment_fixed_size 0
		.amdhsa_kernarg_size 100
		.amdhsa_user_sgpr_count 2
		.amdhsa_user_sgpr_dispatch_ptr 0
		.amdhsa_user_sgpr_queue_ptr 0
		.amdhsa_user_sgpr_kernarg_segment_ptr 1
		.amdhsa_user_sgpr_dispatch_id 0
		.amdhsa_user_sgpr_private_segment_size 0
		.amdhsa_wavefront_size32 1
		.amdhsa_uses_dynamic_stack 0
		.amdhsa_enable_private_segment 0
		.amdhsa_system_sgpr_workgroup_id_x 1
		.amdhsa_system_sgpr_workgroup_id_y 1
		.amdhsa_system_sgpr_workgroup_id_z 1
		.amdhsa_system_sgpr_workgroup_info 0
		.amdhsa_system_vgpr_workitem_id 1
		.amdhsa_next_free_vgpr 52
		.amdhsa_next_free_sgpr 31
		.amdhsa_reserve_vcc 1
		.amdhsa_float_round_mode_32 0
		.amdhsa_float_round_mode_16_64 0
		.amdhsa_float_denorm_mode_32 3
		.amdhsa_float_denorm_mode_16_64 3
		.amdhsa_fp16_overflow 0
		.amdhsa_workgroup_processor_mode 1
		.amdhsa_memory_ordered 1
		.amdhsa_forward_progress 1
		.amdhsa_inst_pref_size 14
		.amdhsa_round_robin_scheduling 0
		.amdhsa_exception_fp_ieee_invalid_op 0
		.amdhsa_exception_fp_denorm_src 0
		.amdhsa_exception_fp_ieee_div_zero 0
		.amdhsa_exception_fp_ieee_overflow 0
		.amdhsa_exception_fp_ieee_underflow 0
		.amdhsa_exception_fp_ieee_inexact 0
		.amdhsa_exception_int_div_zero 0
	.end_amdhsa_kernel
	.section	.text._ZL29rocblas_internal_gemmt_kernelIiLi16ELi32ELi8ELc84ELc78ELc85ELb0ELb0EffPKfPfEviT_T9_T10_S3_lS5_S3_lS4_T11_S3_li,"axG",@progbits,_ZL29rocblas_internal_gemmt_kernelIiLi16ELi32ELi8ELc84ELc78ELc85ELb0ELb0EffPKfPfEviT_T9_T10_S3_lS5_S3_lS4_T11_S3_li,comdat
.Lfunc_end21:
	.size	_ZL29rocblas_internal_gemmt_kernelIiLi16ELi32ELi8ELc84ELc78ELc85ELb0ELb0EffPKfPfEviT_T9_T10_S3_lS5_S3_lS4_T11_S3_li, .Lfunc_end21-_ZL29rocblas_internal_gemmt_kernelIiLi16ELi32ELi8ELc84ELc78ELc85ELb0ELb0EffPKfPfEviT_T9_T10_S3_lS5_S3_lS4_T11_S3_li
                                        ; -- End function
	.set _ZL29rocblas_internal_gemmt_kernelIiLi16ELi32ELi8ELc84ELc78ELc85ELb0ELb0EffPKfPfEviT_T9_T10_S3_lS5_S3_lS4_T11_S3_li.num_vgpr, 52
	.set _ZL29rocblas_internal_gemmt_kernelIiLi16ELi32ELi8ELc84ELc78ELc85ELb0ELb0EffPKfPfEviT_T9_T10_S3_lS5_S3_lS4_T11_S3_li.num_agpr, 0
	.set _ZL29rocblas_internal_gemmt_kernelIiLi16ELi32ELi8ELc84ELc78ELc85ELb0ELb0EffPKfPfEviT_T9_T10_S3_lS5_S3_lS4_T11_S3_li.numbered_sgpr, 31
	.set _ZL29rocblas_internal_gemmt_kernelIiLi16ELi32ELi8ELc84ELc78ELc85ELb0ELb0EffPKfPfEviT_T9_T10_S3_lS5_S3_lS4_T11_S3_li.num_named_barrier, 0
	.set _ZL29rocblas_internal_gemmt_kernelIiLi16ELi32ELi8ELc84ELc78ELc85ELb0ELb0EffPKfPfEviT_T9_T10_S3_lS5_S3_lS4_T11_S3_li.private_seg_size, 0
	.set _ZL29rocblas_internal_gemmt_kernelIiLi16ELi32ELi8ELc84ELc78ELc85ELb0ELb0EffPKfPfEviT_T9_T10_S3_lS5_S3_lS4_T11_S3_li.uses_vcc, 1
	.set _ZL29rocblas_internal_gemmt_kernelIiLi16ELi32ELi8ELc84ELc78ELc85ELb0ELb0EffPKfPfEviT_T9_T10_S3_lS5_S3_lS4_T11_S3_li.uses_flat_scratch, 0
	.set _ZL29rocblas_internal_gemmt_kernelIiLi16ELi32ELi8ELc84ELc78ELc85ELb0ELb0EffPKfPfEviT_T9_T10_S3_lS5_S3_lS4_T11_S3_li.has_dyn_sized_stack, 0
	.set _ZL29rocblas_internal_gemmt_kernelIiLi16ELi32ELi8ELc84ELc78ELc85ELb0ELb0EffPKfPfEviT_T9_T10_S3_lS5_S3_lS4_T11_S3_li.has_recursion, 0
	.set _ZL29rocblas_internal_gemmt_kernelIiLi16ELi32ELi8ELc84ELc78ELc85ELb0ELb0EffPKfPfEviT_T9_T10_S3_lS5_S3_lS4_T11_S3_li.has_indirect_call, 0
	.section	.AMDGPU.csdata,"",@progbits
; Kernel info:
; codeLenInByte = 1784
; TotalNumSgprs: 33
; NumVgprs: 52
; ScratchSize: 0
; MemoryBound: 0
; FloatMode: 240
; IeeeMode: 1
; LDSByteSize: 2048 bytes/workgroup (compile time only)
; SGPRBlocks: 0
; VGPRBlocks: 6
; NumSGPRsForWavesPerEU: 33
; NumVGPRsForWavesPerEU: 52
; Occupancy: 16
; WaveLimiterHint : 0
; COMPUTE_PGM_RSRC2:SCRATCH_EN: 0
; COMPUTE_PGM_RSRC2:USER_SGPR: 2
; COMPUTE_PGM_RSRC2:TRAP_HANDLER: 0
; COMPUTE_PGM_RSRC2:TGID_X_EN: 1
; COMPUTE_PGM_RSRC2:TGID_Y_EN: 1
; COMPUTE_PGM_RSRC2:TGID_Z_EN: 1
; COMPUTE_PGM_RSRC2:TIDIG_COMP_CNT: 1
	.section	.text._ZL29rocblas_internal_gemmt_kernelIiLi16ELi32ELi8ELc84ELc84ELc85ELb0ELb0EffPKfPfEviT_T9_T10_S3_lS5_S3_lS4_T11_S3_li,"axG",@progbits,_ZL29rocblas_internal_gemmt_kernelIiLi16ELi32ELi8ELc84ELc84ELc85ELb0ELb0EffPKfPfEviT_T9_T10_S3_lS5_S3_lS4_T11_S3_li,comdat
	.globl	_ZL29rocblas_internal_gemmt_kernelIiLi16ELi32ELi8ELc84ELc84ELc85ELb0ELb0EffPKfPfEviT_T9_T10_S3_lS5_S3_lS4_T11_S3_li ; -- Begin function _ZL29rocblas_internal_gemmt_kernelIiLi16ELi32ELi8ELc84ELc84ELc85ELb0ELb0EffPKfPfEviT_T9_T10_S3_lS5_S3_lS4_T11_S3_li
	.p2align	8
	.type	_ZL29rocblas_internal_gemmt_kernelIiLi16ELi32ELi8ELc84ELc84ELc85ELb0ELb0EffPKfPfEviT_T9_T10_S3_lS5_S3_lS4_T11_S3_li,@function
_ZL29rocblas_internal_gemmt_kernelIiLi16ELi32ELi8ELc84ELc84ELc85ELb0ELb0EffPKfPfEviT_T9_T10_S3_lS5_S3_lS4_T11_S3_li: ; @_ZL29rocblas_internal_gemmt_kernelIiLi16ELi32ELi8ELc84ELc84ELc85ELb0ELb0EffPKfPfEviT_T9_T10_S3_lS5_S3_lS4_T11_S3_li
; %bb.0:
	s_clause 0x1
	s_load_b32 s11, s[0:1], 0x40
	s_load_b96 s[8:10], s[0:1], 0x0
	s_wait_kmcnt 0x0
	s_cmp_neq_f32 s11, 1.0
	s_cselect_b32 s2, -1, 0
	s_delay_alu instid0(SALU_CYCLE_1)
	s_and_b32 vcc_lo, exec_lo, s2
	s_cbranch_vccnz .LBB22_2
; %bb.1:
	s_cmp_lg_u32 s9, 0
	s_cselect_b32 s2, -1, 0
	s_cmp_neq_f32 s10, 0
	s_cselect_b32 s3, -1, 0
	s_delay_alu instid0(SALU_CYCLE_1)
	s_and_b32 s2, s2, s3
.LBB22_2:
	s_delay_alu instid0(SALU_CYCLE_1)
	s_and_not1_b32 vcc_lo, exec_lo, s2
	s_cbranch_vccnz .LBB22_33
; %bb.3:
	s_load_b32 s19, s[0:1], 0x60
	s_lshr_b32 s20, ttmp7, 16
	s_wait_kmcnt 0x0
	s_cmp_ge_u32 s20, s19
	s_cbranch_scc1 .LBB22_33
; %bb.4:
	v_and_b32_e32 v1, 0x3ff, v0
	v_bfe_u32 v3, v0, 10, 10
	v_and_b32_e32 v16, 7, v0
	s_clause 0x5
	s_load_b32 s24, s[0:1], 0x30
	s_load_b96 s[16:18], s[0:1], 0x10
	s_load_b128 s[4:7], s[0:1], 0x20
	s_load_b64 s[26:27], s[0:1], 0x38
	s_load_b96 s[12:14], s[0:1], 0x48
	s_load_b64 s[22:23], s[0:1], 0x58
	v_lshl_add_u32 v0, v3, 4, v1
	v_lshlrev_b32_e32 v4, 2, v16
	s_lshl_b32 s2, ttmp9, 5
	s_lshl_b32 s0, ttmp7, 5
	v_lshlrev_b32_e32 v20, 2, v1
	v_and_b32_e32 v2, 31, v0
	v_lshrrev_b32_e32 v5, 3, v0
	v_lshrrev_b32_e32 v17, 5, v0
	s_and_b32 s3, s0, 0x1fffe0
	v_lshl_add_u32 v21, v3, 5, 0x400
	v_lshlrev_b32_e32 v0, 2, v2
	v_or_b32_e32 v6, s2, v2
	v_lshl_or_b32 v2, v5, 5, v4
	v_add_nc_u32_e32 v4, s3, v3
	v_add_nc_u32_e32 v12, s3, v5
	v_lshl_or_b32 v18, v17, 7, v0
	v_add_nc_u32_e32 v0, s2, v1
	v_add_nc_u32_e32 v19, 0x400, v2
	s_wait_kmcnt 0x0
	s_ashr_i32 s25, s24, 31
	s_cmp_neq_f32 s10, 0
	v_cmp_gt_i32_e32 vcc_lo, s8, v4
	v_add_nc_u32_e32 v2, 16, v0
	v_cmp_le_i32_e64 s2, v0, v4
	v_mad_co_i64_i32 v[8:9], null, v4, s14, 0
	v_add_nc_u32_e32 v10, 16, v4
	s_delay_alu instid0(VALU_DEP_4)
	v_cmp_le_i32_e64 s3, v2, v4
	v_mad_co_i64_i32 v[4:5], null, s18, v6, 0
	v_cmp_gt_i32_e64 s0, s8, v6
	v_mad_co_i64_i32 v[6:7], null, s24, v16, 0
	s_cselect_b32 s15, -1, 0
	s_cmp_gt_i32 s9, 0
	v_lshlrev_b32_e32 v13, 2, v17
	s_cselect_b32 s31, -1, 0
	s_cmp_neq_f32 s11, 0
	v_lshlrev_b64_e32 v[4:5], 2, v[4:5]
	v_lshlrev_b64_e32 v[6:7], 2, v[6:7]
	v_cmp_gt_i32_e64 s1, s8, v12
	s_cselect_b32 s28, -1, 0
	s_and_b32 s29, vcc_lo, s2
	s_and_b32 s30, vcc_lo, s3
	v_cmp_gt_i32_e32 vcc_lo, s8, v10
	v_cmp_le_i32_e64 s2, v0, v10
	v_cmp_le_i32_e64 s3, v2, v10
	v_lshlrev_b32_e32 v12, 2, v12
	v_mad_co_i64_i32 v[10:11], null, v10, s14, 0
	s_and_b32 s8, vcc_lo, s2
	s_and_b32 s18, vcc_lo, s3
	v_add_co_u32 v4, vcc_lo, v4, v13
	s_delay_alu instid0(VALU_DEP_1)
	v_add_co_ci_u32_e64 v5, null, 0, v5, vcc_lo
	v_add_co_u32 v6, vcc_lo, v6, v12
	s_wait_alu 0xfffd
	v_add_co_ci_u32_e64 v7, null, 0, v7, vcc_lo
	v_add_co_u32 v4, vcc_lo, s16, v4
	s_wait_alu 0xfffd
	v_add_co_ci_u32_e64 v5, null, s17, v5, vcc_lo
	v_add_co_u32 v6, vcc_lo, s6, v6
	v_lshlrev_b64_e32 v[8:9], 2, v[8:9]
	v_lshlrev_b64_e32 v[10:11], 2, v[10:11]
	v_ashrrev_i32_e32 v1, 31, v0
	v_ashrrev_i32_e32 v3, 31, v2
	s_wait_alu 0xfffd
	v_add_co_ci_u32_e64 v7, null, s7, v7, vcc_lo
	s_mov_b32 s21, 0
	s_wait_alu 0xfffe
	s_and_b32 s16, s15, s31
	s_lshl_b64 s[2:3], s[4:5], 2
	s_lshl_b64 s[4:5], s[26:27], 2
	;; [unrolled: 1-line block ×3, first 2 shown]
	s_branch .LBB22_6
.LBB22_5:                               ;   in Loop: Header=BB22_6 Depth=1
	s_wait_alu 0xfffe
	s_or_b32 exec_lo, exec_lo, s14
	s_add_co_i32 s20, s20, 0x10000
	s_wait_alu 0xfffe
	s_cmp_lt_u32 s20, s19
	s_cbranch_scc0 .LBB22_33
.LBB22_6:                               ; =>This Loop Header: Depth=1
                                        ;     Child Loop BB22_9 Depth 2
	v_dual_mov_b32 v25, 0 :: v_dual_mov_b32 v24, 0
	v_dual_mov_b32 v23, 0 :: v_dual_mov_b32 v22, 0
	s_wait_alu 0xfffe
	s_and_not1_b32 vcc_lo, exec_lo, s16
	s_wait_alu 0xfffe
	s_cbranch_vccnz .LBB22_13
; %bb.7:                                ;   in Loop: Header=BB22_6 Depth=1
	v_mad_co_u64_u32 v[12:13], null, s2, s20, v[4:5]
	v_mad_co_u64_u32 v[14:15], null, s4, s20, v[6:7]
	v_dual_mov_b32 v22, 0 :: v_dual_mov_b32 v23, 0
	s_mov_b32 s14, 0
	s_delay_alu instid0(VALU_DEP_2) | instskip(NEXT) | instid1(VALU_DEP_3)
	v_mad_co_u64_u32 v[25:26], null, s3, s20, v[13:14]
	v_mad_co_u64_u32 v[26:27], null, s5, s20, v[15:16]
	s_delay_alu instid0(VALU_DEP_2) | instskip(SKIP_1) | instid1(VALU_DEP_3)
	v_dual_mov_b32 v24, 0 :: v_dual_mov_b32 v13, v25
	v_mov_b32_e32 v25, 0
	v_mov_b32_e32 v15, v26
	s_branch .LBB22_9
.LBB22_8:                               ;   in Loop: Header=BB22_9 Depth=2
	s_wait_alu 0xfffe
	s_or_b32 exec_lo, exec_lo, s15
	s_wait_loadcnt 0x0
	ds_store_b32 v19, v27
	s_wait_dscnt 0x0
	s_barrier_signal -1
	s_barrier_wait -1
	global_inv scope:SCOPE_SE
	ds_load_b128 v[26:29], v21
	ds_load_2addr_b32 v[42:43], v20 offset1:16
	ds_load_b128 v[30:33], v21 offset:512
	ds_load_2addr_b32 v[44:45], v20 offset0:32 offset1:48
	ds_load_2addr_b32 v[46:47], v20 offset0:64 offset1:80
	;; [unrolled: 1-line block ×3, first 2 shown]
	ds_load_b128 v[34:37], v21 offset:16
	ds_load_2addr_b32 v[50:51], v20 offset0:128 offset1:144
	ds_load_b128 v[38:41], v21 offset:528
	v_add_co_u32 v12, vcc_lo, v12, 32
	s_wait_alu 0xfffd
	v_add_co_ci_u32_e64 v13, null, 0, v13, vcc_lo
	v_add_co_u32 v14, vcc_lo, v14, s6
	s_wait_alu 0xfffd
	v_add_co_ci_u32_e64 v15, null, s7, v15, vcc_lo
	s_add_co_i32 s14, s14, 8
	s_wait_alu 0xfffe
	s_cmp_lt_i32 s14, s9
	s_wait_dscnt 0x7
	v_fmac_f32_e32 v24, v43, v26
	v_fmac_f32_e32 v25, v42, v26
	s_wait_dscnt 0x6
	v_fmac_f32_e32 v22, v43, v30
	v_fmac_f32_e32 v23, v42, v30
	ds_load_2addr_b32 v[42:43], v20 offset0:160 offset1:176
	s_wait_dscnt 0x6
	v_fmac_f32_e32 v24, v45, v27
	v_fmac_f32_e32 v25, v44, v27
	v_fmac_f32_e32 v22, v45, v31
	v_fmac_f32_e32 v23, v44, v31
	ds_load_2addr_b32 v[26:27], v20 offset0:192 offset1:208
	s_wait_dscnt 0x6
	v_fmac_f32_e32 v24, v47, v28
	v_fmac_f32_e32 v25, v46, v28
	;; [unrolled: 6-line block ×3, first 2 shown]
	v_fmac_f32_e32 v22, v49, v33
	v_fmac_f32_e32 v23, v48, v33
	s_wait_loadcnt_dscnt 0x0
	v_fmac_f32_e32 v24, v51, v34
	v_fmac_f32_e32 v25, v50, v34
	;; [unrolled: 1-line block ×4, first 2 shown]
	s_barrier_signal -1
	v_fmac_f32_e32 v24, v43, v35
	v_fmac_f32_e32 v25, v42, v35
	;; [unrolled: 1-line block ×4, first 2 shown]
	s_barrier_wait -1
	v_fmac_f32_e32 v24, v27, v36
	v_fmac_f32_e32 v25, v26, v36
	;; [unrolled: 1-line block ×4, first 2 shown]
	global_inv scope:SCOPE_SE
	v_fmac_f32_e32 v24, v31, v37
	v_fmac_f32_e32 v25, v30, v37
	;; [unrolled: 1-line block ×4, first 2 shown]
	s_cbranch_scc0 .LBB22_13
.LBB22_9:                               ;   Parent Loop BB22_6 Depth=1
                                        ; =>  This Inner Loop Header: Depth=2
	s_wait_alu 0xfffe
	v_add_nc_u32_e32 v26, s14, v17
	s_delay_alu instid0(VALU_DEP_1)
	v_cmp_gt_i32_e32 vcc_lo, s9, v26
	v_mov_b32_e32 v26, 0
	s_and_b32 s17, s0, vcc_lo
	s_wait_alu 0xfffe
	s_and_saveexec_b32 s15, s17
	s_cbranch_execz .LBB22_11
; %bb.10:                               ;   in Loop: Header=BB22_9 Depth=2
	global_load_b32 v26, v[12:13], off
.LBB22_11:                              ;   in Loop: Header=BB22_9 Depth=2
	s_wait_alu 0xfffe
	s_or_b32 exec_lo, exec_lo, s15
	v_add_nc_u32_e32 v27, s14, v16
	s_wait_loadcnt 0x0
	ds_store_b32 v18, v26
	v_cmp_gt_i32_e32 vcc_lo, s9, v27
	v_mov_b32_e32 v27, 0
	s_and_b32 s17, vcc_lo, s1
	s_wait_alu 0xfffe
	s_and_saveexec_b32 s15, s17
	s_cbranch_execz .LBB22_8
; %bb.12:                               ;   in Loop: Header=BB22_9 Depth=2
	global_load_b32 v27, v[14:15], off
	s_branch .LBB22_8
.LBB22_13:                              ;   in Loop: Header=BB22_6 Depth=1
	s_mul_u64 s[14:15], s[22:23], s[20:21]
	s_wait_alu 0xfffe
	s_lshl_b64 s[14:15], s[14:15], 2
	s_wait_alu 0xfffe
	s_add_nc_u64 s[14:15], s[12:13], s[14:15]
	s_wait_alu 0xfffe
	v_add_co_u32 v12, vcc_lo, s14, v8
	s_wait_alu 0xfffd
	v_add_co_ci_u32_e64 v13, null, s15, v9, vcc_lo
	s_and_saveexec_b32 s17, s29
	s_cbranch_execz .LBB22_17
; %bb.14:                               ;   in Loop: Header=BB22_6 Depth=1
	v_mul_f32_e32 v14, s10, v25
	s_and_b32 vcc_lo, exec_lo, s28
	s_wait_alu 0xfffe
	s_cbranch_vccz .LBB22_28
; %bb.15:                               ;   in Loop: Header=BB22_6 Depth=1
	v_lshlrev_b64_e32 v[25:26], 2, v[0:1]
	s_delay_alu instid0(VALU_DEP_1) | instskip(SKIP_1) | instid1(VALU_DEP_2)
	v_add_co_u32 v25, vcc_lo, v12, v25
	s_wait_alu 0xfffd
	v_add_co_ci_u32_e64 v26, null, v13, v26, vcc_lo
	global_load_b32 v15, v[25:26], off
	s_wait_loadcnt 0x0
	v_fma_f32 v15, s11, v15, v14
	global_store_b32 v[25:26], v15, off
	s_cbranch_execnz .LBB22_17
.LBB22_16:                              ;   in Loop: Header=BB22_6 Depth=1
	v_lshlrev_b64_e32 v[25:26], 2, v[0:1]
	s_delay_alu instid0(VALU_DEP_1) | instskip(SKIP_1) | instid1(VALU_DEP_2)
	v_add_co_u32 v25, vcc_lo, v12, v25
	s_wait_alu 0xfffd
	v_add_co_ci_u32_e64 v26, null, v13, v26, vcc_lo
	global_store_b32 v[25:26], v14, off
.LBB22_17:                              ;   in Loop: Header=BB22_6 Depth=1
	s_wait_alu 0xfffe
	s_or_b32 exec_lo, exec_lo, s17
	s_and_saveexec_b32 s17, s30
	s_cbranch_execz .LBB22_21
; %bb.18:                               ;   in Loop: Header=BB22_6 Depth=1
	v_mul_f32_e32 v14, s10, v24
	s_and_not1_b32 vcc_lo, exec_lo, s28
	s_wait_alu 0xfffe
	s_cbranch_vccnz .LBB22_29
; %bb.19:                               ;   in Loop: Header=BB22_6 Depth=1
	v_lshlrev_b64_e32 v[24:25], 2, v[2:3]
	s_delay_alu instid0(VALU_DEP_1) | instskip(SKIP_1) | instid1(VALU_DEP_2)
	v_add_co_u32 v24, vcc_lo, v12, v24
	s_wait_alu 0xfffd
	v_add_co_ci_u32_e64 v25, null, v13, v25, vcc_lo
	global_load_b32 v15, v[24:25], off
	s_wait_loadcnt 0x0
	v_fma_f32 v15, s11, v15, v14
	global_store_b32 v[24:25], v15, off
	s_cbranch_execnz .LBB22_21
.LBB22_20:                              ;   in Loop: Header=BB22_6 Depth=1
	v_lshlrev_b64_e32 v[24:25], 2, v[2:3]
	s_delay_alu instid0(VALU_DEP_1) | instskip(SKIP_1) | instid1(VALU_DEP_2)
	v_add_co_u32 v12, vcc_lo, v12, v24
	s_wait_alu 0xfffd
	v_add_co_ci_u32_e64 v13, null, v13, v25, vcc_lo
	global_store_b32 v[12:13], v14, off
.LBB22_21:                              ;   in Loop: Header=BB22_6 Depth=1
	s_wait_alu 0xfffe
	s_or_b32 exec_lo, exec_lo, s17
	v_add_co_u32 v14, vcc_lo, s14, v10
	s_wait_alu 0xfffd
	v_add_co_ci_u32_e64 v15, null, s15, v11, vcc_lo
	s_and_saveexec_b32 s14, s8
	s_cbranch_execz .LBB22_25
; %bb.22:                               ;   in Loop: Header=BB22_6 Depth=1
	v_lshlrev_b64_e32 v[12:13], 2, v[0:1]
	v_mul_f32_e32 v23, s10, v23
	s_and_not1_b32 vcc_lo, exec_lo, s28
	s_wait_alu 0xfffe
	s_cbranch_vccnz .LBB22_30
; %bb.23:                               ;   in Loop: Header=BB22_6 Depth=1
	s_delay_alu instid0(VALU_DEP_2)
	v_add_co_u32 v24, vcc_lo, v14, v12
	s_wait_alu 0xfffd
	v_add_co_ci_u32_e64 v25, null, v15, v13, vcc_lo
	global_load_b32 v26, v[24:25], off
	s_wait_loadcnt 0x0
	v_fma_f32 v26, s11, v26, v23
	global_store_b32 v[24:25], v26, off
	s_cbranch_execnz .LBB22_25
.LBB22_24:                              ;   in Loop: Header=BB22_6 Depth=1
	v_add_co_u32 v12, vcc_lo, v14, v12
	s_wait_alu 0xfffd
	v_add_co_ci_u32_e64 v13, null, v15, v13, vcc_lo
	global_store_b32 v[12:13], v23, off
.LBB22_25:                              ;   in Loop: Header=BB22_6 Depth=1
	s_wait_alu 0xfffe
	s_or_b32 exec_lo, exec_lo, s14
	s_and_saveexec_b32 s14, s18
	s_cbranch_execz .LBB22_5
; %bb.26:                               ;   in Loop: Header=BB22_6 Depth=1
	v_lshlrev_b64_e32 v[12:13], 2, v[2:3]
	v_mul_f32_e32 v22, s10, v22
	s_and_not1_b32 vcc_lo, exec_lo, s28
	s_wait_alu 0xfffe
	s_cbranch_vccnz .LBB22_31
; %bb.27:                               ;   in Loop: Header=BB22_6 Depth=1
	s_delay_alu instid0(VALU_DEP_2)
	v_add_co_u32 v23, vcc_lo, v14, v12
	s_wait_alu 0xfffd
	v_add_co_ci_u32_e64 v24, null, v15, v13, vcc_lo
	global_load_b32 v25, v[23:24], off
	s_wait_loadcnt 0x0
	v_fma_f32 v25, s11, v25, v22
	global_store_b32 v[23:24], v25, off
	s_cbranch_execnz .LBB22_5
	s_branch .LBB22_32
.LBB22_28:                              ;   in Loop: Header=BB22_6 Depth=1
	s_branch .LBB22_16
.LBB22_29:                              ;   in Loop: Header=BB22_6 Depth=1
	s_branch .LBB22_20
.LBB22_30:                              ;   in Loop: Header=BB22_6 Depth=1
	s_branch .LBB22_24
.LBB22_31:                              ;   in Loop: Header=BB22_6 Depth=1
.LBB22_32:                              ;   in Loop: Header=BB22_6 Depth=1
	s_delay_alu instid0(VALU_DEP_2)
	v_add_co_u32 v12, vcc_lo, v14, v12
	s_wait_alu 0xfffd
	v_add_co_ci_u32_e64 v13, null, v15, v13, vcc_lo
	global_store_b32 v[12:13], v22, off
	s_branch .LBB22_5
.LBB22_33:
	s_endpgm
	.section	.rodata,"a",@progbits
	.p2align	6, 0x0
	.amdhsa_kernel _ZL29rocblas_internal_gemmt_kernelIiLi16ELi32ELi8ELc84ELc84ELc85ELb0ELb0EffPKfPfEviT_T9_T10_S3_lS5_S3_lS4_T11_S3_li
		.amdhsa_group_segment_fixed_size 2048
		.amdhsa_private_segment_fixed_size 0
		.amdhsa_kernarg_size 100
		.amdhsa_user_sgpr_count 2
		.amdhsa_user_sgpr_dispatch_ptr 0
		.amdhsa_user_sgpr_queue_ptr 0
		.amdhsa_user_sgpr_kernarg_segment_ptr 1
		.amdhsa_user_sgpr_dispatch_id 0
		.amdhsa_user_sgpr_private_segment_size 0
		.amdhsa_wavefront_size32 1
		.amdhsa_uses_dynamic_stack 0
		.amdhsa_enable_private_segment 0
		.amdhsa_system_sgpr_workgroup_id_x 1
		.amdhsa_system_sgpr_workgroup_id_y 1
		.amdhsa_system_sgpr_workgroup_id_z 1
		.amdhsa_system_sgpr_workgroup_info 0
		.amdhsa_system_vgpr_workitem_id 1
		.amdhsa_next_free_vgpr 52
		.amdhsa_next_free_sgpr 32
		.amdhsa_reserve_vcc 1
		.amdhsa_float_round_mode_32 0
		.amdhsa_float_round_mode_16_64 0
		.amdhsa_float_denorm_mode_32 3
		.amdhsa_float_denorm_mode_16_64 3
		.amdhsa_fp16_overflow 0
		.amdhsa_workgroup_processor_mode 1
		.amdhsa_memory_ordered 1
		.amdhsa_forward_progress 1
		.amdhsa_inst_pref_size 15
		.amdhsa_round_robin_scheduling 0
		.amdhsa_exception_fp_ieee_invalid_op 0
		.amdhsa_exception_fp_denorm_src 0
		.amdhsa_exception_fp_ieee_div_zero 0
		.amdhsa_exception_fp_ieee_overflow 0
		.amdhsa_exception_fp_ieee_underflow 0
		.amdhsa_exception_fp_ieee_inexact 0
		.amdhsa_exception_int_div_zero 0
	.end_amdhsa_kernel
	.section	.text._ZL29rocblas_internal_gemmt_kernelIiLi16ELi32ELi8ELc84ELc84ELc85ELb0ELb0EffPKfPfEviT_T9_T10_S3_lS5_S3_lS4_T11_S3_li,"axG",@progbits,_ZL29rocblas_internal_gemmt_kernelIiLi16ELi32ELi8ELc84ELc84ELc85ELb0ELb0EffPKfPfEviT_T9_T10_S3_lS5_S3_lS4_T11_S3_li,comdat
.Lfunc_end22:
	.size	_ZL29rocblas_internal_gemmt_kernelIiLi16ELi32ELi8ELc84ELc84ELc85ELb0ELb0EffPKfPfEviT_T9_T10_S3_lS5_S3_lS4_T11_S3_li, .Lfunc_end22-_ZL29rocblas_internal_gemmt_kernelIiLi16ELi32ELi8ELc84ELc84ELc85ELb0ELb0EffPKfPfEviT_T9_T10_S3_lS5_S3_lS4_T11_S3_li
                                        ; -- End function
	.set _ZL29rocblas_internal_gemmt_kernelIiLi16ELi32ELi8ELc84ELc84ELc85ELb0ELb0EffPKfPfEviT_T9_T10_S3_lS5_S3_lS4_T11_S3_li.num_vgpr, 52
	.set _ZL29rocblas_internal_gemmt_kernelIiLi16ELi32ELi8ELc84ELc84ELc85ELb0ELb0EffPKfPfEviT_T9_T10_S3_lS5_S3_lS4_T11_S3_li.num_agpr, 0
	.set _ZL29rocblas_internal_gemmt_kernelIiLi16ELi32ELi8ELc84ELc84ELc85ELb0ELb0EffPKfPfEviT_T9_T10_S3_lS5_S3_lS4_T11_S3_li.numbered_sgpr, 32
	.set _ZL29rocblas_internal_gemmt_kernelIiLi16ELi32ELi8ELc84ELc84ELc85ELb0ELb0EffPKfPfEviT_T9_T10_S3_lS5_S3_lS4_T11_S3_li.num_named_barrier, 0
	.set _ZL29rocblas_internal_gemmt_kernelIiLi16ELi32ELi8ELc84ELc84ELc85ELb0ELb0EffPKfPfEviT_T9_T10_S3_lS5_S3_lS4_T11_S3_li.private_seg_size, 0
	.set _ZL29rocblas_internal_gemmt_kernelIiLi16ELi32ELi8ELc84ELc84ELc85ELb0ELb0EffPKfPfEviT_T9_T10_S3_lS5_S3_lS4_T11_S3_li.uses_vcc, 1
	.set _ZL29rocblas_internal_gemmt_kernelIiLi16ELi32ELi8ELc84ELc84ELc85ELb0ELb0EffPKfPfEviT_T9_T10_S3_lS5_S3_lS4_T11_S3_li.uses_flat_scratch, 0
	.set _ZL29rocblas_internal_gemmt_kernelIiLi16ELi32ELi8ELc84ELc84ELc85ELb0ELb0EffPKfPfEviT_T9_T10_S3_lS5_S3_lS4_T11_S3_li.has_dyn_sized_stack, 0
	.set _ZL29rocblas_internal_gemmt_kernelIiLi16ELi32ELi8ELc84ELc84ELc85ELb0ELb0EffPKfPfEviT_T9_T10_S3_lS5_S3_lS4_T11_S3_li.has_recursion, 0
	.set _ZL29rocblas_internal_gemmt_kernelIiLi16ELi32ELi8ELc84ELc84ELc85ELb0ELb0EffPKfPfEviT_T9_T10_S3_lS5_S3_lS4_T11_S3_li.has_indirect_call, 0
	.section	.AMDGPU.csdata,"",@progbits
; Kernel info:
; codeLenInByte = 1804
; TotalNumSgprs: 34
; NumVgprs: 52
; ScratchSize: 0
; MemoryBound: 0
; FloatMode: 240
; IeeeMode: 1
; LDSByteSize: 2048 bytes/workgroup (compile time only)
; SGPRBlocks: 0
; VGPRBlocks: 6
; NumSGPRsForWavesPerEU: 34
; NumVGPRsForWavesPerEU: 52
; Occupancy: 16
; WaveLimiterHint : 0
; COMPUTE_PGM_RSRC2:SCRATCH_EN: 0
; COMPUTE_PGM_RSRC2:USER_SGPR: 2
; COMPUTE_PGM_RSRC2:TRAP_HANDLER: 0
; COMPUTE_PGM_RSRC2:TGID_X_EN: 1
; COMPUTE_PGM_RSRC2:TGID_Y_EN: 1
; COMPUTE_PGM_RSRC2:TGID_Z_EN: 1
; COMPUTE_PGM_RSRC2:TIDIG_COMP_CNT: 1
	.section	.text._ZL29rocblas_internal_gemmt_kernelIiLi16ELi32ELi8ELc84ELc67ELc85ELb0ELb0EffPKfPfEviT_T9_T10_S3_lS5_S3_lS4_T11_S3_li,"axG",@progbits,_ZL29rocblas_internal_gemmt_kernelIiLi16ELi32ELi8ELc84ELc67ELc85ELb0ELb0EffPKfPfEviT_T9_T10_S3_lS5_S3_lS4_T11_S3_li,comdat
	.globl	_ZL29rocblas_internal_gemmt_kernelIiLi16ELi32ELi8ELc84ELc67ELc85ELb0ELb0EffPKfPfEviT_T9_T10_S3_lS5_S3_lS4_T11_S3_li ; -- Begin function _ZL29rocblas_internal_gemmt_kernelIiLi16ELi32ELi8ELc84ELc67ELc85ELb0ELb0EffPKfPfEviT_T9_T10_S3_lS5_S3_lS4_T11_S3_li
	.p2align	8
	.type	_ZL29rocblas_internal_gemmt_kernelIiLi16ELi32ELi8ELc84ELc67ELc85ELb0ELb0EffPKfPfEviT_T9_T10_S3_lS5_S3_lS4_T11_S3_li,@function
_ZL29rocblas_internal_gemmt_kernelIiLi16ELi32ELi8ELc84ELc67ELc85ELb0ELb0EffPKfPfEviT_T9_T10_S3_lS5_S3_lS4_T11_S3_li: ; @_ZL29rocblas_internal_gemmt_kernelIiLi16ELi32ELi8ELc84ELc67ELc85ELb0ELb0EffPKfPfEviT_T9_T10_S3_lS5_S3_lS4_T11_S3_li
; %bb.0:
	s_clause 0x1
	s_load_b32 s11, s[0:1], 0x40
	s_load_b96 s[8:10], s[0:1], 0x0
	s_wait_kmcnt 0x0
	s_cmp_neq_f32 s11, 1.0
	s_cselect_b32 s2, -1, 0
	s_delay_alu instid0(SALU_CYCLE_1)
	s_and_b32 vcc_lo, exec_lo, s2
	s_cbranch_vccnz .LBB23_2
; %bb.1:
	s_cmp_lg_u32 s9, 0
	s_cselect_b32 s2, -1, 0
	s_cmp_neq_f32 s10, 0
	s_cselect_b32 s3, -1, 0
	s_delay_alu instid0(SALU_CYCLE_1)
	s_and_b32 s2, s2, s3
.LBB23_2:
	s_delay_alu instid0(SALU_CYCLE_1)
	s_and_not1_b32 vcc_lo, exec_lo, s2
	s_cbranch_vccnz .LBB23_33
; %bb.3:
	s_load_b32 s19, s[0:1], 0x60
	s_lshr_b32 s20, ttmp7, 16
	s_wait_kmcnt 0x0
	s_cmp_ge_u32 s20, s19
	s_cbranch_scc1 .LBB23_33
; %bb.4:
	v_and_b32_e32 v1, 0x3ff, v0
	v_bfe_u32 v3, v0, 10, 10
	v_and_b32_e32 v16, 7, v0
	s_clause 0x5
	s_load_b32 s24, s[0:1], 0x30
	s_load_b96 s[16:18], s[0:1], 0x10
	s_load_b128 s[4:7], s[0:1], 0x20
	s_load_b64 s[26:27], s[0:1], 0x38
	s_load_b96 s[12:14], s[0:1], 0x48
	s_load_b64 s[22:23], s[0:1], 0x58
	v_lshl_add_u32 v0, v3, 4, v1
	v_lshlrev_b32_e32 v4, 2, v16
	s_lshl_b32 s2, ttmp9, 5
	s_lshl_b32 s0, ttmp7, 5
	v_lshlrev_b32_e32 v20, 2, v1
	v_and_b32_e32 v2, 31, v0
	v_lshrrev_b32_e32 v5, 3, v0
	v_lshrrev_b32_e32 v17, 5, v0
	s_and_b32 s3, s0, 0x1fffe0
	v_lshl_add_u32 v21, v3, 5, 0x400
	v_lshlrev_b32_e32 v0, 2, v2
	v_or_b32_e32 v6, s2, v2
	v_lshl_or_b32 v2, v5, 5, v4
	v_add_nc_u32_e32 v4, s3, v3
	v_add_nc_u32_e32 v12, s3, v5
	v_lshl_or_b32 v18, v17, 7, v0
	v_add_nc_u32_e32 v0, s2, v1
	v_add_nc_u32_e32 v19, 0x400, v2
	s_wait_kmcnt 0x0
	s_ashr_i32 s25, s24, 31
	s_cmp_neq_f32 s10, 0
	v_cmp_gt_i32_e32 vcc_lo, s8, v4
	v_add_nc_u32_e32 v2, 16, v0
	v_cmp_le_i32_e64 s2, v0, v4
	v_mad_co_i64_i32 v[8:9], null, v4, s14, 0
	v_add_nc_u32_e32 v10, 16, v4
	s_delay_alu instid0(VALU_DEP_4)
	v_cmp_le_i32_e64 s3, v2, v4
	v_mad_co_i64_i32 v[4:5], null, s18, v6, 0
	v_cmp_gt_i32_e64 s0, s8, v6
	v_mad_co_i64_i32 v[6:7], null, s24, v16, 0
	s_cselect_b32 s15, -1, 0
	s_cmp_gt_i32 s9, 0
	v_lshlrev_b32_e32 v13, 2, v17
	s_cselect_b32 s31, -1, 0
	s_cmp_neq_f32 s11, 0
	v_lshlrev_b64_e32 v[4:5], 2, v[4:5]
	v_lshlrev_b64_e32 v[6:7], 2, v[6:7]
	v_cmp_gt_i32_e64 s1, s8, v12
	s_cselect_b32 s28, -1, 0
	s_and_b32 s29, vcc_lo, s2
	s_and_b32 s30, vcc_lo, s3
	v_cmp_gt_i32_e32 vcc_lo, s8, v10
	v_cmp_le_i32_e64 s2, v0, v10
	v_cmp_le_i32_e64 s3, v2, v10
	v_lshlrev_b32_e32 v12, 2, v12
	v_mad_co_i64_i32 v[10:11], null, v10, s14, 0
	s_and_b32 s8, vcc_lo, s2
	s_and_b32 s18, vcc_lo, s3
	v_add_co_u32 v4, vcc_lo, v4, v13
	s_delay_alu instid0(VALU_DEP_1)
	v_add_co_ci_u32_e64 v5, null, 0, v5, vcc_lo
	v_add_co_u32 v6, vcc_lo, v6, v12
	s_wait_alu 0xfffd
	v_add_co_ci_u32_e64 v7, null, 0, v7, vcc_lo
	v_add_co_u32 v4, vcc_lo, s16, v4
	s_wait_alu 0xfffd
	v_add_co_ci_u32_e64 v5, null, s17, v5, vcc_lo
	v_add_co_u32 v6, vcc_lo, s6, v6
	v_lshlrev_b64_e32 v[8:9], 2, v[8:9]
	v_lshlrev_b64_e32 v[10:11], 2, v[10:11]
	v_ashrrev_i32_e32 v1, 31, v0
	v_ashrrev_i32_e32 v3, 31, v2
	s_wait_alu 0xfffd
	v_add_co_ci_u32_e64 v7, null, s7, v7, vcc_lo
	s_mov_b32 s21, 0
	s_wait_alu 0xfffe
	s_and_b32 s16, s15, s31
	s_lshl_b64 s[2:3], s[4:5], 2
	s_lshl_b64 s[4:5], s[26:27], 2
	;; [unrolled: 1-line block ×3, first 2 shown]
	s_branch .LBB23_6
.LBB23_5:                               ;   in Loop: Header=BB23_6 Depth=1
	s_wait_alu 0xfffe
	s_or_b32 exec_lo, exec_lo, s14
	s_add_co_i32 s20, s20, 0x10000
	s_wait_alu 0xfffe
	s_cmp_lt_u32 s20, s19
	s_cbranch_scc0 .LBB23_33
.LBB23_6:                               ; =>This Loop Header: Depth=1
                                        ;     Child Loop BB23_9 Depth 2
	v_dual_mov_b32 v25, 0 :: v_dual_mov_b32 v24, 0
	v_dual_mov_b32 v23, 0 :: v_dual_mov_b32 v22, 0
	s_wait_alu 0xfffe
	s_and_not1_b32 vcc_lo, exec_lo, s16
	s_wait_alu 0xfffe
	s_cbranch_vccnz .LBB23_13
; %bb.7:                                ;   in Loop: Header=BB23_6 Depth=1
	v_mad_co_u64_u32 v[12:13], null, s2, s20, v[4:5]
	v_mad_co_u64_u32 v[14:15], null, s4, s20, v[6:7]
	v_dual_mov_b32 v22, 0 :: v_dual_mov_b32 v23, 0
	s_mov_b32 s14, 0
	s_delay_alu instid0(VALU_DEP_2) | instskip(NEXT) | instid1(VALU_DEP_3)
	v_mad_co_u64_u32 v[25:26], null, s3, s20, v[13:14]
	v_mad_co_u64_u32 v[26:27], null, s5, s20, v[15:16]
	s_delay_alu instid0(VALU_DEP_2) | instskip(SKIP_1) | instid1(VALU_DEP_3)
	v_dual_mov_b32 v24, 0 :: v_dual_mov_b32 v13, v25
	v_mov_b32_e32 v25, 0
	v_mov_b32_e32 v15, v26
	s_branch .LBB23_9
.LBB23_8:                               ;   in Loop: Header=BB23_9 Depth=2
	s_wait_alu 0xfffe
	s_or_b32 exec_lo, exec_lo, s15
	s_wait_loadcnt 0x0
	ds_store_b32 v19, v27
	s_wait_dscnt 0x0
	s_barrier_signal -1
	s_barrier_wait -1
	global_inv scope:SCOPE_SE
	ds_load_b128 v[26:29], v21
	ds_load_2addr_b32 v[42:43], v20 offset1:16
	ds_load_b128 v[30:33], v21 offset:512
	ds_load_2addr_b32 v[44:45], v20 offset0:32 offset1:48
	ds_load_2addr_b32 v[46:47], v20 offset0:64 offset1:80
	;; [unrolled: 1-line block ×3, first 2 shown]
	ds_load_b128 v[34:37], v21 offset:16
	ds_load_2addr_b32 v[50:51], v20 offset0:128 offset1:144
	ds_load_b128 v[38:41], v21 offset:528
	v_add_co_u32 v12, vcc_lo, v12, 32
	s_wait_alu 0xfffd
	v_add_co_ci_u32_e64 v13, null, 0, v13, vcc_lo
	v_add_co_u32 v14, vcc_lo, v14, s6
	s_wait_alu 0xfffd
	v_add_co_ci_u32_e64 v15, null, s7, v15, vcc_lo
	s_add_co_i32 s14, s14, 8
	s_wait_alu 0xfffe
	s_cmp_lt_i32 s14, s9
	s_wait_dscnt 0x7
	v_fmac_f32_e32 v24, v43, v26
	v_fmac_f32_e32 v25, v42, v26
	s_wait_dscnt 0x6
	v_fmac_f32_e32 v22, v43, v30
	v_fmac_f32_e32 v23, v42, v30
	ds_load_2addr_b32 v[42:43], v20 offset0:160 offset1:176
	s_wait_dscnt 0x6
	v_fmac_f32_e32 v24, v45, v27
	v_fmac_f32_e32 v25, v44, v27
	v_fmac_f32_e32 v22, v45, v31
	v_fmac_f32_e32 v23, v44, v31
	ds_load_2addr_b32 v[26:27], v20 offset0:192 offset1:208
	s_wait_dscnt 0x6
	v_fmac_f32_e32 v24, v47, v28
	v_fmac_f32_e32 v25, v46, v28
	;; [unrolled: 6-line block ×3, first 2 shown]
	v_fmac_f32_e32 v22, v49, v33
	v_fmac_f32_e32 v23, v48, v33
	s_wait_loadcnt_dscnt 0x0
	v_fmac_f32_e32 v24, v51, v34
	v_fmac_f32_e32 v25, v50, v34
	;; [unrolled: 1-line block ×4, first 2 shown]
	s_barrier_signal -1
	v_fmac_f32_e32 v24, v43, v35
	v_fmac_f32_e32 v25, v42, v35
	;; [unrolled: 1-line block ×4, first 2 shown]
	s_barrier_wait -1
	v_fmac_f32_e32 v24, v27, v36
	v_fmac_f32_e32 v25, v26, v36
	;; [unrolled: 1-line block ×4, first 2 shown]
	global_inv scope:SCOPE_SE
	v_fmac_f32_e32 v24, v31, v37
	v_fmac_f32_e32 v25, v30, v37
	;; [unrolled: 1-line block ×4, first 2 shown]
	s_cbranch_scc0 .LBB23_13
.LBB23_9:                               ;   Parent Loop BB23_6 Depth=1
                                        ; =>  This Inner Loop Header: Depth=2
	s_wait_alu 0xfffe
	v_add_nc_u32_e32 v26, s14, v17
	s_delay_alu instid0(VALU_DEP_1)
	v_cmp_gt_i32_e32 vcc_lo, s9, v26
	v_mov_b32_e32 v26, 0
	s_and_b32 s17, s0, vcc_lo
	s_wait_alu 0xfffe
	s_and_saveexec_b32 s15, s17
	s_cbranch_execz .LBB23_11
; %bb.10:                               ;   in Loop: Header=BB23_9 Depth=2
	global_load_b32 v26, v[12:13], off
.LBB23_11:                              ;   in Loop: Header=BB23_9 Depth=2
	s_wait_alu 0xfffe
	s_or_b32 exec_lo, exec_lo, s15
	v_add_nc_u32_e32 v27, s14, v16
	s_wait_loadcnt 0x0
	ds_store_b32 v18, v26
	v_cmp_gt_i32_e32 vcc_lo, s9, v27
	v_mov_b32_e32 v27, 0
	s_and_b32 s17, vcc_lo, s1
	s_wait_alu 0xfffe
	s_and_saveexec_b32 s15, s17
	s_cbranch_execz .LBB23_8
; %bb.12:                               ;   in Loop: Header=BB23_9 Depth=2
	global_load_b32 v27, v[14:15], off
	s_branch .LBB23_8
.LBB23_13:                              ;   in Loop: Header=BB23_6 Depth=1
	s_mul_u64 s[14:15], s[22:23], s[20:21]
	s_wait_alu 0xfffe
	s_lshl_b64 s[14:15], s[14:15], 2
	s_wait_alu 0xfffe
	s_add_nc_u64 s[14:15], s[12:13], s[14:15]
	s_wait_alu 0xfffe
	v_add_co_u32 v12, vcc_lo, s14, v8
	s_wait_alu 0xfffd
	v_add_co_ci_u32_e64 v13, null, s15, v9, vcc_lo
	s_and_saveexec_b32 s17, s29
	s_cbranch_execz .LBB23_17
; %bb.14:                               ;   in Loop: Header=BB23_6 Depth=1
	v_mul_f32_e32 v14, s10, v25
	s_and_b32 vcc_lo, exec_lo, s28
	s_wait_alu 0xfffe
	s_cbranch_vccz .LBB23_28
; %bb.15:                               ;   in Loop: Header=BB23_6 Depth=1
	v_lshlrev_b64_e32 v[25:26], 2, v[0:1]
	s_delay_alu instid0(VALU_DEP_1) | instskip(SKIP_1) | instid1(VALU_DEP_2)
	v_add_co_u32 v25, vcc_lo, v12, v25
	s_wait_alu 0xfffd
	v_add_co_ci_u32_e64 v26, null, v13, v26, vcc_lo
	global_load_b32 v15, v[25:26], off
	s_wait_loadcnt 0x0
	v_fma_f32 v15, s11, v15, v14
	global_store_b32 v[25:26], v15, off
	s_cbranch_execnz .LBB23_17
.LBB23_16:                              ;   in Loop: Header=BB23_6 Depth=1
	v_lshlrev_b64_e32 v[25:26], 2, v[0:1]
	s_delay_alu instid0(VALU_DEP_1) | instskip(SKIP_1) | instid1(VALU_DEP_2)
	v_add_co_u32 v25, vcc_lo, v12, v25
	s_wait_alu 0xfffd
	v_add_co_ci_u32_e64 v26, null, v13, v26, vcc_lo
	global_store_b32 v[25:26], v14, off
.LBB23_17:                              ;   in Loop: Header=BB23_6 Depth=1
	s_wait_alu 0xfffe
	s_or_b32 exec_lo, exec_lo, s17
	s_and_saveexec_b32 s17, s30
	s_cbranch_execz .LBB23_21
; %bb.18:                               ;   in Loop: Header=BB23_6 Depth=1
	v_mul_f32_e32 v14, s10, v24
	s_and_not1_b32 vcc_lo, exec_lo, s28
	s_wait_alu 0xfffe
	s_cbranch_vccnz .LBB23_29
; %bb.19:                               ;   in Loop: Header=BB23_6 Depth=1
	v_lshlrev_b64_e32 v[24:25], 2, v[2:3]
	s_delay_alu instid0(VALU_DEP_1) | instskip(SKIP_1) | instid1(VALU_DEP_2)
	v_add_co_u32 v24, vcc_lo, v12, v24
	s_wait_alu 0xfffd
	v_add_co_ci_u32_e64 v25, null, v13, v25, vcc_lo
	global_load_b32 v15, v[24:25], off
	s_wait_loadcnt 0x0
	v_fma_f32 v15, s11, v15, v14
	global_store_b32 v[24:25], v15, off
	s_cbranch_execnz .LBB23_21
.LBB23_20:                              ;   in Loop: Header=BB23_6 Depth=1
	v_lshlrev_b64_e32 v[24:25], 2, v[2:3]
	s_delay_alu instid0(VALU_DEP_1) | instskip(SKIP_1) | instid1(VALU_DEP_2)
	v_add_co_u32 v12, vcc_lo, v12, v24
	s_wait_alu 0xfffd
	v_add_co_ci_u32_e64 v13, null, v13, v25, vcc_lo
	global_store_b32 v[12:13], v14, off
.LBB23_21:                              ;   in Loop: Header=BB23_6 Depth=1
	s_wait_alu 0xfffe
	s_or_b32 exec_lo, exec_lo, s17
	v_add_co_u32 v14, vcc_lo, s14, v10
	s_wait_alu 0xfffd
	v_add_co_ci_u32_e64 v15, null, s15, v11, vcc_lo
	s_and_saveexec_b32 s14, s8
	s_cbranch_execz .LBB23_25
; %bb.22:                               ;   in Loop: Header=BB23_6 Depth=1
	v_lshlrev_b64_e32 v[12:13], 2, v[0:1]
	v_mul_f32_e32 v23, s10, v23
	s_and_not1_b32 vcc_lo, exec_lo, s28
	s_wait_alu 0xfffe
	s_cbranch_vccnz .LBB23_30
; %bb.23:                               ;   in Loop: Header=BB23_6 Depth=1
	s_delay_alu instid0(VALU_DEP_2)
	v_add_co_u32 v24, vcc_lo, v14, v12
	s_wait_alu 0xfffd
	v_add_co_ci_u32_e64 v25, null, v15, v13, vcc_lo
	global_load_b32 v26, v[24:25], off
	s_wait_loadcnt 0x0
	v_fma_f32 v26, s11, v26, v23
	global_store_b32 v[24:25], v26, off
	s_cbranch_execnz .LBB23_25
.LBB23_24:                              ;   in Loop: Header=BB23_6 Depth=1
	v_add_co_u32 v12, vcc_lo, v14, v12
	s_wait_alu 0xfffd
	v_add_co_ci_u32_e64 v13, null, v15, v13, vcc_lo
	global_store_b32 v[12:13], v23, off
.LBB23_25:                              ;   in Loop: Header=BB23_6 Depth=1
	s_wait_alu 0xfffe
	s_or_b32 exec_lo, exec_lo, s14
	s_and_saveexec_b32 s14, s18
	s_cbranch_execz .LBB23_5
; %bb.26:                               ;   in Loop: Header=BB23_6 Depth=1
	v_lshlrev_b64_e32 v[12:13], 2, v[2:3]
	v_mul_f32_e32 v22, s10, v22
	s_and_not1_b32 vcc_lo, exec_lo, s28
	s_wait_alu 0xfffe
	s_cbranch_vccnz .LBB23_31
; %bb.27:                               ;   in Loop: Header=BB23_6 Depth=1
	s_delay_alu instid0(VALU_DEP_2)
	v_add_co_u32 v23, vcc_lo, v14, v12
	s_wait_alu 0xfffd
	v_add_co_ci_u32_e64 v24, null, v15, v13, vcc_lo
	global_load_b32 v25, v[23:24], off
	s_wait_loadcnt 0x0
	v_fma_f32 v25, s11, v25, v22
	global_store_b32 v[23:24], v25, off
	s_cbranch_execnz .LBB23_5
	s_branch .LBB23_32
.LBB23_28:                              ;   in Loop: Header=BB23_6 Depth=1
	s_branch .LBB23_16
.LBB23_29:                              ;   in Loop: Header=BB23_6 Depth=1
	s_branch .LBB23_20
.LBB23_30:                              ;   in Loop: Header=BB23_6 Depth=1
	s_branch .LBB23_24
.LBB23_31:                              ;   in Loop: Header=BB23_6 Depth=1
.LBB23_32:                              ;   in Loop: Header=BB23_6 Depth=1
	s_delay_alu instid0(VALU_DEP_2)
	v_add_co_u32 v12, vcc_lo, v14, v12
	s_wait_alu 0xfffd
	v_add_co_ci_u32_e64 v13, null, v15, v13, vcc_lo
	global_store_b32 v[12:13], v22, off
	s_branch .LBB23_5
.LBB23_33:
	s_endpgm
	.section	.rodata,"a",@progbits
	.p2align	6, 0x0
	.amdhsa_kernel _ZL29rocblas_internal_gemmt_kernelIiLi16ELi32ELi8ELc84ELc67ELc85ELb0ELb0EffPKfPfEviT_T9_T10_S3_lS5_S3_lS4_T11_S3_li
		.amdhsa_group_segment_fixed_size 2048
		.amdhsa_private_segment_fixed_size 0
		.amdhsa_kernarg_size 100
		.amdhsa_user_sgpr_count 2
		.amdhsa_user_sgpr_dispatch_ptr 0
		.amdhsa_user_sgpr_queue_ptr 0
		.amdhsa_user_sgpr_kernarg_segment_ptr 1
		.amdhsa_user_sgpr_dispatch_id 0
		.amdhsa_user_sgpr_private_segment_size 0
		.amdhsa_wavefront_size32 1
		.amdhsa_uses_dynamic_stack 0
		.amdhsa_enable_private_segment 0
		.amdhsa_system_sgpr_workgroup_id_x 1
		.amdhsa_system_sgpr_workgroup_id_y 1
		.amdhsa_system_sgpr_workgroup_id_z 1
		.amdhsa_system_sgpr_workgroup_info 0
		.amdhsa_system_vgpr_workitem_id 1
		.amdhsa_next_free_vgpr 52
		.amdhsa_next_free_sgpr 32
		.amdhsa_reserve_vcc 1
		.amdhsa_float_round_mode_32 0
		.amdhsa_float_round_mode_16_64 0
		.amdhsa_float_denorm_mode_32 3
		.amdhsa_float_denorm_mode_16_64 3
		.amdhsa_fp16_overflow 0
		.amdhsa_workgroup_processor_mode 1
		.amdhsa_memory_ordered 1
		.amdhsa_forward_progress 1
		.amdhsa_inst_pref_size 15
		.amdhsa_round_robin_scheduling 0
		.amdhsa_exception_fp_ieee_invalid_op 0
		.amdhsa_exception_fp_denorm_src 0
		.amdhsa_exception_fp_ieee_div_zero 0
		.amdhsa_exception_fp_ieee_overflow 0
		.amdhsa_exception_fp_ieee_underflow 0
		.amdhsa_exception_fp_ieee_inexact 0
		.amdhsa_exception_int_div_zero 0
	.end_amdhsa_kernel
	.section	.text._ZL29rocblas_internal_gemmt_kernelIiLi16ELi32ELi8ELc84ELc67ELc85ELb0ELb0EffPKfPfEviT_T9_T10_S3_lS5_S3_lS4_T11_S3_li,"axG",@progbits,_ZL29rocblas_internal_gemmt_kernelIiLi16ELi32ELi8ELc84ELc67ELc85ELb0ELb0EffPKfPfEviT_T9_T10_S3_lS5_S3_lS4_T11_S3_li,comdat
.Lfunc_end23:
	.size	_ZL29rocblas_internal_gemmt_kernelIiLi16ELi32ELi8ELc84ELc67ELc85ELb0ELb0EffPKfPfEviT_T9_T10_S3_lS5_S3_lS4_T11_S3_li, .Lfunc_end23-_ZL29rocblas_internal_gemmt_kernelIiLi16ELi32ELi8ELc84ELc67ELc85ELb0ELb0EffPKfPfEviT_T9_T10_S3_lS5_S3_lS4_T11_S3_li
                                        ; -- End function
	.set _ZL29rocblas_internal_gemmt_kernelIiLi16ELi32ELi8ELc84ELc67ELc85ELb0ELb0EffPKfPfEviT_T9_T10_S3_lS5_S3_lS4_T11_S3_li.num_vgpr, 52
	.set _ZL29rocblas_internal_gemmt_kernelIiLi16ELi32ELi8ELc84ELc67ELc85ELb0ELb0EffPKfPfEviT_T9_T10_S3_lS5_S3_lS4_T11_S3_li.num_agpr, 0
	.set _ZL29rocblas_internal_gemmt_kernelIiLi16ELi32ELi8ELc84ELc67ELc85ELb0ELb0EffPKfPfEviT_T9_T10_S3_lS5_S3_lS4_T11_S3_li.numbered_sgpr, 32
	.set _ZL29rocblas_internal_gemmt_kernelIiLi16ELi32ELi8ELc84ELc67ELc85ELb0ELb0EffPKfPfEviT_T9_T10_S3_lS5_S3_lS4_T11_S3_li.num_named_barrier, 0
	.set _ZL29rocblas_internal_gemmt_kernelIiLi16ELi32ELi8ELc84ELc67ELc85ELb0ELb0EffPKfPfEviT_T9_T10_S3_lS5_S3_lS4_T11_S3_li.private_seg_size, 0
	.set _ZL29rocblas_internal_gemmt_kernelIiLi16ELi32ELi8ELc84ELc67ELc85ELb0ELb0EffPKfPfEviT_T9_T10_S3_lS5_S3_lS4_T11_S3_li.uses_vcc, 1
	.set _ZL29rocblas_internal_gemmt_kernelIiLi16ELi32ELi8ELc84ELc67ELc85ELb0ELb0EffPKfPfEviT_T9_T10_S3_lS5_S3_lS4_T11_S3_li.uses_flat_scratch, 0
	.set _ZL29rocblas_internal_gemmt_kernelIiLi16ELi32ELi8ELc84ELc67ELc85ELb0ELb0EffPKfPfEviT_T9_T10_S3_lS5_S3_lS4_T11_S3_li.has_dyn_sized_stack, 0
	.set _ZL29rocblas_internal_gemmt_kernelIiLi16ELi32ELi8ELc84ELc67ELc85ELb0ELb0EffPKfPfEviT_T9_T10_S3_lS5_S3_lS4_T11_S3_li.has_recursion, 0
	.set _ZL29rocblas_internal_gemmt_kernelIiLi16ELi32ELi8ELc84ELc67ELc85ELb0ELb0EffPKfPfEviT_T9_T10_S3_lS5_S3_lS4_T11_S3_li.has_indirect_call, 0
	.section	.AMDGPU.csdata,"",@progbits
; Kernel info:
; codeLenInByte = 1804
; TotalNumSgprs: 34
; NumVgprs: 52
; ScratchSize: 0
; MemoryBound: 0
; FloatMode: 240
; IeeeMode: 1
; LDSByteSize: 2048 bytes/workgroup (compile time only)
; SGPRBlocks: 0
; VGPRBlocks: 6
; NumSGPRsForWavesPerEU: 34
; NumVGPRsForWavesPerEU: 52
; Occupancy: 16
; WaveLimiterHint : 0
; COMPUTE_PGM_RSRC2:SCRATCH_EN: 0
; COMPUTE_PGM_RSRC2:USER_SGPR: 2
; COMPUTE_PGM_RSRC2:TRAP_HANDLER: 0
; COMPUTE_PGM_RSRC2:TGID_X_EN: 1
; COMPUTE_PGM_RSRC2:TGID_Y_EN: 1
; COMPUTE_PGM_RSRC2:TGID_Z_EN: 1
; COMPUTE_PGM_RSRC2:TIDIG_COMP_CNT: 1
	.section	.text._ZL29rocblas_internal_gemmt_kernelIiLi16ELi32ELi8ELc67ELc78ELc85ELb0ELb0EffPKfPfEviT_T9_T10_S3_lS5_S3_lS4_T11_S3_li,"axG",@progbits,_ZL29rocblas_internal_gemmt_kernelIiLi16ELi32ELi8ELc67ELc78ELc85ELb0ELb0EffPKfPfEviT_T9_T10_S3_lS5_S3_lS4_T11_S3_li,comdat
	.globl	_ZL29rocblas_internal_gemmt_kernelIiLi16ELi32ELi8ELc67ELc78ELc85ELb0ELb0EffPKfPfEviT_T9_T10_S3_lS5_S3_lS4_T11_S3_li ; -- Begin function _ZL29rocblas_internal_gemmt_kernelIiLi16ELi32ELi8ELc67ELc78ELc85ELb0ELb0EffPKfPfEviT_T9_T10_S3_lS5_S3_lS4_T11_S3_li
	.p2align	8
	.type	_ZL29rocblas_internal_gemmt_kernelIiLi16ELi32ELi8ELc67ELc78ELc85ELb0ELb0EffPKfPfEviT_T9_T10_S3_lS5_S3_lS4_T11_S3_li,@function
_ZL29rocblas_internal_gemmt_kernelIiLi16ELi32ELi8ELc67ELc78ELc85ELb0ELb0EffPKfPfEviT_T9_T10_S3_lS5_S3_lS4_T11_S3_li: ; @_ZL29rocblas_internal_gemmt_kernelIiLi16ELi32ELi8ELc67ELc78ELc85ELb0ELb0EffPKfPfEviT_T9_T10_S3_lS5_S3_lS4_T11_S3_li
; %bb.0:
	s_clause 0x1
	s_load_b32 s11, s[0:1], 0x40
	s_load_b96 s[8:10], s[0:1], 0x0
	s_wait_kmcnt 0x0
	s_cmp_neq_f32 s11, 1.0
	s_cselect_b32 s2, -1, 0
	s_delay_alu instid0(SALU_CYCLE_1)
	s_and_b32 vcc_lo, exec_lo, s2
	s_cbranch_vccnz .LBB24_2
; %bb.1:
	s_cmp_lg_u32 s9, 0
	s_cselect_b32 s2, -1, 0
	s_cmp_neq_f32 s10, 0
	s_cselect_b32 s3, -1, 0
	s_delay_alu instid0(SALU_CYCLE_1)
	s_and_b32 s2, s2, s3
.LBB24_2:
	s_delay_alu instid0(SALU_CYCLE_1)
	s_and_not1_b32 vcc_lo, exec_lo, s2
	s_cbranch_vccnz .LBB24_33
; %bb.3:
	s_load_b32 s15, s[0:1], 0x60
	s_lshr_b32 s20, ttmp7, 16
	s_wait_kmcnt 0x0
	s_cmp_ge_u32 s20, s15
	s_cbranch_scc1 .LBB24_33
; %bb.4:
	v_and_b32_e32 v1, 0x3ff, v0
	v_bfe_u32 v3, v0, 10, 10
	v_and_b32_e32 v16, 7, v0
	s_clause 0x5
	s_load_b96 s[16:18], s[0:1], 0x10
	s_load_b128 s[4:7], s[0:1], 0x20
	s_load_b32 s28, s[0:1], 0x30
	s_load_b64 s[24:25], s[0:1], 0x38
	s_load_b96 s[12:14], s[0:1], 0x48
	s_load_b64 s[22:23], s[0:1], 0x58
	s_lshl_b32 s2, ttmp9, 5
	v_lshl_add_u32 v0, v3, 4, v1
	v_lshlrev_b32_e32 v12, 2, v16
	s_lshl_b32 s3, ttmp7, 5
	v_lshlrev_b32_e32 v20, 2, v1
	s_and_b32 s3, s3, 0x1fffe0
	v_lshrrev_b32_e32 v17, 5, v0
	v_lshrrev_b32_e32 v2, 3, v0
	v_and_b32_e32 v0, 31, v0
	v_add_nc_u32_e32 v5, s3, v3
	s_cmp_neq_f32 s10, 0
	v_lshlrev_b32_e32 v14, 2, v17
	v_add_nc_u32_e32 v6, s3, v2
	v_or_b32_e32 v4, s2, v0
	v_lshlrev_b32_e32 v0, 2, v0
	v_lshl_or_b32 v2, v2, 5, v12
	v_cmp_gt_i32_e32 vcc_lo, s8, v5
	v_add_nc_u32_e32 v13, 16, v5
	v_cmp_gt_i32_e64 s0, s8, v4
	v_lshl_or_b32 v18, v17, 7, v0
	v_add_nc_u32_e32 v0, s2, v1
	v_add_nc_u32_e32 v19, 0x400, v2
	s_wait_kmcnt 0x0
	v_mad_co_i64_i32 v[8:9], null, v5, s14, 0
	v_cmp_gt_i32_e64 s1, s8, v6
	v_add_nc_u32_e32 v2, 16, v0
	v_cmp_le_i32_e64 s2, v0, v5
	v_mad_co_i64_i32 v[6:7], null, s28, v6, 0
	s_cselect_b32 s29, -1, 0
	v_cmp_le_i32_e64 s3, v2, v5
	v_mad_co_i64_i32 v[4:5], null, s18, v4, 0
	s_cmp_gt_i32 s9, 0
	v_mad_co_i64_i32 v[10:11], null, v13, s14, 0
	s_cselect_b32 s30, -1, 0
	s_cmp_neq_f32 s11, 0
	v_lshlrev_b64_e32 v[6:7], 2, v[6:7]
	v_lshlrev_b64_e32 v[4:5], 2, v[4:5]
	;; [unrolled: 1-line block ×3, first 2 shown]
	s_cselect_b32 s19, -1, 0
	s_and_b32 s27, vcc_lo, s3
	s_and_b32 s26, vcc_lo, s2
	v_cmp_gt_i32_e32 vcc_lo, s8, v13
	v_add_co_u32 v4, s3, v4, v14
	v_cmp_le_i32_e64 s2, v0, v13
	s_wait_alu 0xf1ff
	v_add_co_ci_u32_e64 v5, null, 0, v5, s3
	v_add_co_u32 v6, s3, v6, v12
	s_wait_alu 0xf1ff
	v_add_co_ci_u32_e64 v7, null, 0, v7, s3
	v_add_co_u32 v4, s3, s16, v4
	s_and_b32 s8, vcc_lo, s2
	v_cmp_le_i32_e64 s2, v2, v13
	v_add_co_ci_u32_e64 v5, null, s17, v5, s3
	v_add_co_u32 v6, s3, s6, v6
	v_lshlrev_b64_e32 v[10:11], 2, v[10:11]
	v_lshl_add_u32 v21, v3, 5, 0x400
	v_ashrrev_i32_e32 v1, 31, v0
	v_ashrrev_i32_e32 v3, 31, v2
	s_wait_alu 0xf1ff
	v_add_co_ci_u32_e64 v7, null, s7, v7, s3
	s_mov_b32 s21, 0
	s_wait_alu 0xfffe
	s_and_b32 s14, s29, s30
	s_and_b32 s16, vcc_lo, s2
	s_lshl_b64 s[2:3], s[4:5], 2
	s_lshl_b64 s[4:5], s[24:25], 2
	s_branch .LBB24_6
.LBB24_5:                               ;   in Loop: Header=BB24_6 Depth=1
	s_wait_alu 0xfffe
	s_or_b32 exec_lo, exec_lo, s6
	s_add_co_i32 s20, s20, 0x10000
	s_wait_alu 0xfffe
	s_cmp_lt_u32 s20, s15
	s_cbranch_scc0 .LBB24_33
.LBB24_6:                               ; =>This Loop Header: Depth=1
                                        ;     Child Loop BB24_9 Depth 2
	v_dual_mov_b32 v25, 0 :: v_dual_mov_b32 v24, 0
	v_dual_mov_b32 v23, 0 :: v_dual_mov_b32 v22, 0
	s_wait_alu 0xfffe
	s_and_not1_b32 vcc_lo, exec_lo, s14
	s_wait_alu 0xfffe
	s_cbranch_vccnz .LBB24_13
; %bb.7:                                ;   in Loop: Header=BB24_6 Depth=1
	v_mad_co_u64_u32 v[12:13], null, s2, s20, v[4:5]
	v_mad_co_u64_u32 v[14:15], null, s4, s20, v[6:7]
	v_dual_mov_b32 v22, 0 :: v_dual_mov_b32 v23, 0
	s_mov_b32 s6, 0
	s_delay_alu instid0(VALU_DEP_2) | instskip(NEXT) | instid1(VALU_DEP_3)
	v_mad_co_u64_u32 v[25:26], null, s3, s20, v[13:14]
	v_mad_co_u64_u32 v[26:27], null, s5, s20, v[15:16]
	s_delay_alu instid0(VALU_DEP_2) | instskip(SKIP_1) | instid1(VALU_DEP_3)
	v_dual_mov_b32 v24, 0 :: v_dual_mov_b32 v13, v25
	v_mov_b32_e32 v25, 0
	v_mov_b32_e32 v15, v26
	s_branch .LBB24_9
.LBB24_8:                               ;   in Loop: Header=BB24_9 Depth=2
	s_wait_alu 0xfffe
	s_or_b32 exec_lo, exec_lo, s7
	s_wait_loadcnt 0x0
	ds_store_b32 v19, v27
	s_wait_dscnt 0x0
	s_barrier_signal -1
	s_barrier_wait -1
	global_inv scope:SCOPE_SE
	ds_load_b128 v[26:29], v21
	ds_load_2addr_b32 v[42:43], v20 offset1:16
	ds_load_b128 v[30:33], v21 offset:512
	ds_load_2addr_b32 v[44:45], v20 offset0:32 offset1:48
	ds_load_2addr_b32 v[46:47], v20 offset0:64 offset1:80
	;; [unrolled: 1-line block ×3, first 2 shown]
	ds_load_b128 v[34:37], v21 offset:16
	ds_load_2addr_b32 v[50:51], v20 offset0:128 offset1:144
	ds_load_b128 v[38:41], v21 offset:528
	v_add_co_u32 v12, vcc_lo, v12, 32
	s_wait_alu 0xfffd
	v_add_co_ci_u32_e64 v13, null, 0, v13, vcc_lo
	v_add_co_u32 v14, vcc_lo, v14, 32
	s_wait_alu 0xfffd
	v_add_co_ci_u32_e64 v15, null, 0, v15, vcc_lo
	s_add_co_i32 s6, s6, 8
	s_wait_alu 0xfffe
	s_cmp_lt_i32 s6, s9
	s_wait_dscnt 0x7
	v_fmac_f32_e32 v24, v43, v26
	v_fmac_f32_e32 v25, v42, v26
	s_wait_dscnt 0x6
	v_fmac_f32_e32 v22, v43, v30
	v_fmac_f32_e32 v23, v42, v30
	ds_load_2addr_b32 v[42:43], v20 offset0:160 offset1:176
	s_wait_dscnt 0x6
	v_fmac_f32_e32 v24, v45, v27
	v_fmac_f32_e32 v25, v44, v27
	v_fmac_f32_e32 v22, v45, v31
	v_fmac_f32_e32 v23, v44, v31
	ds_load_2addr_b32 v[26:27], v20 offset0:192 offset1:208
	s_wait_dscnt 0x6
	v_fmac_f32_e32 v24, v47, v28
	v_fmac_f32_e32 v25, v46, v28
	;; [unrolled: 6-line block ×3, first 2 shown]
	v_fmac_f32_e32 v22, v49, v33
	v_fmac_f32_e32 v23, v48, v33
	s_wait_loadcnt_dscnt 0x0
	v_fmac_f32_e32 v24, v51, v34
	v_fmac_f32_e32 v25, v50, v34
	;; [unrolled: 1-line block ×4, first 2 shown]
	s_barrier_signal -1
	v_fmac_f32_e32 v24, v43, v35
	v_fmac_f32_e32 v25, v42, v35
	v_fmac_f32_e32 v22, v43, v39
	v_fmac_f32_e32 v23, v42, v39
	s_barrier_wait -1
	v_fmac_f32_e32 v24, v27, v36
	v_fmac_f32_e32 v25, v26, v36
	;; [unrolled: 1-line block ×4, first 2 shown]
	global_inv scope:SCOPE_SE
	v_fmac_f32_e32 v24, v31, v37
	v_fmac_f32_e32 v25, v30, v37
	;; [unrolled: 1-line block ×4, first 2 shown]
	s_cbranch_scc0 .LBB24_13
.LBB24_9:                               ;   Parent Loop BB24_6 Depth=1
                                        ; =>  This Inner Loop Header: Depth=2
	s_wait_alu 0xfffe
	v_add_nc_u32_e32 v26, s6, v17
	s_delay_alu instid0(VALU_DEP_1)
	v_cmp_gt_i32_e32 vcc_lo, s9, v26
	v_mov_b32_e32 v26, 0
	s_and_b32 s17, s0, vcc_lo
	s_wait_alu 0xfffe
	s_and_saveexec_b32 s7, s17
	s_cbranch_execz .LBB24_11
; %bb.10:                               ;   in Loop: Header=BB24_9 Depth=2
	global_load_b32 v26, v[12:13], off
.LBB24_11:                              ;   in Loop: Header=BB24_9 Depth=2
	s_wait_alu 0xfffe
	s_or_b32 exec_lo, exec_lo, s7
	v_add_nc_u32_e32 v27, s6, v16
	s_wait_loadcnt 0x0
	ds_store_b32 v18, v26
	v_cmp_gt_i32_e32 vcc_lo, s9, v27
	v_mov_b32_e32 v27, 0
	s_and_b32 s17, vcc_lo, s1
	s_wait_alu 0xfffe
	s_and_saveexec_b32 s7, s17
	s_cbranch_execz .LBB24_8
; %bb.12:                               ;   in Loop: Header=BB24_9 Depth=2
	global_load_b32 v27, v[14:15], off
	s_branch .LBB24_8
.LBB24_13:                              ;   in Loop: Header=BB24_6 Depth=1
	s_mul_u64 s[6:7], s[22:23], s[20:21]
	s_wait_alu 0xfffe
	s_lshl_b64 s[6:7], s[6:7], 2
	s_wait_alu 0xfffe
	s_add_nc_u64 s[6:7], s[12:13], s[6:7]
	s_wait_alu 0xfffe
	v_add_co_u32 v12, vcc_lo, s6, v8
	s_wait_alu 0xfffd
	v_add_co_ci_u32_e64 v13, null, s7, v9, vcc_lo
	s_and_saveexec_b32 s17, s26
	s_cbranch_execz .LBB24_17
; %bb.14:                               ;   in Loop: Header=BB24_6 Depth=1
	v_mul_f32_e32 v14, s10, v25
	s_and_b32 vcc_lo, exec_lo, s19
	s_wait_alu 0xfffe
	s_cbranch_vccz .LBB24_28
; %bb.15:                               ;   in Loop: Header=BB24_6 Depth=1
	v_lshlrev_b64_e32 v[25:26], 2, v[0:1]
	s_delay_alu instid0(VALU_DEP_1) | instskip(SKIP_1) | instid1(VALU_DEP_2)
	v_add_co_u32 v25, vcc_lo, v12, v25
	s_wait_alu 0xfffd
	v_add_co_ci_u32_e64 v26, null, v13, v26, vcc_lo
	global_load_b32 v15, v[25:26], off
	s_wait_loadcnt 0x0
	v_fma_f32 v15, s11, v15, v14
	global_store_b32 v[25:26], v15, off
	s_cbranch_execnz .LBB24_17
.LBB24_16:                              ;   in Loop: Header=BB24_6 Depth=1
	v_lshlrev_b64_e32 v[25:26], 2, v[0:1]
	s_delay_alu instid0(VALU_DEP_1) | instskip(SKIP_1) | instid1(VALU_DEP_2)
	v_add_co_u32 v25, vcc_lo, v12, v25
	s_wait_alu 0xfffd
	v_add_co_ci_u32_e64 v26, null, v13, v26, vcc_lo
	global_store_b32 v[25:26], v14, off
.LBB24_17:                              ;   in Loop: Header=BB24_6 Depth=1
	s_wait_alu 0xfffe
	s_or_b32 exec_lo, exec_lo, s17
	s_and_saveexec_b32 s17, s27
	s_cbranch_execz .LBB24_21
; %bb.18:                               ;   in Loop: Header=BB24_6 Depth=1
	v_mul_f32_e32 v14, s10, v24
	s_and_not1_b32 vcc_lo, exec_lo, s19
	s_wait_alu 0xfffe
	s_cbranch_vccnz .LBB24_29
; %bb.19:                               ;   in Loop: Header=BB24_6 Depth=1
	v_lshlrev_b64_e32 v[24:25], 2, v[2:3]
	s_delay_alu instid0(VALU_DEP_1) | instskip(SKIP_1) | instid1(VALU_DEP_2)
	v_add_co_u32 v24, vcc_lo, v12, v24
	s_wait_alu 0xfffd
	v_add_co_ci_u32_e64 v25, null, v13, v25, vcc_lo
	global_load_b32 v15, v[24:25], off
	s_wait_loadcnt 0x0
	v_fma_f32 v15, s11, v15, v14
	global_store_b32 v[24:25], v15, off
	s_cbranch_execnz .LBB24_21
.LBB24_20:                              ;   in Loop: Header=BB24_6 Depth=1
	v_lshlrev_b64_e32 v[24:25], 2, v[2:3]
	s_delay_alu instid0(VALU_DEP_1) | instskip(SKIP_1) | instid1(VALU_DEP_2)
	v_add_co_u32 v12, vcc_lo, v12, v24
	s_wait_alu 0xfffd
	v_add_co_ci_u32_e64 v13, null, v13, v25, vcc_lo
	global_store_b32 v[12:13], v14, off
.LBB24_21:                              ;   in Loop: Header=BB24_6 Depth=1
	s_wait_alu 0xfffe
	s_or_b32 exec_lo, exec_lo, s17
	v_add_co_u32 v14, vcc_lo, s6, v10
	s_wait_alu 0xfffd
	v_add_co_ci_u32_e64 v15, null, s7, v11, vcc_lo
	s_and_saveexec_b32 s6, s8
	s_cbranch_execz .LBB24_25
; %bb.22:                               ;   in Loop: Header=BB24_6 Depth=1
	v_lshlrev_b64_e32 v[12:13], 2, v[0:1]
	v_mul_f32_e32 v23, s10, v23
	s_and_not1_b32 vcc_lo, exec_lo, s19
	s_wait_alu 0xfffe
	s_cbranch_vccnz .LBB24_30
; %bb.23:                               ;   in Loop: Header=BB24_6 Depth=1
	s_delay_alu instid0(VALU_DEP_2)
	v_add_co_u32 v24, vcc_lo, v14, v12
	s_wait_alu 0xfffd
	v_add_co_ci_u32_e64 v25, null, v15, v13, vcc_lo
	global_load_b32 v26, v[24:25], off
	s_wait_loadcnt 0x0
	v_fma_f32 v26, s11, v26, v23
	global_store_b32 v[24:25], v26, off
	s_cbranch_execnz .LBB24_25
.LBB24_24:                              ;   in Loop: Header=BB24_6 Depth=1
	v_add_co_u32 v12, vcc_lo, v14, v12
	s_wait_alu 0xfffd
	v_add_co_ci_u32_e64 v13, null, v15, v13, vcc_lo
	global_store_b32 v[12:13], v23, off
.LBB24_25:                              ;   in Loop: Header=BB24_6 Depth=1
	s_wait_alu 0xfffe
	s_or_b32 exec_lo, exec_lo, s6
	s_and_saveexec_b32 s6, s16
	s_cbranch_execz .LBB24_5
; %bb.26:                               ;   in Loop: Header=BB24_6 Depth=1
	v_lshlrev_b64_e32 v[12:13], 2, v[2:3]
	v_mul_f32_e32 v22, s10, v22
	s_and_not1_b32 vcc_lo, exec_lo, s19
	s_wait_alu 0xfffe
	s_cbranch_vccnz .LBB24_31
; %bb.27:                               ;   in Loop: Header=BB24_6 Depth=1
	s_delay_alu instid0(VALU_DEP_2)
	v_add_co_u32 v23, vcc_lo, v14, v12
	s_wait_alu 0xfffd
	v_add_co_ci_u32_e64 v24, null, v15, v13, vcc_lo
	global_load_b32 v25, v[23:24], off
	s_wait_loadcnt 0x0
	v_fma_f32 v25, s11, v25, v22
	global_store_b32 v[23:24], v25, off
	s_cbranch_execnz .LBB24_5
	s_branch .LBB24_32
.LBB24_28:                              ;   in Loop: Header=BB24_6 Depth=1
	s_branch .LBB24_16
.LBB24_29:                              ;   in Loop: Header=BB24_6 Depth=1
	s_branch .LBB24_20
.LBB24_30:                              ;   in Loop: Header=BB24_6 Depth=1
	s_branch .LBB24_24
.LBB24_31:                              ;   in Loop: Header=BB24_6 Depth=1
.LBB24_32:                              ;   in Loop: Header=BB24_6 Depth=1
	s_delay_alu instid0(VALU_DEP_2)
	v_add_co_u32 v12, vcc_lo, v14, v12
	s_wait_alu 0xfffd
	v_add_co_ci_u32_e64 v13, null, v15, v13, vcc_lo
	global_store_b32 v[12:13], v22, off
	s_branch .LBB24_5
.LBB24_33:
	s_endpgm
	.section	.rodata,"a",@progbits
	.p2align	6, 0x0
	.amdhsa_kernel _ZL29rocblas_internal_gemmt_kernelIiLi16ELi32ELi8ELc67ELc78ELc85ELb0ELb0EffPKfPfEviT_T9_T10_S3_lS5_S3_lS4_T11_S3_li
		.amdhsa_group_segment_fixed_size 2048
		.amdhsa_private_segment_fixed_size 0
		.amdhsa_kernarg_size 100
		.amdhsa_user_sgpr_count 2
		.amdhsa_user_sgpr_dispatch_ptr 0
		.amdhsa_user_sgpr_queue_ptr 0
		.amdhsa_user_sgpr_kernarg_segment_ptr 1
		.amdhsa_user_sgpr_dispatch_id 0
		.amdhsa_user_sgpr_private_segment_size 0
		.amdhsa_wavefront_size32 1
		.amdhsa_uses_dynamic_stack 0
		.amdhsa_enable_private_segment 0
		.amdhsa_system_sgpr_workgroup_id_x 1
		.amdhsa_system_sgpr_workgroup_id_y 1
		.amdhsa_system_sgpr_workgroup_id_z 1
		.amdhsa_system_sgpr_workgroup_info 0
		.amdhsa_system_vgpr_workitem_id 1
		.amdhsa_next_free_vgpr 52
		.amdhsa_next_free_sgpr 31
		.amdhsa_reserve_vcc 1
		.amdhsa_float_round_mode_32 0
		.amdhsa_float_round_mode_16_64 0
		.amdhsa_float_denorm_mode_32 3
		.amdhsa_float_denorm_mode_16_64 3
		.amdhsa_fp16_overflow 0
		.amdhsa_workgroup_processor_mode 1
		.amdhsa_memory_ordered 1
		.amdhsa_forward_progress 1
		.amdhsa_inst_pref_size 14
		.amdhsa_round_robin_scheduling 0
		.amdhsa_exception_fp_ieee_invalid_op 0
		.amdhsa_exception_fp_denorm_src 0
		.amdhsa_exception_fp_ieee_div_zero 0
		.amdhsa_exception_fp_ieee_overflow 0
		.amdhsa_exception_fp_ieee_underflow 0
		.amdhsa_exception_fp_ieee_inexact 0
		.amdhsa_exception_int_div_zero 0
	.end_amdhsa_kernel
	.section	.text._ZL29rocblas_internal_gemmt_kernelIiLi16ELi32ELi8ELc67ELc78ELc85ELb0ELb0EffPKfPfEviT_T9_T10_S3_lS5_S3_lS4_T11_S3_li,"axG",@progbits,_ZL29rocblas_internal_gemmt_kernelIiLi16ELi32ELi8ELc67ELc78ELc85ELb0ELb0EffPKfPfEviT_T9_T10_S3_lS5_S3_lS4_T11_S3_li,comdat
.Lfunc_end24:
	.size	_ZL29rocblas_internal_gemmt_kernelIiLi16ELi32ELi8ELc67ELc78ELc85ELb0ELb0EffPKfPfEviT_T9_T10_S3_lS5_S3_lS4_T11_S3_li, .Lfunc_end24-_ZL29rocblas_internal_gemmt_kernelIiLi16ELi32ELi8ELc67ELc78ELc85ELb0ELb0EffPKfPfEviT_T9_T10_S3_lS5_S3_lS4_T11_S3_li
                                        ; -- End function
	.set _ZL29rocblas_internal_gemmt_kernelIiLi16ELi32ELi8ELc67ELc78ELc85ELb0ELb0EffPKfPfEviT_T9_T10_S3_lS5_S3_lS4_T11_S3_li.num_vgpr, 52
	.set _ZL29rocblas_internal_gemmt_kernelIiLi16ELi32ELi8ELc67ELc78ELc85ELb0ELb0EffPKfPfEviT_T9_T10_S3_lS5_S3_lS4_T11_S3_li.num_agpr, 0
	.set _ZL29rocblas_internal_gemmt_kernelIiLi16ELi32ELi8ELc67ELc78ELc85ELb0ELb0EffPKfPfEviT_T9_T10_S3_lS5_S3_lS4_T11_S3_li.numbered_sgpr, 31
	.set _ZL29rocblas_internal_gemmt_kernelIiLi16ELi32ELi8ELc67ELc78ELc85ELb0ELb0EffPKfPfEviT_T9_T10_S3_lS5_S3_lS4_T11_S3_li.num_named_barrier, 0
	.set _ZL29rocblas_internal_gemmt_kernelIiLi16ELi32ELi8ELc67ELc78ELc85ELb0ELb0EffPKfPfEviT_T9_T10_S3_lS5_S3_lS4_T11_S3_li.private_seg_size, 0
	.set _ZL29rocblas_internal_gemmt_kernelIiLi16ELi32ELi8ELc67ELc78ELc85ELb0ELb0EffPKfPfEviT_T9_T10_S3_lS5_S3_lS4_T11_S3_li.uses_vcc, 1
	.set _ZL29rocblas_internal_gemmt_kernelIiLi16ELi32ELi8ELc67ELc78ELc85ELb0ELb0EffPKfPfEviT_T9_T10_S3_lS5_S3_lS4_T11_S3_li.uses_flat_scratch, 0
	.set _ZL29rocblas_internal_gemmt_kernelIiLi16ELi32ELi8ELc67ELc78ELc85ELb0ELb0EffPKfPfEviT_T9_T10_S3_lS5_S3_lS4_T11_S3_li.has_dyn_sized_stack, 0
	.set _ZL29rocblas_internal_gemmt_kernelIiLi16ELi32ELi8ELc67ELc78ELc85ELb0ELb0EffPKfPfEviT_T9_T10_S3_lS5_S3_lS4_T11_S3_li.has_recursion, 0
	.set _ZL29rocblas_internal_gemmt_kernelIiLi16ELi32ELi8ELc67ELc78ELc85ELb0ELb0EffPKfPfEviT_T9_T10_S3_lS5_S3_lS4_T11_S3_li.has_indirect_call, 0
	.section	.AMDGPU.csdata,"",@progbits
; Kernel info:
; codeLenInByte = 1784
; TotalNumSgprs: 33
; NumVgprs: 52
; ScratchSize: 0
; MemoryBound: 0
; FloatMode: 240
; IeeeMode: 1
; LDSByteSize: 2048 bytes/workgroup (compile time only)
; SGPRBlocks: 0
; VGPRBlocks: 6
; NumSGPRsForWavesPerEU: 33
; NumVGPRsForWavesPerEU: 52
; Occupancy: 16
; WaveLimiterHint : 0
; COMPUTE_PGM_RSRC2:SCRATCH_EN: 0
; COMPUTE_PGM_RSRC2:USER_SGPR: 2
; COMPUTE_PGM_RSRC2:TRAP_HANDLER: 0
; COMPUTE_PGM_RSRC2:TGID_X_EN: 1
; COMPUTE_PGM_RSRC2:TGID_Y_EN: 1
; COMPUTE_PGM_RSRC2:TGID_Z_EN: 1
; COMPUTE_PGM_RSRC2:TIDIG_COMP_CNT: 1
	.section	.text._ZL29rocblas_internal_gemmt_kernelIiLi16ELi32ELi8ELc67ELc84ELc85ELb0ELb0EffPKfPfEviT_T9_T10_S3_lS5_S3_lS4_T11_S3_li,"axG",@progbits,_ZL29rocblas_internal_gemmt_kernelIiLi16ELi32ELi8ELc67ELc84ELc85ELb0ELb0EffPKfPfEviT_T9_T10_S3_lS5_S3_lS4_T11_S3_li,comdat
	.globl	_ZL29rocblas_internal_gemmt_kernelIiLi16ELi32ELi8ELc67ELc84ELc85ELb0ELb0EffPKfPfEviT_T9_T10_S3_lS5_S3_lS4_T11_S3_li ; -- Begin function _ZL29rocblas_internal_gemmt_kernelIiLi16ELi32ELi8ELc67ELc84ELc85ELb0ELb0EffPKfPfEviT_T9_T10_S3_lS5_S3_lS4_T11_S3_li
	.p2align	8
	.type	_ZL29rocblas_internal_gemmt_kernelIiLi16ELi32ELi8ELc67ELc84ELc85ELb0ELb0EffPKfPfEviT_T9_T10_S3_lS5_S3_lS4_T11_S3_li,@function
_ZL29rocblas_internal_gemmt_kernelIiLi16ELi32ELi8ELc67ELc84ELc85ELb0ELb0EffPKfPfEviT_T9_T10_S3_lS5_S3_lS4_T11_S3_li: ; @_ZL29rocblas_internal_gemmt_kernelIiLi16ELi32ELi8ELc67ELc84ELc85ELb0ELb0EffPKfPfEviT_T9_T10_S3_lS5_S3_lS4_T11_S3_li
; %bb.0:
	s_clause 0x1
	s_load_b32 s11, s[0:1], 0x40
	s_load_b96 s[8:10], s[0:1], 0x0
	s_wait_kmcnt 0x0
	s_cmp_neq_f32 s11, 1.0
	s_cselect_b32 s2, -1, 0
	s_delay_alu instid0(SALU_CYCLE_1)
	s_and_b32 vcc_lo, exec_lo, s2
	s_cbranch_vccnz .LBB25_2
; %bb.1:
	s_cmp_lg_u32 s9, 0
	s_cselect_b32 s2, -1, 0
	s_cmp_neq_f32 s10, 0
	s_cselect_b32 s3, -1, 0
	s_delay_alu instid0(SALU_CYCLE_1)
	s_and_b32 s2, s2, s3
.LBB25_2:
	s_delay_alu instid0(SALU_CYCLE_1)
	s_and_not1_b32 vcc_lo, exec_lo, s2
	s_cbranch_vccnz .LBB25_33
; %bb.3:
	s_load_b32 s19, s[0:1], 0x60
	s_lshr_b32 s20, ttmp7, 16
	s_wait_kmcnt 0x0
	s_cmp_ge_u32 s20, s19
	s_cbranch_scc1 .LBB25_33
; %bb.4:
	v_and_b32_e32 v1, 0x3ff, v0
	v_bfe_u32 v3, v0, 10, 10
	v_and_b32_e32 v16, 7, v0
	s_clause 0x5
	s_load_b32 s24, s[0:1], 0x30
	s_load_b96 s[16:18], s[0:1], 0x10
	s_load_b128 s[4:7], s[0:1], 0x20
	s_load_b64 s[26:27], s[0:1], 0x38
	s_load_b96 s[12:14], s[0:1], 0x48
	s_load_b64 s[22:23], s[0:1], 0x58
	v_lshl_add_u32 v0, v3, 4, v1
	v_lshlrev_b32_e32 v4, 2, v16
	s_lshl_b32 s2, ttmp9, 5
	s_lshl_b32 s0, ttmp7, 5
	v_lshlrev_b32_e32 v20, 2, v1
	v_and_b32_e32 v2, 31, v0
	v_lshrrev_b32_e32 v5, 3, v0
	v_lshrrev_b32_e32 v17, 5, v0
	s_and_b32 s3, s0, 0x1fffe0
	v_lshl_add_u32 v21, v3, 5, 0x400
	v_lshlrev_b32_e32 v0, 2, v2
	v_or_b32_e32 v6, s2, v2
	v_lshl_or_b32 v2, v5, 5, v4
	v_add_nc_u32_e32 v4, s3, v3
	v_add_nc_u32_e32 v12, s3, v5
	v_lshl_or_b32 v18, v17, 7, v0
	v_add_nc_u32_e32 v0, s2, v1
	v_add_nc_u32_e32 v19, 0x400, v2
	s_wait_kmcnt 0x0
	s_ashr_i32 s25, s24, 31
	s_cmp_neq_f32 s10, 0
	v_cmp_gt_i32_e32 vcc_lo, s8, v4
	v_add_nc_u32_e32 v2, 16, v0
	v_cmp_le_i32_e64 s2, v0, v4
	v_mad_co_i64_i32 v[8:9], null, v4, s14, 0
	v_add_nc_u32_e32 v10, 16, v4
	s_delay_alu instid0(VALU_DEP_4)
	v_cmp_le_i32_e64 s3, v2, v4
	v_mad_co_i64_i32 v[4:5], null, s18, v6, 0
	v_cmp_gt_i32_e64 s0, s8, v6
	v_mad_co_i64_i32 v[6:7], null, s24, v16, 0
	s_cselect_b32 s15, -1, 0
	s_cmp_gt_i32 s9, 0
	v_lshlrev_b32_e32 v13, 2, v17
	s_cselect_b32 s31, -1, 0
	s_cmp_neq_f32 s11, 0
	v_lshlrev_b64_e32 v[4:5], 2, v[4:5]
	v_lshlrev_b64_e32 v[6:7], 2, v[6:7]
	v_cmp_gt_i32_e64 s1, s8, v12
	s_cselect_b32 s28, -1, 0
	s_and_b32 s29, vcc_lo, s2
	s_and_b32 s30, vcc_lo, s3
	v_cmp_gt_i32_e32 vcc_lo, s8, v10
	v_cmp_le_i32_e64 s2, v0, v10
	v_cmp_le_i32_e64 s3, v2, v10
	v_lshlrev_b32_e32 v12, 2, v12
	v_mad_co_i64_i32 v[10:11], null, v10, s14, 0
	s_and_b32 s8, vcc_lo, s2
	s_and_b32 s18, vcc_lo, s3
	v_add_co_u32 v4, vcc_lo, v4, v13
	s_delay_alu instid0(VALU_DEP_1)
	v_add_co_ci_u32_e64 v5, null, 0, v5, vcc_lo
	v_add_co_u32 v6, vcc_lo, v6, v12
	s_wait_alu 0xfffd
	v_add_co_ci_u32_e64 v7, null, 0, v7, vcc_lo
	v_add_co_u32 v4, vcc_lo, s16, v4
	s_wait_alu 0xfffd
	v_add_co_ci_u32_e64 v5, null, s17, v5, vcc_lo
	v_add_co_u32 v6, vcc_lo, s6, v6
	v_lshlrev_b64_e32 v[8:9], 2, v[8:9]
	v_lshlrev_b64_e32 v[10:11], 2, v[10:11]
	v_ashrrev_i32_e32 v1, 31, v0
	v_ashrrev_i32_e32 v3, 31, v2
	s_wait_alu 0xfffd
	v_add_co_ci_u32_e64 v7, null, s7, v7, vcc_lo
	s_mov_b32 s21, 0
	s_wait_alu 0xfffe
	s_and_b32 s16, s15, s31
	s_lshl_b64 s[2:3], s[4:5], 2
	s_lshl_b64 s[4:5], s[26:27], 2
	;; [unrolled: 1-line block ×3, first 2 shown]
	s_branch .LBB25_6
.LBB25_5:                               ;   in Loop: Header=BB25_6 Depth=1
	s_wait_alu 0xfffe
	s_or_b32 exec_lo, exec_lo, s14
	s_add_co_i32 s20, s20, 0x10000
	s_wait_alu 0xfffe
	s_cmp_lt_u32 s20, s19
	s_cbranch_scc0 .LBB25_33
.LBB25_6:                               ; =>This Loop Header: Depth=1
                                        ;     Child Loop BB25_9 Depth 2
	v_dual_mov_b32 v25, 0 :: v_dual_mov_b32 v24, 0
	v_dual_mov_b32 v23, 0 :: v_dual_mov_b32 v22, 0
	s_wait_alu 0xfffe
	s_and_not1_b32 vcc_lo, exec_lo, s16
	s_wait_alu 0xfffe
	s_cbranch_vccnz .LBB25_13
; %bb.7:                                ;   in Loop: Header=BB25_6 Depth=1
	v_mad_co_u64_u32 v[12:13], null, s2, s20, v[4:5]
	v_mad_co_u64_u32 v[14:15], null, s4, s20, v[6:7]
	v_dual_mov_b32 v22, 0 :: v_dual_mov_b32 v23, 0
	s_mov_b32 s14, 0
	s_delay_alu instid0(VALU_DEP_2) | instskip(NEXT) | instid1(VALU_DEP_3)
	v_mad_co_u64_u32 v[25:26], null, s3, s20, v[13:14]
	v_mad_co_u64_u32 v[26:27], null, s5, s20, v[15:16]
	s_delay_alu instid0(VALU_DEP_2) | instskip(SKIP_1) | instid1(VALU_DEP_3)
	v_dual_mov_b32 v24, 0 :: v_dual_mov_b32 v13, v25
	v_mov_b32_e32 v25, 0
	v_mov_b32_e32 v15, v26
	s_branch .LBB25_9
.LBB25_8:                               ;   in Loop: Header=BB25_9 Depth=2
	s_wait_alu 0xfffe
	s_or_b32 exec_lo, exec_lo, s15
	s_wait_loadcnt 0x0
	ds_store_b32 v19, v27
	s_wait_dscnt 0x0
	s_barrier_signal -1
	s_barrier_wait -1
	global_inv scope:SCOPE_SE
	ds_load_b128 v[26:29], v21
	ds_load_2addr_b32 v[42:43], v20 offset1:16
	ds_load_b128 v[30:33], v21 offset:512
	ds_load_2addr_b32 v[44:45], v20 offset0:32 offset1:48
	ds_load_2addr_b32 v[46:47], v20 offset0:64 offset1:80
	ds_load_2addr_b32 v[48:49], v20 offset0:96 offset1:112
	ds_load_b128 v[34:37], v21 offset:16
	ds_load_2addr_b32 v[50:51], v20 offset0:128 offset1:144
	ds_load_b128 v[38:41], v21 offset:528
	v_add_co_u32 v12, vcc_lo, v12, 32
	s_wait_alu 0xfffd
	v_add_co_ci_u32_e64 v13, null, 0, v13, vcc_lo
	v_add_co_u32 v14, vcc_lo, v14, s6
	s_wait_alu 0xfffd
	v_add_co_ci_u32_e64 v15, null, s7, v15, vcc_lo
	s_add_co_i32 s14, s14, 8
	s_wait_alu 0xfffe
	s_cmp_lt_i32 s14, s9
	s_wait_dscnt 0x7
	v_fmac_f32_e32 v24, v43, v26
	v_fmac_f32_e32 v25, v42, v26
	s_wait_dscnt 0x6
	v_fmac_f32_e32 v22, v43, v30
	v_fmac_f32_e32 v23, v42, v30
	ds_load_2addr_b32 v[42:43], v20 offset0:160 offset1:176
	s_wait_dscnt 0x6
	v_fmac_f32_e32 v24, v45, v27
	v_fmac_f32_e32 v25, v44, v27
	v_fmac_f32_e32 v22, v45, v31
	v_fmac_f32_e32 v23, v44, v31
	ds_load_2addr_b32 v[26:27], v20 offset0:192 offset1:208
	s_wait_dscnt 0x6
	v_fmac_f32_e32 v24, v47, v28
	v_fmac_f32_e32 v25, v46, v28
	;; [unrolled: 6-line block ×3, first 2 shown]
	v_fmac_f32_e32 v22, v49, v33
	v_fmac_f32_e32 v23, v48, v33
	s_wait_loadcnt_dscnt 0x0
	v_fmac_f32_e32 v24, v51, v34
	v_fmac_f32_e32 v25, v50, v34
	;; [unrolled: 1-line block ×4, first 2 shown]
	s_barrier_signal -1
	v_fmac_f32_e32 v24, v43, v35
	v_fmac_f32_e32 v25, v42, v35
	;; [unrolled: 1-line block ×4, first 2 shown]
	s_barrier_wait -1
	v_fmac_f32_e32 v24, v27, v36
	v_fmac_f32_e32 v25, v26, v36
	;; [unrolled: 1-line block ×4, first 2 shown]
	global_inv scope:SCOPE_SE
	v_fmac_f32_e32 v24, v31, v37
	v_fmac_f32_e32 v25, v30, v37
	;; [unrolled: 1-line block ×4, first 2 shown]
	s_cbranch_scc0 .LBB25_13
.LBB25_9:                               ;   Parent Loop BB25_6 Depth=1
                                        ; =>  This Inner Loop Header: Depth=2
	s_wait_alu 0xfffe
	v_add_nc_u32_e32 v26, s14, v17
	s_delay_alu instid0(VALU_DEP_1)
	v_cmp_gt_i32_e32 vcc_lo, s9, v26
	v_mov_b32_e32 v26, 0
	s_and_b32 s17, s0, vcc_lo
	s_wait_alu 0xfffe
	s_and_saveexec_b32 s15, s17
	s_cbranch_execz .LBB25_11
; %bb.10:                               ;   in Loop: Header=BB25_9 Depth=2
	global_load_b32 v26, v[12:13], off
.LBB25_11:                              ;   in Loop: Header=BB25_9 Depth=2
	s_wait_alu 0xfffe
	s_or_b32 exec_lo, exec_lo, s15
	v_add_nc_u32_e32 v27, s14, v16
	s_wait_loadcnt 0x0
	ds_store_b32 v18, v26
	v_cmp_gt_i32_e32 vcc_lo, s9, v27
	v_mov_b32_e32 v27, 0
	s_and_b32 s17, vcc_lo, s1
	s_wait_alu 0xfffe
	s_and_saveexec_b32 s15, s17
	s_cbranch_execz .LBB25_8
; %bb.12:                               ;   in Loop: Header=BB25_9 Depth=2
	global_load_b32 v27, v[14:15], off
	s_branch .LBB25_8
.LBB25_13:                              ;   in Loop: Header=BB25_6 Depth=1
	s_mul_u64 s[14:15], s[22:23], s[20:21]
	s_wait_alu 0xfffe
	s_lshl_b64 s[14:15], s[14:15], 2
	s_wait_alu 0xfffe
	s_add_nc_u64 s[14:15], s[12:13], s[14:15]
	s_wait_alu 0xfffe
	v_add_co_u32 v12, vcc_lo, s14, v8
	s_wait_alu 0xfffd
	v_add_co_ci_u32_e64 v13, null, s15, v9, vcc_lo
	s_and_saveexec_b32 s17, s29
	s_cbranch_execz .LBB25_17
; %bb.14:                               ;   in Loop: Header=BB25_6 Depth=1
	v_mul_f32_e32 v14, s10, v25
	s_and_b32 vcc_lo, exec_lo, s28
	s_wait_alu 0xfffe
	s_cbranch_vccz .LBB25_28
; %bb.15:                               ;   in Loop: Header=BB25_6 Depth=1
	v_lshlrev_b64_e32 v[25:26], 2, v[0:1]
	s_delay_alu instid0(VALU_DEP_1) | instskip(SKIP_1) | instid1(VALU_DEP_2)
	v_add_co_u32 v25, vcc_lo, v12, v25
	s_wait_alu 0xfffd
	v_add_co_ci_u32_e64 v26, null, v13, v26, vcc_lo
	global_load_b32 v15, v[25:26], off
	s_wait_loadcnt 0x0
	v_fma_f32 v15, s11, v15, v14
	global_store_b32 v[25:26], v15, off
	s_cbranch_execnz .LBB25_17
.LBB25_16:                              ;   in Loop: Header=BB25_6 Depth=1
	v_lshlrev_b64_e32 v[25:26], 2, v[0:1]
	s_delay_alu instid0(VALU_DEP_1) | instskip(SKIP_1) | instid1(VALU_DEP_2)
	v_add_co_u32 v25, vcc_lo, v12, v25
	s_wait_alu 0xfffd
	v_add_co_ci_u32_e64 v26, null, v13, v26, vcc_lo
	global_store_b32 v[25:26], v14, off
.LBB25_17:                              ;   in Loop: Header=BB25_6 Depth=1
	s_wait_alu 0xfffe
	s_or_b32 exec_lo, exec_lo, s17
	s_and_saveexec_b32 s17, s30
	s_cbranch_execz .LBB25_21
; %bb.18:                               ;   in Loop: Header=BB25_6 Depth=1
	v_mul_f32_e32 v14, s10, v24
	s_and_not1_b32 vcc_lo, exec_lo, s28
	s_wait_alu 0xfffe
	s_cbranch_vccnz .LBB25_29
; %bb.19:                               ;   in Loop: Header=BB25_6 Depth=1
	v_lshlrev_b64_e32 v[24:25], 2, v[2:3]
	s_delay_alu instid0(VALU_DEP_1) | instskip(SKIP_1) | instid1(VALU_DEP_2)
	v_add_co_u32 v24, vcc_lo, v12, v24
	s_wait_alu 0xfffd
	v_add_co_ci_u32_e64 v25, null, v13, v25, vcc_lo
	global_load_b32 v15, v[24:25], off
	s_wait_loadcnt 0x0
	v_fma_f32 v15, s11, v15, v14
	global_store_b32 v[24:25], v15, off
	s_cbranch_execnz .LBB25_21
.LBB25_20:                              ;   in Loop: Header=BB25_6 Depth=1
	v_lshlrev_b64_e32 v[24:25], 2, v[2:3]
	s_delay_alu instid0(VALU_DEP_1) | instskip(SKIP_1) | instid1(VALU_DEP_2)
	v_add_co_u32 v12, vcc_lo, v12, v24
	s_wait_alu 0xfffd
	v_add_co_ci_u32_e64 v13, null, v13, v25, vcc_lo
	global_store_b32 v[12:13], v14, off
.LBB25_21:                              ;   in Loop: Header=BB25_6 Depth=1
	s_wait_alu 0xfffe
	s_or_b32 exec_lo, exec_lo, s17
	v_add_co_u32 v14, vcc_lo, s14, v10
	s_wait_alu 0xfffd
	v_add_co_ci_u32_e64 v15, null, s15, v11, vcc_lo
	s_and_saveexec_b32 s14, s8
	s_cbranch_execz .LBB25_25
; %bb.22:                               ;   in Loop: Header=BB25_6 Depth=1
	v_lshlrev_b64_e32 v[12:13], 2, v[0:1]
	v_mul_f32_e32 v23, s10, v23
	s_and_not1_b32 vcc_lo, exec_lo, s28
	s_wait_alu 0xfffe
	s_cbranch_vccnz .LBB25_30
; %bb.23:                               ;   in Loop: Header=BB25_6 Depth=1
	s_delay_alu instid0(VALU_DEP_2)
	v_add_co_u32 v24, vcc_lo, v14, v12
	s_wait_alu 0xfffd
	v_add_co_ci_u32_e64 v25, null, v15, v13, vcc_lo
	global_load_b32 v26, v[24:25], off
	s_wait_loadcnt 0x0
	v_fma_f32 v26, s11, v26, v23
	global_store_b32 v[24:25], v26, off
	s_cbranch_execnz .LBB25_25
.LBB25_24:                              ;   in Loop: Header=BB25_6 Depth=1
	v_add_co_u32 v12, vcc_lo, v14, v12
	s_wait_alu 0xfffd
	v_add_co_ci_u32_e64 v13, null, v15, v13, vcc_lo
	global_store_b32 v[12:13], v23, off
.LBB25_25:                              ;   in Loop: Header=BB25_6 Depth=1
	s_wait_alu 0xfffe
	s_or_b32 exec_lo, exec_lo, s14
	s_and_saveexec_b32 s14, s18
	s_cbranch_execz .LBB25_5
; %bb.26:                               ;   in Loop: Header=BB25_6 Depth=1
	v_lshlrev_b64_e32 v[12:13], 2, v[2:3]
	v_mul_f32_e32 v22, s10, v22
	s_and_not1_b32 vcc_lo, exec_lo, s28
	s_wait_alu 0xfffe
	s_cbranch_vccnz .LBB25_31
; %bb.27:                               ;   in Loop: Header=BB25_6 Depth=1
	s_delay_alu instid0(VALU_DEP_2)
	v_add_co_u32 v23, vcc_lo, v14, v12
	s_wait_alu 0xfffd
	v_add_co_ci_u32_e64 v24, null, v15, v13, vcc_lo
	global_load_b32 v25, v[23:24], off
	s_wait_loadcnt 0x0
	v_fma_f32 v25, s11, v25, v22
	global_store_b32 v[23:24], v25, off
	s_cbranch_execnz .LBB25_5
	s_branch .LBB25_32
.LBB25_28:                              ;   in Loop: Header=BB25_6 Depth=1
	s_branch .LBB25_16
.LBB25_29:                              ;   in Loop: Header=BB25_6 Depth=1
	s_branch .LBB25_20
.LBB25_30:                              ;   in Loop: Header=BB25_6 Depth=1
	s_branch .LBB25_24
.LBB25_31:                              ;   in Loop: Header=BB25_6 Depth=1
.LBB25_32:                              ;   in Loop: Header=BB25_6 Depth=1
	s_delay_alu instid0(VALU_DEP_2)
	v_add_co_u32 v12, vcc_lo, v14, v12
	s_wait_alu 0xfffd
	v_add_co_ci_u32_e64 v13, null, v15, v13, vcc_lo
	global_store_b32 v[12:13], v22, off
	s_branch .LBB25_5
.LBB25_33:
	s_endpgm
	.section	.rodata,"a",@progbits
	.p2align	6, 0x0
	.amdhsa_kernel _ZL29rocblas_internal_gemmt_kernelIiLi16ELi32ELi8ELc67ELc84ELc85ELb0ELb0EffPKfPfEviT_T9_T10_S3_lS5_S3_lS4_T11_S3_li
		.amdhsa_group_segment_fixed_size 2048
		.amdhsa_private_segment_fixed_size 0
		.amdhsa_kernarg_size 100
		.amdhsa_user_sgpr_count 2
		.amdhsa_user_sgpr_dispatch_ptr 0
		.amdhsa_user_sgpr_queue_ptr 0
		.amdhsa_user_sgpr_kernarg_segment_ptr 1
		.amdhsa_user_sgpr_dispatch_id 0
		.amdhsa_user_sgpr_private_segment_size 0
		.amdhsa_wavefront_size32 1
		.amdhsa_uses_dynamic_stack 0
		.amdhsa_enable_private_segment 0
		.amdhsa_system_sgpr_workgroup_id_x 1
		.amdhsa_system_sgpr_workgroup_id_y 1
		.amdhsa_system_sgpr_workgroup_id_z 1
		.amdhsa_system_sgpr_workgroup_info 0
		.amdhsa_system_vgpr_workitem_id 1
		.amdhsa_next_free_vgpr 52
		.amdhsa_next_free_sgpr 32
		.amdhsa_reserve_vcc 1
		.amdhsa_float_round_mode_32 0
		.amdhsa_float_round_mode_16_64 0
		.amdhsa_float_denorm_mode_32 3
		.amdhsa_float_denorm_mode_16_64 3
		.amdhsa_fp16_overflow 0
		.amdhsa_workgroup_processor_mode 1
		.amdhsa_memory_ordered 1
		.amdhsa_forward_progress 1
		.amdhsa_inst_pref_size 15
		.amdhsa_round_robin_scheduling 0
		.amdhsa_exception_fp_ieee_invalid_op 0
		.amdhsa_exception_fp_denorm_src 0
		.amdhsa_exception_fp_ieee_div_zero 0
		.amdhsa_exception_fp_ieee_overflow 0
		.amdhsa_exception_fp_ieee_underflow 0
		.amdhsa_exception_fp_ieee_inexact 0
		.amdhsa_exception_int_div_zero 0
	.end_amdhsa_kernel
	.section	.text._ZL29rocblas_internal_gemmt_kernelIiLi16ELi32ELi8ELc67ELc84ELc85ELb0ELb0EffPKfPfEviT_T9_T10_S3_lS5_S3_lS4_T11_S3_li,"axG",@progbits,_ZL29rocblas_internal_gemmt_kernelIiLi16ELi32ELi8ELc67ELc84ELc85ELb0ELb0EffPKfPfEviT_T9_T10_S3_lS5_S3_lS4_T11_S3_li,comdat
.Lfunc_end25:
	.size	_ZL29rocblas_internal_gemmt_kernelIiLi16ELi32ELi8ELc67ELc84ELc85ELb0ELb0EffPKfPfEviT_T9_T10_S3_lS5_S3_lS4_T11_S3_li, .Lfunc_end25-_ZL29rocblas_internal_gemmt_kernelIiLi16ELi32ELi8ELc67ELc84ELc85ELb0ELb0EffPKfPfEviT_T9_T10_S3_lS5_S3_lS4_T11_S3_li
                                        ; -- End function
	.set _ZL29rocblas_internal_gemmt_kernelIiLi16ELi32ELi8ELc67ELc84ELc85ELb0ELb0EffPKfPfEviT_T9_T10_S3_lS5_S3_lS4_T11_S3_li.num_vgpr, 52
	.set _ZL29rocblas_internal_gemmt_kernelIiLi16ELi32ELi8ELc67ELc84ELc85ELb0ELb0EffPKfPfEviT_T9_T10_S3_lS5_S3_lS4_T11_S3_li.num_agpr, 0
	.set _ZL29rocblas_internal_gemmt_kernelIiLi16ELi32ELi8ELc67ELc84ELc85ELb0ELb0EffPKfPfEviT_T9_T10_S3_lS5_S3_lS4_T11_S3_li.numbered_sgpr, 32
	.set _ZL29rocblas_internal_gemmt_kernelIiLi16ELi32ELi8ELc67ELc84ELc85ELb0ELb0EffPKfPfEviT_T9_T10_S3_lS5_S3_lS4_T11_S3_li.num_named_barrier, 0
	.set _ZL29rocblas_internal_gemmt_kernelIiLi16ELi32ELi8ELc67ELc84ELc85ELb0ELb0EffPKfPfEviT_T9_T10_S3_lS5_S3_lS4_T11_S3_li.private_seg_size, 0
	.set _ZL29rocblas_internal_gemmt_kernelIiLi16ELi32ELi8ELc67ELc84ELc85ELb0ELb0EffPKfPfEviT_T9_T10_S3_lS5_S3_lS4_T11_S3_li.uses_vcc, 1
	.set _ZL29rocblas_internal_gemmt_kernelIiLi16ELi32ELi8ELc67ELc84ELc85ELb0ELb0EffPKfPfEviT_T9_T10_S3_lS5_S3_lS4_T11_S3_li.uses_flat_scratch, 0
	.set _ZL29rocblas_internal_gemmt_kernelIiLi16ELi32ELi8ELc67ELc84ELc85ELb0ELb0EffPKfPfEviT_T9_T10_S3_lS5_S3_lS4_T11_S3_li.has_dyn_sized_stack, 0
	.set _ZL29rocblas_internal_gemmt_kernelIiLi16ELi32ELi8ELc67ELc84ELc85ELb0ELb0EffPKfPfEviT_T9_T10_S3_lS5_S3_lS4_T11_S3_li.has_recursion, 0
	.set _ZL29rocblas_internal_gemmt_kernelIiLi16ELi32ELi8ELc67ELc84ELc85ELb0ELb0EffPKfPfEviT_T9_T10_S3_lS5_S3_lS4_T11_S3_li.has_indirect_call, 0
	.section	.AMDGPU.csdata,"",@progbits
; Kernel info:
; codeLenInByte = 1804
; TotalNumSgprs: 34
; NumVgprs: 52
; ScratchSize: 0
; MemoryBound: 0
; FloatMode: 240
; IeeeMode: 1
; LDSByteSize: 2048 bytes/workgroup (compile time only)
; SGPRBlocks: 0
; VGPRBlocks: 6
; NumSGPRsForWavesPerEU: 34
; NumVGPRsForWavesPerEU: 52
; Occupancy: 16
; WaveLimiterHint : 0
; COMPUTE_PGM_RSRC2:SCRATCH_EN: 0
; COMPUTE_PGM_RSRC2:USER_SGPR: 2
; COMPUTE_PGM_RSRC2:TRAP_HANDLER: 0
; COMPUTE_PGM_RSRC2:TGID_X_EN: 1
; COMPUTE_PGM_RSRC2:TGID_Y_EN: 1
; COMPUTE_PGM_RSRC2:TGID_Z_EN: 1
; COMPUTE_PGM_RSRC2:TIDIG_COMP_CNT: 1
	.section	.text._ZL29rocblas_internal_gemmt_kernelIiLi16ELi32ELi8ELc67ELc67ELc85ELb0ELb0EffPKfPfEviT_T9_T10_S3_lS5_S3_lS4_T11_S3_li,"axG",@progbits,_ZL29rocblas_internal_gemmt_kernelIiLi16ELi32ELi8ELc67ELc67ELc85ELb0ELb0EffPKfPfEviT_T9_T10_S3_lS5_S3_lS4_T11_S3_li,comdat
	.globl	_ZL29rocblas_internal_gemmt_kernelIiLi16ELi32ELi8ELc67ELc67ELc85ELb0ELb0EffPKfPfEviT_T9_T10_S3_lS5_S3_lS4_T11_S3_li ; -- Begin function _ZL29rocblas_internal_gemmt_kernelIiLi16ELi32ELi8ELc67ELc67ELc85ELb0ELb0EffPKfPfEviT_T9_T10_S3_lS5_S3_lS4_T11_S3_li
	.p2align	8
	.type	_ZL29rocblas_internal_gemmt_kernelIiLi16ELi32ELi8ELc67ELc67ELc85ELb0ELb0EffPKfPfEviT_T9_T10_S3_lS5_S3_lS4_T11_S3_li,@function
_ZL29rocblas_internal_gemmt_kernelIiLi16ELi32ELi8ELc67ELc67ELc85ELb0ELb0EffPKfPfEviT_T9_T10_S3_lS5_S3_lS4_T11_S3_li: ; @_ZL29rocblas_internal_gemmt_kernelIiLi16ELi32ELi8ELc67ELc67ELc85ELb0ELb0EffPKfPfEviT_T9_T10_S3_lS5_S3_lS4_T11_S3_li
; %bb.0:
	s_clause 0x1
	s_load_b32 s11, s[0:1], 0x40
	s_load_b96 s[8:10], s[0:1], 0x0
	s_wait_kmcnt 0x0
	s_cmp_neq_f32 s11, 1.0
	s_cselect_b32 s2, -1, 0
	s_delay_alu instid0(SALU_CYCLE_1)
	s_and_b32 vcc_lo, exec_lo, s2
	s_cbranch_vccnz .LBB26_2
; %bb.1:
	s_cmp_lg_u32 s9, 0
	s_cselect_b32 s2, -1, 0
	s_cmp_neq_f32 s10, 0
	s_cselect_b32 s3, -1, 0
	s_delay_alu instid0(SALU_CYCLE_1)
	s_and_b32 s2, s2, s3
.LBB26_2:
	s_delay_alu instid0(SALU_CYCLE_1)
	s_and_not1_b32 vcc_lo, exec_lo, s2
	s_cbranch_vccnz .LBB26_33
; %bb.3:
	s_load_b32 s19, s[0:1], 0x60
	s_lshr_b32 s20, ttmp7, 16
	s_wait_kmcnt 0x0
	s_cmp_ge_u32 s20, s19
	s_cbranch_scc1 .LBB26_33
; %bb.4:
	v_and_b32_e32 v1, 0x3ff, v0
	v_bfe_u32 v3, v0, 10, 10
	v_and_b32_e32 v16, 7, v0
	s_clause 0x5
	s_load_b32 s24, s[0:1], 0x30
	s_load_b96 s[16:18], s[0:1], 0x10
	s_load_b128 s[4:7], s[0:1], 0x20
	s_load_b64 s[26:27], s[0:1], 0x38
	s_load_b96 s[12:14], s[0:1], 0x48
	s_load_b64 s[22:23], s[0:1], 0x58
	v_lshl_add_u32 v0, v3, 4, v1
	v_lshlrev_b32_e32 v4, 2, v16
	s_lshl_b32 s2, ttmp9, 5
	s_lshl_b32 s0, ttmp7, 5
	v_lshlrev_b32_e32 v20, 2, v1
	v_and_b32_e32 v2, 31, v0
	v_lshrrev_b32_e32 v5, 3, v0
	v_lshrrev_b32_e32 v17, 5, v0
	s_and_b32 s3, s0, 0x1fffe0
	v_lshl_add_u32 v21, v3, 5, 0x400
	v_lshlrev_b32_e32 v0, 2, v2
	v_or_b32_e32 v6, s2, v2
	v_lshl_or_b32 v2, v5, 5, v4
	v_add_nc_u32_e32 v4, s3, v3
	v_add_nc_u32_e32 v12, s3, v5
	v_lshl_or_b32 v18, v17, 7, v0
	v_add_nc_u32_e32 v0, s2, v1
	v_add_nc_u32_e32 v19, 0x400, v2
	s_wait_kmcnt 0x0
	s_ashr_i32 s25, s24, 31
	s_cmp_neq_f32 s10, 0
	v_cmp_gt_i32_e32 vcc_lo, s8, v4
	v_add_nc_u32_e32 v2, 16, v0
	v_cmp_le_i32_e64 s2, v0, v4
	v_mad_co_i64_i32 v[8:9], null, v4, s14, 0
	v_add_nc_u32_e32 v10, 16, v4
	s_delay_alu instid0(VALU_DEP_4)
	v_cmp_le_i32_e64 s3, v2, v4
	v_mad_co_i64_i32 v[4:5], null, s18, v6, 0
	v_cmp_gt_i32_e64 s0, s8, v6
	v_mad_co_i64_i32 v[6:7], null, s24, v16, 0
	s_cselect_b32 s15, -1, 0
	s_cmp_gt_i32 s9, 0
	v_lshlrev_b32_e32 v13, 2, v17
	s_cselect_b32 s31, -1, 0
	s_cmp_neq_f32 s11, 0
	v_lshlrev_b64_e32 v[4:5], 2, v[4:5]
	v_lshlrev_b64_e32 v[6:7], 2, v[6:7]
	v_cmp_gt_i32_e64 s1, s8, v12
	s_cselect_b32 s28, -1, 0
	s_and_b32 s29, vcc_lo, s2
	s_and_b32 s30, vcc_lo, s3
	v_cmp_gt_i32_e32 vcc_lo, s8, v10
	v_cmp_le_i32_e64 s2, v0, v10
	v_cmp_le_i32_e64 s3, v2, v10
	v_lshlrev_b32_e32 v12, 2, v12
	v_mad_co_i64_i32 v[10:11], null, v10, s14, 0
	s_and_b32 s8, vcc_lo, s2
	s_and_b32 s18, vcc_lo, s3
	v_add_co_u32 v4, vcc_lo, v4, v13
	s_delay_alu instid0(VALU_DEP_1)
	v_add_co_ci_u32_e64 v5, null, 0, v5, vcc_lo
	v_add_co_u32 v6, vcc_lo, v6, v12
	s_wait_alu 0xfffd
	v_add_co_ci_u32_e64 v7, null, 0, v7, vcc_lo
	v_add_co_u32 v4, vcc_lo, s16, v4
	s_wait_alu 0xfffd
	v_add_co_ci_u32_e64 v5, null, s17, v5, vcc_lo
	v_add_co_u32 v6, vcc_lo, s6, v6
	v_lshlrev_b64_e32 v[8:9], 2, v[8:9]
	v_lshlrev_b64_e32 v[10:11], 2, v[10:11]
	v_ashrrev_i32_e32 v1, 31, v0
	v_ashrrev_i32_e32 v3, 31, v2
	s_wait_alu 0xfffd
	v_add_co_ci_u32_e64 v7, null, s7, v7, vcc_lo
	s_mov_b32 s21, 0
	s_wait_alu 0xfffe
	s_and_b32 s16, s15, s31
	s_lshl_b64 s[2:3], s[4:5], 2
	s_lshl_b64 s[4:5], s[26:27], 2
	;; [unrolled: 1-line block ×3, first 2 shown]
	s_branch .LBB26_6
.LBB26_5:                               ;   in Loop: Header=BB26_6 Depth=1
	s_wait_alu 0xfffe
	s_or_b32 exec_lo, exec_lo, s14
	s_add_co_i32 s20, s20, 0x10000
	s_wait_alu 0xfffe
	s_cmp_lt_u32 s20, s19
	s_cbranch_scc0 .LBB26_33
.LBB26_6:                               ; =>This Loop Header: Depth=1
                                        ;     Child Loop BB26_9 Depth 2
	v_dual_mov_b32 v25, 0 :: v_dual_mov_b32 v24, 0
	v_dual_mov_b32 v23, 0 :: v_dual_mov_b32 v22, 0
	s_wait_alu 0xfffe
	s_and_not1_b32 vcc_lo, exec_lo, s16
	s_wait_alu 0xfffe
	s_cbranch_vccnz .LBB26_13
; %bb.7:                                ;   in Loop: Header=BB26_6 Depth=1
	v_mad_co_u64_u32 v[12:13], null, s2, s20, v[4:5]
	v_mad_co_u64_u32 v[14:15], null, s4, s20, v[6:7]
	v_dual_mov_b32 v22, 0 :: v_dual_mov_b32 v23, 0
	s_mov_b32 s14, 0
	s_delay_alu instid0(VALU_DEP_2) | instskip(NEXT) | instid1(VALU_DEP_3)
	v_mad_co_u64_u32 v[25:26], null, s3, s20, v[13:14]
	v_mad_co_u64_u32 v[26:27], null, s5, s20, v[15:16]
	s_delay_alu instid0(VALU_DEP_2) | instskip(SKIP_1) | instid1(VALU_DEP_3)
	v_dual_mov_b32 v24, 0 :: v_dual_mov_b32 v13, v25
	v_mov_b32_e32 v25, 0
	v_mov_b32_e32 v15, v26
	s_branch .LBB26_9
.LBB26_8:                               ;   in Loop: Header=BB26_9 Depth=2
	s_wait_alu 0xfffe
	s_or_b32 exec_lo, exec_lo, s15
	s_wait_loadcnt 0x0
	ds_store_b32 v19, v27
	s_wait_dscnt 0x0
	s_barrier_signal -1
	s_barrier_wait -1
	global_inv scope:SCOPE_SE
	ds_load_b128 v[26:29], v21
	ds_load_2addr_b32 v[42:43], v20 offset1:16
	ds_load_b128 v[30:33], v21 offset:512
	ds_load_2addr_b32 v[44:45], v20 offset0:32 offset1:48
	ds_load_2addr_b32 v[46:47], v20 offset0:64 offset1:80
	;; [unrolled: 1-line block ×3, first 2 shown]
	ds_load_b128 v[34:37], v21 offset:16
	ds_load_2addr_b32 v[50:51], v20 offset0:128 offset1:144
	ds_load_b128 v[38:41], v21 offset:528
	v_add_co_u32 v12, vcc_lo, v12, 32
	s_wait_alu 0xfffd
	v_add_co_ci_u32_e64 v13, null, 0, v13, vcc_lo
	v_add_co_u32 v14, vcc_lo, v14, s6
	s_wait_alu 0xfffd
	v_add_co_ci_u32_e64 v15, null, s7, v15, vcc_lo
	s_add_co_i32 s14, s14, 8
	s_wait_alu 0xfffe
	s_cmp_lt_i32 s14, s9
	s_wait_dscnt 0x7
	v_fmac_f32_e32 v24, v43, v26
	v_fmac_f32_e32 v25, v42, v26
	s_wait_dscnt 0x6
	v_fmac_f32_e32 v22, v43, v30
	v_fmac_f32_e32 v23, v42, v30
	ds_load_2addr_b32 v[42:43], v20 offset0:160 offset1:176
	s_wait_dscnt 0x6
	v_fmac_f32_e32 v24, v45, v27
	v_fmac_f32_e32 v25, v44, v27
	v_fmac_f32_e32 v22, v45, v31
	v_fmac_f32_e32 v23, v44, v31
	ds_load_2addr_b32 v[26:27], v20 offset0:192 offset1:208
	s_wait_dscnt 0x6
	v_fmac_f32_e32 v24, v47, v28
	v_fmac_f32_e32 v25, v46, v28
	;; [unrolled: 6-line block ×3, first 2 shown]
	v_fmac_f32_e32 v22, v49, v33
	v_fmac_f32_e32 v23, v48, v33
	s_wait_loadcnt_dscnt 0x0
	v_fmac_f32_e32 v24, v51, v34
	v_fmac_f32_e32 v25, v50, v34
	;; [unrolled: 1-line block ×4, first 2 shown]
	s_barrier_signal -1
	v_fmac_f32_e32 v24, v43, v35
	v_fmac_f32_e32 v25, v42, v35
	;; [unrolled: 1-line block ×4, first 2 shown]
	s_barrier_wait -1
	v_fmac_f32_e32 v24, v27, v36
	v_fmac_f32_e32 v25, v26, v36
	;; [unrolled: 1-line block ×4, first 2 shown]
	global_inv scope:SCOPE_SE
	v_fmac_f32_e32 v24, v31, v37
	v_fmac_f32_e32 v25, v30, v37
	;; [unrolled: 1-line block ×4, first 2 shown]
	s_cbranch_scc0 .LBB26_13
.LBB26_9:                               ;   Parent Loop BB26_6 Depth=1
                                        ; =>  This Inner Loop Header: Depth=2
	s_wait_alu 0xfffe
	v_add_nc_u32_e32 v26, s14, v17
	s_delay_alu instid0(VALU_DEP_1)
	v_cmp_gt_i32_e32 vcc_lo, s9, v26
	v_mov_b32_e32 v26, 0
	s_and_b32 s17, s0, vcc_lo
	s_wait_alu 0xfffe
	s_and_saveexec_b32 s15, s17
	s_cbranch_execz .LBB26_11
; %bb.10:                               ;   in Loop: Header=BB26_9 Depth=2
	global_load_b32 v26, v[12:13], off
.LBB26_11:                              ;   in Loop: Header=BB26_9 Depth=2
	s_wait_alu 0xfffe
	s_or_b32 exec_lo, exec_lo, s15
	v_add_nc_u32_e32 v27, s14, v16
	s_wait_loadcnt 0x0
	ds_store_b32 v18, v26
	v_cmp_gt_i32_e32 vcc_lo, s9, v27
	v_mov_b32_e32 v27, 0
	s_and_b32 s17, vcc_lo, s1
	s_wait_alu 0xfffe
	s_and_saveexec_b32 s15, s17
	s_cbranch_execz .LBB26_8
; %bb.12:                               ;   in Loop: Header=BB26_9 Depth=2
	global_load_b32 v27, v[14:15], off
	s_branch .LBB26_8
.LBB26_13:                              ;   in Loop: Header=BB26_6 Depth=1
	s_mul_u64 s[14:15], s[22:23], s[20:21]
	s_wait_alu 0xfffe
	s_lshl_b64 s[14:15], s[14:15], 2
	s_wait_alu 0xfffe
	s_add_nc_u64 s[14:15], s[12:13], s[14:15]
	s_wait_alu 0xfffe
	v_add_co_u32 v12, vcc_lo, s14, v8
	s_wait_alu 0xfffd
	v_add_co_ci_u32_e64 v13, null, s15, v9, vcc_lo
	s_and_saveexec_b32 s17, s29
	s_cbranch_execz .LBB26_17
; %bb.14:                               ;   in Loop: Header=BB26_6 Depth=1
	v_mul_f32_e32 v14, s10, v25
	s_and_b32 vcc_lo, exec_lo, s28
	s_wait_alu 0xfffe
	s_cbranch_vccz .LBB26_28
; %bb.15:                               ;   in Loop: Header=BB26_6 Depth=1
	v_lshlrev_b64_e32 v[25:26], 2, v[0:1]
	s_delay_alu instid0(VALU_DEP_1) | instskip(SKIP_1) | instid1(VALU_DEP_2)
	v_add_co_u32 v25, vcc_lo, v12, v25
	s_wait_alu 0xfffd
	v_add_co_ci_u32_e64 v26, null, v13, v26, vcc_lo
	global_load_b32 v15, v[25:26], off
	s_wait_loadcnt 0x0
	v_fma_f32 v15, s11, v15, v14
	global_store_b32 v[25:26], v15, off
	s_cbranch_execnz .LBB26_17
.LBB26_16:                              ;   in Loop: Header=BB26_6 Depth=1
	v_lshlrev_b64_e32 v[25:26], 2, v[0:1]
	s_delay_alu instid0(VALU_DEP_1) | instskip(SKIP_1) | instid1(VALU_DEP_2)
	v_add_co_u32 v25, vcc_lo, v12, v25
	s_wait_alu 0xfffd
	v_add_co_ci_u32_e64 v26, null, v13, v26, vcc_lo
	global_store_b32 v[25:26], v14, off
.LBB26_17:                              ;   in Loop: Header=BB26_6 Depth=1
	s_wait_alu 0xfffe
	s_or_b32 exec_lo, exec_lo, s17
	s_and_saveexec_b32 s17, s30
	s_cbranch_execz .LBB26_21
; %bb.18:                               ;   in Loop: Header=BB26_6 Depth=1
	v_mul_f32_e32 v14, s10, v24
	s_and_not1_b32 vcc_lo, exec_lo, s28
	s_wait_alu 0xfffe
	s_cbranch_vccnz .LBB26_29
; %bb.19:                               ;   in Loop: Header=BB26_6 Depth=1
	v_lshlrev_b64_e32 v[24:25], 2, v[2:3]
	s_delay_alu instid0(VALU_DEP_1) | instskip(SKIP_1) | instid1(VALU_DEP_2)
	v_add_co_u32 v24, vcc_lo, v12, v24
	s_wait_alu 0xfffd
	v_add_co_ci_u32_e64 v25, null, v13, v25, vcc_lo
	global_load_b32 v15, v[24:25], off
	s_wait_loadcnt 0x0
	v_fma_f32 v15, s11, v15, v14
	global_store_b32 v[24:25], v15, off
	s_cbranch_execnz .LBB26_21
.LBB26_20:                              ;   in Loop: Header=BB26_6 Depth=1
	v_lshlrev_b64_e32 v[24:25], 2, v[2:3]
	s_delay_alu instid0(VALU_DEP_1) | instskip(SKIP_1) | instid1(VALU_DEP_2)
	v_add_co_u32 v12, vcc_lo, v12, v24
	s_wait_alu 0xfffd
	v_add_co_ci_u32_e64 v13, null, v13, v25, vcc_lo
	global_store_b32 v[12:13], v14, off
.LBB26_21:                              ;   in Loop: Header=BB26_6 Depth=1
	s_wait_alu 0xfffe
	s_or_b32 exec_lo, exec_lo, s17
	v_add_co_u32 v14, vcc_lo, s14, v10
	s_wait_alu 0xfffd
	v_add_co_ci_u32_e64 v15, null, s15, v11, vcc_lo
	s_and_saveexec_b32 s14, s8
	s_cbranch_execz .LBB26_25
; %bb.22:                               ;   in Loop: Header=BB26_6 Depth=1
	v_lshlrev_b64_e32 v[12:13], 2, v[0:1]
	v_mul_f32_e32 v23, s10, v23
	s_and_not1_b32 vcc_lo, exec_lo, s28
	s_wait_alu 0xfffe
	s_cbranch_vccnz .LBB26_30
; %bb.23:                               ;   in Loop: Header=BB26_6 Depth=1
	s_delay_alu instid0(VALU_DEP_2)
	v_add_co_u32 v24, vcc_lo, v14, v12
	s_wait_alu 0xfffd
	v_add_co_ci_u32_e64 v25, null, v15, v13, vcc_lo
	global_load_b32 v26, v[24:25], off
	s_wait_loadcnt 0x0
	v_fma_f32 v26, s11, v26, v23
	global_store_b32 v[24:25], v26, off
	s_cbranch_execnz .LBB26_25
.LBB26_24:                              ;   in Loop: Header=BB26_6 Depth=1
	v_add_co_u32 v12, vcc_lo, v14, v12
	s_wait_alu 0xfffd
	v_add_co_ci_u32_e64 v13, null, v15, v13, vcc_lo
	global_store_b32 v[12:13], v23, off
.LBB26_25:                              ;   in Loop: Header=BB26_6 Depth=1
	s_wait_alu 0xfffe
	s_or_b32 exec_lo, exec_lo, s14
	s_and_saveexec_b32 s14, s18
	s_cbranch_execz .LBB26_5
; %bb.26:                               ;   in Loop: Header=BB26_6 Depth=1
	v_lshlrev_b64_e32 v[12:13], 2, v[2:3]
	v_mul_f32_e32 v22, s10, v22
	s_and_not1_b32 vcc_lo, exec_lo, s28
	s_wait_alu 0xfffe
	s_cbranch_vccnz .LBB26_31
; %bb.27:                               ;   in Loop: Header=BB26_6 Depth=1
	s_delay_alu instid0(VALU_DEP_2)
	v_add_co_u32 v23, vcc_lo, v14, v12
	s_wait_alu 0xfffd
	v_add_co_ci_u32_e64 v24, null, v15, v13, vcc_lo
	global_load_b32 v25, v[23:24], off
	s_wait_loadcnt 0x0
	v_fma_f32 v25, s11, v25, v22
	global_store_b32 v[23:24], v25, off
	s_cbranch_execnz .LBB26_5
	s_branch .LBB26_32
.LBB26_28:                              ;   in Loop: Header=BB26_6 Depth=1
	s_branch .LBB26_16
.LBB26_29:                              ;   in Loop: Header=BB26_6 Depth=1
	s_branch .LBB26_20
.LBB26_30:                              ;   in Loop: Header=BB26_6 Depth=1
	s_branch .LBB26_24
.LBB26_31:                              ;   in Loop: Header=BB26_6 Depth=1
.LBB26_32:                              ;   in Loop: Header=BB26_6 Depth=1
	s_delay_alu instid0(VALU_DEP_2)
	v_add_co_u32 v12, vcc_lo, v14, v12
	s_wait_alu 0xfffd
	v_add_co_ci_u32_e64 v13, null, v15, v13, vcc_lo
	global_store_b32 v[12:13], v22, off
	s_branch .LBB26_5
.LBB26_33:
	s_endpgm
	.section	.rodata,"a",@progbits
	.p2align	6, 0x0
	.amdhsa_kernel _ZL29rocblas_internal_gemmt_kernelIiLi16ELi32ELi8ELc67ELc67ELc85ELb0ELb0EffPKfPfEviT_T9_T10_S3_lS5_S3_lS4_T11_S3_li
		.amdhsa_group_segment_fixed_size 2048
		.amdhsa_private_segment_fixed_size 0
		.amdhsa_kernarg_size 100
		.amdhsa_user_sgpr_count 2
		.amdhsa_user_sgpr_dispatch_ptr 0
		.amdhsa_user_sgpr_queue_ptr 0
		.amdhsa_user_sgpr_kernarg_segment_ptr 1
		.amdhsa_user_sgpr_dispatch_id 0
		.amdhsa_user_sgpr_private_segment_size 0
		.amdhsa_wavefront_size32 1
		.amdhsa_uses_dynamic_stack 0
		.amdhsa_enable_private_segment 0
		.amdhsa_system_sgpr_workgroup_id_x 1
		.amdhsa_system_sgpr_workgroup_id_y 1
		.amdhsa_system_sgpr_workgroup_id_z 1
		.amdhsa_system_sgpr_workgroup_info 0
		.amdhsa_system_vgpr_workitem_id 1
		.amdhsa_next_free_vgpr 52
		.amdhsa_next_free_sgpr 32
		.amdhsa_reserve_vcc 1
		.amdhsa_float_round_mode_32 0
		.amdhsa_float_round_mode_16_64 0
		.amdhsa_float_denorm_mode_32 3
		.amdhsa_float_denorm_mode_16_64 3
		.amdhsa_fp16_overflow 0
		.amdhsa_workgroup_processor_mode 1
		.amdhsa_memory_ordered 1
		.amdhsa_forward_progress 1
		.amdhsa_inst_pref_size 15
		.amdhsa_round_robin_scheduling 0
		.amdhsa_exception_fp_ieee_invalid_op 0
		.amdhsa_exception_fp_denorm_src 0
		.amdhsa_exception_fp_ieee_div_zero 0
		.amdhsa_exception_fp_ieee_overflow 0
		.amdhsa_exception_fp_ieee_underflow 0
		.amdhsa_exception_fp_ieee_inexact 0
		.amdhsa_exception_int_div_zero 0
	.end_amdhsa_kernel
	.section	.text._ZL29rocblas_internal_gemmt_kernelIiLi16ELi32ELi8ELc67ELc67ELc85ELb0ELb0EffPKfPfEviT_T9_T10_S3_lS5_S3_lS4_T11_S3_li,"axG",@progbits,_ZL29rocblas_internal_gemmt_kernelIiLi16ELi32ELi8ELc67ELc67ELc85ELb0ELb0EffPKfPfEviT_T9_T10_S3_lS5_S3_lS4_T11_S3_li,comdat
.Lfunc_end26:
	.size	_ZL29rocblas_internal_gemmt_kernelIiLi16ELi32ELi8ELc67ELc67ELc85ELb0ELb0EffPKfPfEviT_T9_T10_S3_lS5_S3_lS4_T11_S3_li, .Lfunc_end26-_ZL29rocblas_internal_gemmt_kernelIiLi16ELi32ELi8ELc67ELc67ELc85ELb0ELb0EffPKfPfEviT_T9_T10_S3_lS5_S3_lS4_T11_S3_li
                                        ; -- End function
	.set _ZL29rocblas_internal_gemmt_kernelIiLi16ELi32ELi8ELc67ELc67ELc85ELb0ELb0EffPKfPfEviT_T9_T10_S3_lS5_S3_lS4_T11_S3_li.num_vgpr, 52
	.set _ZL29rocblas_internal_gemmt_kernelIiLi16ELi32ELi8ELc67ELc67ELc85ELb0ELb0EffPKfPfEviT_T9_T10_S3_lS5_S3_lS4_T11_S3_li.num_agpr, 0
	.set _ZL29rocblas_internal_gemmt_kernelIiLi16ELi32ELi8ELc67ELc67ELc85ELb0ELb0EffPKfPfEviT_T9_T10_S3_lS5_S3_lS4_T11_S3_li.numbered_sgpr, 32
	.set _ZL29rocblas_internal_gemmt_kernelIiLi16ELi32ELi8ELc67ELc67ELc85ELb0ELb0EffPKfPfEviT_T9_T10_S3_lS5_S3_lS4_T11_S3_li.num_named_barrier, 0
	.set _ZL29rocblas_internal_gemmt_kernelIiLi16ELi32ELi8ELc67ELc67ELc85ELb0ELb0EffPKfPfEviT_T9_T10_S3_lS5_S3_lS4_T11_S3_li.private_seg_size, 0
	.set _ZL29rocblas_internal_gemmt_kernelIiLi16ELi32ELi8ELc67ELc67ELc85ELb0ELb0EffPKfPfEviT_T9_T10_S3_lS5_S3_lS4_T11_S3_li.uses_vcc, 1
	.set _ZL29rocblas_internal_gemmt_kernelIiLi16ELi32ELi8ELc67ELc67ELc85ELb0ELb0EffPKfPfEviT_T9_T10_S3_lS5_S3_lS4_T11_S3_li.uses_flat_scratch, 0
	.set _ZL29rocblas_internal_gemmt_kernelIiLi16ELi32ELi8ELc67ELc67ELc85ELb0ELb0EffPKfPfEviT_T9_T10_S3_lS5_S3_lS4_T11_S3_li.has_dyn_sized_stack, 0
	.set _ZL29rocblas_internal_gemmt_kernelIiLi16ELi32ELi8ELc67ELc67ELc85ELb0ELb0EffPKfPfEviT_T9_T10_S3_lS5_S3_lS4_T11_S3_li.has_recursion, 0
	.set _ZL29rocblas_internal_gemmt_kernelIiLi16ELi32ELi8ELc67ELc67ELc85ELb0ELb0EffPKfPfEviT_T9_T10_S3_lS5_S3_lS4_T11_S3_li.has_indirect_call, 0
	.section	.AMDGPU.csdata,"",@progbits
; Kernel info:
; codeLenInByte = 1804
; TotalNumSgprs: 34
; NumVgprs: 52
; ScratchSize: 0
; MemoryBound: 0
; FloatMode: 240
; IeeeMode: 1
; LDSByteSize: 2048 bytes/workgroup (compile time only)
; SGPRBlocks: 0
; VGPRBlocks: 6
; NumSGPRsForWavesPerEU: 34
; NumVGPRsForWavesPerEU: 52
; Occupancy: 16
; WaveLimiterHint : 0
; COMPUTE_PGM_RSRC2:SCRATCH_EN: 0
; COMPUTE_PGM_RSRC2:USER_SGPR: 2
; COMPUTE_PGM_RSRC2:TRAP_HANDLER: 0
; COMPUTE_PGM_RSRC2:TGID_X_EN: 1
; COMPUTE_PGM_RSRC2:TGID_Y_EN: 1
; COMPUTE_PGM_RSRC2:TGID_Z_EN: 1
; COMPUTE_PGM_RSRC2:TIDIG_COMP_CNT: 1
	.section	.text._ZL29rocblas_internal_gemmt_kernelIiLi16ELi32ELi8ELc78ELc78ELc76ELb0ELb0EffPKfPfEviT_T9_T10_S3_lS5_S3_lS4_T11_S3_li,"axG",@progbits,_ZL29rocblas_internal_gemmt_kernelIiLi16ELi32ELi8ELc78ELc78ELc76ELb0ELb0EffPKfPfEviT_T9_T10_S3_lS5_S3_lS4_T11_S3_li,comdat
	.globl	_ZL29rocblas_internal_gemmt_kernelIiLi16ELi32ELi8ELc78ELc78ELc76ELb0ELb0EffPKfPfEviT_T9_T10_S3_lS5_S3_lS4_T11_S3_li ; -- Begin function _ZL29rocblas_internal_gemmt_kernelIiLi16ELi32ELi8ELc78ELc78ELc76ELb0ELb0EffPKfPfEviT_T9_T10_S3_lS5_S3_lS4_T11_S3_li
	.p2align	8
	.type	_ZL29rocblas_internal_gemmt_kernelIiLi16ELi32ELi8ELc78ELc78ELc76ELb0ELb0EffPKfPfEviT_T9_T10_S3_lS5_S3_lS4_T11_S3_li,@function
_ZL29rocblas_internal_gemmt_kernelIiLi16ELi32ELi8ELc78ELc78ELc76ELb0ELb0EffPKfPfEviT_T9_T10_S3_lS5_S3_lS4_T11_S3_li: ; @_ZL29rocblas_internal_gemmt_kernelIiLi16ELi32ELi8ELc78ELc78ELc76ELb0ELb0EffPKfPfEviT_T9_T10_S3_lS5_S3_lS4_T11_S3_li
; %bb.0:
	s_clause 0x1
	s_load_b32 s7, s[0:1], 0x40
	s_load_b96 s[4:6], s[0:1], 0x0
	s_wait_kmcnt 0x0
	s_cmp_neq_f32 s7, 1.0
	s_cselect_b32 s2, -1, 0
	s_delay_alu instid0(SALU_CYCLE_1)
	s_and_b32 vcc_lo, exec_lo, s2
	s_cbranch_vccnz .LBB27_2
; %bb.1:
	s_cmp_lg_u32 s5, 0
	s_cselect_b32 s2, -1, 0
	s_cmp_neq_f32 s6, 0
	s_cselect_b32 s3, -1, 0
	s_delay_alu instid0(SALU_CYCLE_1)
	s_and_b32 s2, s2, s3
.LBB27_2:
	s_delay_alu instid0(SALU_CYCLE_1)
	s_and_not1_b32 vcc_lo, exec_lo, s2
	s_cbranch_vccnz .LBB27_33
; %bb.3:
	s_load_b32 s19, s[0:1], 0x60
	s_lshr_b32 s20, ttmp7, 16
	s_wait_kmcnt 0x0
	s_cmp_ge_u32 s20, s19
	s_cbranch_scc1 .LBB27_33
; %bb.4:
	s_clause 0x1
	s_load_b96 s[16:18], s[0:1], 0x10
	s_load_b128 s[8:11], s[0:1], 0x20
	v_and_b32_e32 v1, 0x3ff, v0
	v_bfe_u32 v2, v0, 10, 10
	v_and_b32_e32 v16, 7, v0
	s_clause 0x3
	s_load_b32 s15, s[0:1], 0x30
	s_load_b64 s[24:25], s[0:1], 0x38
	s_load_b96 s[12:14], s[0:1], 0x48
	s_load_b64 s[22:23], s[0:1], 0x58
	s_lshl_b32 s0, ttmp7, 5
	s_lshl_b32 s2, ttmp9, 5
	v_lshl_add_u32 v0, v2, 4, v1
	v_lshlrev_b32_e32 v14, 2, v16
	s_and_b32 s3, s0, 0x1fffe0
	v_lshl_add_u32 v21, v2, 5, 0x400
	v_lshlrev_b32_e32 v20, 2, v1
	v_and_b32_e32 v3, 31, v0
	v_lshrrev_b32_e32 v5, 3, v0
	v_lshrrev_b32_e32 v17, 5, v0
	s_mov_b32 s21, 0
	s_delay_alu instid0(VALU_DEP_3)
	v_lshlrev_b32_e32 v0, 2, v3
	v_or_b32_e32 v4, s2, v3
	s_wait_kmcnt 0x0
	s_ashr_i32 s31, s18, 31
	s_cmp_neq_f32 s6, 0
	v_add_nc_u32_e32 v10, s3, v5
	v_lshl_or_b32 v3, v5, 5, v14
	v_lshl_or_b32 v18, v17, 7, v0
	v_add_nc_u32_e32 v0, s2, v1
	v_add_nc_u32_e32 v5, s3, v2
	s_cselect_b32 s29, -1, 0
	s_cmp_gt_i32 s5, 0
	v_mad_co_i64_i32 v[6:7], null, v17, s18, 0
	s_delay_alu instid0(VALU_DEP_2)
	v_cmp_le_i32_e32 vcc_lo, v5, v0
	v_cmp_gt_i32_e64 s2, s4, v0
	v_add_nc_u32_e32 v2, 16, v0
	s_cselect_b32 s33, -1, 0
	s_cmp_neq_f32 s7, 0
	v_cmp_gt_i32_e64 s1, s4, v10
	v_mad_co_i64_i32 v[10:11], null, s15, v10, 0
	s_cselect_b32 s26, -1, 0
	v_mad_co_i64_i32 v[8:9], null, v5, s14, 0
	s_and_b32 s27, vcc_lo, s2
	v_cmp_le_i32_e32 vcc_lo, v5, v2
	v_add_nc_u32_e32 v12, 16, v5
	v_ashrrev_i32_e32 v5, 31, v4
	v_cmp_gt_i32_e64 s3, s4, v2
	v_cmp_gt_i32_e64 s0, s4, v4
	v_lshlrev_b64_e32 v[6:7], 2, v[6:7]
	s_mov_b32 s30, s18
	v_lshlrev_b64_e32 v[4:5], 2, v[4:5]
	s_and_b32 s18, vcc_lo, s3
	v_cmp_le_i32_e32 vcc_lo, v12, v0
	v_lshlrev_b64_e32 v[10:11], 2, v[10:11]
	v_cmp_le_i32_e64 s4, v12, v2
	v_mad_co_i64_i32 v[12:13], null, v12, s14, 0
	s_and_b32 s28, vcc_lo, s2
	v_add_co_u32 v4, vcc_lo, v6, v4
	s_delay_alu instid0(VALU_DEP_1)
	v_add_co_ci_u32_e64 v5, null, v7, v5, vcc_lo
	v_add_co_u32 v6, vcc_lo, v10, v14
	s_wait_alu 0xfffd
	v_add_co_ci_u32_e64 v7, null, 0, v11, vcc_lo
	v_add_co_u32 v4, vcc_lo, s16, v4
	s_wait_alu 0xfffd
	v_add_co_ci_u32_e64 v5, null, s17, v5, vcc_lo
	v_add_co_u32 v6, vcc_lo, s10, v6
	v_lshlrev_b64_e32 v[8:9], 2, v[8:9]
	v_lshlrev_b64_e32 v[10:11], 2, v[12:13]
	v_add_nc_u32_e32 v19, 0x400, v3
	v_ashrrev_i32_e32 v1, 31, v0
	v_ashrrev_i32_e32 v3, 31, v2
	s_wait_alu 0xfffd
	v_add_co_ci_u32_e64 v7, null, s11, v7, vcc_lo
	s_and_b32 s4, s4, s3
	s_and_b32 s16, s29, s33
	s_lshl_b64 s[2:3], s[8:9], 2
	s_lshl_b64 s[8:9], s[30:31], 5
	;; [unrolled: 1-line block ×3, first 2 shown]
	s_branch .LBB27_6
.LBB27_5:                               ;   in Loop: Header=BB27_6 Depth=1
	s_wait_alu 0xfffe
	s_or_b32 exec_lo, exec_lo, s14
	s_add_co_i32 s20, s20, 0x10000
	s_wait_alu 0xfffe
	s_cmp_lt_u32 s20, s19
	s_cbranch_scc0 .LBB27_33
.LBB27_6:                               ; =>This Loop Header: Depth=1
                                        ;     Child Loop BB27_9 Depth 2
	v_dual_mov_b32 v25, 0 :: v_dual_mov_b32 v24, 0
	v_dual_mov_b32 v23, 0 :: v_dual_mov_b32 v22, 0
	s_wait_alu 0xfffe
	s_and_not1_b32 vcc_lo, exec_lo, s16
	s_wait_alu 0xfffe
	s_cbranch_vccnz .LBB27_13
; %bb.7:                                ;   in Loop: Header=BB27_6 Depth=1
	v_mad_co_u64_u32 v[12:13], null, s2, s20, v[4:5]
	v_mad_co_u64_u32 v[14:15], null, s10, s20, v[6:7]
	v_dual_mov_b32 v22, 0 :: v_dual_mov_b32 v23, 0
	s_mov_b32 s14, 0
	s_delay_alu instid0(VALU_DEP_2) | instskip(NEXT) | instid1(VALU_DEP_3)
	v_mad_co_u64_u32 v[25:26], null, s3, s20, v[13:14]
	v_mad_co_u64_u32 v[26:27], null, s11, s20, v[15:16]
	s_delay_alu instid0(VALU_DEP_2) | instskip(SKIP_1) | instid1(VALU_DEP_3)
	v_dual_mov_b32 v24, 0 :: v_dual_mov_b32 v13, v25
	v_mov_b32_e32 v25, 0
	v_mov_b32_e32 v15, v26
	s_branch .LBB27_9
.LBB27_8:                               ;   in Loop: Header=BB27_9 Depth=2
	s_wait_alu 0xfffe
	s_or_b32 exec_lo, exec_lo, s15
	s_wait_loadcnt 0x0
	ds_store_b32 v19, v27
	s_wait_dscnt 0x0
	s_barrier_signal -1
	s_barrier_wait -1
	global_inv scope:SCOPE_SE
	ds_load_b128 v[26:29], v21
	ds_load_2addr_b32 v[42:43], v20 offset1:16
	ds_load_b128 v[30:33], v21 offset:512
	ds_load_2addr_b32 v[44:45], v20 offset0:32 offset1:48
	ds_load_2addr_b32 v[46:47], v20 offset0:64 offset1:80
	;; [unrolled: 1-line block ×3, first 2 shown]
	ds_load_b128 v[34:37], v21 offset:16
	ds_load_2addr_b32 v[50:51], v20 offset0:128 offset1:144
	ds_load_b128 v[38:41], v21 offset:528
	v_add_co_u32 v12, vcc_lo, v12, s8
	s_wait_alu 0xfffd
	v_add_co_ci_u32_e64 v13, null, s9, v13, vcc_lo
	v_add_co_u32 v14, vcc_lo, v14, 32
	s_wait_alu 0xfffd
	v_add_co_ci_u32_e64 v15, null, 0, v15, vcc_lo
	s_add_co_i32 s14, s14, 8
	s_wait_alu 0xfffe
	s_cmp_lt_i32 s14, s5
	s_wait_dscnt 0x7
	v_fmac_f32_e32 v24, v43, v26
	v_fmac_f32_e32 v25, v42, v26
	s_wait_dscnt 0x6
	v_fmac_f32_e32 v22, v43, v30
	v_fmac_f32_e32 v23, v42, v30
	ds_load_2addr_b32 v[42:43], v20 offset0:160 offset1:176
	s_wait_dscnt 0x6
	v_fmac_f32_e32 v24, v45, v27
	v_fmac_f32_e32 v25, v44, v27
	v_fmac_f32_e32 v22, v45, v31
	v_fmac_f32_e32 v23, v44, v31
	ds_load_2addr_b32 v[26:27], v20 offset0:192 offset1:208
	s_wait_dscnt 0x6
	v_fmac_f32_e32 v24, v47, v28
	v_fmac_f32_e32 v25, v46, v28
	;; [unrolled: 6-line block ×3, first 2 shown]
	v_fmac_f32_e32 v22, v49, v33
	v_fmac_f32_e32 v23, v48, v33
	s_wait_loadcnt_dscnt 0x0
	v_fmac_f32_e32 v24, v51, v34
	v_fmac_f32_e32 v25, v50, v34
	v_fmac_f32_e32 v22, v51, v38
	v_fmac_f32_e32 v23, v50, v38
	s_barrier_signal -1
	v_fmac_f32_e32 v24, v43, v35
	v_fmac_f32_e32 v25, v42, v35
	;; [unrolled: 1-line block ×4, first 2 shown]
	s_barrier_wait -1
	v_fmac_f32_e32 v24, v27, v36
	v_fmac_f32_e32 v25, v26, v36
	;; [unrolled: 1-line block ×4, first 2 shown]
	global_inv scope:SCOPE_SE
	v_fmac_f32_e32 v24, v31, v37
	v_fmac_f32_e32 v25, v30, v37
	;; [unrolled: 1-line block ×4, first 2 shown]
	s_cbranch_scc0 .LBB27_13
.LBB27_9:                               ;   Parent Loop BB27_6 Depth=1
                                        ; =>  This Inner Loop Header: Depth=2
	s_wait_alu 0xfffe
	v_add_nc_u32_e32 v26, s14, v17
	s_delay_alu instid0(VALU_DEP_1)
	v_cmp_gt_i32_e32 vcc_lo, s5, v26
	v_mov_b32_e32 v26, 0
	s_and_b32 s17, s0, vcc_lo
	s_wait_alu 0xfffe
	s_and_saveexec_b32 s15, s17
	s_cbranch_execz .LBB27_11
; %bb.10:                               ;   in Loop: Header=BB27_9 Depth=2
	global_load_b32 v26, v[12:13], off
.LBB27_11:                              ;   in Loop: Header=BB27_9 Depth=2
	s_wait_alu 0xfffe
	s_or_b32 exec_lo, exec_lo, s15
	v_add_nc_u32_e32 v27, s14, v16
	s_wait_loadcnt 0x0
	ds_store_b32 v18, v26
	v_cmp_gt_i32_e32 vcc_lo, s5, v27
	v_mov_b32_e32 v27, 0
	s_and_b32 s17, vcc_lo, s1
	s_wait_alu 0xfffe
	s_and_saveexec_b32 s15, s17
	s_cbranch_execz .LBB27_8
; %bb.12:                               ;   in Loop: Header=BB27_9 Depth=2
	global_load_b32 v27, v[14:15], off
	s_branch .LBB27_8
.LBB27_13:                              ;   in Loop: Header=BB27_6 Depth=1
	s_mul_u64 s[14:15], s[22:23], s[20:21]
	s_wait_alu 0xfffe
	s_lshl_b64 s[14:15], s[14:15], 2
	s_wait_alu 0xfffe
	s_add_nc_u64 s[14:15], s[12:13], s[14:15]
	s_wait_alu 0xfffe
	v_add_co_u32 v12, vcc_lo, s14, v8
	s_wait_alu 0xfffd
	v_add_co_ci_u32_e64 v13, null, s15, v9, vcc_lo
	s_and_saveexec_b32 s17, s27
	s_cbranch_execz .LBB27_17
; %bb.14:                               ;   in Loop: Header=BB27_6 Depth=1
	v_mul_f32_e32 v14, s6, v25
	s_and_b32 vcc_lo, exec_lo, s26
	s_wait_alu 0xfffe
	s_cbranch_vccz .LBB27_28
; %bb.15:                               ;   in Loop: Header=BB27_6 Depth=1
	v_lshlrev_b64_e32 v[25:26], 2, v[0:1]
	s_delay_alu instid0(VALU_DEP_1) | instskip(SKIP_1) | instid1(VALU_DEP_2)
	v_add_co_u32 v25, vcc_lo, v12, v25
	s_wait_alu 0xfffd
	v_add_co_ci_u32_e64 v26, null, v13, v26, vcc_lo
	global_load_b32 v15, v[25:26], off
	s_wait_loadcnt 0x0
	v_fma_f32 v15, s7, v15, v14
	global_store_b32 v[25:26], v15, off
	s_cbranch_execnz .LBB27_17
.LBB27_16:                              ;   in Loop: Header=BB27_6 Depth=1
	v_lshlrev_b64_e32 v[25:26], 2, v[0:1]
	s_delay_alu instid0(VALU_DEP_1) | instskip(SKIP_1) | instid1(VALU_DEP_2)
	v_add_co_u32 v25, vcc_lo, v12, v25
	s_wait_alu 0xfffd
	v_add_co_ci_u32_e64 v26, null, v13, v26, vcc_lo
	global_store_b32 v[25:26], v14, off
.LBB27_17:                              ;   in Loop: Header=BB27_6 Depth=1
	s_wait_alu 0xfffe
	s_or_b32 exec_lo, exec_lo, s17
	s_and_saveexec_b32 s17, s18
	s_cbranch_execz .LBB27_21
; %bb.18:                               ;   in Loop: Header=BB27_6 Depth=1
	v_mul_f32_e32 v14, s6, v24
	s_and_not1_b32 vcc_lo, exec_lo, s26
	s_wait_alu 0xfffe
	s_cbranch_vccnz .LBB27_29
; %bb.19:                               ;   in Loop: Header=BB27_6 Depth=1
	v_lshlrev_b64_e32 v[24:25], 2, v[2:3]
	s_delay_alu instid0(VALU_DEP_1) | instskip(SKIP_1) | instid1(VALU_DEP_2)
	v_add_co_u32 v24, vcc_lo, v12, v24
	s_wait_alu 0xfffd
	v_add_co_ci_u32_e64 v25, null, v13, v25, vcc_lo
	global_load_b32 v15, v[24:25], off
	s_wait_loadcnt 0x0
	v_fma_f32 v15, s7, v15, v14
	global_store_b32 v[24:25], v15, off
	s_cbranch_execnz .LBB27_21
.LBB27_20:                              ;   in Loop: Header=BB27_6 Depth=1
	v_lshlrev_b64_e32 v[24:25], 2, v[2:3]
	s_delay_alu instid0(VALU_DEP_1) | instskip(SKIP_1) | instid1(VALU_DEP_2)
	v_add_co_u32 v12, vcc_lo, v12, v24
	s_wait_alu 0xfffd
	v_add_co_ci_u32_e64 v13, null, v13, v25, vcc_lo
	global_store_b32 v[12:13], v14, off
.LBB27_21:                              ;   in Loop: Header=BB27_6 Depth=1
	s_wait_alu 0xfffe
	s_or_b32 exec_lo, exec_lo, s17
	v_add_co_u32 v14, vcc_lo, s14, v10
	s_wait_alu 0xfffd
	v_add_co_ci_u32_e64 v15, null, s15, v11, vcc_lo
	s_and_saveexec_b32 s14, s28
	s_cbranch_execz .LBB27_25
; %bb.22:                               ;   in Loop: Header=BB27_6 Depth=1
	v_lshlrev_b64_e32 v[12:13], 2, v[0:1]
	v_mul_f32_e32 v23, s6, v23
	s_and_not1_b32 vcc_lo, exec_lo, s26
	s_wait_alu 0xfffe
	s_cbranch_vccnz .LBB27_30
; %bb.23:                               ;   in Loop: Header=BB27_6 Depth=1
	s_delay_alu instid0(VALU_DEP_2)
	v_add_co_u32 v24, vcc_lo, v14, v12
	s_wait_alu 0xfffd
	v_add_co_ci_u32_e64 v25, null, v15, v13, vcc_lo
	global_load_b32 v26, v[24:25], off
	s_wait_loadcnt 0x0
	v_fma_f32 v26, s7, v26, v23
	global_store_b32 v[24:25], v26, off
	s_cbranch_execnz .LBB27_25
.LBB27_24:                              ;   in Loop: Header=BB27_6 Depth=1
	v_add_co_u32 v12, vcc_lo, v14, v12
	s_wait_alu 0xfffd
	v_add_co_ci_u32_e64 v13, null, v15, v13, vcc_lo
	global_store_b32 v[12:13], v23, off
.LBB27_25:                              ;   in Loop: Header=BB27_6 Depth=1
	s_wait_alu 0xfffe
	s_or_b32 exec_lo, exec_lo, s14
	s_and_saveexec_b32 s14, s4
	s_cbranch_execz .LBB27_5
; %bb.26:                               ;   in Loop: Header=BB27_6 Depth=1
	v_lshlrev_b64_e32 v[12:13], 2, v[2:3]
	v_mul_f32_e32 v22, s6, v22
	s_and_not1_b32 vcc_lo, exec_lo, s26
	s_wait_alu 0xfffe
	s_cbranch_vccnz .LBB27_31
; %bb.27:                               ;   in Loop: Header=BB27_6 Depth=1
	s_delay_alu instid0(VALU_DEP_2)
	v_add_co_u32 v23, vcc_lo, v14, v12
	s_wait_alu 0xfffd
	v_add_co_ci_u32_e64 v24, null, v15, v13, vcc_lo
	global_load_b32 v25, v[23:24], off
	s_wait_loadcnt 0x0
	v_fma_f32 v25, s7, v25, v22
	global_store_b32 v[23:24], v25, off
	s_cbranch_execnz .LBB27_5
	s_branch .LBB27_32
.LBB27_28:                              ;   in Loop: Header=BB27_6 Depth=1
	s_branch .LBB27_16
.LBB27_29:                              ;   in Loop: Header=BB27_6 Depth=1
	s_branch .LBB27_20
.LBB27_30:                              ;   in Loop: Header=BB27_6 Depth=1
	s_branch .LBB27_24
.LBB27_31:                              ;   in Loop: Header=BB27_6 Depth=1
.LBB27_32:                              ;   in Loop: Header=BB27_6 Depth=1
	s_delay_alu instid0(VALU_DEP_2)
	v_add_co_u32 v12, vcc_lo, v14, v12
	s_wait_alu 0xfffd
	v_add_co_ci_u32_e64 v13, null, v15, v13, vcc_lo
	global_store_b32 v[12:13], v22, off
	s_branch .LBB27_5
.LBB27_33:
	s_endpgm
	.section	.rodata,"a",@progbits
	.p2align	6, 0x0
	.amdhsa_kernel _ZL29rocblas_internal_gemmt_kernelIiLi16ELi32ELi8ELc78ELc78ELc76ELb0ELb0EffPKfPfEviT_T9_T10_S3_lS5_S3_lS4_T11_S3_li
		.amdhsa_group_segment_fixed_size 2048
		.amdhsa_private_segment_fixed_size 0
		.amdhsa_kernarg_size 100
		.amdhsa_user_sgpr_count 2
		.amdhsa_user_sgpr_dispatch_ptr 0
		.amdhsa_user_sgpr_queue_ptr 0
		.amdhsa_user_sgpr_kernarg_segment_ptr 1
		.amdhsa_user_sgpr_dispatch_id 0
		.amdhsa_user_sgpr_private_segment_size 0
		.amdhsa_wavefront_size32 1
		.amdhsa_uses_dynamic_stack 0
		.amdhsa_enable_private_segment 0
		.amdhsa_system_sgpr_workgroup_id_x 1
		.amdhsa_system_sgpr_workgroup_id_y 1
		.amdhsa_system_sgpr_workgroup_id_z 1
		.amdhsa_system_sgpr_workgroup_info 0
		.amdhsa_system_vgpr_workitem_id 1
		.amdhsa_next_free_vgpr 52
		.amdhsa_next_free_sgpr 34
		.amdhsa_reserve_vcc 1
		.amdhsa_float_round_mode_32 0
		.amdhsa_float_round_mode_16_64 0
		.amdhsa_float_denorm_mode_32 3
		.amdhsa_float_denorm_mode_16_64 3
		.amdhsa_fp16_overflow 0
		.amdhsa_workgroup_processor_mode 1
		.amdhsa_memory_ordered 1
		.amdhsa_forward_progress 1
		.amdhsa_inst_pref_size 15
		.amdhsa_round_robin_scheduling 0
		.amdhsa_exception_fp_ieee_invalid_op 0
		.amdhsa_exception_fp_denorm_src 0
		.amdhsa_exception_fp_ieee_div_zero 0
		.amdhsa_exception_fp_ieee_overflow 0
		.amdhsa_exception_fp_ieee_underflow 0
		.amdhsa_exception_fp_ieee_inexact 0
		.amdhsa_exception_int_div_zero 0
	.end_amdhsa_kernel
	.section	.text._ZL29rocblas_internal_gemmt_kernelIiLi16ELi32ELi8ELc78ELc78ELc76ELb0ELb0EffPKfPfEviT_T9_T10_S3_lS5_S3_lS4_T11_S3_li,"axG",@progbits,_ZL29rocblas_internal_gemmt_kernelIiLi16ELi32ELi8ELc78ELc78ELc76ELb0ELb0EffPKfPfEviT_T9_T10_S3_lS5_S3_lS4_T11_S3_li,comdat
.Lfunc_end27:
	.size	_ZL29rocblas_internal_gemmt_kernelIiLi16ELi32ELi8ELc78ELc78ELc76ELb0ELb0EffPKfPfEviT_T9_T10_S3_lS5_S3_lS4_T11_S3_li, .Lfunc_end27-_ZL29rocblas_internal_gemmt_kernelIiLi16ELi32ELi8ELc78ELc78ELc76ELb0ELb0EffPKfPfEviT_T9_T10_S3_lS5_S3_lS4_T11_S3_li
                                        ; -- End function
	.set _ZL29rocblas_internal_gemmt_kernelIiLi16ELi32ELi8ELc78ELc78ELc76ELb0ELb0EffPKfPfEviT_T9_T10_S3_lS5_S3_lS4_T11_S3_li.num_vgpr, 52
	.set _ZL29rocblas_internal_gemmt_kernelIiLi16ELi32ELi8ELc78ELc78ELc76ELb0ELb0EffPKfPfEviT_T9_T10_S3_lS5_S3_lS4_T11_S3_li.num_agpr, 0
	.set _ZL29rocblas_internal_gemmt_kernelIiLi16ELi32ELi8ELc78ELc78ELc76ELb0ELb0EffPKfPfEviT_T9_T10_S3_lS5_S3_lS4_T11_S3_li.numbered_sgpr, 34
	.set _ZL29rocblas_internal_gemmt_kernelIiLi16ELi32ELi8ELc78ELc78ELc76ELb0ELb0EffPKfPfEviT_T9_T10_S3_lS5_S3_lS4_T11_S3_li.num_named_barrier, 0
	.set _ZL29rocblas_internal_gemmt_kernelIiLi16ELi32ELi8ELc78ELc78ELc76ELb0ELb0EffPKfPfEviT_T9_T10_S3_lS5_S3_lS4_T11_S3_li.private_seg_size, 0
	.set _ZL29rocblas_internal_gemmt_kernelIiLi16ELi32ELi8ELc78ELc78ELc76ELb0ELb0EffPKfPfEviT_T9_T10_S3_lS5_S3_lS4_T11_S3_li.uses_vcc, 1
	.set _ZL29rocblas_internal_gemmt_kernelIiLi16ELi32ELi8ELc78ELc78ELc76ELb0ELb0EffPKfPfEviT_T9_T10_S3_lS5_S3_lS4_T11_S3_li.uses_flat_scratch, 0
	.set _ZL29rocblas_internal_gemmt_kernelIiLi16ELi32ELi8ELc78ELc78ELc76ELb0ELb0EffPKfPfEviT_T9_T10_S3_lS5_S3_lS4_T11_S3_li.has_dyn_sized_stack, 0
	.set _ZL29rocblas_internal_gemmt_kernelIiLi16ELi32ELi8ELc78ELc78ELc76ELb0ELb0EffPKfPfEviT_T9_T10_S3_lS5_S3_lS4_T11_S3_li.has_recursion, 0
	.set _ZL29rocblas_internal_gemmt_kernelIiLi16ELi32ELi8ELc78ELc78ELc76ELb0ELb0EffPKfPfEviT_T9_T10_S3_lS5_S3_lS4_T11_S3_li.has_indirect_call, 0
	.section	.AMDGPU.csdata,"",@progbits
; Kernel info:
; codeLenInByte = 1808
; TotalNumSgprs: 36
; NumVgprs: 52
; ScratchSize: 0
; MemoryBound: 0
; FloatMode: 240
; IeeeMode: 1
; LDSByteSize: 2048 bytes/workgroup (compile time only)
; SGPRBlocks: 0
; VGPRBlocks: 6
; NumSGPRsForWavesPerEU: 36
; NumVGPRsForWavesPerEU: 52
; Occupancy: 16
; WaveLimiterHint : 0
; COMPUTE_PGM_RSRC2:SCRATCH_EN: 0
; COMPUTE_PGM_RSRC2:USER_SGPR: 2
; COMPUTE_PGM_RSRC2:TRAP_HANDLER: 0
; COMPUTE_PGM_RSRC2:TGID_X_EN: 1
; COMPUTE_PGM_RSRC2:TGID_Y_EN: 1
; COMPUTE_PGM_RSRC2:TGID_Z_EN: 1
; COMPUTE_PGM_RSRC2:TIDIG_COMP_CNT: 1
	.section	.text._ZL29rocblas_internal_gemmt_kernelIiLi16ELi32ELi8ELc78ELc84ELc76ELb0ELb0EffPKfPfEviT_T9_T10_S3_lS5_S3_lS4_T11_S3_li,"axG",@progbits,_ZL29rocblas_internal_gemmt_kernelIiLi16ELi32ELi8ELc78ELc84ELc76ELb0ELb0EffPKfPfEviT_T9_T10_S3_lS5_S3_lS4_T11_S3_li,comdat
	.globl	_ZL29rocblas_internal_gemmt_kernelIiLi16ELi32ELi8ELc78ELc84ELc76ELb0ELb0EffPKfPfEviT_T9_T10_S3_lS5_S3_lS4_T11_S3_li ; -- Begin function _ZL29rocblas_internal_gemmt_kernelIiLi16ELi32ELi8ELc78ELc84ELc76ELb0ELb0EffPKfPfEviT_T9_T10_S3_lS5_S3_lS4_T11_S3_li
	.p2align	8
	.type	_ZL29rocblas_internal_gemmt_kernelIiLi16ELi32ELi8ELc78ELc84ELc76ELb0ELb0EffPKfPfEviT_T9_T10_S3_lS5_S3_lS4_T11_S3_li,@function
_ZL29rocblas_internal_gemmt_kernelIiLi16ELi32ELi8ELc78ELc84ELc76ELb0ELb0EffPKfPfEviT_T9_T10_S3_lS5_S3_lS4_T11_S3_li: ; @_ZL29rocblas_internal_gemmt_kernelIiLi16ELi32ELi8ELc78ELc84ELc76ELb0ELb0EffPKfPfEviT_T9_T10_S3_lS5_S3_lS4_T11_S3_li
; %bb.0:
	s_clause 0x1
	s_load_b32 s7, s[0:1], 0x40
	s_load_b96 s[4:6], s[0:1], 0x0
	s_wait_kmcnt 0x0
	s_cmp_neq_f32 s7, 1.0
	s_cselect_b32 s2, -1, 0
	s_delay_alu instid0(SALU_CYCLE_1)
	s_and_b32 vcc_lo, exec_lo, s2
	s_cbranch_vccnz .LBB28_2
; %bb.1:
	s_cmp_lg_u32 s5, 0
	s_cselect_b32 s2, -1, 0
	s_cmp_neq_f32 s6, 0
	s_cselect_b32 s3, -1, 0
	s_delay_alu instid0(SALU_CYCLE_1)
	s_and_b32 s2, s2, s3
.LBB28_2:
	s_delay_alu instid0(SALU_CYCLE_1)
	s_and_not1_b32 vcc_lo, exec_lo, s2
	s_cbranch_vccnz .LBB28_33
; %bb.3:
	s_load_b32 s19, s[0:1], 0x60
	s_lshr_b32 s20, ttmp7, 16
	s_wait_kmcnt 0x0
	s_cmp_ge_u32 s20, s19
	s_cbranch_scc1 .LBB28_33
; %bb.4:
	s_clause 0x1
	s_load_b96 s[16:18], s[0:1], 0x10
	s_load_b32 s24, s[0:1], 0x30
	v_and_b32_e32 v1, 0x3ff, v0
	v_bfe_u32 v2, v0, 10, 10
	v_and_b32_e32 v16, 7, v0
	s_clause 0x3
	s_load_b128 s[8:11], s[0:1], 0x20
	s_load_b64 s[26:27], s[0:1], 0x38
	s_load_b96 s[12:14], s[0:1], 0x48
	s_load_b64 s[22:23], s[0:1], 0x58
	s_lshl_b32 s2, ttmp9, 5
	s_lshl_b32 s0, ttmp7, 5
	v_lshl_add_u32 v0, v2, 4, v1
	v_lshlrev_b32_e32 v3, 2, v16
	s_and_b32 s3, s0, 0x1fffe0
	v_lshl_add_u32 v21, v2, 5, 0x400
	v_lshlrev_b32_e32 v20, 2, v1
	v_and_b32_e32 v5, 31, v0
	v_lshrrev_b32_e32 v17, 5, v0
	v_lshrrev_b32_e32 v0, 3, v0
	s_mov_b32 s21, 0
	s_delay_alu instid0(VALU_DEP_3)
	v_or_b32_e32 v4, s2, v5
	v_lshlrev_b32_e32 v5, 2, v5
	s_wait_kmcnt 0x0
	s_ashr_i32 s35, s18, 31
	s_ashr_i32 s25, s24, 31
	s_cmp_neq_f32 s6, 0
	v_add_nc_u32_e32 v14, s3, v0
	v_lshl_or_b32 v3, v0, 5, v3
	v_lshl_or_b32 v18, v17, 7, v5
	v_add_nc_u32_e32 v0, s2, v1
	v_add_nc_u32_e32 v5, s3, v2
	s_cselect_b32 s15, -1, 0
	s_cmp_gt_i32 s5, 0
	v_mad_co_i64_i32 v[6:7], null, v17, s18, 0
	s_delay_alu instid0(VALU_DEP_2)
	v_cmp_le_i32_e32 vcc_lo, v5, v0
	v_cmp_gt_i32_e64 s2, s4, v0
	v_add_nc_u32_e32 v2, 16, v0
	s_cselect_b32 s31, -1, 0
	s_cmp_neq_f32 s7, 0
	v_mad_co_i64_i32 v[8:9], null, v5, s14, 0
	v_add_nc_u32_e32 v12, 16, v5
	s_cselect_b32 s28, -1, 0
	s_and_b32 s29, vcc_lo, s2
	v_cmp_le_i32_e32 vcc_lo, v5, v2
	v_ashrrev_i32_e32 v5, 31, v4
	v_cmp_gt_i32_e64 s3, s4, v2
	v_cmp_gt_i32_e64 s0, s4, v4
	v_lshlrev_b64_e32 v[6:7], 2, v[6:7]
	v_mad_co_i64_i32 v[10:11], null, s24, v16, 0
	v_lshlrev_b64_e32 v[4:5], 2, v[4:5]
	s_mov_b32 s34, s18
	s_and_b32 s18, vcc_lo, s3
	v_cmp_le_i32_e32 vcc_lo, v12, v0
	v_cmp_gt_i32_e64 s1, s4, v14
	v_cmp_le_i32_e64 s4, v12, v2
	v_mad_co_i64_i32 v[12:13], null, v12, s14, 0
	s_and_b32 s30, vcc_lo, s2
	v_add_co_u32 v4, vcc_lo, v6, v4
	s_delay_alu instid0(VALU_DEP_1) | instskip(SKIP_2) | instid1(VALU_DEP_4)
	v_add_co_ci_u32_e64 v5, null, v7, v5, vcc_lo
	v_lshlrev_b64_e32 v[6:7], 2, v[10:11]
	v_lshlrev_b32_e32 v10, 2, v14
	v_add_co_u32 v4, vcc_lo, s16, v4
	s_wait_alu 0xfffd
	v_add_co_ci_u32_e64 v5, null, s17, v5, vcc_lo
	s_delay_alu instid0(VALU_DEP_3) | instskip(SKIP_3) | instid1(VALU_DEP_3)
	v_add_co_u32 v6, vcc_lo, v6, v10
	s_wait_alu 0xfffd
	v_add_co_ci_u32_e64 v7, null, 0, v7, vcc_lo
	v_lshlrev_b64_e32 v[8:9], 2, v[8:9]
	v_add_co_u32 v6, vcc_lo, s10, v6
	v_lshlrev_b64_e32 v[10:11], 2, v[12:13]
	v_add_nc_u32_e32 v19, 0x400, v3
	v_ashrrev_i32_e32 v1, 31, v0
	v_ashrrev_i32_e32 v3, 31, v2
	s_wait_alu 0xfffd
	v_add_co_ci_u32_e64 v7, null, s11, v7, vcc_lo
	s_and_b32 s4, s4, s3
	s_lshl_b64 s[2:3], s[8:9], 2
	s_and_b32 s31, s15, s31
	s_lshl_b64 s[8:9], s[34:35], 5
	s_lshl_b64 s[10:11], s[26:27], 2
	;; [unrolled: 1-line block ×3, first 2 shown]
	s_branch .LBB28_6
.LBB28_5:                               ;   in Loop: Header=BB28_6 Depth=1
	s_wait_alu 0xfffe
	s_or_b32 exec_lo, exec_lo, s16
	s_add_co_i32 s20, s20, 0x10000
	s_wait_alu 0xfffe
	s_cmp_lt_u32 s20, s19
	s_cbranch_scc0 .LBB28_33
.LBB28_6:                               ; =>This Loop Header: Depth=1
                                        ;     Child Loop BB28_9 Depth 2
	v_dual_mov_b32 v25, 0 :: v_dual_mov_b32 v24, 0
	v_dual_mov_b32 v23, 0 :: v_dual_mov_b32 v22, 0
	s_and_not1_b32 vcc_lo, exec_lo, s31
	s_wait_alu 0xfffe
	s_cbranch_vccnz .LBB28_13
; %bb.7:                                ;   in Loop: Header=BB28_6 Depth=1
	v_mad_co_u64_u32 v[12:13], null, s2, s20, v[4:5]
	v_mad_co_u64_u32 v[14:15], null, s10, s20, v[6:7]
	v_dual_mov_b32 v22, 0 :: v_dual_mov_b32 v23, 0
	s_mov_b32 s16, 0
	s_delay_alu instid0(VALU_DEP_2) | instskip(NEXT) | instid1(VALU_DEP_3)
	v_mad_co_u64_u32 v[25:26], null, s3, s20, v[13:14]
	v_mad_co_u64_u32 v[26:27], null, s11, s20, v[15:16]
	s_delay_alu instid0(VALU_DEP_2) | instskip(SKIP_1) | instid1(VALU_DEP_3)
	v_dual_mov_b32 v24, 0 :: v_dual_mov_b32 v13, v25
	v_mov_b32_e32 v25, 0
	v_mov_b32_e32 v15, v26
	s_branch .LBB28_9
.LBB28_8:                               ;   in Loop: Header=BB28_9 Depth=2
	s_wait_alu 0xfffe
	s_or_b32 exec_lo, exec_lo, s17
	s_wait_loadcnt 0x0
	ds_store_b32 v19, v27
	s_wait_dscnt 0x0
	s_barrier_signal -1
	s_barrier_wait -1
	global_inv scope:SCOPE_SE
	ds_load_b128 v[26:29], v21
	ds_load_2addr_b32 v[42:43], v20 offset1:16
	ds_load_b128 v[30:33], v21 offset:512
	ds_load_2addr_b32 v[44:45], v20 offset0:32 offset1:48
	ds_load_2addr_b32 v[46:47], v20 offset0:64 offset1:80
	;; [unrolled: 1-line block ×3, first 2 shown]
	ds_load_b128 v[34:37], v21 offset:16
	ds_load_2addr_b32 v[50:51], v20 offset0:128 offset1:144
	ds_load_b128 v[38:41], v21 offset:528
	v_add_co_u32 v12, vcc_lo, v12, s8
	s_wait_alu 0xfffd
	v_add_co_ci_u32_e64 v13, null, s9, v13, vcc_lo
	v_add_co_u32 v14, vcc_lo, v14, s14
	s_wait_alu 0xfffd
	v_add_co_ci_u32_e64 v15, null, s15, v15, vcc_lo
	s_add_co_i32 s16, s16, 8
	s_wait_alu 0xfffe
	s_cmp_lt_i32 s16, s5
	s_wait_dscnt 0x7
	v_fmac_f32_e32 v24, v43, v26
	v_fmac_f32_e32 v25, v42, v26
	s_wait_dscnt 0x6
	v_fmac_f32_e32 v22, v43, v30
	v_fmac_f32_e32 v23, v42, v30
	ds_load_2addr_b32 v[42:43], v20 offset0:160 offset1:176
	s_wait_dscnt 0x6
	v_fmac_f32_e32 v24, v45, v27
	v_fmac_f32_e32 v25, v44, v27
	v_fmac_f32_e32 v22, v45, v31
	v_fmac_f32_e32 v23, v44, v31
	ds_load_2addr_b32 v[26:27], v20 offset0:192 offset1:208
	s_wait_dscnt 0x6
	v_fmac_f32_e32 v24, v47, v28
	v_fmac_f32_e32 v25, v46, v28
	;; [unrolled: 6-line block ×3, first 2 shown]
	v_fmac_f32_e32 v22, v49, v33
	v_fmac_f32_e32 v23, v48, v33
	s_wait_loadcnt_dscnt 0x0
	v_fmac_f32_e32 v24, v51, v34
	v_fmac_f32_e32 v25, v50, v34
	;; [unrolled: 1-line block ×4, first 2 shown]
	s_barrier_signal -1
	v_fmac_f32_e32 v24, v43, v35
	v_fmac_f32_e32 v25, v42, v35
	;; [unrolled: 1-line block ×4, first 2 shown]
	s_barrier_wait -1
	v_fmac_f32_e32 v24, v27, v36
	v_fmac_f32_e32 v25, v26, v36
	v_fmac_f32_e32 v22, v27, v40
	v_fmac_f32_e32 v23, v26, v40
	global_inv scope:SCOPE_SE
	v_fmac_f32_e32 v24, v31, v37
	v_fmac_f32_e32 v25, v30, v37
	;; [unrolled: 1-line block ×4, first 2 shown]
	s_cbranch_scc0 .LBB28_13
.LBB28_9:                               ;   Parent Loop BB28_6 Depth=1
                                        ; =>  This Inner Loop Header: Depth=2
	s_wait_alu 0xfffe
	v_add_nc_u32_e32 v26, s16, v17
	s_delay_alu instid0(VALU_DEP_1)
	v_cmp_gt_i32_e32 vcc_lo, s5, v26
	v_mov_b32_e32 v26, 0
	s_and_b32 s24, s0, vcc_lo
	s_wait_alu 0xfffe
	s_and_saveexec_b32 s17, s24
	s_cbranch_execz .LBB28_11
; %bb.10:                               ;   in Loop: Header=BB28_9 Depth=2
	global_load_b32 v26, v[12:13], off
.LBB28_11:                              ;   in Loop: Header=BB28_9 Depth=2
	s_wait_alu 0xfffe
	s_or_b32 exec_lo, exec_lo, s17
	v_add_nc_u32_e32 v27, s16, v16
	s_wait_loadcnt 0x0
	ds_store_b32 v18, v26
	v_cmp_gt_i32_e32 vcc_lo, s5, v27
	v_mov_b32_e32 v27, 0
	s_and_b32 s24, vcc_lo, s1
	s_wait_alu 0xfffe
	s_and_saveexec_b32 s17, s24
	s_cbranch_execz .LBB28_8
; %bb.12:                               ;   in Loop: Header=BB28_9 Depth=2
	global_load_b32 v27, v[14:15], off
	s_branch .LBB28_8
.LBB28_13:                              ;   in Loop: Header=BB28_6 Depth=1
	s_mul_u64 s[16:17], s[22:23], s[20:21]
	s_wait_alu 0xfffe
	s_lshl_b64 s[16:17], s[16:17], 2
	s_wait_alu 0xfffe
	s_add_nc_u64 s[16:17], s[12:13], s[16:17]
	s_wait_alu 0xfffe
	v_add_co_u32 v12, vcc_lo, s16, v8
	s_wait_alu 0xfffd
	v_add_co_ci_u32_e64 v13, null, s17, v9, vcc_lo
	s_and_saveexec_b32 s24, s29
	s_cbranch_execz .LBB28_17
; %bb.14:                               ;   in Loop: Header=BB28_6 Depth=1
	v_mul_f32_e32 v14, s6, v25
	s_and_b32 vcc_lo, exec_lo, s28
	s_wait_alu 0xfffe
	s_cbranch_vccz .LBB28_28
; %bb.15:                               ;   in Loop: Header=BB28_6 Depth=1
	v_lshlrev_b64_e32 v[25:26], 2, v[0:1]
	s_delay_alu instid0(VALU_DEP_1) | instskip(SKIP_1) | instid1(VALU_DEP_2)
	v_add_co_u32 v25, vcc_lo, v12, v25
	s_wait_alu 0xfffd
	v_add_co_ci_u32_e64 v26, null, v13, v26, vcc_lo
	global_load_b32 v15, v[25:26], off
	s_wait_loadcnt 0x0
	v_fma_f32 v15, s7, v15, v14
	global_store_b32 v[25:26], v15, off
	s_cbranch_execnz .LBB28_17
.LBB28_16:                              ;   in Loop: Header=BB28_6 Depth=1
	v_lshlrev_b64_e32 v[25:26], 2, v[0:1]
	s_delay_alu instid0(VALU_DEP_1) | instskip(SKIP_1) | instid1(VALU_DEP_2)
	v_add_co_u32 v25, vcc_lo, v12, v25
	s_wait_alu 0xfffd
	v_add_co_ci_u32_e64 v26, null, v13, v26, vcc_lo
	global_store_b32 v[25:26], v14, off
.LBB28_17:                              ;   in Loop: Header=BB28_6 Depth=1
	s_wait_alu 0xfffe
	s_or_b32 exec_lo, exec_lo, s24
	s_and_saveexec_b32 s24, s18
	s_cbranch_execz .LBB28_21
; %bb.18:                               ;   in Loop: Header=BB28_6 Depth=1
	v_mul_f32_e32 v14, s6, v24
	s_and_not1_b32 vcc_lo, exec_lo, s28
	s_wait_alu 0xfffe
	s_cbranch_vccnz .LBB28_29
; %bb.19:                               ;   in Loop: Header=BB28_6 Depth=1
	v_lshlrev_b64_e32 v[24:25], 2, v[2:3]
	s_delay_alu instid0(VALU_DEP_1) | instskip(SKIP_1) | instid1(VALU_DEP_2)
	v_add_co_u32 v24, vcc_lo, v12, v24
	s_wait_alu 0xfffd
	v_add_co_ci_u32_e64 v25, null, v13, v25, vcc_lo
	global_load_b32 v15, v[24:25], off
	s_wait_loadcnt 0x0
	v_fma_f32 v15, s7, v15, v14
	global_store_b32 v[24:25], v15, off
	s_cbranch_execnz .LBB28_21
.LBB28_20:                              ;   in Loop: Header=BB28_6 Depth=1
	v_lshlrev_b64_e32 v[24:25], 2, v[2:3]
	s_delay_alu instid0(VALU_DEP_1) | instskip(SKIP_1) | instid1(VALU_DEP_2)
	v_add_co_u32 v12, vcc_lo, v12, v24
	s_wait_alu 0xfffd
	v_add_co_ci_u32_e64 v13, null, v13, v25, vcc_lo
	global_store_b32 v[12:13], v14, off
.LBB28_21:                              ;   in Loop: Header=BB28_6 Depth=1
	s_wait_alu 0xfffe
	s_or_b32 exec_lo, exec_lo, s24
	v_add_co_u32 v14, vcc_lo, s16, v10
	s_wait_alu 0xfffd
	v_add_co_ci_u32_e64 v15, null, s17, v11, vcc_lo
	s_and_saveexec_b32 s16, s30
	s_cbranch_execz .LBB28_25
; %bb.22:                               ;   in Loop: Header=BB28_6 Depth=1
	v_lshlrev_b64_e32 v[12:13], 2, v[0:1]
	v_mul_f32_e32 v23, s6, v23
	s_and_not1_b32 vcc_lo, exec_lo, s28
	s_wait_alu 0xfffe
	s_cbranch_vccnz .LBB28_30
; %bb.23:                               ;   in Loop: Header=BB28_6 Depth=1
	s_delay_alu instid0(VALU_DEP_2)
	v_add_co_u32 v24, vcc_lo, v14, v12
	s_wait_alu 0xfffd
	v_add_co_ci_u32_e64 v25, null, v15, v13, vcc_lo
	global_load_b32 v26, v[24:25], off
	s_wait_loadcnt 0x0
	v_fma_f32 v26, s7, v26, v23
	global_store_b32 v[24:25], v26, off
	s_cbranch_execnz .LBB28_25
.LBB28_24:                              ;   in Loop: Header=BB28_6 Depth=1
	v_add_co_u32 v12, vcc_lo, v14, v12
	s_wait_alu 0xfffd
	v_add_co_ci_u32_e64 v13, null, v15, v13, vcc_lo
	global_store_b32 v[12:13], v23, off
.LBB28_25:                              ;   in Loop: Header=BB28_6 Depth=1
	s_wait_alu 0xfffe
	s_or_b32 exec_lo, exec_lo, s16
	s_and_saveexec_b32 s16, s4
	s_cbranch_execz .LBB28_5
; %bb.26:                               ;   in Loop: Header=BB28_6 Depth=1
	v_lshlrev_b64_e32 v[12:13], 2, v[2:3]
	v_mul_f32_e32 v22, s6, v22
	s_and_not1_b32 vcc_lo, exec_lo, s28
	s_wait_alu 0xfffe
	s_cbranch_vccnz .LBB28_31
; %bb.27:                               ;   in Loop: Header=BB28_6 Depth=1
	s_delay_alu instid0(VALU_DEP_2)
	v_add_co_u32 v23, vcc_lo, v14, v12
	s_wait_alu 0xfffd
	v_add_co_ci_u32_e64 v24, null, v15, v13, vcc_lo
	global_load_b32 v25, v[23:24], off
	s_wait_loadcnt 0x0
	v_fma_f32 v25, s7, v25, v22
	global_store_b32 v[23:24], v25, off
	s_cbranch_execnz .LBB28_5
	s_branch .LBB28_32
.LBB28_28:                              ;   in Loop: Header=BB28_6 Depth=1
	s_branch .LBB28_16
.LBB28_29:                              ;   in Loop: Header=BB28_6 Depth=1
	s_branch .LBB28_20
.LBB28_30:                              ;   in Loop: Header=BB28_6 Depth=1
	s_branch .LBB28_24
.LBB28_31:                              ;   in Loop: Header=BB28_6 Depth=1
.LBB28_32:                              ;   in Loop: Header=BB28_6 Depth=1
	s_delay_alu instid0(VALU_DEP_2)
	v_add_co_u32 v12, vcc_lo, v14, v12
	s_wait_alu 0xfffd
	v_add_co_ci_u32_e64 v13, null, v15, v13, vcc_lo
	global_store_b32 v[12:13], v22, off
	s_branch .LBB28_5
.LBB28_33:
	s_endpgm
	.section	.rodata,"a",@progbits
	.p2align	6, 0x0
	.amdhsa_kernel _ZL29rocblas_internal_gemmt_kernelIiLi16ELi32ELi8ELc78ELc84ELc76ELb0ELb0EffPKfPfEviT_T9_T10_S3_lS5_S3_lS4_T11_S3_li
		.amdhsa_group_segment_fixed_size 2048
		.amdhsa_private_segment_fixed_size 0
		.amdhsa_kernarg_size 100
		.amdhsa_user_sgpr_count 2
		.amdhsa_user_sgpr_dispatch_ptr 0
		.amdhsa_user_sgpr_queue_ptr 0
		.amdhsa_user_sgpr_kernarg_segment_ptr 1
		.amdhsa_user_sgpr_dispatch_id 0
		.amdhsa_user_sgpr_private_segment_size 0
		.amdhsa_wavefront_size32 1
		.amdhsa_uses_dynamic_stack 0
		.amdhsa_enable_private_segment 0
		.amdhsa_system_sgpr_workgroup_id_x 1
		.amdhsa_system_sgpr_workgroup_id_y 1
		.amdhsa_system_sgpr_workgroup_id_z 1
		.amdhsa_system_sgpr_workgroup_info 0
		.amdhsa_system_vgpr_workitem_id 1
		.amdhsa_next_free_vgpr 52
		.amdhsa_next_free_sgpr 36
		.amdhsa_reserve_vcc 1
		.amdhsa_float_round_mode_32 0
		.amdhsa_float_round_mode_16_64 0
		.amdhsa_float_denorm_mode_32 3
		.amdhsa_float_denorm_mode_16_64 3
		.amdhsa_fp16_overflow 0
		.amdhsa_workgroup_processor_mode 1
		.amdhsa_memory_ordered 1
		.amdhsa_forward_progress 1
		.amdhsa_inst_pref_size 15
		.amdhsa_round_robin_scheduling 0
		.amdhsa_exception_fp_ieee_invalid_op 0
		.amdhsa_exception_fp_denorm_src 0
		.amdhsa_exception_fp_ieee_div_zero 0
		.amdhsa_exception_fp_ieee_overflow 0
		.amdhsa_exception_fp_ieee_underflow 0
		.amdhsa_exception_fp_ieee_inexact 0
		.amdhsa_exception_int_div_zero 0
	.end_amdhsa_kernel
	.section	.text._ZL29rocblas_internal_gemmt_kernelIiLi16ELi32ELi8ELc78ELc84ELc76ELb0ELb0EffPKfPfEviT_T9_T10_S3_lS5_S3_lS4_T11_S3_li,"axG",@progbits,_ZL29rocblas_internal_gemmt_kernelIiLi16ELi32ELi8ELc78ELc84ELc76ELb0ELb0EffPKfPfEviT_T9_T10_S3_lS5_S3_lS4_T11_S3_li,comdat
.Lfunc_end28:
	.size	_ZL29rocblas_internal_gemmt_kernelIiLi16ELi32ELi8ELc78ELc84ELc76ELb0ELb0EffPKfPfEviT_T9_T10_S3_lS5_S3_lS4_T11_S3_li, .Lfunc_end28-_ZL29rocblas_internal_gemmt_kernelIiLi16ELi32ELi8ELc78ELc84ELc76ELb0ELb0EffPKfPfEviT_T9_T10_S3_lS5_S3_lS4_T11_S3_li
                                        ; -- End function
	.set _ZL29rocblas_internal_gemmt_kernelIiLi16ELi32ELi8ELc78ELc84ELc76ELb0ELb0EffPKfPfEviT_T9_T10_S3_lS5_S3_lS4_T11_S3_li.num_vgpr, 52
	.set _ZL29rocblas_internal_gemmt_kernelIiLi16ELi32ELi8ELc78ELc84ELc76ELb0ELb0EffPKfPfEviT_T9_T10_S3_lS5_S3_lS4_T11_S3_li.num_agpr, 0
	.set _ZL29rocblas_internal_gemmt_kernelIiLi16ELi32ELi8ELc78ELc84ELc76ELb0ELb0EffPKfPfEviT_T9_T10_S3_lS5_S3_lS4_T11_S3_li.numbered_sgpr, 36
	.set _ZL29rocblas_internal_gemmt_kernelIiLi16ELi32ELi8ELc78ELc84ELc76ELb0ELb0EffPKfPfEviT_T9_T10_S3_lS5_S3_lS4_T11_S3_li.num_named_barrier, 0
	.set _ZL29rocblas_internal_gemmt_kernelIiLi16ELi32ELi8ELc78ELc84ELc76ELb0ELb0EffPKfPfEviT_T9_T10_S3_lS5_S3_lS4_T11_S3_li.private_seg_size, 0
	.set _ZL29rocblas_internal_gemmt_kernelIiLi16ELi32ELi8ELc78ELc84ELc76ELb0ELb0EffPKfPfEviT_T9_T10_S3_lS5_S3_lS4_T11_S3_li.uses_vcc, 1
	.set _ZL29rocblas_internal_gemmt_kernelIiLi16ELi32ELi8ELc78ELc84ELc76ELb0ELb0EffPKfPfEviT_T9_T10_S3_lS5_S3_lS4_T11_S3_li.uses_flat_scratch, 0
	.set _ZL29rocblas_internal_gemmt_kernelIiLi16ELi32ELi8ELc78ELc84ELc76ELb0ELb0EffPKfPfEviT_T9_T10_S3_lS5_S3_lS4_T11_S3_li.has_dyn_sized_stack, 0
	.set _ZL29rocblas_internal_gemmt_kernelIiLi16ELi32ELi8ELc78ELc84ELc76ELb0ELb0EffPKfPfEviT_T9_T10_S3_lS5_S3_lS4_T11_S3_li.has_recursion, 0
	.set _ZL29rocblas_internal_gemmt_kernelIiLi16ELi32ELi8ELc78ELc84ELc76ELb0ELb0EffPKfPfEviT_T9_T10_S3_lS5_S3_lS4_T11_S3_li.has_indirect_call, 0
	.section	.AMDGPU.csdata,"",@progbits
; Kernel info:
; codeLenInByte = 1820
; TotalNumSgprs: 38
; NumVgprs: 52
; ScratchSize: 0
; MemoryBound: 0
; FloatMode: 240
; IeeeMode: 1
; LDSByteSize: 2048 bytes/workgroup (compile time only)
; SGPRBlocks: 0
; VGPRBlocks: 6
; NumSGPRsForWavesPerEU: 38
; NumVGPRsForWavesPerEU: 52
; Occupancy: 16
; WaveLimiterHint : 0
; COMPUTE_PGM_RSRC2:SCRATCH_EN: 0
; COMPUTE_PGM_RSRC2:USER_SGPR: 2
; COMPUTE_PGM_RSRC2:TRAP_HANDLER: 0
; COMPUTE_PGM_RSRC2:TGID_X_EN: 1
; COMPUTE_PGM_RSRC2:TGID_Y_EN: 1
; COMPUTE_PGM_RSRC2:TGID_Z_EN: 1
; COMPUTE_PGM_RSRC2:TIDIG_COMP_CNT: 1
	.section	.text._ZL29rocblas_internal_gemmt_kernelIiLi16ELi32ELi8ELc78ELc67ELc76ELb0ELb0EffPKfPfEviT_T9_T10_S3_lS5_S3_lS4_T11_S3_li,"axG",@progbits,_ZL29rocblas_internal_gemmt_kernelIiLi16ELi32ELi8ELc78ELc67ELc76ELb0ELb0EffPKfPfEviT_T9_T10_S3_lS5_S3_lS4_T11_S3_li,comdat
	.globl	_ZL29rocblas_internal_gemmt_kernelIiLi16ELi32ELi8ELc78ELc67ELc76ELb0ELb0EffPKfPfEviT_T9_T10_S3_lS5_S3_lS4_T11_S3_li ; -- Begin function _ZL29rocblas_internal_gemmt_kernelIiLi16ELi32ELi8ELc78ELc67ELc76ELb0ELb0EffPKfPfEviT_T9_T10_S3_lS5_S3_lS4_T11_S3_li
	.p2align	8
	.type	_ZL29rocblas_internal_gemmt_kernelIiLi16ELi32ELi8ELc78ELc67ELc76ELb0ELb0EffPKfPfEviT_T9_T10_S3_lS5_S3_lS4_T11_S3_li,@function
_ZL29rocblas_internal_gemmt_kernelIiLi16ELi32ELi8ELc78ELc67ELc76ELb0ELb0EffPKfPfEviT_T9_T10_S3_lS5_S3_lS4_T11_S3_li: ; @_ZL29rocblas_internal_gemmt_kernelIiLi16ELi32ELi8ELc78ELc67ELc76ELb0ELb0EffPKfPfEviT_T9_T10_S3_lS5_S3_lS4_T11_S3_li
; %bb.0:
	s_clause 0x1
	s_load_b32 s7, s[0:1], 0x40
	s_load_b96 s[4:6], s[0:1], 0x0
	s_wait_kmcnt 0x0
	s_cmp_neq_f32 s7, 1.0
	s_cselect_b32 s2, -1, 0
	s_delay_alu instid0(SALU_CYCLE_1)
	s_and_b32 vcc_lo, exec_lo, s2
	s_cbranch_vccnz .LBB29_2
; %bb.1:
	s_cmp_lg_u32 s5, 0
	s_cselect_b32 s2, -1, 0
	s_cmp_neq_f32 s6, 0
	s_cselect_b32 s3, -1, 0
	s_delay_alu instid0(SALU_CYCLE_1)
	s_and_b32 s2, s2, s3
.LBB29_2:
	s_delay_alu instid0(SALU_CYCLE_1)
	s_and_not1_b32 vcc_lo, exec_lo, s2
	s_cbranch_vccnz .LBB29_33
; %bb.3:
	s_load_b32 s19, s[0:1], 0x60
	s_lshr_b32 s20, ttmp7, 16
	s_wait_kmcnt 0x0
	s_cmp_ge_u32 s20, s19
	s_cbranch_scc1 .LBB29_33
; %bb.4:
	s_clause 0x1
	s_load_b96 s[16:18], s[0:1], 0x10
	s_load_b32 s24, s[0:1], 0x30
	v_and_b32_e32 v1, 0x3ff, v0
	v_bfe_u32 v2, v0, 10, 10
	v_and_b32_e32 v16, 7, v0
	s_clause 0x3
	s_load_b128 s[8:11], s[0:1], 0x20
	s_load_b64 s[26:27], s[0:1], 0x38
	s_load_b96 s[12:14], s[0:1], 0x48
	s_load_b64 s[22:23], s[0:1], 0x58
	s_lshl_b32 s2, ttmp9, 5
	s_lshl_b32 s0, ttmp7, 5
	v_lshl_add_u32 v0, v2, 4, v1
	v_lshlrev_b32_e32 v3, 2, v16
	s_and_b32 s3, s0, 0x1fffe0
	v_lshl_add_u32 v21, v2, 5, 0x400
	v_lshlrev_b32_e32 v20, 2, v1
	v_and_b32_e32 v5, 31, v0
	v_lshrrev_b32_e32 v17, 5, v0
	v_lshrrev_b32_e32 v0, 3, v0
	s_mov_b32 s21, 0
	s_delay_alu instid0(VALU_DEP_3)
	v_or_b32_e32 v4, s2, v5
	v_lshlrev_b32_e32 v5, 2, v5
	s_wait_kmcnt 0x0
	s_ashr_i32 s35, s18, 31
	s_ashr_i32 s25, s24, 31
	s_cmp_neq_f32 s6, 0
	v_add_nc_u32_e32 v14, s3, v0
	v_lshl_or_b32 v3, v0, 5, v3
	v_lshl_or_b32 v18, v17, 7, v5
	v_add_nc_u32_e32 v0, s2, v1
	v_add_nc_u32_e32 v5, s3, v2
	s_cselect_b32 s15, -1, 0
	s_cmp_gt_i32 s5, 0
	v_mad_co_i64_i32 v[6:7], null, v17, s18, 0
	s_delay_alu instid0(VALU_DEP_2)
	v_cmp_le_i32_e32 vcc_lo, v5, v0
	v_cmp_gt_i32_e64 s2, s4, v0
	v_add_nc_u32_e32 v2, 16, v0
	s_cselect_b32 s31, -1, 0
	s_cmp_neq_f32 s7, 0
	v_mad_co_i64_i32 v[8:9], null, v5, s14, 0
	v_add_nc_u32_e32 v12, 16, v5
	s_cselect_b32 s28, -1, 0
	s_and_b32 s29, vcc_lo, s2
	v_cmp_le_i32_e32 vcc_lo, v5, v2
	v_ashrrev_i32_e32 v5, 31, v4
	v_cmp_gt_i32_e64 s3, s4, v2
	v_cmp_gt_i32_e64 s0, s4, v4
	v_lshlrev_b64_e32 v[6:7], 2, v[6:7]
	v_mad_co_i64_i32 v[10:11], null, s24, v16, 0
	v_lshlrev_b64_e32 v[4:5], 2, v[4:5]
	s_mov_b32 s34, s18
	s_and_b32 s18, vcc_lo, s3
	v_cmp_le_i32_e32 vcc_lo, v12, v0
	v_cmp_gt_i32_e64 s1, s4, v14
	v_cmp_le_i32_e64 s4, v12, v2
	v_mad_co_i64_i32 v[12:13], null, v12, s14, 0
	s_and_b32 s30, vcc_lo, s2
	v_add_co_u32 v4, vcc_lo, v6, v4
	s_delay_alu instid0(VALU_DEP_1) | instskip(SKIP_2) | instid1(VALU_DEP_4)
	v_add_co_ci_u32_e64 v5, null, v7, v5, vcc_lo
	v_lshlrev_b64_e32 v[6:7], 2, v[10:11]
	v_lshlrev_b32_e32 v10, 2, v14
	v_add_co_u32 v4, vcc_lo, s16, v4
	s_wait_alu 0xfffd
	v_add_co_ci_u32_e64 v5, null, s17, v5, vcc_lo
	s_delay_alu instid0(VALU_DEP_3) | instskip(SKIP_3) | instid1(VALU_DEP_3)
	v_add_co_u32 v6, vcc_lo, v6, v10
	s_wait_alu 0xfffd
	v_add_co_ci_u32_e64 v7, null, 0, v7, vcc_lo
	v_lshlrev_b64_e32 v[8:9], 2, v[8:9]
	v_add_co_u32 v6, vcc_lo, s10, v6
	v_lshlrev_b64_e32 v[10:11], 2, v[12:13]
	v_add_nc_u32_e32 v19, 0x400, v3
	v_ashrrev_i32_e32 v1, 31, v0
	v_ashrrev_i32_e32 v3, 31, v2
	s_wait_alu 0xfffd
	v_add_co_ci_u32_e64 v7, null, s11, v7, vcc_lo
	s_and_b32 s4, s4, s3
	s_lshl_b64 s[2:3], s[8:9], 2
	s_and_b32 s31, s15, s31
	s_lshl_b64 s[8:9], s[34:35], 5
	s_lshl_b64 s[10:11], s[26:27], 2
	s_lshl_b64 s[14:15], s[24:25], 5
	s_branch .LBB29_6
.LBB29_5:                               ;   in Loop: Header=BB29_6 Depth=1
	s_wait_alu 0xfffe
	s_or_b32 exec_lo, exec_lo, s16
	s_add_co_i32 s20, s20, 0x10000
	s_wait_alu 0xfffe
	s_cmp_lt_u32 s20, s19
	s_cbranch_scc0 .LBB29_33
.LBB29_6:                               ; =>This Loop Header: Depth=1
                                        ;     Child Loop BB29_9 Depth 2
	v_dual_mov_b32 v25, 0 :: v_dual_mov_b32 v24, 0
	v_dual_mov_b32 v23, 0 :: v_dual_mov_b32 v22, 0
	s_and_not1_b32 vcc_lo, exec_lo, s31
	s_wait_alu 0xfffe
	s_cbranch_vccnz .LBB29_13
; %bb.7:                                ;   in Loop: Header=BB29_6 Depth=1
	v_mad_co_u64_u32 v[12:13], null, s2, s20, v[4:5]
	v_mad_co_u64_u32 v[14:15], null, s10, s20, v[6:7]
	v_dual_mov_b32 v22, 0 :: v_dual_mov_b32 v23, 0
	s_mov_b32 s16, 0
	s_delay_alu instid0(VALU_DEP_2) | instskip(NEXT) | instid1(VALU_DEP_3)
	v_mad_co_u64_u32 v[25:26], null, s3, s20, v[13:14]
	v_mad_co_u64_u32 v[26:27], null, s11, s20, v[15:16]
	s_delay_alu instid0(VALU_DEP_2) | instskip(SKIP_1) | instid1(VALU_DEP_3)
	v_dual_mov_b32 v24, 0 :: v_dual_mov_b32 v13, v25
	v_mov_b32_e32 v25, 0
	v_mov_b32_e32 v15, v26
	s_branch .LBB29_9
.LBB29_8:                               ;   in Loop: Header=BB29_9 Depth=2
	s_wait_alu 0xfffe
	s_or_b32 exec_lo, exec_lo, s17
	s_wait_loadcnt 0x0
	ds_store_b32 v19, v27
	s_wait_dscnt 0x0
	s_barrier_signal -1
	s_barrier_wait -1
	global_inv scope:SCOPE_SE
	ds_load_b128 v[26:29], v21
	ds_load_2addr_b32 v[42:43], v20 offset1:16
	ds_load_b128 v[30:33], v21 offset:512
	ds_load_2addr_b32 v[44:45], v20 offset0:32 offset1:48
	ds_load_2addr_b32 v[46:47], v20 offset0:64 offset1:80
	;; [unrolled: 1-line block ×3, first 2 shown]
	ds_load_b128 v[34:37], v21 offset:16
	ds_load_2addr_b32 v[50:51], v20 offset0:128 offset1:144
	ds_load_b128 v[38:41], v21 offset:528
	v_add_co_u32 v12, vcc_lo, v12, s8
	s_wait_alu 0xfffd
	v_add_co_ci_u32_e64 v13, null, s9, v13, vcc_lo
	v_add_co_u32 v14, vcc_lo, v14, s14
	s_wait_alu 0xfffd
	v_add_co_ci_u32_e64 v15, null, s15, v15, vcc_lo
	s_add_co_i32 s16, s16, 8
	s_wait_alu 0xfffe
	s_cmp_lt_i32 s16, s5
	s_wait_dscnt 0x7
	v_fmac_f32_e32 v24, v43, v26
	v_fmac_f32_e32 v25, v42, v26
	s_wait_dscnt 0x6
	v_fmac_f32_e32 v22, v43, v30
	v_fmac_f32_e32 v23, v42, v30
	ds_load_2addr_b32 v[42:43], v20 offset0:160 offset1:176
	s_wait_dscnt 0x6
	v_fmac_f32_e32 v24, v45, v27
	v_fmac_f32_e32 v25, v44, v27
	v_fmac_f32_e32 v22, v45, v31
	v_fmac_f32_e32 v23, v44, v31
	ds_load_2addr_b32 v[26:27], v20 offset0:192 offset1:208
	s_wait_dscnt 0x6
	v_fmac_f32_e32 v24, v47, v28
	v_fmac_f32_e32 v25, v46, v28
	;; [unrolled: 6-line block ×3, first 2 shown]
	v_fmac_f32_e32 v22, v49, v33
	v_fmac_f32_e32 v23, v48, v33
	s_wait_loadcnt_dscnt 0x0
	v_fmac_f32_e32 v24, v51, v34
	v_fmac_f32_e32 v25, v50, v34
	;; [unrolled: 1-line block ×4, first 2 shown]
	s_barrier_signal -1
	v_fmac_f32_e32 v24, v43, v35
	v_fmac_f32_e32 v25, v42, v35
	;; [unrolled: 1-line block ×4, first 2 shown]
	s_barrier_wait -1
	v_fmac_f32_e32 v24, v27, v36
	v_fmac_f32_e32 v25, v26, v36
	v_fmac_f32_e32 v22, v27, v40
	v_fmac_f32_e32 v23, v26, v40
	global_inv scope:SCOPE_SE
	v_fmac_f32_e32 v24, v31, v37
	v_fmac_f32_e32 v25, v30, v37
	;; [unrolled: 1-line block ×4, first 2 shown]
	s_cbranch_scc0 .LBB29_13
.LBB29_9:                               ;   Parent Loop BB29_6 Depth=1
                                        ; =>  This Inner Loop Header: Depth=2
	s_wait_alu 0xfffe
	v_add_nc_u32_e32 v26, s16, v17
	s_delay_alu instid0(VALU_DEP_1)
	v_cmp_gt_i32_e32 vcc_lo, s5, v26
	v_mov_b32_e32 v26, 0
	s_and_b32 s24, s0, vcc_lo
	s_wait_alu 0xfffe
	s_and_saveexec_b32 s17, s24
	s_cbranch_execz .LBB29_11
; %bb.10:                               ;   in Loop: Header=BB29_9 Depth=2
	global_load_b32 v26, v[12:13], off
.LBB29_11:                              ;   in Loop: Header=BB29_9 Depth=2
	s_wait_alu 0xfffe
	s_or_b32 exec_lo, exec_lo, s17
	v_add_nc_u32_e32 v27, s16, v16
	s_wait_loadcnt 0x0
	ds_store_b32 v18, v26
	v_cmp_gt_i32_e32 vcc_lo, s5, v27
	v_mov_b32_e32 v27, 0
	s_and_b32 s24, vcc_lo, s1
	s_wait_alu 0xfffe
	s_and_saveexec_b32 s17, s24
	s_cbranch_execz .LBB29_8
; %bb.12:                               ;   in Loop: Header=BB29_9 Depth=2
	global_load_b32 v27, v[14:15], off
	s_branch .LBB29_8
.LBB29_13:                              ;   in Loop: Header=BB29_6 Depth=1
	s_mul_u64 s[16:17], s[22:23], s[20:21]
	s_wait_alu 0xfffe
	s_lshl_b64 s[16:17], s[16:17], 2
	s_wait_alu 0xfffe
	s_add_nc_u64 s[16:17], s[12:13], s[16:17]
	s_wait_alu 0xfffe
	v_add_co_u32 v12, vcc_lo, s16, v8
	s_wait_alu 0xfffd
	v_add_co_ci_u32_e64 v13, null, s17, v9, vcc_lo
	s_and_saveexec_b32 s24, s29
	s_cbranch_execz .LBB29_17
; %bb.14:                               ;   in Loop: Header=BB29_6 Depth=1
	v_mul_f32_e32 v14, s6, v25
	s_and_b32 vcc_lo, exec_lo, s28
	s_wait_alu 0xfffe
	s_cbranch_vccz .LBB29_28
; %bb.15:                               ;   in Loop: Header=BB29_6 Depth=1
	v_lshlrev_b64_e32 v[25:26], 2, v[0:1]
	s_delay_alu instid0(VALU_DEP_1) | instskip(SKIP_1) | instid1(VALU_DEP_2)
	v_add_co_u32 v25, vcc_lo, v12, v25
	s_wait_alu 0xfffd
	v_add_co_ci_u32_e64 v26, null, v13, v26, vcc_lo
	global_load_b32 v15, v[25:26], off
	s_wait_loadcnt 0x0
	v_fma_f32 v15, s7, v15, v14
	global_store_b32 v[25:26], v15, off
	s_cbranch_execnz .LBB29_17
.LBB29_16:                              ;   in Loop: Header=BB29_6 Depth=1
	v_lshlrev_b64_e32 v[25:26], 2, v[0:1]
	s_delay_alu instid0(VALU_DEP_1) | instskip(SKIP_1) | instid1(VALU_DEP_2)
	v_add_co_u32 v25, vcc_lo, v12, v25
	s_wait_alu 0xfffd
	v_add_co_ci_u32_e64 v26, null, v13, v26, vcc_lo
	global_store_b32 v[25:26], v14, off
.LBB29_17:                              ;   in Loop: Header=BB29_6 Depth=1
	s_wait_alu 0xfffe
	s_or_b32 exec_lo, exec_lo, s24
	s_and_saveexec_b32 s24, s18
	s_cbranch_execz .LBB29_21
; %bb.18:                               ;   in Loop: Header=BB29_6 Depth=1
	v_mul_f32_e32 v14, s6, v24
	s_and_not1_b32 vcc_lo, exec_lo, s28
	s_wait_alu 0xfffe
	s_cbranch_vccnz .LBB29_29
; %bb.19:                               ;   in Loop: Header=BB29_6 Depth=1
	v_lshlrev_b64_e32 v[24:25], 2, v[2:3]
	s_delay_alu instid0(VALU_DEP_1) | instskip(SKIP_1) | instid1(VALU_DEP_2)
	v_add_co_u32 v24, vcc_lo, v12, v24
	s_wait_alu 0xfffd
	v_add_co_ci_u32_e64 v25, null, v13, v25, vcc_lo
	global_load_b32 v15, v[24:25], off
	s_wait_loadcnt 0x0
	v_fma_f32 v15, s7, v15, v14
	global_store_b32 v[24:25], v15, off
	s_cbranch_execnz .LBB29_21
.LBB29_20:                              ;   in Loop: Header=BB29_6 Depth=1
	v_lshlrev_b64_e32 v[24:25], 2, v[2:3]
	s_delay_alu instid0(VALU_DEP_1) | instskip(SKIP_1) | instid1(VALU_DEP_2)
	v_add_co_u32 v12, vcc_lo, v12, v24
	s_wait_alu 0xfffd
	v_add_co_ci_u32_e64 v13, null, v13, v25, vcc_lo
	global_store_b32 v[12:13], v14, off
.LBB29_21:                              ;   in Loop: Header=BB29_6 Depth=1
	s_wait_alu 0xfffe
	s_or_b32 exec_lo, exec_lo, s24
	v_add_co_u32 v14, vcc_lo, s16, v10
	s_wait_alu 0xfffd
	v_add_co_ci_u32_e64 v15, null, s17, v11, vcc_lo
	s_and_saveexec_b32 s16, s30
	s_cbranch_execz .LBB29_25
; %bb.22:                               ;   in Loop: Header=BB29_6 Depth=1
	v_lshlrev_b64_e32 v[12:13], 2, v[0:1]
	v_mul_f32_e32 v23, s6, v23
	s_and_not1_b32 vcc_lo, exec_lo, s28
	s_wait_alu 0xfffe
	s_cbranch_vccnz .LBB29_30
; %bb.23:                               ;   in Loop: Header=BB29_6 Depth=1
	s_delay_alu instid0(VALU_DEP_2)
	v_add_co_u32 v24, vcc_lo, v14, v12
	s_wait_alu 0xfffd
	v_add_co_ci_u32_e64 v25, null, v15, v13, vcc_lo
	global_load_b32 v26, v[24:25], off
	s_wait_loadcnt 0x0
	v_fma_f32 v26, s7, v26, v23
	global_store_b32 v[24:25], v26, off
	s_cbranch_execnz .LBB29_25
.LBB29_24:                              ;   in Loop: Header=BB29_6 Depth=1
	v_add_co_u32 v12, vcc_lo, v14, v12
	s_wait_alu 0xfffd
	v_add_co_ci_u32_e64 v13, null, v15, v13, vcc_lo
	global_store_b32 v[12:13], v23, off
.LBB29_25:                              ;   in Loop: Header=BB29_6 Depth=1
	s_wait_alu 0xfffe
	s_or_b32 exec_lo, exec_lo, s16
	s_and_saveexec_b32 s16, s4
	s_cbranch_execz .LBB29_5
; %bb.26:                               ;   in Loop: Header=BB29_6 Depth=1
	v_lshlrev_b64_e32 v[12:13], 2, v[2:3]
	v_mul_f32_e32 v22, s6, v22
	s_and_not1_b32 vcc_lo, exec_lo, s28
	s_wait_alu 0xfffe
	s_cbranch_vccnz .LBB29_31
; %bb.27:                               ;   in Loop: Header=BB29_6 Depth=1
	s_delay_alu instid0(VALU_DEP_2)
	v_add_co_u32 v23, vcc_lo, v14, v12
	s_wait_alu 0xfffd
	v_add_co_ci_u32_e64 v24, null, v15, v13, vcc_lo
	global_load_b32 v25, v[23:24], off
	s_wait_loadcnt 0x0
	v_fma_f32 v25, s7, v25, v22
	global_store_b32 v[23:24], v25, off
	s_cbranch_execnz .LBB29_5
	s_branch .LBB29_32
.LBB29_28:                              ;   in Loop: Header=BB29_6 Depth=1
	s_branch .LBB29_16
.LBB29_29:                              ;   in Loop: Header=BB29_6 Depth=1
	s_branch .LBB29_20
.LBB29_30:                              ;   in Loop: Header=BB29_6 Depth=1
	s_branch .LBB29_24
.LBB29_31:                              ;   in Loop: Header=BB29_6 Depth=1
.LBB29_32:                              ;   in Loop: Header=BB29_6 Depth=1
	s_delay_alu instid0(VALU_DEP_2)
	v_add_co_u32 v12, vcc_lo, v14, v12
	s_wait_alu 0xfffd
	v_add_co_ci_u32_e64 v13, null, v15, v13, vcc_lo
	global_store_b32 v[12:13], v22, off
	s_branch .LBB29_5
.LBB29_33:
	s_endpgm
	.section	.rodata,"a",@progbits
	.p2align	6, 0x0
	.amdhsa_kernel _ZL29rocblas_internal_gemmt_kernelIiLi16ELi32ELi8ELc78ELc67ELc76ELb0ELb0EffPKfPfEviT_T9_T10_S3_lS5_S3_lS4_T11_S3_li
		.amdhsa_group_segment_fixed_size 2048
		.amdhsa_private_segment_fixed_size 0
		.amdhsa_kernarg_size 100
		.amdhsa_user_sgpr_count 2
		.amdhsa_user_sgpr_dispatch_ptr 0
		.amdhsa_user_sgpr_queue_ptr 0
		.amdhsa_user_sgpr_kernarg_segment_ptr 1
		.amdhsa_user_sgpr_dispatch_id 0
		.amdhsa_user_sgpr_private_segment_size 0
		.amdhsa_wavefront_size32 1
		.amdhsa_uses_dynamic_stack 0
		.amdhsa_enable_private_segment 0
		.amdhsa_system_sgpr_workgroup_id_x 1
		.amdhsa_system_sgpr_workgroup_id_y 1
		.amdhsa_system_sgpr_workgroup_id_z 1
		.amdhsa_system_sgpr_workgroup_info 0
		.amdhsa_system_vgpr_workitem_id 1
		.amdhsa_next_free_vgpr 52
		.amdhsa_next_free_sgpr 36
		.amdhsa_reserve_vcc 1
		.amdhsa_float_round_mode_32 0
		.amdhsa_float_round_mode_16_64 0
		.amdhsa_float_denorm_mode_32 3
		.amdhsa_float_denorm_mode_16_64 3
		.amdhsa_fp16_overflow 0
		.amdhsa_workgroup_processor_mode 1
		.amdhsa_memory_ordered 1
		.amdhsa_forward_progress 1
		.amdhsa_inst_pref_size 15
		.amdhsa_round_robin_scheduling 0
		.amdhsa_exception_fp_ieee_invalid_op 0
		.amdhsa_exception_fp_denorm_src 0
		.amdhsa_exception_fp_ieee_div_zero 0
		.amdhsa_exception_fp_ieee_overflow 0
		.amdhsa_exception_fp_ieee_underflow 0
		.amdhsa_exception_fp_ieee_inexact 0
		.amdhsa_exception_int_div_zero 0
	.end_amdhsa_kernel
	.section	.text._ZL29rocblas_internal_gemmt_kernelIiLi16ELi32ELi8ELc78ELc67ELc76ELb0ELb0EffPKfPfEviT_T9_T10_S3_lS5_S3_lS4_T11_S3_li,"axG",@progbits,_ZL29rocblas_internal_gemmt_kernelIiLi16ELi32ELi8ELc78ELc67ELc76ELb0ELb0EffPKfPfEviT_T9_T10_S3_lS5_S3_lS4_T11_S3_li,comdat
.Lfunc_end29:
	.size	_ZL29rocblas_internal_gemmt_kernelIiLi16ELi32ELi8ELc78ELc67ELc76ELb0ELb0EffPKfPfEviT_T9_T10_S3_lS5_S3_lS4_T11_S3_li, .Lfunc_end29-_ZL29rocblas_internal_gemmt_kernelIiLi16ELi32ELi8ELc78ELc67ELc76ELb0ELb0EffPKfPfEviT_T9_T10_S3_lS5_S3_lS4_T11_S3_li
                                        ; -- End function
	.set _ZL29rocblas_internal_gemmt_kernelIiLi16ELi32ELi8ELc78ELc67ELc76ELb0ELb0EffPKfPfEviT_T9_T10_S3_lS5_S3_lS4_T11_S3_li.num_vgpr, 52
	.set _ZL29rocblas_internal_gemmt_kernelIiLi16ELi32ELi8ELc78ELc67ELc76ELb0ELb0EffPKfPfEviT_T9_T10_S3_lS5_S3_lS4_T11_S3_li.num_agpr, 0
	.set _ZL29rocblas_internal_gemmt_kernelIiLi16ELi32ELi8ELc78ELc67ELc76ELb0ELb0EffPKfPfEviT_T9_T10_S3_lS5_S3_lS4_T11_S3_li.numbered_sgpr, 36
	.set _ZL29rocblas_internal_gemmt_kernelIiLi16ELi32ELi8ELc78ELc67ELc76ELb0ELb0EffPKfPfEviT_T9_T10_S3_lS5_S3_lS4_T11_S3_li.num_named_barrier, 0
	.set _ZL29rocblas_internal_gemmt_kernelIiLi16ELi32ELi8ELc78ELc67ELc76ELb0ELb0EffPKfPfEviT_T9_T10_S3_lS5_S3_lS4_T11_S3_li.private_seg_size, 0
	.set _ZL29rocblas_internal_gemmt_kernelIiLi16ELi32ELi8ELc78ELc67ELc76ELb0ELb0EffPKfPfEviT_T9_T10_S3_lS5_S3_lS4_T11_S3_li.uses_vcc, 1
	.set _ZL29rocblas_internal_gemmt_kernelIiLi16ELi32ELi8ELc78ELc67ELc76ELb0ELb0EffPKfPfEviT_T9_T10_S3_lS5_S3_lS4_T11_S3_li.uses_flat_scratch, 0
	.set _ZL29rocblas_internal_gemmt_kernelIiLi16ELi32ELi8ELc78ELc67ELc76ELb0ELb0EffPKfPfEviT_T9_T10_S3_lS5_S3_lS4_T11_S3_li.has_dyn_sized_stack, 0
	.set _ZL29rocblas_internal_gemmt_kernelIiLi16ELi32ELi8ELc78ELc67ELc76ELb0ELb0EffPKfPfEviT_T9_T10_S3_lS5_S3_lS4_T11_S3_li.has_recursion, 0
	.set _ZL29rocblas_internal_gemmt_kernelIiLi16ELi32ELi8ELc78ELc67ELc76ELb0ELb0EffPKfPfEviT_T9_T10_S3_lS5_S3_lS4_T11_S3_li.has_indirect_call, 0
	.section	.AMDGPU.csdata,"",@progbits
; Kernel info:
; codeLenInByte = 1820
; TotalNumSgprs: 38
; NumVgprs: 52
; ScratchSize: 0
; MemoryBound: 0
; FloatMode: 240
; IeeeMode: 1
; LDSByteSize: 2048 bytes/workgroup (compile time only)
; SGPRBlocks: 0
; VGPRBlocks: 6
; NumSGPRsForWavesPerEU: 38
; NumVGPRsForWavesPerEU: 52
; Occupancy: 16
; WaveLimiterHint : 0
; COMPUTE_PGM_RSRC2:SCRATCH_EN: 0
; COMPUTE_PGM_RSRC2:USER_SGPR: 2
; COMPUTE_PGM_RSRC2:TRAP_HANDLER: 0
; COMPUTE_PGM_RSRC2:TGID_X_EN: 1
; COMPUTE_PGM_RSRC2:TGID_Y_EN: 1
; COMPUTE_PGM_RSRC2:TGID_Z_EN: 1
; COMPUTE_PGM_RSRC2:TIDIG_COMP_CNT: 1
	.section	.text._ZL29rocblas_internal_gemmt_kernelIiLi16ELi32ELi8ELc84ELc78ELc76ELb0ELb0EffPKfPfEviT_T9_T10_S3_lS5_S3_lS4_T11_S3_li,"axG",@progbits,_ZL29rocblas_internal_gemmt_kernelIiLi16ELi32ELi8ELc84ELc78ELc76ELb0ELb0EffPKfPfEviT_T9_T10_S3_lS5_S3_lS4_T11_S3_li,comdat
	.globl	_ZL29rocblas_internal_gemmt_kernelIiLi16ELi32ELi8ELc84ELc78ELc76ELb0ELb0EffPKfPfEviT_T9_T10_S3_lS5_S3_lS4_T11_S3_li ; -- Begin function _ZL29rocblas_internal_gemmt_kernelIiLi16ELi32ELi8ELc84ELc78ELc76ELb0ELb0EffPKfPfEviT_T9_T10_S3_lS5_S3_lS4_T11_S3_li
	.p2align	8
	.type	_ZL29rocblas_internal_gemmt_kernelIiLi16ELi32ELi8ELc84ELc78ELc76ELb0ELb0EffPKfPfEviT_T9_T10_S3_lS5_S3_lS4_T11_S3_li,@function
_ZL29rocblas_internal_gemmt_kernelIiLi16ELi32ELi8ELc84ELc78ELc76ELb0ELb0EffPKfPfEviT_T9_T10_S3_lS5_S3_lS4_T11_S3_li: ; @_ZL29rocblas_internal_gemmt_kernelIiLi16ELi32ELi8ELc84ELc78ELc76ELb0ELb0EffPKfPfEviT_T9_T10_S3_lS5_S3_lS4_T11_S3_li
; %bb.0:
	s_clause 0x1
	s_load_b32 s11, s[0:1], 0x40
	s_load_b96 s[8:10], s[0:1], 0x0
	s_wait_kmcnt 0x0
	s_cmp_neq_f32 s11, 1.0
	s_cselect_b32 s2, -1, 0
	s_delay_alu instid0(SALU_CYCLE_1)
	s_and_b32 vcc_lo, exec_lo, s2
	s_cbranch_vccnz .LBB30_2
; %bb.1:
	s_cmp_lg_u32 s9, 0
	s_cselect_b32 s2, -1, 0
	s_cmp_neq_f32 s10, 0
	s_cselect_b32 s3, -1, 0
	s_delay_alu instid0(SALU_CYCLE_1)
	s_and_b32 s2, s2, s3
.LBB30_2:
	s_delay_alu instid0(SALU_CYCLE_1)
	s_and_not1_b32 vcc_lo, exec_lo, s2
	s_cbranch_vccnz .LBB30_33
; %bb.3:
	s_load_b32 s15, s[0:1], 0x60
	s_lshr_b32 s20, ttmp7, 16
	s_wait_kmcnt 0x0
	s_cmp_ge_u32 s20, s15
	s_cbranch_scc1 .LBB30_33
; %bb.4:
	v_and_b32_e32 v1, 0x3ff, v0
	v_bfe_u32 v2, v0, 10, 10
	v_and_b32_e32 v16, 7, v0
	s_clause 0x5
	s_load_b96 s[16:18], s[0:1], 0x10
	s_load_b128 s[4:7], s[0:1], 0x20
	s_load_b32 s25, s[0:1], 0x30
	s_load_b64 s[26:27], s[0:1], 0x38
	s_load_b96 s[12:14], s[0:1], 0x48
	s_load_b64 s[22:23], s[0:1], 0x58
	s_lshl_b32 s2, ttmp9, 5
	v_lshl_add_u32 v0, v2, 4, v1
	s_lshl_b32 s3, ttmp7, 5
	v_lshl_add_u32 v21, v2, 5, 0x400
	s_and_b32 s3, s3, 0x1fffe0
	s_cmp_neq_f32 s10, 0
	v_lshrrev_b32_e32 v17, 5, v0
	v_lshrrev_b32_e32 v3, 3, v0
	v_and_b32_e32 v0, 31, v0
	v_add_nc_u32_e32 v5, s3, v2
	s_cselect_b32 s28, -1, 0
	s_cmp_gt_i32 s9, 0
	v_add_nc_u32_e32 v6, s3, v3
	v_or_b32_e32 v4, s2, v0
	v_lshlrev_b32_e32 v0, 2, v0
	s_cselect_b32 s29, -1, 0
	s_cmp_neq_f32 s11, 0
	v_add_nc_u32_e32 v13, 16, v5
	v_cmp_gt_i32_e64 s0, s8, v4
	v_lshl_or_b32 v18, v17, 7, v0
	v_add_nc_u32_e32 v0, s2, v1
	s_cselect_b32 s19, -1, 0
	s_wait_kmcnt 0x0
	v_mad_co_i64_i32 v[8:9], null, v5, s14, 0
	v_cmp_gt_i32_e64 s1, s8, v6
	v_cmp_le_i32_e32 vcc_lo, v5, v0
	v_cmp_gt_i32_e64 s2, s8, v0
	v_add_nc_u32_e32 v2, 16, v0
	v_mad_co_i64_i32 v[6:7], null, s25, v6, 0
	v_lshlrev_b32_e32 v14, 2, v17
	s_delay_alu instid0(VALU_DEP_4) | instskip(NEXT) | instid1(VALU_DEP_3)
	s_and_b32 s24, vcc_lo, s2
	v_cmp_le_i32_e32 vcc_lo, v5, v2
	v_mad_co_i64_i32 v[4:5], null, s18, v4, 0
	v_cmp_gt_i32_e64 s3, s8, v2
	v_lshlrev_b64_e32 v[6:7], 2, v[6:7]
	v_lshlrev_b32_e32 v12, 2, v16
	v_mad_co_i64_i32 v[10:11], null, v13, s14, 0
	s_and_b32 s8, vcc_lo, s3
	v_lshlrev_b64_e32 v[4:5], 2, v[4:5]
	v_cmp_le_i32_e32 vcc_lo, v13, v0
	v_lshl_or_b32 v3, v3, 5, v12
	v_lshlrev_b64_e32 v[8:9], 2, v[8:9]
	v_lshlrev_b32_e32 v20, 2, v1
	v_lshlrev_b64_e32 v[10:11], 2, v[10:11]
	s_and_b32 s14, vcc_lo, s2
	v_add_co_u32 v4, s2, v4, v14
	s_wait_alu 0xf1ff
	v_add_co_ci_u32_e64 v5, null, 0, v5, s2
	v_add_co_u32 v6, s2, v6, v12
	s_wait_alu 0xf1ff
	v_add_co_ci_u32_e64 v7, null, 0, v7, s2
	v_add_co_u32 v4, s2, s16, v4
	v_cmp_le_i32_e32 vcc_lo, v13, v2
	s_wait_alu 0xf1ff
	v_add_co_ci_u32_e64 v5, null, s17, v5, s2
	v_add_co_u32 v6, s2, s6, v6
	v_add_nc_u32_e32 v19, 0x400, v3
	v_ashrrev_i32_e32 v1, 31, v0
	v_ashrrev_i32_e32 v3, 31, v2
	s_wait_alu 0xf1ff
	v_add_co_ci_u32_e64 v7, null, s7, v7, s2
	s_mov_b32 s21, 0
	s_and_b32 s16, s28, s29
	s_and_b32 s17, vcc_lo, s3
	s_lshl_b64 s[2:3], s[4:5], 2
	s_lshl_b64 s[4:5], s[26:27], 2
	s_branch .LBB30_6
.LBB30_5:                               ;   in Loop: Header=BB30_6 Depth=1
	s_wait_alu 0xfffe
	s_or_b32 exec_lo, exec_lo, s6
	s_add_co_i32 s20, s20, 0x10000
	s_wait_alu 0xfffe
	s_cmp_lt_u32 s20, s15
	s_cbranch_scc0 .LBB30_33
.LBB30_6:                               ; =>This Loop Header: Depth=1
                                        ;     Child Loop BB30_9 Depth 2
	v_dual_mov_b32 v25, 0 :: v_dual_mov_b32 v24, 0
	v_dual_mov_b32 v23, 0 :: v_dual_mov_b32 v22, 0
	s_wait_alu 0xfffe
	s_and_not1_b32 vcc_lo, exec_lo, s16
	s_wait_alu 0xfffe
	s_cbranch_vccnz .LBB30_13
; %bb.7:                                ;   in Loop: Header=BB30_6 Depth=1
	v_mad_co_u64_u32 v[12:13], null, s2, s20, v[4:5]
	v_mad_co_u64_u32 v[14:15], null, s4, s20, v[6:7]
	v_dual_mov_b32 v22, 0 :: v_dual_mov_b32 v23, 0
	s_mov_b32 s6, 0
	s_delay_alu instid0(VALU_DEP_2) | instskip(NEXT) | instid1(VALU_DEP_3)
	v_mad_co_u64_u32 v[25:26], null, s3, s20, v[13:14]
	v_mad_co_u64_u32 v[26:27], null, s5, s20, v[15:16]
	s_delay_alu instid0(VALU_DEP_2) | instskip(SKIP_1) | instid1(VALU_DEP_3)
	v_dual_mov_b32 v24, 0 :: v_dual_mov_b32 v13, v25
	v_mov_b32_e32 v25, 0
	v_mov_b32_e32 v15, v26
	s_branch .LBB30_9
.LBB30_8:                               ;   in Loop: Header=BB30_9 Depth=2
	s_wait_alu 0xfffe
	s_or_b32 exec_lo, exec_lo, s7
	s_wait_loadcnt 0x0
	ds_store_b32 v19, v27
	s_wait_dscnt 0x0
	s_barrier_signal -1
	s_barrier_wait -1
	global_inv scope:SCOPE_SE
	ds_load_b128 v[26:29], v21
	ds_load_2addr_b32 v[42:43], v20 offset1:16
	ds_load_b128 v[30:33], v21 offset:512
	ds_load_2addr_b32 v[44:45], v20 offset0:32 offset1:48
	ds_load_2addr_b32 v[46:47], v20 offset0:64 offset1:80
	;; [unrolled: 1-line block ×3, first 2 shown]
	ds_load_b128 v[34:37], v21 offset:16
	ds_load_2addr_b32 v[50:51], v20 offset0:128 offset1:144
	ds_load_b128 v[38:41], v21 offset:528
	v_add_co_u32 v12, vcc_lo, v12, 32
	s_wait_alu 0xfffd
	v_add_co_ci_u32_e64 v13, null, 0, v13, vcc_lo
	v_add_co_u32 v14, vcc_lo, v14, 32
	s_wait_alu 0xfffd
	v_add_co_ci_u32_e64 v15, null, 0, v15, vcc_lo
	s_add_co_i32 s6, s6, 8
	s_wait_alu 0xfffe
	s_cmp_lt_i32 s6, s9
	s_wait_dscnt 0x7
	v_fmac_f32_e32 v24, v43, v26
	v_fmac_f32_e32 v25, v42, v26
	s_wait_dscnt 0x6
	v_fmac_f32_e32 v22, v43, v30
	v_fmac_f32_e32 v23, v42, v30
	ds_load_2addr_b32 v[42:43], v20 offset0:160 offset1:176
	s_wait_dscnt 0x6
	v_fmac_f32_e32 v24, v45, v27
	v_fmac_f32_e32 v25, v44, v27
	v_fmac_f32_e32 v22, v45, v31
	v_fmac_f32_e32 v23, v44, v31
	ds_load_2addr_b32 v[26:27], v20 offset0:192 offset1:208
	s_wait_dscnt 0x6
	v_fmac_f32_e32 v24, v47, v28
	v_fmac_f32_e32 v25, v46, v28
	;; [unrolled: 6-line block ×3, first 2 shown]
	v_fmac_f32_e32 v22, v49, v33
	v_fmac_f32_e32 v23, v48, v33
	s_wait_loadcnt_dscnt 0x0
	v_fmac_f32_e32 v24, v51, v34
	v_fmac_f32_e32 v25, v50, v34
	;; [unrolled: 1-line block ×4, first 2 shown]
	s_barrier_signal -1
	v_fmac_f32_e32 v24, v43, v35
	v_fmac_f32_e32 v25, v42, v35
	;; [unrolled: 1-line block ×4, first 2 shown]
	s_barrier_wait -1
	v_fmac_f32_e32 v24, v27, v36
	v_fmac_f32_e32 v25, v26, v36
	;; [unrolled: 1-line block ×4, first 2 shown]
	global_inv scope:SCOPE_SE
	v_fmac_f32_e32 v24, v31, v37
	v_fmac_f32_e32 v25, v30, v37
	v_fmac_f32_e32 v22, v31, v41
	v_fmac_f32_e32 v23, v30, v41
	s_cbranch_scc0 .LBB30_13
.LBB30_9:                               ;   Parent Loop BB30_6 Depth=1
                                        ; =>  This Inner Loop Header: Depth=2
	s_wait_alu 0xfffe
	v_add_nc_u32_e32 v26, s6, v17
	s_delay_alu instid0(VALU_DEP_1)
	v_cmp_gt_i32_e32 vcc_lo, s9, v26
	v_mov_b32_e32 v26, 0
	s_and_b32 s18, s0, vcc_lo
	s_wait_alu 0xfffe
	s_and_saveexec_b32 s7, s18
	s_cbranch_execz .LBB30_11
; %bb.10:                               ;   in Loop: Header=BB30_9 Depth=2
	global_load_b32 v26, v[12:13], off
.LBB30_11:                              ;   in Loop: Header=BB30_9 Depth=2
	s_wait_alu 0xfffe
	s_or_b32 exec_lo, exec_lo, s7
	v_add_nc_u32_e32 v27, s6, v16
	s_wait_loadcnt 0x0
	ds_store_b32 v18, v26
	v_cmp_gt_i32_e32 vcc_lo, s9, v27
	v_mov_b32_e32 v27, 0
	s_and_b32 s18, vcc_lo, s1
	s_wait_alu 0xfffe
	s_and_saveexec_b32 s7, s18
	s_cbranch_execz .LBB30_8
; %bb.12:                               ;   in Loop: Header=BB30_9 Depth=2
	global_load_b32 v27, v[14:15], off
	s_branch .LBB30_8
.LBB30_13:                              ;   in Loop: Header=BB30_6 Depth=1
	s_mul_u64 s[6:7], s[22:23], s[20:21]
	s_wait_alu 0xfffe
	s_lshl_b64 s[6:7], s[6:7], 2
	s_wait_alu 0xfffe
	s_add_nc_u64 s[6:7], s[12:13], s[6:7]
	s_wait_alu 0xfffe
	v_add_co_u32 v12, vcc_lo, s6, v8
	s_wait_alu 0xfffd
	v_add_co_ci_u32_e64 v13, null, s7, v9, vcc_lo
	s_and_saveexec_b32 s18, s24
	s_cbranch_execz .LBB30_17
; %bb.14:                               ;   in Loop: Header=BB30_6 Depth=1
	v_mul_f32_e32 v14, s10, v25
	s_and_b32 vcc_lo, exec_lo, s19
	s_wait_alu 0xfffe
	s_cbranch_vccz .LBB30_28
; %bb.15:                               ;   in Loop: Header=BB30_6 Depth=1
	v_lshlrev_b64_e32 v[25:26], 2, v[0:1]
	s_delay_alu instid0(VALU_DEP_1) | instskip(SKIP_1) | instid1(VALU_DEP_2)
	v_add_co_u32 v25, vcc_lo, v12, v25
	s_wait_alu 0xfffd
	v_add_co_ci_u32_e64 v26, null, v13, v26, vcc_lo
	global_load_b32 v15, v[25:26], off
	s_wait_loadcnt 0x0
	v_fma_f32 v15, s11, v15, v14
	global_store_b32 v[25:26], v15, off
	s_cbranch_execnz .LBB30_17
.LBB30_16:                              ;   in Loop: Header=BB30_6 Depth=1
	v_lshlrev_b64_e32 v[25:26], 2, v[0:1]
	s_delay_alu instid0(VALU_DEP_1) | instskip(SKIP_1) | instid1(VALU_DEP_2)
	v_add_co_u32 v25, vcc_lo, v12, v25
	s_wait_alu 0xfffd
	v_add_co_ci_u32_e64 v26, null, v13, v26, vcc_lo
	global_store_b32 v[25:26], v14, off
.LBB30_17:                              ;   in Loop: Header=BB30_6 Depth=1
	s_wait_alu 0xfffe
	s_or_b32 exec_lo, exec_lo, s18
	s_and_saveexec_b32 s18, s8
	s_cbranch_execz .LBB30_21
; %bb.18:                               ;   in Loop: Header=BB30_6 Depth=1
	v_mul_f32_e32 v14, s10, v24
	s_and_not1_b32 vcc_lo, exec_lo, s19
	s_wait_alu 0xfffe
	s_cbranch_vccnz .LBB30_29
; %bb.19:                               ;   in Loop: Header=BB30_6 Depth=1
	v_lshlrev_b64_e32 v[24:25], 2, v[2:3]
	s_delay_alu instid0(VALU_DEP_1) | instskip(SKIP_1) | instid1(VALU_DEP_2)
	v_add_co_u32 v24, vcc_lo, v12, v24
	s_wait_alu 0xfffd
	v_add_co_ci_u32_e64 v25, null, v13, v25, vcc_lo
	global_load_b32 v15, v[24:25], off
	s_wait_loadcnt 0x0
	v_fma_f32 v15, s11, v15, v14
	global_store_b32 v[24:25], v15, off
	s_cbranch_execnz .LBB30_21
.LBB30_20:                              ;   in Loop: Header=BB30_6 Depth=1
	v_lshlrev_b64_e32 v[24:25], 2, v[2:3]
	s_delay_alu instid0(VALU_DEP_1) | instskip(SKIP_1) | instid1(VALU_DEP_2)
	v_add_co_u32 v12, vcc_lo, v12, v24
	s_wait_alu 0xfffd
	v_add_co_ci_u32_e64 v13, null, v13, v25, vcc_lo
	global_store_b32 v[12:13], v14, off
.LBB30_21:                              ;   in Loop: Header=BB30_6 Depth=1
	s_wait_alu 0xfffe
	s_or_b32 exec_lo, exec_lo, s18
	v_add_co_u32 v14, vcc_lo, s6, v10
	s_wait_alu 0xfffd
	v_add_co_ci_u32_e64 v15, null, s7, v11, vcc_lo
	s_and_saveexec_b32 s6, s14
	s_cbranch_execz .LBB30_25
; %bb.22:                               ;   in Loop: Header=BB30_6 Depth=1
	v_lshlrev_b64_e32 v[12:13], 2, v[0:1]
	v_mul_f32_e32 v23, s10, v23
	s_and_not1_b32 vcc_lo, exec_lo, s19
	s_wait_alu 0xfffe
	s_cbranch_vccnz .LBB30_30
; %bb.23:                               ;   in Loop: Header=BB30_6 Depth=1
	s_delay_alu instid0(VALU_DEP_2)
	v_add_co_u32 v24, vcc_lo, v14, v12
	s_wait_alu 0xfffd
	v_add_co_ci_u32_e64 v25, null, v15, v13, vcc_lo
	global_load_b32 v26, v[24:25], off
	s_wait_loadcnt 0x0
	v_fma_f32 v26, s11, v26, v23
	global_store_b32 v[24:25], v26, off
	s_cbranch_execnz .LBB30_25
.LBB30_24:                              ;   in Loop: Header=BB30_6 Depth=1
	v_add_co_u32 v12, vcc_lo, v14, v12
	s_wait_alu 0xfffd
	v_add_co_ci_u32_e64 v13, null, v15, v13, vcc_lo
	global_store_b32 v[12:13], v23, off
.LBB30_25:                              ;   in Loop: Header=BB30_6 Depth=1
	s_wait_alu 0xfffe
	s_or_b32 exec_lo, exec_lo, s6
	s_and_saveexec_b32 s6, s17
	s_cbranch_execz .LBB30_5
; %bb.26:                               ;   in Loop: Header=BB30_6 Depth=1
	v_lshlrev_b64_e32 v[12:13], 2, v[2:3]
	v_mul_f32_e32 v22, s10, v22
	s_and_not1_b32 vcc_lo, exec_lo, s19
	s_wait_alu 0xfffe
	s_cbranch_vccnz .LBB30_31
; %bb.27:                               ;   in Loop: Header=BB30_6 Depth=1
	s_delay_alu instid0(VALU_DEP_2)
	v_add_co_u32 v23, vcc_lo, v14, v12
	s_wait_alu 0xfffd
	v_add_co_ci_u32_e64 v24, null, v15, v13, vcc_lo
	global_load_b32 v25, v[23:24], off
	s_wait_loadcnt 0x0
	v_fma_f32 v25, s11, v25, v22
	global_store_b32 v[23:24], v25, off
	s_cbranch_execnz .LBB30_5
	s_branch .LBB30_32
.LBB30_28:                              ;   in Loop: Header=BB30_6 Depth=1
	s_branch .LBB30_16
.LBB30_29:                              ;   in Loop: Header=BB30_6 Depth=1
	s_branch .LBB30_20
.LBB30_30:                              ;   in Loop: Header=BB30_6 Depth=1
	s_branch .LBB30_24
.LBB30_31:                              ;   in Loop: Header=BB30_6 Depth=1
.LBB30_32:                              ;   in Loop: Header=BB30_6 Depth=1
	s_delay_alu instid0(VALU_DEP_2)
	v_add_co_u32 v12, vcc_lo, v14, v12
	s_wait_alu 0xfffd
	v_add_co_ci_u32_e64 v13, null, v15, v13, vcc_lo
	global_store_b32 v[12:13], v22, off
	s_branch .LBB30_5
.LBB30_33:
	s_endpgm
	.section	.rodata,"a",@progbits
	.p2align	6, 0x0
	.amdhsa_kernel _ZL29rocblas_internal_gemmt_kernelIiLi16ELi32ELi8ELc84ELc78ELc76ELb0ELb0EffPKfPfEviT_T9_T10_S3_lS5_S3_lS4_T11_S3_li
		.amdhsa_group_segment_fixed_size 2048
		.amdhsa_private_segment_fixed_size 0
		.amdhsa_kernarg_size 100
		.amdhsa_user_sgpr_count 2
		.amdhsa_user_sgpr_dispatch_ptr 0
		.amdhsa_user_sgpr_queue_ptr 0
		.amdhsa_user_sgpr_kernarg_segment_ptr 1
		.amdhsa_user_sgpr_dispatch_id 0
		.amdhsa_user_sgpr_private_segment_size 0
		.amdhsa_wavefront_size32 1
		.amdhsa_uses_dynamic_stack 0
		.amdhsa_enable_private_segment 0
		.amdhsa_system_sgpr_workgroup_id_x 1
		.amdhsa_system_sgpr_workgroup_id_y 1
		.amdhsa_system_sgpr_workgroup_id_z 1
		.amdhsa_system_sgpr_workgroup_info 0
		.amdhsa_system_vgpr_workitem_id 1
		.amdhsa_next_free_vgpr 52
		.amdhsa_next_free_sgpr 30
		.amdhsa_reserve_vcc 1
		.amdhsa_float_round_mode_32 0
		.amdhsa_float_round_mode_16_64 0
		.amdhsa_float_denorm_mode_32 3
		.amdhsa_float_denorm_mode_16_64 3
		.amdhsa_fp16_overflow 0
		.amdhsa_workgroup_processor_mode 1
		.amdhsa_memory_ordered 1
		.amdhsa_forward_progress 1
		.amdhsa_inst_pref_size 14
		.amdhsa_round_robin_scheduling 0
		.amdhsa_exception_fp_ieee_invalid_op 0
		.amdhsa_exception_fp_denorm_src 0
		.amdhsa_exception_fp_ieee_div_zero 0
		.amdhsa_exception_fp_ieee_overflow 0
		.amdhsa_exception_fp_ieee_underflow 0
		.amdhsa_exception_fp_ieee_inexact 0
		.amdhsa_exception_int_div_zero 0
	.end_amdhsa_kernel
	.section	.text._ZL29rocblas_internal_gemmt_kernelIiLi16ELi32ELi8ELc84ELc78ELc76ELb0ELb0EffPKfPfEviT_T9_T10_S3_lS5_S3_lS4_T11_S3_li,"axG",@progbits,_ZL29rocblas_internal_gemmt_kernelIiLi16ELi32ELi8ELc84ELc78ELc76ELb0ELb0EffPKfPfEviT_T9_T10_S3_lS5_S3_lS4_T11_S3_li,comdat
.Lfunc_end30:
	.size	_ZL29rocblas_internal_gemmt_kernelIiLi16ELi32ELi8ELc84ELc78ELc76ELb0ELb0EffPKfPfEviT_T9_T10_S3_lS5_S3_lS4_T11_S3_li, .Lfunc_end30-_ZL29rocblas_internal_gemmt_kernelIiLi16ELi32ELi8ELc84ELc78ELc76ELb0ELb0EffPKfPfEviT_T9_T10_S3_lS5_S3_lS4_T11_S3_li
                                        ; -- End function
	.set _ZL29rocblas_internal_gemmt_kernelIiLi16ELi32ELi8ELc84ELc78ELc76ELb0ELb0EffPKfPfEviT_T9_T10_S3_lS5_S3_lS4_T11_S3_li.num_vgpr, 52
	.set _ZL29rocblas_internal_gemmt_kernelIiLi16ELi32ELi8ELc84ELc78ELc76ELb0ELb0EffPKfPfEviT_T9_T10_S3_lS5_S3_lS4_T11_S3_li.num_agpr, 0
	.set _ZL29rocblas_internal_gemmt_kernelIiLi16ELi32ELi8ELc84ELc78ELc76ELb0ELb0EffPKfPfEviT_T9_T10_S3_lS5_S3_lS4_T11_S3_li.numbered_sgpr, 30
	.set _ZL29rocblas_internal_gemmt_kernelIiLi16ELi32ELi8ELc84ELc78ELc76ELb0ELb0EffPKfPfEviT_T9_T10_S3_lS5_S3_lS4_T11_S3_li.num_named_barrier, 0
	.set _ZL29rocblas_internal_gemmt_kernelIiLi16ELi32ELi8ELc84ELc78ELc76ELb0ELb0EffPKfPfEviT_T9_T10_S3_lS5_S3_lS4_T11_S3_li.private_seg_size, 0
	.set _ZL29rocblas_internal_gemmt_kernelIiLi16ELi32ELi8ELc84ELc78ELc76ELb0ELb0EffPKfPfEviT_T9_T10_S3_lS5_S3_lS4_T11_S3_li.uses_vcc, 1
	.set _ZL29rocblas_internal_gemmt_kernelIiLi16ELi32ELi8ELc84ELc78ELc76ELb0ELb0EffPKfPfEviT_T9_T10_S3_lS5_S3_lS4_T11_S3_li.uses_flat_scratch, 0
	.set _ZL29rocblas_internal_gemmt_kernelIiLi16ELi32ELi8ELc84ELc78ELc76ELb0ELb0EffPKfPfEviT_T9_T10_S3_lS5_S3_lS4_T11_S3_li.has_dyn_sized_stack, 0
	.set _ZL29rocblas_internal_gemmt_kernelIiLi16ELi32ELi8ELc84ELc78ELc76ELb0ELb0EffPKfPfEviT_T9_T10_S3_lS5_S3_lS4_T11_S3_li.has_recursion, 0
	.set _ZL29rocblas_internal_gemmt_kernelIiLi16ELi32ELi8ELc84ELc78ELc76ELb0ELb0EffPKfPfEviT_T9_T10_S3_lS5_S3_lS4_T11_S3_li.has_indirect_call, 0
	.section	.AMDGPU.csdata,"",@progbits
; Kernel info:
; codeLenInByte = 1780
; TotalNumSgprs: 32
; NumVgprs: 52
; ScratchSize: 0
; MemoryBound: 0
; FloatMode: 240
; IeeeMode: 1
; LDSByteSize: 2048 bytes/workgroup (compile time only)
; SGPRBlocks: 0
; VGPRBlocks: 6
; NumSGPRsForWavesPerEU: 32
; NumVGPRsForWavesPerEU: 52
; Occupancy: 16
; WaveLimiterHint : 0
; COMPUTE_PGM_RSRC2:SCRATCH_EN: 0
; COMPUTE_PGM_RSRC2:USER_SGPR: 2
; COMPUTE_PGM_RSRC2:TRAP_HANDLER: 0
; COMPUTE_PGM_RSRC2:TGID_X_EN: 1
; COMPUTE_PGM_RSRC2:TGID_Y_EN: 1
; COMPUTE_PGM_RSRC2:TGID_Z_EN: 1
; COMPUTE_PGM_RSRC2:TIDIG_COMP_CNT: 1
	.section	.text._ZL29rocblas_internal_gemmt_kernelIiLi16ELi32ELi8ELc84ELc84ELc76ELb0ELb0EffPKfPfEviT_T9_T10_S3_lS5_S3_lS4_T11_S3_li,"axG",@progbits,_ZL29rocblas_internal_gemmt_kernelIiLi16ELi32ELi8ELc84ELc84ELc76ELb0ELb0EffPKfPfEviT_T9_T10_S3_lS5_S3_lS4_T11_S3_li,comdat
	.globl	_ZL29rocblas_internal_gemmt_kernelIiLi16ELi32ELi8ELc84ELc84ELc76ELb0ELb0EffPKfPfEviT_T9_T10_S3_lS5_S3_lS4_T11_S3_li ; -- Begin function _ZL29rocblas_internal_gemmt_kernelIiLi16ELi32ELi8ELc84ELc84ELc76ELb0ELb0EffPKfPfEviT_T9_T10_S3_lS5_S3_lS4_T11_S3_li
	.p2align	8
	.type	_ZL29rocblas_internal_gemmt_kernelIiLi16ELi32ELi8ELc84ELc84ELc76ELb0ELb0EffPKfPfEviT_T9_T10_S3_lS5_S3_lS4_T11_S3_li,@function
_ZL29rocblas_internal_gemmt_kernelIiLi16ELi32ELi8ELc84ELc84ELc76ELb0ELb0EffPKfPfEviT_T9_T10_S3_lS5_S3_lS4_T11_S3_li: ; @_ZL29rocblas_internal_gemmt_kernelIiLi16ELi32ELi8ELc84ELc84ELc76ELb0ELb0EffPKfPfEviT_T9_T10_S3_lS5_S3_lS4_T11_S3_li
; %bb.0:
	s_clause 0x1
	s_load_b32 s7, s[0:1], 0x40
	s_load_b96 s[4:6], s[0:1], 0x0
	s_wait_kmcnt 0x0
	s_cmp_neq_f32 s7, 1.0
	s_cselect_b32 s2, -1, 0
	s_delay_alu instid0(SALU_CYCLE_1)
	s_and_b32 vcc_lo, exec_lo, s2
	s_cbranch_vccnz .LBB31_2
; %bb.1:
	s_cmp_lg_u32 s5, 0
	s_cselect_b32 s2, -1, 0
	s_cmp_neq_f32 s6, 0
	s_cselect_b32 s3, -1, 0
	s_delay_alu instid0(SALU_CYCLE_1)
	s_and_b32 s2, s2, s3
.LBB31_2:
	s_delay_alu instid0(SALU_CYCLE_1)
	s_and_not1_b32 vcc_lo, exec_lo, s2
	s_cbranch_vccnz .LBB31_33
; %bb.3:
	s_load_b32 s19, s[0:1], 0x60
	s_lshr_b32 s20, ttmp7, 16
	s_wait_kmcnt 0x0
	s_cmp_ge_u32 s20, s19
	s_cbranch_scc1 .LBB31_33
; %bb.4:
	v_and_b32_e32 v1, 0x3ff, v0
	v_bfe_u32 v3, v0, 10, 10
	v_and_b32_e32 v16, 7, v0
	s_clause 0x5
	s_load_b32 s24, s[0:1], 0x30
	s_load_b96 s[16:18], s[0:1], 0x10
	s_load_b128 s[8:11], s[0:1], 0x20
	s_load_b64 s[26:27], s[0:1], 0x38
	s_load_b96 s[12:14], s[0:1], 0x48
	s_load_b64 s[22:23], s[0:1], 0x58
	v_lshl_add_u32 v0, v3, 4, v1
	v_lshlrev_b32_e32 v4, 2, v16
	s_lshl_b32 s2, ttmp9, 5
	s_lshl_b32 s0, ttmp7, 5
	v_lshlrev_b32_e32 v20, 2, v1
	v_and_b32_e32 v2, 31, v0
	v_lshrrev_b32_e32 v5, 3, v0
	v_lshrrev_b32_e32 v17, 5, v0
	s_and_b32 s3, s0, 0x1fffe0
	v_lshl_add_u32 v21, v3, 5, 0x400
	v_lshlrev_b32_e32 v0, 2, v2
	v_or_b32_e32 v6, s2, v2
	v_lshl_or_b32 v2, v5, 5, v4
	v_add_nc_u32_e32 v4, s3, v3
	v_add_nc_u32_e32 v12, s3, v5
	v_lshl_or_b32 v18, v17, 7, v0
	v_add_nc_u32_e32 v0, s2, v1
	v_add_nc_u32_e32 v19, 0x400, v2
	s_wait_kmcnt 0x0
	s_ashr_i32 s25, s24, 31
	s_cmp_neq_f32 s6, 0
	v_mad_co_i64_i32 v[8:9], null, v4, s14, 0
	v_add_nc_u32_e32 v2, 16, v0
	v_cmp_le_i32_e32 vcc_lo, v4, v0
	v_add_nc_u32_e32 v10, 16, v4
	v_cmp_gt_i32_e64 s0, s4, v6
	s_cselect_b32 s15, -1, 0
	v_cmp_le_i32_e64 s3, v4, v2
	v_mad_co_i64_i32 v[4:5], null, s18, v6, 0
	v_mad_co_i64_i32 v[6:7], null, s24, v16, 0
	s_cmp_gt_i32 s5, 0
	v_cmp_gt_i32_e64 s2, s4, v0
	s_cselect_b32 s31, -1, 0
	s_cmp_neq_f32 s7, 0
	v_lshlrev_b64_e32 v[4:5], 2, v[4:5]
	v_cmp_gt_i32_e64 s1, s4, v12
	v_cmp_gt_i32_e64 s4, s4, v2
	s_cselect_b32 s28, -1, 0
	s_and_b32 s29, vcc_lo, s2
	v_cmp_le_i32_e32 vcc_lo, v10, v0
	v_lshlrev_b32_e32 v13, 2, v17
	v_lshlrev_b64_e32 v[6:7], 2, v[6:7]
	v_lshlrev_b32_e32 v12, 2, v12
	s_and_b32 s30, s3, s4
	v_cmp_le_i32_e64 s3, v10, v2
	v_mad_co_i64_i32 v[10:11], null, v10, s14, 0
	s_and_b32 s18, vcc_lo, s2
	v_add_co_u32 v4, vcc_lo, v4, v13
	s_delay_alu instid0(VALU_DEP_1)
	v_add_co_ci_u32_e64 v5, null, 0, v5, vcc_lo
	v_add_co_u32 v6, vcc_lo, v6, v12
	s_wait_alu 0xfffd
	v_add_co_ci_u32_e64 v7, null, 0, v7, vcc_lo
	v_add_co_u32 v4, vcc_lo, s16, v4
	s_wait_alu 0xfffd
	v_add_co_ci_u32_e64 v5, null, s17, v5, vcc_lo
	v_add_co_u32 v6, vcc_lo, s10, v6
	v_lshlrev_b64_e32 v[8:9], 2, v[8:9]
	v_lshlrev_b64_e32 v[10:11], 2, v[10:11]
	v_ashrrev_i32_e32 v1, 31, v0
	v_ashrrev_i32_e32 v3, 31, v2
	s_wait_alu 0xfffd
	v_add_co_ci_u32_e64 v7, null, s11, v7, vcc_lo
	s_mov_b32 s21, 0
	s_and_b32 s4, s3, s4
	s_wait_alu 0xfffe
	s_and_b32 s16, s15, s31
	s_lshl_b64 s[2:3], s[8:9], 2
	s_lshl_b64 s[8:9], s[26:27], 2
	;; [unrolled: 1-line block ×3, first 2 shown]
	s_branch .LBB31_6
.LBB31_5:                               ;   in Loop: Header=BB31_6 Depth=1
	s_wait_alu 0xfffe
	s_or_b32 exec_lo, exec_lo, s14
	s_add_co_i32 s20, s20, 0x10000
	s_wait_alu 0xfffe
	s_cmp_lt_u32 s20, s19
	s_cbranch_scc0 .LBB31_33
.LBB31_6:                               ; =>This Loop Header: Depth=1
                                        ;     Child Loop BB31_9 Depth 2
	v_dual_mov_b32 v25, 0 :: v_dual_mov_b32 v24, 0
	v_dual_mov_b32 v23, 0 :: v_dual_mov_b32 v22, 0
	s_wait_alu 0xfffe
	s_and_not1_b32 vcc_lo, exec_lo, s16
	s_wait_alu 0xfffe
	s_cbranch_vccnz .LBB31_13
; %bb.7:                                ;   in Loop: Header=BB31_6 Depth=1
	v_mad_co_u64_u32 v[12:13], null, s2, s20, v[4:5]
	v_mad_co_u64_u32 v[14:15], null, s8, s20, v[6:7]
	v_dual_mov_b32 v22, 0 :: v_dual_mov_b32 v23, 0
	s_mov_b32 s14, 0
	s_delay_alu instid0(VALU_DEP_2) | instskip(NEXT) | instid1(VALU_DEP_3)
	v_mad_co_u64_u32 v[25:26], null, s3, s20, v[13:14]
	v_mad_co_u64_u32 v[26:27], null, s9, s20, v[15:16]
	s_delay_alu instid0(VALU_DEP_2) | instskip(SKIP_1) | instid1(VALU_DEP_3)
	v_dual_mov_b32 v24, 0 :: v_dual_mov_b32 v13, v25
	v_mov_b32_e32 v25, 0
	v_mov_b32_e32 v15, v26
	s_branch .LBB31_9
.LBB31_8:                               ;   in Loop: Header=BB31_9 Depth=2
	s_wait_alu 0xfffe
	s_or_b32 exec_lo, exec_lo, s15
	s_wait_loadcnt 0x0
	ds_store_b32 v19, v27
	s_wait_dscnt 0x0
	s_barrier_signal -1
	s_barrier_wait -1
	global_inv scope:SCOPE_SE
	ds_load_b128 v[26:29], v21
	ds_load_2addr_b32 v[42:43], v20 offset1:16
	ds_load_b128 v[30:33], v21 offset:512
	ds_load_2addr_b32 v[44:45], v20 offset0:32 offset1:48
	ds_load_2addr_b32 v[46:47], v20 offset0:64 offset1:80
	;; [unrolled: 1-line block ×3, first 2 shown]
	ds_load_b128 v[34:37], v21 offset:16
	ds_load_2addr_b32 v[50:51], v20 offset0:128 offset1:144
	ds_load_b128 v[38:41], v21 offset:528
	v_add_co_u32 v12, vcc_lo, v12, 32
	s_wait_alu 0xfffd
	v_add_co_ci_u32_e64 v13, null, 0, v13, vcc_lo
	v_add_co_u32 v14, vcc_lo, v14, s10
	s_wait_alu 0xfffd
	v_add_co_ci_u32_e64 v15, null, s11, v15, vcc_lo
	s_add_co_i32 s14, s14, 8
	s_wait_alu 0xfffe
	s_cmp_lt_i32 s14, s5
	s_wait_dscnt 0x7
	v_fmac_f32_e32 v24, v43, v26
	v_fmac_f32_e32 v25, v42, v26
	s_wait_dscnt 0x6
	v_fmac_f32_e32 v22, v43, v30
	v_fmac_f32_e32 v23, v42, v30
	ds_load_2addr_b32 v[42:43], v20 offset0:160 offset1:176
	s_wait_dscnt 0x6
	v_fmac_f32_e32 v24, v45, v27
	v_fmac_f32_e32 v25, v44, v27
	v_fmac_f32_e32 v22, v45, v31
	v_fmac_f32_e32 v23, v44, v31
	ds_load_2addr_b32 v[26:27], v20 offset0:192 offset1:208
	s_wait_dscnt 0x6
	v_fmac_f32_e32 v24, v47, v28
	v_fmac_f32_e32 v25, v46, v28
	;; [unrolled: 6-line block ×3, first 2 shown]
	v_fmac_f32_e32 v22, v49, v33
	v_fmac_f32_e32 v23, v48, v33
	s_wait_loadcnt_dscnt 0x0
	v_fmac_f32_e32 v24, v51, v34
	v_fmac_f32_e32 v25, v50, v34
	;; [unrolled: 1-line block ×4, first 2 shown]
	s_barrier_signal -1
	v_fmac_f32_e32 v24, v43, v35
	v_fmac_f32_e32 v25, v42, v35
	;; [unrolled: 1-line block ×4, first 2 shown]
	s_barrier_wait -1
	v_fmac_f32_e32 v24, v27, v36
	v_fmac_f32_e32 v25, v26, v36
	v_fmac_f32_e32 v22, v27, v40
	v_fmac_f32_e32 v23, v26, v40
	global_inv scope:SCOPE_SE
	v_fmac_f32_e32 v24, v31, v37
	v_fmac_f32_e32 v25, v30, v37
	;; [unrolled: 1-line block ×4, first 2 shown]
	s_cbranch_scc0 .LBB31_13
.LBB31_9:                               ;   Parent Loop BB31_6 Depth=1
                                        ; =>  This Inner Loop Header: Depth=2
	s_wait_alu 0xfffe
	v_add_nc_u32_e32 v26, s14, v17
	s_delay_alu instid0(VALU_DEP_1)
	v_cmp_gt_i32_e32 vcc_lo, s5, v26
	v_mov_b32_e32 v26, 0
	s_and_b32 s17, s0, vcc_lo
	s_wait_alu 0xfffe
	s_and_saveexec_b32 s15, s17
	s_cbranch_execz .LBB31_11
; %bb.10:                               ;   in Loop: Header=BB31_9 Depth=2
	global_load_b32 v26, v[12:13], off
.LBB31_11:                              ;   in Loop: Header=BB31_9 Depth=2
	s_wait_alu 0xfffe
	s_or_b32 exec_lo, exec_lo, s15
	v_add_nc_u32_e32 v27, s14, v16
	s_wait_loadcnt 0x0
	ds_store_b32 v18, v26
	v_cmp_gt_i32_e32 vcc_lo, s5, v27
	v_mov_b32_e32 v27, 0
	s_and_b32 s17, vcc_lo, s1
	s_wait_alu 0xfffe
	s_and_saveexec_b32 s15, s17
	s_cbranch_execz .LBB31_8
; %bb.12:                               ;   in Loop: Header=BB31_9 Depth=2
	global_load_b32 v27, v[14:15], off
	s_branch .LBB31_8
.LBB31_13:                              ;   in Loop: Header=BB31_6 Depth=1
	s_mul_u64 s[14:15], s[22:23], s[20:21]
	s_wait_alu 0xfffe
	s_lshl_b64 s[14:15], s[14:15], 2
	s_wait_alu 0xfffe
	s_add_nc_u64 s[14:15], s[12:13], s[14:15]
	s_wait_alu 0xfffe
	v_add_co_u32 v12, vcc_lo, s14, v8
	s_wait_alu 0xfffd
	v_add_co_ci_u32_e64 v13, null, s15, v9, vcc_lo
	s_and_saveexec_b32 s17, s29
	s_cbranch_execz .LBB31_17
; %bb.14:                               ;   in Loop: Header=BB31_6 Depth=1
	v_mul_f32_e32 v14, s6, v25
	s_and_b32 vcc_lo, exec_lo, s28
	s_wait_alu 0xfffe
	s_cbranch_vccz .LBB31_28
; %bb.15:                               ;   in Loop: Header=BB31_6 Depth=1
	v_lshlrev_b64_e32 v[25:26], 2, v[0:1]
	s_delay_alu instid0(VALU_DEP_1) | instskip(SKIP_1) | instid1(VALU_DEP_2)
	v_add_co_u32 v25, vcc_lo, v12, v25
	s_wait_alu 0xfffd
	v_add_co_ci_u32_e64 v26, null, v13, v26, vcc_lo
	global_load_b32 v15, v[25:26], off
	s_wait_loadcnt 0x0
	v_fma_f32 v15, s7, v15, v14
	global_store_b32 v[25:26], v15, off
	s_cbranch_execnz .LBB31_17
.LBB31_16:                              ;   in Loop: Header=BB31_6 Depth=1
	v_lshlrev_b64_e32 v[25:26], 2, v[0:1]
	s_delay_alu instid0(VALU_DEP_1) | instskip(SKIP_1) | instid1(VALU_DEP_2)
	v_add_co_u32 v25, vcc_lo, v12, v25
	s_wait_alu 0xfffd
	v_add_co_ci_u32_e64 v26, null, v13, v26, vcc_lo
	global_store_b32 v[25:26], v14, off
.LBB31_17:                              ;   in Loop: Header=BB31_6 Depth=1
	s_wait_alu 0xfffe
	s_or_b32 exec_lo, exec_lo, s17
	s_and_saveexec_b32 s17, s30
	s_cbranch_execz .LBB31_21
; %bb.18:                               ;   in Loop: Header=BB31_6 Depth=1
	v_mul_f32_e32 v14, s6, v24
	s_and_not1_b32 vcc_lo, exec_lo, s28
	s_wait_alu 0xfffe
	s_cbranch_vccnz .LBB31_29
; %bb.19:                               ;   in Loop: Header=BB31_6 Depth=1
	v_lshlrev_b64_e32 v[24:25], 2, v[2:3]
	s_delay_alu instid0(VALU_DEP_1) | instskip(SKIP_1) | instid1(VALU_DEP_2)
	v_add_co_u32 v24, vcc_lo, v12, v24
	s_wait_alu 0xfffd
	v_add_co_ci_u32_e64 v25, null, v13, v25, vcc_lo
	global_load_b32 v15, v[24:25], off
	s_wait_loadcnt 0x0
	v_fma_f32 v15, s7, v15, v14
	global_store_b32 v[24:25], v15, off
	s_cbranch_execnz .LBB31_21
.LBB31_20:                              ;   in Loop: Header=BB31_6 Depth=1
	v_lshlrev_b64_e32 v[24:25], 2, v[2:3]
	s_delay_alu instid0(VALU_DEP_1) | instskip(SKIP_1) | instid1(VALU_DEP_2)
	v_add_co_u32 v12, vcc_lo, v12, v24
	s_wait_alu 0xfffd
	v_add_co_ci_u32_e64 v13, null, v13, v25, vcc_lo
	global_store_b32 v[12:13], v14, off
.LBB31_21:                              ;   in Loop: Header=BB31_6 Depth=1
	s_wait_alu 0xfffe
	s_or_b32 exec_lo, exec_lo, s17
	v_add_co_u32 v14, vcc_lo, s14, v10
	s_wait_alu 0xfffd
	v_add_co_ci_u32_e64 v15, null, s15, v11, vcc_lo
	s_and_saveexec_b32 s14, s18
	s_cbranch_execz .LBB31_25
; %bb.22:                               ;   in Loop: Header=BB31_6 Depth=1
	v_lshlrev_b64_e32 v[12:13], 2, v[0:1]
	v_mul_f32_e32 v23, s6, v23
	s_and_not1_b32 vcc_lo, exec_lo, s28
	s_wait_alu 0xfffe
	s_cbranch_vccnz .LBB31_30
; %bb.23:                               ;   in Loop: Header=BB31_6 Depth=1
	s_delay_alu instid0(VALU_DEP_2)
	v_add_co_u32 v24, vcc_lo, v14, v12
	s_wait_alu 0xfffd
	v_add_co_ci_u32_e64 v25, null, v15, v13, vcc_lo
	global_load_b32 v26, v[24:25], off
	s_wait_loadcnt 0x0
	v_fma_f32 v26, s7, v26, v23
	global_store_b32 v[24:25], v26, off
	s_cbranch_execnz .LBB31_25
.LBB31_24:                              ;   in Loop: Header=BB31_6 Depth=1
	v_add_co_u32 v12, vcc_lo, v14, v12
	s_wait_alu 0xfffd
	v_add_co_ci_u32_e64 v13, null, v15, v13, vcc_lo
	global_store_b32 v[12:13], v23, off
.LBB31_25:                              ;   in Loop: Header=BB31_6 Depth=1
	s_wait_alu 0xfffe
	s_or_b32 exec_lo, exec_lo, s14
	s_and_saveexec_b32 s14, s4
	s_cbranch_execz .LBB31_5
; %bb.26:                               ;   in Loop: Header=BB31_6 Depth=1
	v_lshlrev_b64_e32 v[12:13], 2, v[2:3]
	v_mul_f32_e32 v22, s6, v22
	s_and_not1_b32 vcc_lo, exec_lo, s28
	s_wait_alu 0xfffe
	s_cbranch_vccnz .LBB31_31
; %bb.27:                               ;   in Loop: Header=BB31_6 Depth=1
	s_delay_alu instid0(VALU_DEP_2)
	v_add_co_u32 v23, vcc_lo, v14, v12
	s_wait_alu 0xfffd
	v_add_co_ci_u32_e64 v24, null, v15, v13, vcc_lo
	global_load_b32 v25, v[23:24], off
	s_wait_loadcnt 0x0
	v_fma_f32 v25, s7, v25, v22
	global_store_b32 v[23:24], v25, off
	s_cbranch_execnz .LBB31_5
	s_branch .LBB31_32
.LBB31_28:                              ;   in Loop: Header=BB31_6 Depth=1
	s_branch .LBB31_16
.LBB31_29:                              ;   in Loop: Header=BB31_6 Depth=1
	s_branch .LBB31_20
.LBB31_30:                              ;   in Loop: Header=BB31_6 Depth=1
	s_branch .LBB31_24
.LBB31_31:                              ;   in Loop: Header=BB31_6 Depth=1
.LBB31_32:                              ;   in Loop: Header=BB31_6 Depth=1
	s_delay_alu instid0(VALU_DEP_2)
	v_add_co_u32 v12, vcc_lo, v14, v12
	s_wait_alu 0xfffd
	v_add_co_ci_u32_e64 v13, null, v15, v13, vcc_lo
	global_store_b32 v[12:13], v22, off
	s_branch .LBB31_5
.LBB31_33:
	s_endpgm
	.section	.rodata,"a",@progbits
	.p2align	6, 0x0
	.amdhsa_kernel _ZL29rocblas_internal_gemmt_kernelIiLi16ELi32ELi8ELc84ELc84ELc76ELb0ELb0EffPKfPfEviT_T9_T10_S3_lS5_S3_lS4_T11_S3_li
		.amdhsa_group_segment_fixed_size 2048
		.amdhsa_private_segment_fixed_size 0
		.amdhsa_kernarg_size 100
		.amdhsa_user_sgpr_count 2
		.amdhsa_user_sgpr_dispatch_ptr 0
		.amdhsa_user_sgpr_queue_ptr 0
		.amdhsa_user_sgpr_kernarg_segment_ptr 1
		.amdhsa_user_sgpr_dispatch_id 0
		.amdhsa_user_sgpr_private_segment_size 0
		.amdhsa_wavefront_size32 1
		.amdhsa_uses_dynamic_stack 0
		.amdhsa_enable_private_segment 0
		.amdhsa_system_sgpr_workgroup_id_x 1
		.amdhsa_system_sgpr_workgroup_id_y 1
		.amdhsa_system_sgpr_workgroup_id_z 1
		.amdhsa_system_sgpr_workgroup_info 0
		.amdhsa_system_vgpr_workitem_id 1
		.amdhsa_next_free_vgpr 52
		.amdhsa_next_free_sgpr 32
		.amdhsa_reserve_vcc 1
		.amdhsa_float_round_mode_32 0
		.amdhsa_float_round_mode_16_64 0
		.amdhsa_float_denorm_mode_32 3
		.amdhsa_float_denorm_mode_16_64 3
		.amdhsa_fp16_overflow 0
		.amdhsa_workgroup_processor_mode 1
		.amdhsa_memory_ordered 1
		.amdhsa_forward_progress 1
		.amdhsa_inst_pref_size 15
		.amdhsa_round_robin_scheduling 0
		.amdhsa_exception_fp_ieee_invalid_op 0
		.amdhsa_exception_fp_denorm_src 0
		.amdhsa_exception_fp_ieee_div_zero 0
		.amdhsa_exception_fp_ieee_overflow 0
		.amdhsa_exception_fp_ieee_underflow 0
		.amdhsa_exception_fp_ieee_inexact 0
		.amdhsa_exception_int_div_zero 0
	.end_amdhsa_kernel
	.section	.text._ZL29rocblas_internal_gemmt_kernelIiLi16ELi32ELi8ELc84ELc84ELc76ELb0ELb0EffPKfPfEviT_T9_T10_S3_lS5_S3_lS4_T11_S3_li,"axG",@progbits,_ZL29rocblas_internal_gemmt_kernelIiLi16ELi32ELi8ELc84ELc84ELc76ELb0ELb0EffPKfPfEviT_T9_T10_S3_lS5_S3_lS4_T11_S3_li,comdat
.Lfunc_end31:
	.size	_ZL29rocblas_internal_gemmt_kernelIiLi16ELi32ELi8ELc84ELc84ELc76ELb0ELb0EffPKfPfEviT_T9_T10_S3_lS5_S3_lS4_T11_S3_li, .Lfunc_end31-_ZL29rocblas_internal_gemmt_kernelIiLi16ELi32ELi8ELc84ELc84ELc76ELb0ELb0EffPKfPfEviT_T9_T10_S3_lS5_S3_lS4_T11_S3_li
                                        ; -- End function
	.set _ZL29rocblas_internal_gemmt_kernelIiLi16ELi32ELi8ELc84ELc84ELc76ELb0ELb0EffPKfPfEviT_T9_T10_S3_lS5_S3_lS4_T11_S3_li.num_vgpr, 52
	.set _ZL29rocblas_internal_gemmt_kernelIiLi16ELi32ELi8ELc84ELc84ELc76ELb0ELb0EffPKfPfEviT_T9_T10_S3_lS5_S3_lS4_T11_S3_li.num_agpr, 0
	.set _ZL29rocblas_internal_gemmt_kernelIiLi16ELi32ELi8ELc84ELc84ELc76ELb0ELb0EffPKfPfEviT_T9_T10_S3_lS5_S3_lS4_T11_S3_li.numbered_sgpr, 32
	.set _ZL29rocblas_internal_gemmt_kernelIiLi16ELi32ELi8ELc84ELc84ELc76ELb0ELb0EffPKfPfEviT_T9_T10_S3_lS5_S3_lS4_T11_S3_li.num_named_barrier, 0
	.set _ZL29rocblas_internal_gemmt_kernelIiLi16ELi32ELi8ELc84ELc84ELc76ELb0ELb0EffPKfPfEviT_T9_T10_S3_lS5_S3_lS4_T11_S3_li.private_seg_size, 0
	.set _ZL29rocblas_internal_gemmt_kernelIiLi16ELi32ELi8ELc84ELc84ELc76ELb0ELb0EffPKfPfEviT_T9_T10_S3_lS5_S3_lS4_T11_S3_li.uses_vcc, 1
	.set _ZL29rocblas_internal_gemmt_kernelIiLi16ELi32ELi8ELc84ELc84ELc76ELb0ELb0EffPKfPfEviT_T9_T10_S3_lS5_S3_lS4_T11_S3_li.uses_flat_scratch, 0
	.set _ZL29rocblas_internal_gemmt_kernelIiLi16ELi32ELi8ELc84ELc84ELc76ELb0ELb0EffPKfPfEviT_T9_T10_S3_lS5_S3_lS4_T11_S3_li.has_dyn_sized_stack, 0
	.set _ZL29rocblas_internal_gemmt_kernelIiLi16ELi32ELi8ELc84ELc84ELc76ELb0ELb0EffPKfPfEviT_T9_T10_S3_lS5_S3_lS4_T11_S3_li.has_recursion, 0
	.set _ZL29rocblas_internal_gemmt_kernelIiLi16ELi32ELi8ELc84ELc84ELc76ELb0ELb0EffPKfPfEviT_T9_T10_S3_lS5_S3_lS4_T11_S3_li.has_indirect_call, 0
	.section	.AMDGPU.csdata,"",@progbits
; Kernel info:
; codeLenInByte = 1800
; TotalNumSgprs: 34
; NumVgprs: 52
; ScratchSize: 0
; MemoryBound: 0
; FloatMode: 240
; IeeeMode: 1
; LDSByteSize: 2048 bytes/workgroup (compile time only)
; SGPRBlocks: 0
; VGPRBlocks: 6
; NumSGPRsForWavesPerEU: 34
; NumVGPRsForWavesPerEU: 52
; Occupancy: 16
; WaveLimiterHint : 0
; COMPUTE_PGM_RSRC2:SCRATCH_EN: 0
; COMPUTE_PGM_RSRC2:USER_SGPR: 2
; COMPUTE_PGM_RSRC2:TRAP_HANDLER: 0
; COMPUTE_PGM_RSRC2:TGID_X_EN: 1
; COMPUTE_PGM_RSRC2:TGID_Y_EN: 1
; COMPUTE_PGM_RSRC2:TGID_Z_EN: 1
; COMPUTE_PGM_RSRC2:TIDIG_COMP_CNT: 1
	.section	.text._ZL29rocblas_internal_gemmt_kernelIiLi16ELi32ELi8ELc84ELc67ELc76ELb0ELb0EffPKfPfEviT_T9_T10_S3_lS5_S3_lS4_T11_S3_li,"axG",@progbits,_ZL29rocblas_internal_gemmt_kernelIiLi16ELi32ELi8ELc84ELc67ELc76ELb0ELb0EffPKfPfEviT_T9_T10_S3_lS5_S3_lS4_T11_S3_li,comdat
	.globl	_ZL29rocblas_internal_gemmt_kernelIiLi16ELi32ELi8ELc84ELc67ELc76ELb0ELb0EffPKfPfEviT_T9_T10_S3_lS5_S3_lS4_T11_S3_li ; -- Begin function _ZL29rocblas_internal_gemmt_kernelIiLi16ELi32ELi8ELc84ELc67ELc76ELb0ELb0EffPKfPfEviT_T9_T10_S3_lS5_S3_lS4_T11_S3_li
	.p2align	8
	.type	_ZL29rocblas_internal_gemmt_kernelIiLi16ELi32ELi8ELc84ELc67ELc76ELb0ELb0EffPKfPfEviT_T9_T10_S3_lS5_S3_lS4_T11_S3_li,@function
_ZL29rocblas_internal_gemmt_kernelIiLi16ELi32ELi8ELc84ELc67ELc76ELb0ELb0EffPKfPfEviT_T9_T10_S3_lS5_S3_lS4_T11_S3_li: ; @_ZL29rocblas_internal_gemmt_kernelIiLi16ELi32ELi8ELc84ELc67ELc76ELb0ELb0EffPKfPfEviT_T9_T10_S3_lS5_S3_lS4_T11_S3_li
; %bb.0:
	s_clause 0x1
	s_load_b32 s7, s[0:1], 0x40
	s_load_b96 s[4:6], s[0:1], 0x0
	s_wait_kmcnt 0x0
	s_cmp_neq_f32 s7, 1.0
	s_cselect_b32 s2, -1, 0
	s_delay_alu instid0(SALU_CYCLE_1)
	s_and_b32 vcc_lo, exec_lo, s2
	s_cbranch_vccnz .LBB32_2
; %bb.1:
	s_cmp_lg_u32 s5, 0
	s_cselect_b32 s2, -1, 0
	s_cmp_neq_f32 s6, 0
	s_cselect_b32 s3, -1, 0
	s_delay_alu instid0(SALU_CYCLE_1)
	s_and_b32 s2, s2, s3
.LBB32_2:
	s_delay_alu instid0(SALU_CYCLE_1)
	s_and_not1_b32 vcc_lo, exec_lo, s2
	s_cbranch_vccnz .LBB32_33
; %bb.3:
	s_load_b32 s19, s[0:1], 0x60
	s_lshr_b32 s20, ttmp7, 16
	s_wait_kmcnt 0x0
	s_cmp_ge_u32 s20, s19
	s_cbranch_scc1 .LBB32_33
; %bb.4:
	v_and_b32_e32 v1, 0x3ff, v0
	v_bfe_u32 v3, v0, 10, 10
	v_and_b32_e32 v16, 7, v0
	s_clause 0x5
	s_load_b32 s24, s[0:1], 0x30
	s_load_b96 s[16:18], s[0:1], 0x10
	s_load_b128 s[8:11], s[0:1], 0x20
	s_load_b64 s[26:27], s[0:1], 0x38
	s_load_b96 s[12:14], s[0:1], 0x48
	s_load_b64 s[22:23], s[0:1], 0x58
	v_lshl_add_u32 v0, v3, 4, v1
	v_lshlrev_b32_e32 v4, 2, v16
	s_lshl_b32 s2, ttmp9, 5
	s_lshl_b32 s0, ttmp7, 5
	v_lshlrev_b32_e32 v20, 2, v1
	v_and_b32_e32 v2, 31, v0
	v_lshrrev_b32_e32 v5, 3, v0
	v_lshrrev_b32_e32 v17, 5, v0
	s_and_b32 s3, s0, 0x1fffe0
	v_lshl_add_u32 v21, v3, 5, 0x400
	v_lshlrev_b32_e32 v0, 2, v2
	v_or_b32_e32 v6, s2, v2
	v_lshl_or_b32 v2, v5, 5, v4
	v_add_nc_u32_e32 v4, s3, v3
	v_add_nc_u32_e32 v12, s3, v5
	v_lshl_or_b32 v18, v17, 7, v0
	v_add_nc_u32_e32 v0, s2, v1
	v_add_nc_u32_e32 v19, 0x400, v2
	s_wait_kmcnt 0x0
	s_ashr_i32 s25, s24, 31
	s_cmp_neq_f32 s6, 0
	v_mad_co_i64_i32 v[8:9], null, v4, s14, 0
	v_add_nc_u32_e32 v2, 16, v0
	v_cmp_le_i32_e32 vcc_lo, v4, v0
	v_add_nc_u32_e32 v10, 16, v4
	v_cmp_gt_i32_e64 s0, s4, v6
	s_cselect_b32 s15, -1, 0
	v_cmp_le_i32_e64 s3, v4, v2
	v_mad_co_i64_i32 v[4:5], null, s18, v6, 0
	v_mad_co_i64_i32 v[6:7], null, s24, v16, 0
	s_cmp_gt_i32 s5, 0
	v_cmp_gt_i32_e64 s2, s4, v0
	s_cselect_b32 s31, -1, 0
	s_cmp_neq_f32 s7, 0
	v_lshlrev_b64_e32 v[4:5], 2, v[4:5]
	v_cmp_gt_i32_e64 s1, s4, v12
	v_cmp_gt_i32_e64 s4, s4, v2
	s_cselect_b32 s28, -1, 0
	s_and_b32 s29, vcc_lo, s2
	v_cmp_le_i32_e32 vcc_lo, v10, v0
	v_lshlrev_b32_e32 v13, 2, v17
	v_lshlrev_b64_e32 v[6:7], 2, v[6:7]
	v_lshlrev_b32_e32 v12, 2, v12
	s_and_b32 s30, s3, s4
	v_cmp_le_i32_e64 s3, v10, v2
	v_mad_co_i64_i32 v[10:11], null, v10, s14, 0
	s_and_b32 s18, vcc_lo, s2
	v_add_co_u32 v4, vcc_lo, v4, v13
	s_delay_alu instid0(VALU_DEP_1)
	v_add_co_ci_u32_e64 v5, null, 0, v5, vcc_lo
	v_add_co_u32 v6, vcc_lo, v6, v12
	s_wait_alu 0xfffd
	v_add_co_ci_u32_e64 v7, null, 0, v7, vcc_lo
	v_add_co_u32 v4, vcc_lo, s16, v4
	s_wait_alu 0xfffd
	v_add_co_ci_u32_e64 v5, null, s17, v5, vcc_lo
	v_add_co_u32 v6, vcc_lo, s10, v6
	v_lshlrev_b64_e32 v[8:9], 2, v[8:9]
	v_lshlrev_b64_e32 v[10:11], 2, v[10:11]
	v_ashrrev_i32_e32 v1, 31, v0
	v_ashrrev_i32_e32 v3, 31, v2
	s_wait_alu 0xfffd
	v_add_co_ci_u32_e64 v7, null, s11, v7, vcc_lo
	s_mov_b32 s21, 0
	s_and_b32 s4, s3, s4
	s_wait_alu 0xfffe
	s_and_b32 s16, s15, s31
	s_lshl_b64 s[2:3], s[8:9], 2
	s_lshl_b64 s[8:9], s[26:27], 2
	;; [unrolled: 1-line block ×3, first 2 shown]
	s_branch .LBB32_6
.LBB32_5:                               ;   in Loop: Header=BB32_6 Depth=1
	s_wait_alu 0xfffe
	s_or_b32 exec_lo, exec_lo, s14
	s_add_co_i32 s20, s20, 0x10000
	s_wait_alu 0xfffe
	s_cmp_lt_u32 s20, s19
	s_cbranch_scc0 .LBB32_33
.LBB32_6:                               ; =>This Loop Header: Depth=1
                                        ;     Child Loop BB32_9 Depth 2
	v_dual_mov_b32 v25, 0 :: v_dual_mov_b32 v24, 0
	v_dual_mov_b32 v23, 0 :: v_dual_mov_b32 v22, 0
	s_wait_alu 0xfffe
	s_and_not1_b32 vcc_lo, exec_lo, s16
	s_wait_alu 0xfffe
	s_cbranch_vccnz .LBB32_13
; %bb.7:                                ;   in Loop: Header=BB32_6 Depth=1
	v_mad_co_u64_u32 v[12:13], null, s2, s20, v[4:5]
	v_mad_co_u64_u32 v[14:15], null, s8, s20, v[6:7]
	v_dual_mov_b32 v22, 0 :: v_dual_mov_b32 v23, 0
	s_mov_b32 s14, 0
	s_delay_alu instid0(VALU_DEP_2) | instskip(NEXT) | instid1(VALU_DEP_3)
	v_mad_co_u64_u32 v[25:26], null, s3, s20, v[13:14]
	v_mad_co_u64_u32 v[26:27], null, s9, s20, v[15:16]
	s_delay_alu instid0(VALU_DEP_2) | instskip(SKIP_1) | instid1(VALU_DEP_3)
	v_dual_mov_b32 v24, 0 :: v_dual_mov_b32 v13, v25
	v_mov_b32_e32 v25, 0
	v_mov_b32_e32 v15, v26
	s_branch .LBB32_9
.LBB32_8:                               ;   in Loop: Header=BB32_9 Depth=2
	s_wait_alu 0xfffe
	s_or_b32 exec_lo, exec_lo, s15
	s_wait_loadcnt 0x0
	ds_store_b32 v19, v27
	s_wait_dscnt 0x0
	s_barrier_signal -1
	s_barrier_wait -1
	global_inv scope:SCOPE_SE
	ds_load_b128 v[26:29], v21
	ds_load_2addr_b32 v[42:43], v20 offset1:16
	ds_load_b128 v[30:33], v21 offset:512
	ds_load_2addr_b32 v[44:45], v20 offset0:32 offset1:48
	ds_load_2addr_b32 v[46:47], v20 offset0:64 offset1:80
	;; [unrolled: 1-line block ×3, first 2 shown]
	ds_load_b128 v[34:37], v21 offset:16
	ds_load_2addr_b32 v[50:51], v20 offset0:128 offset1:144
	ds_load_b128 v[38:41], v21 offset:528
	v_add_co_u32 v12, vcc_lo, v12, 32
	s_wait_alu 0xfffd
	v_add_co_ci_u32_e64 v13, null, 0, v13, vcc_lo
	v_add_co_u32 v14, vcc_lo, v14, s10
	s_wait_alu 0xfffd
	v_add_co_ci_u32_e64 v15, null, s11, v15, vcc_lo
	s_add_co_i32 s14, s14, 8
	s_wait_alu 0xfffe
	s_cmp_lt_i32 s14, s5
	s_wait_dscnt 0x7
	v_fmac_f32_e32 v24, v43, v26
	v_fmac_f32_e32 v25, v42, v26
	s_wait_dscnt 0x6
	v_fmac_f32_e32 v22, v43, v30
	v_fmac_f32_e32 v23, v42, v30
	ds_load_2addr_b32 v[42:43], v20 offset0:160 offset1:176
	s_wait_dscnt 0x6
	v_fmac_f32_e32 v24, v45, v27
	v_fmac_f32_e32 v25, v44, v27
	v_fmac_f32_e32 v22, v45, v31
	v_fmac_f32_e32 v23, v44, v31
	ds_load_2addr_b32 v[26:27], v20 offset0:192 offset1:208
	s_wait_dscnt 0x6
	v_fmac_f32_e32 v24, v47, v28
	v_fmac_f32_e32 v25, v46, v28
	v_fmac_f32_e32 v22, v47, v32
	v_fmac_f32_e32 v23, v46, v32
	ds_load_2addr_b32 v[30:31], v20 offset0:224 offset1:240
	s_wait_dscnt 0x6
	v_fmac_f32_e32 v24, v49, v29
	v_fmac_f32_e32 v25, v48, v29
	v_fmac_f32_e32 v22, v49, v33
	v_fmac_f32_e32 v23, v48, v33
	s_wait_loadcnt_dscnt 0x0
	v_fmac_f32_e32 v24, v51, v34
	v_fmac_f32_e32 v25, v50, v34
	;; [unrolled: 1-line block ×4, first 2 shown]
	s_barrier_signal -1
	v_fmac_f32_e32 v24, v43, v35
	v_fmac_f32_e32 v25, v42, v35
	;; [unrolled: 1-line block ×4, first 2 shown]
	s_barrier_wait -1
	v_fmac_f32_e32 v24, v27, v36
	v_fmac_f32_e32 v25, v26, v36
	;; [unrolled: 1-line block ×4, first 2 shown]
	global_inv scope:SCOPE_SE
	v_fmac_f32_e32 v24, v31, v37
	v_fmac_f32_e32 v25, v30, v37
	;; [unrolled: 1-line block ×4, first 2 shown]
	s_cbranch_scc0 .LBB32_13
.LBB32_9:                               ;   Parent Loop BB32_6 Depth=1
                                        ; =>  This Inner Loop Header: Depth=2
	s_wait_alu 0xfffe
	v_add_nc_u32_e32 v26, s14, v17
	s_delay_alu instid0(VALU_DEP_1)
	v_cmp_gt_i32_e32 vcc_lo, s5, v26
	v_mov_b32_e32 v26, 0
	s_and_b32 s17, s0, vcc_lo
	s_wait_alu 0xfffe
	s_and_saveexec_b32 s15, s17
	s_cbranch_execz .LBB32_11
; %bb.10:                               ;   in Loop: Header=BB32_9 Depth=2
	global_load_b32 v26, v[12:13], off
.LBB32_11:                              ;   in Loop: Header=BB32_9 Depth=2
	s_wait_alu 0xfffe
	s_or_b32 exec_lo, exec_lo, s15
	v_add_nc_u32_e32 v27, s14, v16
	s_wait_loadcnt 0x0
	ds_store_b32 v18, v26
	v_cmp_gt_i32_e32 vcc_lo, s5, v27
	v_mov_b32_e32 v27, 0
	s_and_b32 s17, vcc_lo, s1
	s_wait_alu 0xfffe
	s_and_saveexec_b32 s15, s17
	s_cbranch_execz .LBB32_8
; %bb.12:                               ;   in Loop: Header=BB32_9 Depth=2
	global_load_b32 v27, v[14:15], off
	s_branch .LBB32_8
.LBB32_13:                              ;   in Loop: Header=BB32_6 Depth=1
	s_mul_u64 s[14:15], s[22:23], s[20:21]
	s_wait_alu 0xfffe
	s_lshl_b64 s[14:15], s[14:15], 2
	s_wait_alu 0xfffe
	s_add_nc_u64 s[14:15], s[12:13], s[14:15]
	s_wait_alu 0xfffe
	v_add_co_u32 v12, vcc_lo, s14, v8
	s_wait_alu 0xfffd
	v_add_co_ci_u32_e64 v13, null, s15, v9, vcc_lo
	s_and_saveexec_b32 s17, s29
	s_cbranch_execz .LBB32_17
; %bb.14:                               ;   in Loop: Header=BB32_6 Depth=1
	v_mul_f32_e32 v14, s6, v25
	s_and_b32 vcc_lo, exec_lo, s28
	s_wait_alu 0xfffe
	s_cbranch_vccz .LBB32_28
; %bb.15:                               ;   in Loop: Header=BB32_6 Depth=1
	v_lshlrev_b64_e32 v[25:26], 2, v[0:1]
	s_delay_alu instid0(VALU_DEP_1) | instskip(SKIP_1) | instid1(VALU_DEP_2)
	v_add_co_u32 v25, vcc_lo, v12, v25
	s_wait_alu 0xfffd
	v_add_co_ci_u32_e64 v26, null, v13, v26, vcc_lo
	global_load_b32 v15, v[25:26], off
	s_wait_loadcnt 0x0
	v_fma_f32 v15, s7, v15, v14
	global_store_b32 v[25:26], v15, off
	s_cbranch_execnz .LBB32_17
.LBB32_16:                              ;   in Loop: Header=BB32_6 Depth=1
	v_lshlrev_b64_e32 v[25:26], 2, v[0:1]
	s_delay_alu instid0(VALU_DEP_1) | instskip(SKIP_1) | instid1(VALU_DEP_2)
	v_add_co_u32 v25, vcc_lo, v12, v25
	s_wait_alu 0xfffd
	v_add_co_ci_u32_e64 v26, null, v13, v26, vcc_lo
	global_store_b32 v[25:26], v14, off
.LBB32_17:                              ;   in Loop: Header=BB32_6 Depth=1
	s_wait_alu 0xfffe
	s_or_b32 exec_lo, exec_lo, s17
	s_and_saveexec_b32 s17, s30
	s_cbranch_execz .LBB32_21
; %bb.18:                               ;   in Loop: Header=BB32_6 Depth=1
	v_mul_f32_e32 v14, s6, v24
	s_and_not1_b32 vcc_lo, exec_lo, s28
	s_wait_alu 0xfffe
	s_cbranch_vccnz .LBB32_29
; %bb.19:                               ;   in Loop: Header=BB32_6 Depth=1
	v_lshlrev_b64_e32 v[24:25], 2, v[2:3]
	s_delay_alu instid0(VALU_DEP_1) | instskip(SKIP_1) | instid1(VALU_DEP_2)
	v_add_co_u32 v24, vcc_lo, v12, v24
	s_wait_alu 0xfffd
	v_add_co_ci_u32_e64 v25, null, v13, v25, vcc_lo
	global_load_b32 v15, v[24:25], off
	s_wait_loadcnt 0x0
	v_fma_f32 v15, s7, v15, v14
	global_store_b32 v[24:25], v15, off
	s_cbranch_execnz .LBB32_21
.LBB32_20:                              ;   in Loop: Header=BB32_6 Depth=1
	v_lshlrev_b64_e32 v[24:25], 2, v[2:3]
	s_delay_alu instid0(VALU_DEP_1) | instskip(SKIP_1) | instid1(VALU_DEP_2)
	v_add_co_u32 v12, vcc_lo, v12, v24
	s_wait_alu 0xfffd
	v_add_co_ci_u32_e64 v13, null, v13, v25, vcc_lo
	global_store_b32 v[12:13], v14, off
.LBB32_21:                              ;   in Loop: Header=BB32_6 Depth=1
	s_wait_alu 0xfffe
	s_or_b32 exec_lo, exec_lo, s17
	v_add_co_u32 v14, vcc_lo, s14, v10
	s_wait_alu 0xfffd
	v_add_co_ci_u32_e64 v15, null, s15, v11, vcc_lo
	s_and_saveexec_b32 s14, s18
	s_cbranch_execz .LBB32_25
; %bb.22:                               ;   in Loop: Header=BB32_6 Depth=1
	v_lshlrev_b64_e32 v[12:13], 2, v[0:1]
	v_mul_f32_e32 v23, s6, v23
	s_and_not1_b32 vcc_lo, exec_lo, s28
	s_wait_alu 0xfffe
	s_cbranch_vccnz .LBB32_30
; %bb.23:                               ;   in Loop: Header=BB32_6 Depth=1
	s_delay_alu instid0(VALU_DEP_2)
	v_add_co_u32 v24, vcc_lo, v14, v12
	s_wait_alu 0xfffd
	v_add_co_ci_u32_e64 v25, null, v15, v13, vcc_lo
	global_load_b32 v26, v[24:25], off
	s_wait_loadcnt 0x0
	v_fma_f32 v26, s7, v26, v23
	global_store_b32 v[24:25], v26, off
	s_cbranch_execnz .LBB32_25
.LBB32_24:                              ;   in Loop: Header=BB32_6 Depth=1
	v_add_co_u32 v12, vcc_lo, v14, v12
	s_wait_alu 0xfffd
	v_add_co_ci_u32_e64 v13, null, v15, v13, vcc_lo
	global_store_b32 v[12:13], v23, off
.LBB32_25:                              ;   in Loop: Header=BB32_6 Depth=1
	s_wait_alu 0xfffe
	s_or_b32 exec_lo, exec_lo, s14
	s_and_saveexec_b32 s14, s4
	s_cbranch_execz .LBB32_5
; %bb.26:                               ;   in Loop: Header=BB32_6 Depth=1
	v_lshlrev_b64_e32 v[12:13], 2, v[2:3]
	v_mul_f32_e32 v22, s6, v22
	s_and_not1_b32 vcc_lo, exec_lo, s28
	s_wait_alu 0xfffe
	s_cbranch_vccnz .LBB32_31
; %bb.27:                               ;   in Loop: Header=BB32_6 Depth=1
	s_delay_alu instid0(VALU_DEP_2)
	v_add_co_u32 v23, vcc_lo, v14, v12
	s_wait_alu 0xfffd
	v_add_co_ci_u32_e64 v24, null, v15, v13, vcc_lo
	global_load_b32 v25, v[23:24], off
	s_wait_loadcnt 0x0
	v_fma_f32 v25, s7, v25, v22
	global_store_b32 v[23:24], v25, off
	s_cbranch_execnz .LBB32_5
	s_branch .LBB32_32
.LBB32_28:                              ;   in Loop: Header=BB32_6 Depth=1
	s_branch .LBB32_16
.LBB32_29:                              ;   in Loop: Header=BB32_6 Depth=1
	s_branch .LBB32_20
.LBB32_30:                              ;   in Loop: Header=BB32_6 Depth=1
	s_branch .LBB32_24
.LBB32_31:                              ;   in Loop: Header=BB32_6 Depth=1
.LBB32_32:                              ;   in Loop: Header=BB32_6 Depth=1
	s_delay_alu instid0(VALU_DEP_2)
	v_add_co_u32 v12, vcc_lo, v14, v12
	s_wait_alu 0xfffd
	v_add_co_ci_u32_e64 v13, null, v15, v13, vcc_lo
	global_store_b32 v[12:13], v22, off
	s_branch .LBB32_5
.LBB32_33:
	s_endpgm
	.section	.rodata,"a",@progbits
	.p2align	6, 0x0
	.amdhsa_kernel _ZL29rocblas_internal_gemmt_kernelIiLi16ELi32ELi8ELc84ELc67ELc76ELb0ELb0EffPKfPfEviT_T9_T10_S3_lS5_S3_lS4_T11_S3_li
		.amdhsa_group_segment_fixed_size 2048
		.amdhsa_private_segment_fixed_size 0
		.amdhsa_kernarg_size 100
		.amdhsa_user_sgpr_count 2
		.amdhsa_user_sgpr_dispatch_ptr 0
		.amdhsa_user_sgpr_queue_ptr 0
		.amdhsa_user_sgpr_kernarg_segment_ptr 1
		.amdhsa_user_sgpr_dispatch_id 0
		.amdhsa_user_sgpr_private_segment_size 0
		.amdhsa_wavefront_size32 1
		.amdhsa_uses_dynamic_stack 0
		.amdhsa_enable_private_segment 0
		.amdhsa_system_sgpr_workgroup_id_x 1
		.amdhsa_system_sgpr_workgroup_id_y 1
		.amdhsa_system_sgpr_workgroup_id_z 1
		.amdhsa_system_sgpr_workgroup_info 0
		.amdhsa_system_vgpr_workitem_id 1
		.amdhsa_next_free_vgpr 52
		.amdhsa_next_free_sgpr 32
		.amdhsa_reserve_vcc 1
		.amdhsa_float_round_mode_32 0
		.amdhsa_float_round_mode_16_64 0
		.amdhsa_float_denorm_mode_32 3
		.amdhsa_float_denorm_mode_16_64 3
		.amdhsa_fp16_overflow 0
		.amdhsa_workgroup_processor_mode 1
		.amdhsa_memory_ordered 1
		.amdhsa_forward_progress 1
		.amdhsa_inst_pref_size 15
		.amdhsa_round_robin_scheduling 0
		.amdhsa_exception_fp_ieee_invalid_op 0
		.amdhsa_exception_fp_denorm_src 0
		.amdhsa_exception_fp_ieee_div_zero 0
		.amdhsa_exception_fp_ieee_overflow 0
		.amdhsa_exception_fp_ieee_underflow 0
		.amdhsa_exception_fp_ieee_inexact 0
		.amdhsa_exception_int_div_zero 0
	.end_amdhsa_kernel
	.section	.text._ZL29rocblas_internal_gemmt_kernelIiLi16ELi32ELi8ELc84ELc67ELc76ELb0ELb0EffPKfPfEviT_T9_T10_S3_lS5_S3_lS4_T11_S3_li,"axG",@progbits,_ZL29rocblas_internal_gemmt_kernelIiLi16ELi32ELi8ELc84ELc67ELc76ELb0ELb0EffPKfPfEviT_T9_T10_S3_lS5_S3_lS4_T11_S3_li,comdat
.Lfunc_end32:
	.size	_ZL29rocblas_internal_gemmt_kernelIiLi16ELi32ELi8ELc84ELc67ELc76ELb0ELb0EffPKfPfEviT_T9_T10_S3_lS5_S3_lS4_T11_S3_li, .Lfunc_end32-_ZL29rocblas_internal_gemmt_kernelIiLi16ELi32ELi8ELc84ELc67ELc76ELb0ELb0EffPKfPfEviT_T9_T10_S3_lS5_S3_lS4_T11_S3_li
                                        ; -- End function
	.set _ZL29rocblas_internal_gemmt_kernelIiLi16ELi32ELi8ELc84ELc67ELc76ELb0ELb0EffPKfPfEviT_T9_T10_S3_lS5_S3_lS4_T11_S3_li.num_vgpr, 52
	.set _ZL29rocblas_internal_gemmt_kernelIiLi16ELi32ELi8ELc84ELc67ELc76ELb0ELb0EffPKfPfEviT_T9_T10_S3_lS5_S3_lS4_T11_S3_li.num_agpr, 0
	.set _ZL29rocblas_internal_gemmt_kernelIiLi16ELi32ELi8ELc84ELc67ELc76ELb0ELb0EffPKfPfEviT_T9_T10_S3_lS5_S3_lS4_T11_S3_li.numbered_sgpr, 32
	.set _ZL29rocblas_internal_gemmt_kernelIiLi16ELi32ELi8ELc84ELc67ELc76ELb0ELb0EffPKfPfEviT_T9_T10_S3_lS5_S3_lS4_T11_S3_li.num_named_barrier, 0
	.set _ZL29rocblas_internal_gemmt_kernelIiLi16ELi32ELi8ELc84ELc67ELc76ELb0ELb0EffPKfPfEviT_T9_T10_S3_lS5_S3_lS4_T11_S3_li.private_seg_size, 0
	.set _ZL29rocblas_internal_gemmt_kernelIiLi16ELi32ELi8ELc84ELc67ELc76ELb0ELb0EffPKfPfEviT_T9_T10_S3_lS5_S3_lS4_T11_S3_li.uses_vcc, 1
	.set _ZL29rocblas_internal_gemmt_kernelIiLi16ELi32ELi8ELc84ELc67ELc76ELb0ELb0EffPKfPfEviT_T9_T10_S3_lS5_S3_lS4_T11_S3_li.uses_flat_scratch, 0
	.set _ZL29rocblas_internal_gemmt_kernelIiLi16ELi32ELi8ELc84ELc67ELc76ELb0ELb0EffPKfPfEviT_T9_T10_S3_lS5_S3_lS4_T11_S3_li.has_dyn_sized_stack, 0
	.set _ZL29rocblas_internal_gemmt_kernelIiLi16ELi32ELi8ELc84ELc67ELc76ELb0ELb0EffPKfPfEviT_T9_T10_S3_lS5_S3_lS4_T11_S3_li.has_recursion, 0
	.set _ZL29rocblas_internal_gemmt_kernelIiLi16ELi32ELi8ELc84ELc67ELc76ELb0ELb0EffPKfPfEviT_T9_T10_S3_lS5_S3_lS4_T11_S3_li.has_indirect_call, 0
	.section	.AMDGPU.csdata,"",@progbits
; Kernel info:
; codeLenInByte = 1800
; TotalNumSgprs: 34
; NumVgprs: 52
; ScratchSize: 0
; MemoryBound: 0
; FloatMode: 240
; IeeeMode: 1
; LDSByteSize: 2048 bytes/workgroup (compile time only)
; SGPRBlocks: 0
; VGPRBlocks: 6
; NumSGPRsForWavesPerEU: 34
; NumVGPRsForWavesPerEU: 52
; Occupancy: 16
; WaveLimiterHint : 0
; COMPUTE_PGM_RSRC2:SCRATCH_EN: 0
; COMPUTE_PGM_RSRC2:USER_SGPR: 2
; COMPUTE_PGM_RSRC2:TRAP_HANDLER: 0
; COMPUTE_PGM_RSRC2:TGID_X_EN: 1
; COMPUTE_PGM_RSRC2:TGID_Y_EN: 1
; COMPUTE_PGM_RSRC2:TGID_Z_EN: 1
; COMPUTE_PGM_RSRC2:TIDIG_COMP_CNT: 1
	.section	.text._ZL29rocblas_internal_gemmt_kernelIiLi16ELi32ELi8ELc67ELc78ELc76ELb0ELb0EffPKfPfEviT_T9_T10_S3_lS5_S3_lS4_T11_S3_li,"axG",@progbits,_ZL29rocblas_internal_gemmt_kernelIiLi16ELi32ELi8ELc67ELc78ELc76ELb0ELb0EffPKfPfEviT_T9_T10_S3_lS5_S3_lS4_T11_S3_li,comdat
	.globl	_ZL29rocblas_internal_gemmt_kernelIiLi16ELi32ELi8ELc67ELc78ELc76ELb0ELb0EffPKfPfEviT_T9_T10_S3_lS5_S3_lS4_T11_S3_li ; -- Begin function _ZL29rocblas_internal_gemmt_kernelIiLi16ELi32ELi8ELc67ELc78ELc76ELb0ELb0EffPKfPfEviT_T9_T10_S3_lS5_S3_lS4_T11_S3_li
	.p2align	8
	.type	_ZL29rocblas_internal_gemmt_kernelIiLi16ELi32ELi8ELc67ELc78ELc76ELb0ELb0EffPKfPfEviT_T9_T10_S3_lS5_S3_lS4_T11_S3_li,@function
_ZL29rocblas_internal_gemmt_kernelIiLi16ELi32ELi8ELc67ELc78ELc76ELb0ELb0EffPKfPfEviT_T9_T10_S3_lS5_S3_lS4_T11_S3_li: ; @_ZL29rocblas_internal_gemmt_kernelIiLi16ELi32ELi8ELc67ELc78ELc76ELb0ELb0EffPKfPfEviT_T9_T10_S3_lS5_S3_lS4_T11_S3_li
; %bb.0:
	s_clause 0x1
	s_load_b32 s11, s[0:1], 0x40
	s_load_b96 s[8:10], s[0:1], 0x0
	s_wait_kmcnt 0x0
	s_cmp_neq_f32 s11, 1.0
	s_cselect_b32 s2, -1, 0
	s_delay_alu instid0(SALU_CYCLE_1)
	s_and_b32 vcc_lo, exec_lo, s2
	s_cbranch_vccnz .LBB33_2
; %bb.1:
	s_cmp_lg_u32 s9, 0
	s_cselect_b32 s2, -1, 0
	s_cmp_neq_f32 s10, 0
	s_cselect_b32 s3, -1, 0
	s_delay_alu instid0(SALU_CYCLE_1)
	s_and_b32 s2, s2, s3
.LBB33_2:
	s_delay_alu instid0(SALU_CYCLE_1)
	s_and_not1_b32 vcc_lo, exec_lo, s2
	s_cbranch_vccnz .LBB33_33
; %bb.3:
	s_load_b32 s15, s[0:1], 0x60
	s_lshr_b32 s20, ttmp7, 16
	s_wait_kmcnt 0x0
	s_cmp_ge_u32 s20, s15
	s_cbranch_scc1 .LBB33_33
; %bb.4:
	v_and_b32_e32 v1, 0x3ff, v0
	v_bfe_u32 v2, v0, 10, 10
	v_and_b32_e32 v16, 7, v0
	s_clause 0x5
	s_load_b96 s[16:18], s[0:1], 0x10
	s_load_b128 s[4:7], s[0:1], 0x20
	s_load_b32 s25, s[0:1], 0x30
	s_load_b64 s[26:27], s[0:1], 0x38
	s_load_b96 s[12:14], s[0:1], 0x48
	s_load_b64 s[22:23], s[0:1], 0x58
	s_lshl_b32 s2, ttmp9, 5
	v_lshl_add_u32 v0, v2, 4, v1
	s_lshl_b32 s3, ttmp7, 5
	v_lshl_add_u32 v21, v2, 5, 0x400
	s_and_b32 s3, s3, 0x1fffe0
	s_cmp_neq_f32 s10, 0
	v_lshrrev_b32_e32 v17, 5, v0
	v_lshrrev_b32_e32 v3, 3, v0
	v_and_b32_e32 v0, 31, v0
	v_add_nc_u32_e32 v5, s3, v2
	s_cselect_b32 s28, -1, 0
	s_cmp_gt_i32 s9, 0
	v_add_nc_u32_e32 v6, s3, v3
	v_or_b32_e32 v4, s2, v0
	v_lshlrev_b32_e32 v0, 2, v0
	s_cselect_b32 s29, -1, 0
	s_cmp_neq_f32 s11, 0
	v_add_nc_u32_e32 v13, 16, v5
	v_cmp_gt_i32_e64 s0, s8, v4
	v_lshl_or_b32 v18, v17, 7, v0
	v_add_nc_u32_e32 v0, s2, v1
	s_cselect_b32 s19, -1, 0
	s_wait_kmcnt 0x0
	v_mad_co_i64_i32 v[8:9], null, v5, s14, 0
	v_cmp_gt_i32_e64 s1, s8, v6
	v_cmp_le_i32_e32 vcc_lo, v5, v0
	v_cmp_gt_i32_e64 s2, s8, v0
	v_add_nc_u32_e32 v2, 16, v0
	v_mad_co_i64_i32 v[6:7], null, s25, v6, 0
	v_lshlrev_b32_e32 v14, 2, v17
	s_delay_alu instid0(VALU_DEP_4) | instskip(NEXT) | instid1(VALU_DEP_3)
	s_and_b32 s24, vcc_lo, s2
	v_cmp_le_i32_e32 vcc_lo, v5, v2
	v_mad_co_i64_i32 v[4:5], null, s18, v4, 0
	v_cmp_gt_i32_e64 s3, s8, v2
	v_lshlrev_b64_e32 v[6:7], 2, v[6:7]
	v_lshlrev_b32_e32 v12, 2, v16
	v_mad_co_i64_i32 v[10:11], null, v13, s14, 0
	s_and_b32 s8, vcc_lo, s3
	v_lshlrev_b64_e32 v[4:5], 2, v[4:5]
	v_cmp_le_i32_e32 vcc_lo, v13, v0
	v_lshl_or_b32 v3, v3, 5, v12
	v_lshlrev_b64_e32 v[8:9], 2, v[8:9]
	v_lshlrev_b32_e32 v20, 2, v1
	v_lshlrev_b64_e32 v[10:11], 2, v[10:11]
	s_and_b32 s14, vcc_lo, s2
	v_add_co_u32 v4, s2, v4, v14
	s_wait_alu 0xf1ff
	v_add_co_ci_u32_e64 v5, null, 0, v5, s2
	v_add_co_u32 v6, s2, v6, v12
	s_wait_alu 0xf1ff
	v_add_co_ci_u32_e64 v7, null, 0, v7, s2
	v_add_co_u32 v4, s2, s16, v4
	v_cmp_le_i32_e32 vcc_lo, v13, v2
	s_wait_alu 0xf1ff
	v_add_co_ci_u32_e64 v5, null, s17, v5, s2
	v_add_co_u32 v6, s2, s6, v6
	v_add_nc_u32_e32 v19, 0x400, v3
	v_ashrrev_i32_e32 v1, 31, v0
	v_ashrrev_i32_e32 v3, 31, v2
	s_wait_alu 0xf1ff
	v_add_co_ci_u32_e64 v7, null, s7, v7, s2
	s_mov_b32 s21, 0
	s_and_b32 s16, s28, s29
	s_and_b32 s17, vcc_lo, s3
	s_lshl_b64 s[2:3], s[4:5], 2
	s_lshl_b64 s[4:5], s[26:27], 2
	s_branch .LBB33_6
.LBB33_5:                               ;   in Loop: Header=BB33_6 Depth=1
	s_wait_alu 0xfffe
	s_or_b32 exec_lo, exec_lo, s6
	s_add_co_i32 s20, s20, 0x10000
	s_wait_alu 0xfffe
	s_cmp_lt_u32 s20, s15
	s_cbranch_scc0 .LBB33_33
.LBB33_6:                               ; =>This Loop Header: Depth=1
                                        ;     Child Loop BB33_9 Depth 2
	v_dual_mov_b32 v25, 0 :: v_dual_mov_b32 v24, 0
	v_dual_mov_b32 v23, 0 :: v_dual_mov_b32 v22, 0
	s_wait_alu 0xfffe
	s_and_not1_b32 vcc_lo, exec_lo, s16
	s_wait_alu 0xfffe
	s_cbranch_vccnz .LBB33_13
; %bb.7:                                ;   in Loop: Header=BB33_6 Depth=1
	v_mad_co_u64_u32 v[12:13], null, s2, s20, v[4:5]
	v_mad_co_u64_u32 v[14:15], null, s4, s20, v[6:7]
	v_dual_mov_b32 v22, 0 :: v_dual_mov_b32 v23, 0
	s_mov_b32 s6, 0
	s_delay_alu instid0(VALU_DEP_2) | instskip(NEXT) | instid1(VALU_DEP_3)
	v_mad_co_u64_u32 v[25:26], null, s3, s20, v[13:14]
	v_mad_co_u64_u32 v[26:27], null, s5, s20, v[15:16]
	s_delay_alu instid0(VALU_DEP_2) | instskip(SKIP_1) | instid1(VALU_DEP_3)
	v_dual_mov_b32 v24, 0 :: v_dual_mov_b32 v13, v25
	v_mov_b32_e32 v25, 0
	v_mov_b32_e32 v15, v26
	s_branch .LBB33_9
.LBB33_8:                               ;   in Loop: Header=BB33_9 Depth=2
	s_wait_alu 0xfffe
	s_or_b32 exec_lo, exec_lo, s7
	s_wait_loadcnt 0x0
	ds_store_b32 v19, v27
	s_wait_dscnt 0x0
	s_barrier_signal -1
	s_barrier_wait -1
	global_inv scope:SCOPE_SE
	ds_load_b128 v[26:29], v21
	ds_load_2addr_b32 v[42:43], v20 offset1:16
	ds_load_b128 v[30:33], v21 offset:512
	ds_load_2addr_b32 v[44:45], v20 offset0:32 offset1:48
	ds_load_2addr_b32 v[46:47], v20 offset0:64 offset1:80
	;; [unrolled: 1-line block ×3, first 2 shown]
	ds_load_b128 v[34:37], v21 offset:16
	ds_load_2addr_b32 v[50:51], v20 offset0:128 offset1:144
	ds_load_b128 v[38:41], v21 offset:528
	v_add_co_u32 v12, vcc_lo, v12, 32
	s_wait_alu 0xfffd
	v_add_co_ci_u32_e64 v13, null, 0, v13, vcc_lo
	v_add_co_u32 v14, vcc_lo, v14, 32
	s_wait_alu 0xfffd
	v_add_co_ci_u32_e64 v15, null, 0, v15, vcc_lo
	s_add_co_i32 s6, s6, 8
	s_wait_alu 0xfffe
	s_cmp_lt_i32 s6, s9
	s_wait_dscnt 0x7
	v_fmac_f32_e32 v24, v43, v26
	v_fmac_f32_e32 v25, v42, v26
	s_wait_dscnt 0x6
	v_fmac_f32_e32 v22, v43, v30
	v_fmac_f32_e32 v23, v42, v30
	ds_load_2addr_b32 v[42:43], v20 offset0:160 offset1:176
	s_wait_dscnt 0x6
	v_fmac_f32_e32 v24, v45, v27
	v_fmac_f32_e32 v25, v44, v27
	v_fmac_f32_e32 v22, v45, v31
	v_fmac_f32_e32 v23, v44, v31
	ds_load_2addr_b32 v[26:27], v20 offset0:192 offset1:208
	s_wait_dscnt 0x6
	v_fmac_f32_e32 v24, v47, v28
	v_fmac_f32_e32 v25, v46, v28
	v_fmac_f32_e32 v22, v47, v32
	v_fmac_f32_e32 v23, v46, v32
	ds_load_2addr_b32 v[30:31], v20 offset0:224 offset1:240
	s_wait_dscnt 0x6
	v_fmac_f32_e32 v24, v49, v29
	v_fmac_f32_e32 v25, v48, v29
	v_fmac_f32_e32 v22, v49, v33
	v_fmac_f32_e32 v23, v48, v33
	s_wait_loadcnt_dscnt 0x0
	v_fmac_f32_e32 v24, v51, v34
	v_fmac_f32_e32 v25, v50, v34
	;; [unrolled: 1-line block ×4, first 2 shown]
	s_barrier_signal -1
	v_fmac_f32_e32 v24, v43, v35
	v_fmac_f32_e32 v25, v42, v35
	;; [unrolled: 1-line block ×4, first 2 shown]
	s_barrier_wait -1
	v_fmac_f32_e32 v24, v27, v36
	v_fmac_f32_e32 v25, v26, v36
	;; [unrolled: 1-line block ×4, first 2 shown]
	global_inv scope:SCOPE_SE
	v_fmac_f32_e32 v24, v31, v37
	v_fmac_f32_e32 v25, v30, v37
	;; [unrolled: 1-line block ×4, first 2 shown]
	s_cbranch_scc0 .LBB33_13
.LBB33_9:                               ;   Parent Loop BB33_6 Depth=1
                                        ; =>  This Inner Loop Header: Depth=2
	s_wait_alu 0xfffe
	v_add_nc_u32_e32 v26, s6, v17
	s_delay_alu instid0(VALU_DEP_1)
	v_cmp_gt_i32_e32 vcc_lo, s9, v26
	v_mov_b32_e32 v26, 0
	s_and_b32 s18, s0, vcc_lo
	s_wait_alu 0xfffe
	s_and_saveexec_b32 s7, s18
	s_cbranch_execz .LBB33_11
; %bb.10:                               ;   in Loop: Header=BB33_9 Depth=2
	global_load_b32 v26, v[12:13], off
.LBB33_11:                              ;   in Loop: Header=BB33_9 Depth=2
	s_wait_alu 0xfffe
	s_or_b32 exec_lo, exec_lo, s7
	v_add_nc_u32_e32 v27, s6, v16
	s_wait_loadcnt 0x0
	ds_store_b32 v18, v26
	v_cmp_gt_i32_e32 vcc_lo, s9, v27
	v_mov_b32_e32 v27, 0
	s_and_b32 s18, vcc_lo, s1
	s_wait_alu 0xfffe
	s_and_saveexec_b32 s7, s18
	s_cbranch_execz .LBB33_8
; %bb.12:                               ;   in Loop: Header=BB33_9 Depth=2
	global_load_b32 v27, v[14:15], off
	s_branch .LBB33_8
.LBB33_13:                              ;   in Loop: Header=BB33_6 Depth=1
	s_mul_u64 s[6:7], s[22:23], s[20:21]
	s_wait_alu 0xfffe
	s_lshl_b64 s[6:7], s[6:7], 2
	s_wait_alu 0xfffe
	s_add_nc_u64 s[6:7], s[12:13], s[6:7]
	s_wait_alu 0xfffe
	v_add_co_u32 v12, vcc_lo, s6, v8
	s_wait_alu 0xfffd
	v_add_co_ci_u32_e64 v13, null, s7, v9, vcc_lo
	s_and_saveexec_b32 s18, s24
	s_cbranch_execz .LBB33_17
; %bb.14:                               ;   in Loop: Header=BB33_6 Depth=1
	v_mul_f32_e32 v14, s10, v25
	s_and_b32 vcc_lo, exec_lo, s19
	s_wait_alu 0xfffe
	s_cbranch_vccz .LBB33_28
; %bb.15:                               ;   in Loop: Header=BB33_6 Depth=1
	v_lshlrev_b64_e32 v[25:26], 2, v[0:1]
	s_delay_alu instid0(VALU_DEP_1) | instskip(SKIP_1) | instid1(VALU_DEP_2)
	v_add_co_u32 v25, vcc_lo, v12, v25
	s_wait_alu 0xfffd
	v_add_co_ci_u32_e64 v26, null, v13, v26, vcc_lo
	global_load_b32 v15, v[25:26], off
	s_wait_loadcnt 0x0
	v_fma_f32 v15, s11, v15, v14
	global_store_b32 v[25:26], v15, off
	s_cbranch_execnz .LBB33_17
.LBB33_16:                              ;   in Loop: Header=BB33_6 Depth=1
	v_lshlrev_b64_e32 v[25:26], 2, v[0:1]
	s_delay_alu instid0(VALU_DEP_1) | instskip(SKIP_1) | instid1(VALU_DEP_2)
	v_add_co_u32 v25, vcc_lo, v12, v25
	s_wait_alu 0xfffd
	v_add_co_ci_u32_e64 v26, null, v13, v26, vcc_lo
	global_store_b32 v[25:26], v14, off
.LBB33_17:                              ;   in Loop: Header=BB33_6 Depth=1
	s_wait_alu 0xfffe
	s_or_b32 exec_lo, exec_lo, s18
	s_and_saveexec_b32 s18, s8
	s_cbranch_execz .LBB33_21
; %bb.18:                               ;   in Loop: Header=BB33_6 Depth=1
	v_mul_f32_e32 v14, s10, v24
	s_and_not1_b32 vcc_lo, exec_lo, s19
	s_wait_alu 0xfffe
	s_cbranch_vccnz .LBB33_29
; %bb.19:                               ;   in Loop: Header=BB33_6 Depth=1
	v_lshlrev_b64_e32 v[24:25], 2, v[2:3]
	s_delay_alu instid0(VALU_DEP_1) | instskip(SKIP_1) | instid1(VALU_DEP_2)
	v_add_co_u32 v24, vcc_lo, v12, v24
	s_wait_alu 0xfffd
	v_add_co_ci_u32_e64 v25, null, v13, v25, vcc_lo
	global_load_b32 v15, v[24:25], off
	s_wait_loadcnt 0x0
	v_fma_f32 v15, s11, v15, v14
	global_store_b32 v[24:25], v15, off
	s_cbranch_execnz .LBB33_21
.LBB33_20:                              ;   in Loop: Header=BB33_6 Depth=1
	v_lshlrev_b64_e32 v[24:25], 2, v[2:3]
	s_delay_alu instid0(VALU_DEP_1) | instskip(SKIP_1) | instid1(VALU_DEP_2)
	v_add_co_u32 v12, vcc_lo, v12, v24
	s_wait_alu 0xfffd
	v_add_co_ci_u32_e64 v13, null, v13, v25, vcc_lo
	global_store_b32 v[12:13], v14, off
.LBB33_21:                              ;   in Loop: Header=BB33_6 Depth=1
	s_wait_alu 0xfffe
	s_or_b32 exec_lo, exec_lo, s18
	v_add_co_u32 v14, vcc_lo, s6, v10
	s_wait_alu 0xfffd
	v_add_co_ci_u32_e64 v15, null, s7, v11, vcc_lo
	s_and_saveexec_b32 s6, s14
	s_cbranch_execz .LBB33_25
; %bb.22:                               ;   in Loop: Header=BB33_6 Depth=1
	v_lshlrev_b64_e32 v[12:13], 2, v[0:1]
	v_mul_f32_e32 v23, s10, v23
	s_and_not1_b32 vcc_lo, exec_lo, s19
	s_wait_alu 0xfffe
	s_cbranch_vccnz .LBB33_30
; %bb.23:                               ;   in Loop: Header=BB33_6 Depth=1
	s_delay_alu instid0(VALU_DEP_2)
	v_add_co_u32 v24, vcc_lo, v14, v12
	s_wait_alu 0xfffd
	v_add_co_ci_u32_e64 v25, null, v15, v13, vcc_lo
	global_load_b32 v26, v[24:25], off
	s_wait_loadcnt 0x0
	v_fma_f32 v26, s11, v26, v23
	global_store_b32 v[24:25], v26, off
	s_cbranch_execnz .LBB33_25
.LBB33_24:                              ;   in Loop: Header=BB33_6 Depth=1
	v_add_co_u32 v12, vcc_lo, v14, v12
	s_wait_alu 0xfffd
	v_add_co_ci_u32_e64 v13, null, v15, v13, vcc_lo
	global_store_b32 v[12:13], v23, off
.LBB33_25:                              ;   in Loop: Header=BB33_6 Depth=1
	s_wait_alu 0xfffe
	s_or_b32 exec_lo, exec_lo, s6
	s_and_saveexec_b32 s6, s17
	s_cbranch_execz .LBB33_5
; %bb.26:                               ;   in Loop: Header=BB33_6 Depth=1
	v_lshlrev_b64_e32 v[12:13], 2, v[2:3]
	v_mul_f32_e32 v22, s10, v22
	s_and_not1_b32 vcc_lo, exec_lo, s19
	s_wait_alu 0xfffe
	s_cbranch_vccnz .LBB33_31
; %bb.27:                               ;   in Loop: Header=BB33_6 Depth=1
	s_delay_alu instid0(VALU_DEP_2)
	v_add_co_u32 v23, vcc_lo, v14, v12
	s_wait_alu 0xfffd
	v_add_co_ci_u32_e64 v24, null, v15, v13, vcc_lo
	global_load_b32 v25, v[23:24], off
	s_wait_loadcnt 0x0
	v_fma_f32 v25, s11, v25, v22
	global_store_b32 v[23:24], v25, off
	s_cbranch_execnz .LBB33_5
	s_branch .LBB33_32
.LBB33_28:                              ;   in Loop: Header=BB33_6 Depth=1
	s_branch .LBB33_16
.LBB33_29:                              ;   in Loop: Header=BB33_6 Depth=1
	s_branch .LBB33_20
.LBB33_30:                              ;   in Loop: Header=BB33_6 Depth=1
	s_branch .LBB33_24
.LBB33_31:                              ;   in Loop: Header=BB33_6 Depth=1
.LBB33_32:                              ;   in Loop: Header=BB33_6 Depth=1
	s_delay_alu instid0(VALU_DEP_2)
	v_add_co_u32 v12, vcc_lo, v14, v12
	s_wait_alu 0xfffd
	v_add_co_ci_u32_e64 v13, null, v15, v13, vcc_lo
	global_store_b32 v[12:13], v22, off
	s_branch .LBB33_5
.LBB33_33:
	s_endpgm
	.section	.rodata,"a",@progbits
	.p2align	6, 0x0
	.amdhsa_kernel _ZL29rocblas_internal_gemmt_kernelIiLi16ELi32ELi8ELc67ELc78ELc76ELb0ELb0EffPKfPfEviT_T9_T10_S3_lS5_S3_lS4_T11_S3_li
		.amdhsa_group_segment_fixed_size 2048
		.amdhsa_private_segment_fixed_size 0
		.amdhsa_kernarg_size 100
		.amdhsa_user_sgpr_count 2
		.amdhsa_user_sgpr_dispatch_ptr 0
		.amdhsa_user_sgpr_queue_ptr 0
		.amdhsa_user_sgpr_kernarg_segment_ptr 1
		.amdhsa_user_sgpr_dispatch_id 0
		.amdhsa_user_sgpr_private_segment_size 0
		.amdhsa_wavefront_size32 1
		.amdhsa_uses_dynamic_stack 0
		.amdhsa_enable_private_segment 0
		.amdhsa_system_sgpr_workgroup_id_x 1
		.amdhsa_system_sgpr_workgroup_id_y 1
		.amdhsa_system_sgpr_workgroup_id_z 1
		.amdhsa_system_sgpr_workgroup_info 0
		.amdhsa_system_vgpr_workitem_id 1
		.amdhsa_next_free_vgpr 52
		.amdhsa_next_free_sgpr 30
		.amdhsa_reserve_vcc 1
		.amdhsa_float_round_mode_32 0
		.amdhsa_float_round_mode_16_64 0
		.amdhsa_float_denorm_mode_32 3
		.amdhsa_float_denorm_mode_16_64 3
		.amdhsa_fp16_overflow 0
		.amdhsa_workgroup_processor_mode 1
		.amdhsa_memory_ordered 1
		.amdhsa_forward_progress 1
		.amdhsa_inst_pref_size 14
		.amdhsa_round_robin_scheduling 0
		.amdhsa_exception_fp_ieee_invalid_op 0
		.amdhsa_exception_fp_denorm_src 0
		.amdhsa_exception_fp_ieee_div_zero 0
		.amdhsa_exception_fp_ieee_overflow 0
		.amdhsa_exception_fp_ieee_underflow 0
		.amdhsa_exception_fp_ieee_inexact 0
		.amdhsa_exception_int_div_zero 0
	.end_amdhsa_kernel
	.section	.text._ZL29rocblas_internal_gemmt_kernelIiLi16ELi32ELi8ELc67ELc78ELc76ELb0ELb0EffPKfPfEviT_T9_T10_S3_lS5_S3_lS4_T11_S3_li,"axG",@progbits,_ZL29rocblas_internal_gemmt_kernelIiLi16ELi32ELi8ELc67ELc78ELc76ELb0ELb0EffPKfPfEviT_T9_T10_S3_lS5_S3_lS4_T11_S3_li,comdat
.Lfunc_end33:
	.size	_ZL29rocblas_internal_gemmt_kernelIiLi16ELi32ELi8ELc67ELc78ELc76ELb0ELb0EffPKfPfEviT_T9_T10_S3_lS5_S3_lS4_T11_S3_li, .Lfunc_end33-_ZL29rocblas_internal_gemmt_kernelIiLi16ELi32ELi8ELc67ELc78ELc76ELb0ELb0EffPKfPfEviT_T9_T10_S3_lS5_S3_lS4_T11_S3_li
                                        ; -- End function
	.set _ZL29rocblas_internal_gemmt_kernelIiLi16ELi32ELi8ELc67ELc78ELc76ELb0ELb0EffPKfPfEviT_T9_T10_S3_lS5_S3_lS4_T11_S3_li.num_vgpr, 52
	.set _ZL29rocblas_internal_gemmt_kernelIiLi16ELi32ELi8ELc67ELc78ELc76ELb0ELb0EffPKfPfEviT_T9_T10_S3_lS5_S3_lS4_T11_S3_li.num_agpr, 0
	.set _ZL29rocblas_internal_gemmt_kernelIiLi16ELi32ELi8ELc67ELc78ELc76ELb0ELb0EffPKfPfEviT_T9_T10_S3_lS5_S3_lS4_T11_S3_li.numbered_sgpr, 30
	.set _ZL29rocblas_internal_gemmt_kernelIiLi16ELi32ELi8ELc67ELc78ELc76ELb0ELb0EffPKfPfEviT_T9_T10_S3_lS5_S3_lS4_T11_S3_li.num_named_barrier, 0
	.set _ZL29rocblas_internal_gemmt_kernelIiLi16ELi32ELi8ELc67ELc78ELc76ELb0ELb0EffPKfPfEviT_T9_T10_S3_lS5_S3_lS4_T11_S3_li.private_seg_size, 0
	.set _ZL29rocblas_internal_gemmt_kernelIiLi16ELi32ELi8ELc67ELc78ELc76ELb0ELb0EffPKfPfEviT_T9_T10_S3_lS5_S3_lS4_T11_S3_li.uses_vcc, 1
	.set _ZL29rocblas_internal_gemmt_kernelIiLi16ELi32ELi8ELc67ELc78ELc76ELb0ELb0EffPKfPfEviT_T9_T10_S3_lS5_S3_lS4_T11_S3_li.uses_flat_scratch, 0
	.set _ZL29rocblas_internal_gemmt_kernelIiLi16ELi32ELi8ELc67ELc78ELc76ELb0ELb0EffPKfPfEviT_T9_T10_S3_lS5_S3_lS4_T11_S3_li.has_dyn_sized_stack, 0
	.set _ZL29rocblas_internal_gemmt_kernelIiLi16ELi32ELi8ELc67ELc78ELc76ELb0ELb0EffPKfPfEviT_T9_T10_S3_lS5_S3_lS4_T11_S3_li.has_recursion, 0
	.set _ZL29rocblas_internal_gemmt_kernelIiLi16ELi32ELi8ELc67ELc78ELc76ELb0ELb0EffPKfPfEviT_T9_T10_S3_lS5_S3_lS4_T11_S3_li.has_indirect_call, 0
	.section	.AMDGPU.csdata,"",@progbits
; Kernel info:
; codeLenInByte = 1780
; TotalNumSgprs: 32
; NumVgprs: 52
; ScratchSize: 0
; MemoryBound: 0
; FloatMode: 240
; IeeeMode: 1
; LDSByteSize: 2048 bytes/workgroup (compile time only)
; SGPRBlocks: 0
; VGPRBlocks: 6
; NumSGPRsForWavesPerEU: 32
; NumVGPRsForWavesPerEU: 52
; Occupancy: 16
; WaveLimiterHint : 0
; COMPUTE_PGM_RSRC2:SCRATCH_EN: 0
; COMPUTE_PGM_RSRC2:USER_SGPR: 2
; COMPUTE_PGM_RSRC2:TRAP_HANDLER: 0
; COMPUTE_PGM_RSRC2:TGID_X_EN: 1
; COMPUTE_PGM_RSRC2:TGID_Y_EN: 1
; COMPUTE_PGM_RSRC2:TGID_Z_EN: 1
; COMPUTE_PGM_RSRC2:TIDIG_COMP_CNT: 1
	.section	.text._ZL29rocblas_internal_gemmt_kernelIiLi16ELi32ELi8ELc67ELc84ELc76ELb0ELb0EffPKfPfEviT_T9_T10_S3_lS5_S3_lS4_T11_S3_li,"axG",@progbits,_ZL29rocblas_internal_gemmt_kernelIiLi16ELi32ELi8ELc67ELc84ELc76ELb0ELb0EffPKfPfEviT_T9_T10_S3_lS5_S3_lS4_T11_S3_li,comdat
	.globl	_ZL29rocblas_internal_gemmt_kernelIiLi16ELi32ELi8ELc67ELc84ELc76ELb0ELb0EffPKfPfEviT_T9_T10_S3_lS5_S3_lS4_T11_S3_li ; -- Begin function _ZL29rocblas_internal_gemmt_kernelIiLi16ELi32ELi8ELc67ELc84ELc76ELb0ELb0EffPKfPfEviT_T9_T10_S3_lS5_S3_lS4_T11_S3_li
	.p2align	8
	.type	_ZL29rocblas_internal_gemmt_kernelIiLi16ELi32ELi8ELc67ELc84ELc76ELb0ELb0EffPKfPfEviT_T9_T10_S3_lS5_S3_lS4_T11_S3_li,@function
_ZL29rocblas_internal_gemmt_kernelIiLi16ELi32ELi8ELc67ELc84ELc76ELb0ELb0EffPKfPfEviT_T9_T10_S3_lS5_S3_lS4_T11_S3_li: ; @_ZL29rocblas_internal_gemmt_kernelIiLi16ELi32ELi8ELc67ELc84ELc76ELb0ELb0EffPKfPfEviT_T9_T10_S3_lS5_S3_lS4_T11_S3_li
; %bb.0:
	s_clause 0x1
	s_load_b32 s7, s[0:1], 0x40
	s_load_b96 s[4:6], s[0:1], 0x0
	s_wait_kmcnt 0x0
	s_cmp_neq_f32 s7, 1.0
	s_cselect_b32 s2, -1, 0
	s_delay_alu instid0(SALU_CYCLE_1)
	s_and_b32 vcc_lo, exec_lo, s2
	s_cbranch_vccnz .LBB34_2
; %bb.1:
	s_cmp_lg_u32 s5, 0
	s_cselect_b32 s2, -1, 0
	s_cmp_neq_f32 s6, 0
	s_cselect_b32 s3, -1, 0
	s_delay_alu instid0(SALU_CYCLE_1)
	s_and_b32 s2, s2, s3
.LBB34_2:
	s_delay_alu instid0(SALU_CYCLE_1)
	s_and_not1_b32 vcc_lo, exec_lo, s2
	s_cbranch_vccnz .LBB34_33
; %bb.3:
	s_load_b32 s19, s[0:1], 0x60
	s_lshr_b32 s20, ttmp7, 16
	s_wait_kmcnt 0x0
	s_cmp_ge_u32 s20, s19
	s_cbranch_scc1 .LBB34_33
; %bb.4:
	v_and_b32_e32 v1, 0x3ff, v0
	v_bfe_u32 v3, v0, 10, 10
	v_and_b32_e32 v16, 7, v0
	s_clause 0x5
	s_load_b32 s24, s[0:1], 0x30
	s_load_b96 s[16:18], s[0:1], 0x10
	s_load_b128 s[8:11], s[0:1], 0x20
	s_load_b64 s[26:27], s[0:1], 0x38
	s_load_b96 s[12:14], s[0:1], 0x48
	s_load_b64 s[22:23], s[0:1], 0x58
	v_lshl_add_u32 v0, v3, 4, v1
	v_lshlrev_b32_e32 v4, 2, v16
	s_lshl_b32 s2, ttmp9, 5
	s_lshl_b32 s0, ttmp7, 5
	v_lshlrev_b32_e32 v20, 2, v1
	v_and_b32_e32 v2, 31, v0
	v_lshrrev_b32_e32 v5, 3, v0
	v_lshrrev_b32_e32 v17, 5, v0
	s_and_b32 s3, s0, 0x1fffe0
	v_lshl_add_u32 v21, v3, 5, 0x400
	v_lshlrev_b32_e32 v0, 2, v2
	v_or_b32_e32 v6, s2, v2
	v_lshl_or_b32 v2, v5, 5, v4
	v_add_nc_u32_e32 v4, s3, v3
	v_add_nc_u32_e32 v12, s3, v5
	v_lshl_or_b32 v18, v17, 7, v0
	v_add_nc_u32_e32 v0, s2, v1
	v_add_nc_u32_e32 v19, 0x400, v2
	s_wait_kmcnt 0x0
	s_ashr_i32 s25, s24, 31
	s_cmp_neq_f32 s6, 0
	v_mad_co_i64_i32 v[8:9], null, v4, s14, 0
	v_add_nc_u32_e32 v2, 16, v0
	v_cmp_le_i32_e32 vcc_lo, v4, v0
	v_add_nc_u32_e32 v10, 16, v4
	v_cmp_gt_i32_e64 s0, s4, v6
	s_cselect_b32 s15, -1, 0
	v_cmp_le_i32_e64 s3, v4, v2
	v_mad_co_i64_i32 v[4:5], null, s18, v6, 0
	v_mad_co_i64_i32 v[6:7], null, s24, v16, 0
	s_cmp_gt_i32 s5, 0
	v_cmp_gt_i32_e64 s2, s4, v0
	s_cselect_b32 s31, -1, 0
	s_cmp_neq_f32 s7, 0
	v_lshlrev_b64_e32 v[4:5], 2, v[4:5]
	v_cmp_gt_i32_e64 s1, s4, v12
	v_cmp_gt_i32_e64 s4, s4, v2
	s_cselect_b32 s28, -1, 0
	s_and_b32 s29, vcc_lo, s2
	v_cmp_le_i32_e32 vcc_lo, v10, v0
	v_lshlrev_b32_e32 v13, 2, v17
	v_lshlrev_b64_e32 v[6:7], 2, v[6:7]
	v_lshlrev_b32_e32 v12, 2, v12
	s_and_b32 s30, s3, s4
	v_cmp_le_i32_e64 s3, v10, v2
	v_mad_co_i64_i32 v[10:11], null, v10, s14, 0
	s_and_b32 s18, vcc_lo, s2
	v_add_co_u32 v4, vcc_lo, v4, v13
	s_delay_alu instid0(VALU_DEP_1)
	v_add_co_ci_u32_e64 v5, null, 0, v5, vcc_lo
	v_add_co_u32 v6, vcc_lo, v6, v12
	s_wait_alu 0xfffd
	v_add_co_ci_u32_e64 v7, null, 0, v7, vcc_lo
	v_add_co_u32 v4, vcc_lo, s16, v4
	s_wait_alu 0xfffd
	v_add_co_ci_u32_e64 v5, null, s17, v5, vcc_lo
	v_add_co_u32 v6, vcc_lo, s10, v6
	v_lshlrev_b64_e32 v[8:9], 2, v[8:9]
	v_lshlrev_b64_e32 v[10:11], 2, v[10:11]
	v_ashrrev_i32_e32 v1, 31, v0
	v_ashrrev_i32_e32 v3, 31, v2
	s_wait_alu 0xfffd
	v_add_co_ci_u32_e64 v7, null, s11, v7, vcc_lo
	s_mov_b32 s21, 0
	s_and_b32 s4, s3, s4
	s_wait_alu 0xfffe
	s_and_b32 s16, s15, s31
	s_lshl_b64 s[2:3], s[8:9], 2
	s_lshl_b64 s[8:9], s[26:27], 2
	;; [unrolled: 1-line block ×3, first 2 shown]
	s_branch .LBB34_6
.LBB34_5:                               ;   in Loop: Header=BB34_6 Depth=1
	s_wait_alu 0xfffe
	s_or_b32 exec_lo, exec_lo, s14
	s_add_co_i32 s20, s20, 0x10000
	s_wait_alu 0xfffe
	s_cmp_lt_u32 s20, s19
	s_cbranch_scc0 .LBB34_33
.LBB34_6:                               ; =>This Loop Header: Depth=1
                                        ;     Child Loop BB34_9 Depth 2
	v_dual_mov_b32 v25, 0 :: v_dual_mov_b32 v24, 0
	v_dual_mov_b32 v23, 0 :: v_dual_mov_b32 v22, 0
	s_wait_alu 0xfffe
	s_and_not1_b32 vcc_lo, exec_lo, s16
	s_wait_alu 0xfffe
	s_cbranch_vccnz .LBB34_13
; %bb.7:                                ;   in Loop: Header=BB34_6 Depth=1
	v_mad_co_u64_u32 v[12:13], null, s2, s20, v[4:5]
	v_mad_co_u64_u32 v[14:15], null, s8, s20, v[6:7]
	v_dual_mov_b32 v22, 0 :: v_dual_mov_b32 v23, 0
	s_mov_b32 s14, 0
	s_delay_alu instid0(VALU_DEP_2) | instskip(NEXT) | instid1(VALU_DEP_3)
	v_mad_co_u64_u32 v[25:26], null, s3, s20, v[13:14]
	v_mad_co_u64_u32 v[26:27], null, s9, s20, v[15:16]
	s_delay_alu instid0(VALU_DEP_2) | instskip(SKIP_1) | instid1(VALU_DEP_3)
	v_dual_mov_b32 v24, 0 :: v_dual_mov_b32 v13, v25
	v_mov_b32_e32 v25, 0
	v_mov_b32_e32 v15, v26
	s_branch .LBB34_9
.LBB34_8:                               ;   in Loop: Header=BB34_9 Depth=2
	s_wait_alu 0xfffe
	s_or_b32 exec_lo, exec_lo, s15
	s_wait_loadcnt 0x0
	ds_store_b32 v19, v27
	s_wait_dscnt 0x0
	s_barrier_signal -1
	s_barrier_wait -1
	global_inv scope:SCOPE_SE
	ds_load_b128 v[26:29], v21
	ds_load_2addr_b32 v[42:43], v20 offset1:16
	ds_load_b128 v[30:33], v21 offset:512
	ds_load_2addr_b32 v[44:45], v20 offset0:32 offset1:48
	ds_load_2addr_b32 v[46:47], v20 offset0:64 offset1:80
	;; [unrolled: 1-line block ×3, first 2 shown]
	ds_load_b128 v[34:37], v21 offset:16
	ds_load_2addr_b32 v[50:51], v20 offset0:128 offset1:144
	ds_load_b128 v[38:41], v21 offset:528
	v_add_co_u32 v12, vcc_lo, v12, 32
	s_wait_alu 0xfffd
	v_add_co_ci_u32_e64 v13, null, 0, v13, vcc_lo
	v_add_co_u32 v14, vcc_lo, v14, s10
	s_wait_alu 0xfffd
	v_add_co_ci_u32_e64 v15, null, s11, v15, vcc_lo
	s_add_co_i32 s14, s14, 8
	s_wait_alu 0xfffe
	s_cmp_lt_i32 s14, s5
	s_wait_dscnt 0x7
	v_fmac_f32_e32 v24, v43, v26
	v_fmac_f32_e32 v25, v42, v26
	s_wait_dscnt 0x6
	v_fmac_f32_e32 v22, v43, v30
	v_fmac_f32_e32 v23, v42, v30
	ds_load_2addr_b32 v[42:43], v20 offset0:160 offset1:176
	s_wait_dscnt 0x6
	v_fmac_f32_e32 v24, v45, v27
	v_fmac_f32_e32 v25, v44, v27
	v_fmac_f32_e32 v22, v45, v31
	v_fmac_f32_e32 v23, v44, v31
	ds_load_2addr_b32 v[26:27], v20 offset0:192 offset1:208
	s_wait_dscnt 0x6
	v_fmac_f32_e32 v24, v47, v28
	v_fmac_f32_e32 v25, v46, v28
	;; [unrolled: 6-line block ×3, first 2 shown]
	v_fmac_f32_e32 v22, v49, v33
	v_fmac_f32_e32 v23, v48, v33
	s_wait_loadcnt_dscnt 0x0
	v_fmac_f32_e32 v24, v51, v34
	v_fmac_f32_e32 v25, v50, v34
	;; [unrolled: 1-line block ×4, first 2 shown]
	s_barrier_signal -1
	v_fmac_f32_e32 v24, v43, v35
	v_fmac_f32_e32 v25, v42, v35
	;; [unrolled: 1-line block ×4, first 2 shown]
	s_barrier_wait -1
	v_fmac_f32_e32 v24, v27, v36
	v_fmac_f32_e32 v25, v26, v36
	;; [unrolled: 1-line block ×4, first 2 shown]
	global_inv scope:SCOPE_SE
	v_fmac_f32_e32 v24, v31, v37
	v_fmac_f32_e32 v25, v30, v37
	;; [unrolled: 1-line block ×4, first 2 shown]
	s_cbranch_scc0 .LBB34_13
.LBB34_9:                               ;   Parent Loop BB34_6 Depth=1
                                        ; =>  This Inner Loop Header: Depth=2
	s_wait_alu 0xfffe
	v_add_nc_u32_e32 v26, s14, v17
	s_delay_alu instid0(VALU_DEP_1)
	v_cmp_gt_i32_e32 vcc_lo, s5, v26
	v_mov_b32_e32 v26, 0
	s_and_b32 s17, s0, vcc_lo
	s_wait_alu 0xfffe
	s_and_saveexec_b32 s15, s17
	s_cbranch_execz .LBB34_11
; %bb.10:                               ;   in Loop: Header=BB34_9 Depth=2
	global_load_b32 v26, v[12:13], off
.LBB34_11:                              ;   in Loop: Header=BB34_9 Depth=2
	s_wait_alu 0xfffe
	s_or_b32 exec_lo, exec_lo, s15
	v_add_nc_u32_e32 v27, s14, v16
	s_wait_loadcnt 0x0
	ds_store_b32 v18, v26
	v_cmp_gt_i32_e32 vcc_lo, s5, v27
	v_mov_b32_e32 v27, 0
	s_and_b32 s17, vcc_lo, s1
	s_wait_alu 0xfffe
	s_and_saveexec_b32 s15, s17
	s_cbranch_execz .LBB34_8
; %bb.12:                               ;   in Loop: Header=BB34_9 Depth=2
	global_load_b32 v27, v[14:15], off
	s_branch .LBB34_8
.LBB34_13:                              ;   in Loop: Header=BB34_6 Depth=1
	s_mul_u64 s[14:15], s[22:23], s[20:21]
	s_wait_alu 0xfffe
	s_lshl_b64 s[14:15], s[14:15], 2
	s_wait_alu 0xfffe
	s_add_nc_u64 s[14:15], s[12:13], s[14:15]
	s_wait_alu 0xfffe
	v_add_co_u32 v12, vcc_lo, s14, v8
	s_wait_alu 0xfffd
	v_add_co_ci_u32_e64 v13, null, s15, v9, vcc_lo
	s_and_saveexec_b32 s17, s29
	s_cbranch_execz .LBB34_17
; %bb.14:                               ;   in Loop: Header=BB34_6 Depth=1
	v_mul_f32_e32 v14, s6, v25
	s_and_b32 vcc_lo, exec_lo, s28
	s_wait_alu 0xfffe
	s_cbranch_vccz .LBB34_28
; %bb.15:                               ;   in Loop: Header=BB34_6 Depth=1
	v_lshlrev_b64_e32 v[25:26], 2, v[0:1]
	s_delay_alu instid0(VALU_DEP_1) | instskip(SKIP_1) | instid1(VALU_DEP_2)
	v_add_co_u32 v25, vcc_lo, v12, v25
	s_wait_alu 0xfffd
	v_add_co_ci_u32_e64 v26, null, v13, v26, vcc_lo
	global_load_b32 v15, v[25:26], off
	s_wait_loadcnt 0x0
	v_fma_f32 v15, s7, v15, v14
	global_store_b32 v[25:26], v15, off
	s_cbranch_execnz .LBB34_17
.LBB34_16:                              ;   in Loop: Header=BB34_6 Depth=1
	v_lshlrev_b64_e32 v[25:26], 2, v[0:1]
	s_delay_alu instid0(VALU_DEP_1) | instskip(SKIP_1) | instid1(VALU_DEP_2)
	v_add_co_u32 v25, vcc_lo, v12, v25
	s_wait_alu 0xfffd
	v_add_co_ci_u32_e64 v26, null, v13, v26, vcc_lo
	global_store_b32 v[25:26], v14, off
.LBB34_17:                              ;   in Loop: Header=BB34_6 Depth=1
	s_wait_alu 0xfffe
	s_or_b32 exec_lo, exec_lo, s17
	s_and_saveexec_b32 s17, s30
	s_cbranch_execz .LBB34_21
; %bb.18:                               ;   in Loop: Header=BB34_6 Depth=1
	v_mul_f32_e32 v14, s6, v24
	s_and_not1_b32 vcc_lo, exec_lo, s28
	s_wait_alu 0xfffe
	s_cbranch_vccnz .LBB34_29
; %bb.19:                               ;   in Loop: Header=BB34_6 Depth=1
	v_lshlrev_b64_e32 v[24:25], 2, v[2:3]
	s_delay_alu instid0(VALU_DEP_1) | instskip(SKIP_1) | instid1(VALU_DEP_2)
	v_add_co_u32 v24, vcc_lo, v12, v24
	s_wait_alu 0xfffd
	v_add_co_ci_u32_e64 v25, null, v13, v25, vcc_lo
	global_load_b32 v15, v[24:25], off
	s_wait_loadcnt 0x0
	v_fma_f32 v15, s7, v15, v14
	global_store_b32 v[24:25], v15, off
	s_cbranch_execnz .LBB34_21
.LBB34_20:                              ;   in Loop: Header=BB34_6 Depth=1
	v_lshlrev_b64_e32 v[24:25], 2, v[2:3]
	s_delay_alu instid0(VALU_DEP_1) | instskip(SKIP_1) | instid1(VALU_DEP_2)
	v_add_co_u32 v12, vcc_lo, v12, v24
	s_wait_alu 0xfffd
	v_add_co_ci_u32_e64 v13, null, v13, v25, vcc_lo
	global_store_b32 v[12:13], v14, off
.LBB34_21:                              ;   in Loop: Header=BB34_6 Depth=1
	s_wait_alu 0xfffe
	s_or_b32 exec_lo, exec_lo, s17
	v_add_co_u32 v14, vcc_lo, s14, v10
	s_wait_alu 0xfffd
	v_add_co_ci_u32_e64 v15, null, s15, v11, vcc_lo
	s_and_saveexec_b32 s14, s18
	s_cbranch_execz .LBB34_25
; %bb.22:                               ;   in Loop: Header=BB34_6 Depth=1
	v_lshlrev_b64_e32 v[12:13], 2, v[0:1]
	v_mul_f32_e32 v23, s6, v23
	s_and_not1_b32 vcc_lo, exec_lo, s28
	s_wait_alu 0xfffe
	s_cbranch_vccnz .LBB34_30
; %bb.23:                               ;   in Loop: Header=BB34_6 Depth=1
	s_delay_alu instid0(VALU_DEP_2)
	v_add_co_u32 v24, vcc_lo, v14, v12
	s_wait_alu 0xfffd
	v_add_co_ci_u32_e64 v25, null, v15, v13, vcc_lo
	global_load_b32 v26, v[24:25], off
	s_wait_loadcnt 0x0
	v_fma_f32 v26, s7, v26, v23
	global_store_b32 v[24:25], v26, off
	s_cbranch_execnz .LBB34_25
.LBB34_24:                              ;   in Loop: Header=BB34_6 Depth=1
	v_add_co_u32 v12, vcc_lo, v14, v12
	s_wait_alu 0xfffd
	v_add_co_ci_u32_e64 v13, null, v15, v13, vcc_lo
	global_store_b32 v[12:13], v23, off
.LBB34_25:                              ;   in Loop: Header=BB34_6 Depth=1
	s_wait_alu 0xfffe
	s_or_b32 exec_lo, exec_lo, s14
	s_and_saveexec_b32 s14, s4
	s_cbranch_execz .LBB34_5
; %bb.26:                               ;   in Loop: Header=BB34_6 Depth=1
	v_lshlrev_b64_e32 v[12:13], 2, v[2:3]
	v_mul_f32_e32 v22, s6, v22
	s_and_not1_b32 vcc_lo, exec_lo, s28
	s_wait_alu 0xfffe
	s_cbranch_vccnz .LBB34_31
; %bb.27:                               ;   in Loop: Header=BB34_6 Depth=1
	s_delay_alu instid0(VALU_DEP_2)
	v_add_co_u32 v23, vcc_lo, v14, v12
	s_wait_alu 0xfffd
	v_add_co_ci_u32_e64 v24, null, v15, v13, vcc_lo
	global_load_b32 v25, v[23:24], off
	s_wait_loadcnt 0x0
	v_fma_f32 v25, s7, v25, v22
	global_store_b32 v[23:24], v25, off
	s_cbranch_execnz .LBB34_5
	s_branch .LBB34_32
.LBB34_28:                              ;   in Loop: Header=BB34_6 Depth=1
	s_branch .LBB34_16
.LBB34_29:                              ;   in Loop: Header=BB34_6 Depth=1
	s_branch .LBB34_20
.LBB34_30:                              ;   in Loop: Header=BB34_6 Depth=1
	s_branch .LBB34_24
.LBB34_31:                              ;   in Loop: Header=BB34_6 Depth=1
.LBB34_32:                              ;   in Loop: Header=BB34_6 Depth=1
	s_delay_alu instid0(VALU_DEP_2)
	v_add_co_u32 v12, vcc_lo, v14, v12
	s_wait_alu 0xfffd
	v_add_co_ci_u32_e64 v13, null, v15, v13, vcc_lo
	global_store_b32 v[12:13], v22, off
	s_branch .LBB34_5
.LBB34_33:
	s_endpgm
	.section	.rodata,"a",@progbits
	.p2align	6, 0x0
	.amdhsa_kernel _ZL29rocblas_internal_gemmt_kernelIiLi16ELi32ELi8ELc67ELc84ELc76ELb0ELb0EffPKfPfEviT_T9_T10_S3_lS5_S3_lS4_T11_S3_li
		.amdhsa_group_segment_fixed_size 2048
		.amdhsa_private_segment_fixed_size 0
		.amdhsa_kernarg_size 100
		.amdhsa_user_sgpr_count 2
		.amdhsa_user_sgpr_dispatch_ptr 0
		.amdhsa_user_sgpr_queue_ptr 0
		.amdhsa_user_sgpr_kernarg_segment_ptr 1
		.amdhsa_user_sgpr_dispatch_id 0
		.amdhsa_user_sgpr_private_segment_size 0
		.amdhsa_wavefront_size32 1
		.amdhsa_uses_dynamic_stack 0
		.amdhsa_enable_private_segment 0
		.amdhsa_system_sgpr_workgroup_id_x 1
		.amdhsa_system_sgpr_workgroup_id_y 1
		.amdhsa_system_sgpr_workgroup_id_z 1
		.amdhsa_system_sgpr_workgroup_info 0
		.amdhsa_system_vgpr_workitem_id 1
		.amdhsa_next_free_vgpr 52
		.amdhsa_next_free_sgpr 32
		.amdhsa_reserve_vcc 1
		.amdhsa_float_round_mode_32 0
		.amdhsa_float_round_mode_16_64 0
		.amdhsa_float_denorm_mode_32 3
		.amdhsa_float_denorm_mode_16_64 3
		.amdhsa_fp16_overflow 0
		.amdhsa_workgroup_processor_mode 1
		.amdhsa_memory_ordered 1
		.amdhsa_forward_progress 1
		.amdhsa_inst_pref_size 15
		.amdhsa_round_robin_scheduling 0
		.amdhsa_exception_fp_ieee_invalid_op 0
		.amdhsa_exception_fp_denorm_src 0
		.amdhsa_exception_fp_ieee_div_zero 0
		.amdhsa_exception_fp_ieee_overflow 0
		.amdhsa_exception_fp_ieee_underflow 0
		.amdhsa_exception_fp_ieee_inexact 0
		.amdhsa_exception_int_div_zero 0
	.end_amdhsa_kernel
	.section	.text._ZL29rocblas_internal_gemmt_kernelIiLi16ELi32ELi8ELc67ELc84ELc76ELb0ELb0EffPKfPfEviT_T9_T10_S3_lS5_S3_lS4_T11_S3_li,"axG",@progbits,_ZL29rocblas_internal_gemmt_kernelIiLi16ELi32ELi8ELc67ELc84ELc76ELb0ELb0EffPKfPfEviT_T9_T10_S3_lS5_S3_lS4_T11_S3_li,comdat
.Lfunc_end34:
	.size	_ZL29rocblas_internal_gemmt_kernelIiLi16ELi32ELi8ELc67ELc84ELc76ELb0ELb0EffPKfPfEviT_T9_T10_S3_lS5_S3_lS4_T11_S3_li, .Lfunc_end34-_ZL29rocblas_internal_gemmt_kernelIiLi16ELi32ELi8ELc67ELc84ELc76ELb0ELb0EffPKfPfEviT_T9_T10_S3_lS5_S3_lS4_T11_S3_li
                                        ; -- End function
	.set _ZL29rocblas_internal_gemmt_kernelIiLi16ELi32ELi8ELc67ELc84ELc76ELb0ELb0EffPKfPfEviT_T9_T10_S3_lS5_S3_lS4_T11_S3_li.num_vgpr, 52
	.set _ZL29rocblas_internal_gemmt_kernelIiLi16ELi32ELi8ELc67ELc84ELc76ELb0ELb0EffPKfPfEviT_T9_T10_S3_lS5_S3_lS4_T11_S3_li.num_agpr, 0
	.set _ZL29rocblas_internal_gemmt_kernelIiLi16ELi32ELi8ELc67ELc84ELc76ELb0ELb0EffPKfPfEviT_T9_T10_S3_lS5_S3_lS4_T11_S3_li.numbered_sgpr, 32
	.set _ZL29rocblas_internal_gemmt_kernelIiLi16ELi32ELi8ELc67ELc84ELc76ELb0ELb0EffPKfPfEviT_T9_T10_S3_lS5_S3_lS4_T11_S3_li.num_named_barrier, 0
	.set _ZL29rocblas_internal_gemmt_kernelIiLi16ELi32ELi8ELc67ELc84ELc76ELb0ELb0EffPKfPfEviT_T9_T10_S3_lS5_S3_lS4_T11_S3_li.private_seg_size, 0
	.set _ZL29rocblas_internal_gemmt_kernelIiLi16ELi32ELi8ELc67ELc84ELc76ELb0ELb0EffPKfPfEviT_T9_T10_S3_lS5_S3_lS4_T11_S3_li.uses_vcc, 1
	.set _ZL29rocblas_internal_gemmt_kernelIiLi16ELi32ELi8ELc67ELc84ELc76ELb0ELb0EffPKfPfEviT_T9_T10_S3_lS5_S3_lS4_T11_S3_li.uses_flat_scratch, 0
	.set _ZL29rocblas_internal_gemmt_kernelIiLi16ELi32ELi8ELc67ELc84ELc76ELb0ELb0EffPKfPfEviT_T9_T10_S3_lS5_S3_lS4_T11_S3_li.has_dyn_sized_stack, 0
	.set _ZL29rocblas_internal_gemmt_kernelIiLi16ELi32ELi8ELc67ELc84ELc76ELb0ELb0EffPKfPfEviT_T9_T10_S3_lS5_S3_lS4_T11_S3_li.has_recursion, 0
	.set _ZL29rocblas_internal_gemmt_kernelIiLi16ELi32ELi8ELc67ELc84ELc76ELb0ELb0EffPKfPfEviT_T9_T10_S3_lS5_S3_lS4_T11_S3_li.has_indirect_call, 0
	.section	.AMDGPU.csdata,"",@progbits
; Kernel info:
; codeLenInByte = 1800
; TotalNumSgprs: 34
; NumVgprs: 52
; ScratchSize: 0
; MemoryBound: 0
; FloatMode: 240
; IeeeMode: 1
; LDSByteSize: 2048 bytes/workgroup (compile time only)
; SGPRBlocks: 0
; VGPRBlocks: 6
; NumSGPRsForWavesPerEU: 34
; NumVGPRsForWavesPerEU: 52
; Occupancy: 16
; WaveLimiterHint : 0
; COMPUTE_PGM_RSRC2:SCRATCH_EN: 0
; COMPUTE_PGM_RSRC2:USER_SGPR: 2
; COMPUTE_PGM_RSRC2:TRAP_HANDLER: 0
; COMPUTE_PGM_RSRC2:TGID_X_EN: 1
; COMPUTE_PGM_RSRC2:TGID_Y_EN: 1
; COMPUTE_PGM_RSRC2:TGID_Z_EN: 1
; COMPUTE_PGM_RSRC2:TIDIG_COMP_CNT: 1
	.section	.text._ZL29rocblas_internal_gemmt_kernelIiLi16ELi32ELi8ELc67ELc67ELc76ELb0ELb0EffPKfPfEviT_T9_T10_S3_lS5_S3_lS4_T11_S3_li,"axG",@progbits,_ZL29rocblas_internal_gemmt_kernelIiLi16ELi32ELi8ELc67ELc67ELc76ELb0ELb0EffPKfPfEviT_T9_T10_S3_lS5_S3_lS4_T11_S3_li,comdat
	.globl	_ZL29rocblas_internal_gemmt_kernelIiLi16ELi32ELi8ELc67ELc67ELc76ELb0ELb0EffPKfPfEviT_T9_T10_S3_lS5_S3_lS4_T11_S3_li ; -- Begin function _ZL29rocblas_internal_gemmt_kernelIiLi16ELi32ELi8ELc67ELc67ELc76ELb0ELb0EffPKfPfEviT_T9_T10_S3_lS5_S3_lS4_T11_S3_li
	.p2align	8
	.type	_ZL29rocblas_internal_gemmt_kernelIiLi16ELi32ELi8ELc67ELc67ELc76ELb0ELb0EffPKfPfEviT_T9_T10_S3_lS5_S3_lS4_T11_S3_li,@function
_ZL29rocblas_internal_gemmt_kernelIiLi16ELi32ELi8ELc67ELc67ELc76ELb0ELb0EffPKfPfEviT_T9_T10_S3_lS5_S3_lS4_T11_S3_li: ; @_ZL29rocblas_internal_gemmt_kernelIiLi16ELi32ELi8ELc67ELc67ELc76ELb0ELb0EffPKfPfEviT_T9_T10_S3_lS5_S3_lS4_T11_S3_li
; %bb.0:
	s_clause 0x1
	s_load_b32 s7, s[0:1], 0x40
	s_load_b96 s[4:6], s[0:1], 0x0
	s_wait_kmcnt 0x0
	s_cmp_neq_f32 s7, 1.0
	s_cselect_b32 s2, -1, 0
	s_delay_alu instid0(SALU_CYCLE_1)
	s_and_b32 vcc_lo, exec_lo, s2
	s_cbranch_vccnz .LBB35_2
; %bb.1:
	s_cmp_lg_u32 s5, 0
	s_cselect_b32 s2, -1, 0
	s_cmp_neq_f32 s6, 0
	s_cselect_b32 s3, -1, 0
	s_delay_alu instid0(SALU_CYCLE_1)
	s_and_b32 s2, s2, s3
.LBB35_2:
	s_delay_alu instid0(SALU_CYCLE_1)
	s_and_not1_b32 vcc_lo, exec_lo, s2
	s_cbranch_vccnz .LBB35_33
; %bb.3:
	s_load_b32 s19, s[0:1], 0x60
	s_lshr_b32 s20, ttmp7, 16
	s_wait_kmcnt 0x0
	s_cmp_ge_u32 s20, s19
	s_cbranch_scc1 .LBB35_33
; %bb.4:
	v_and_b32_e32 v1, 0x3ff, v0
	v_bfe_u32 v3, v0, 10, 10
	v_and_b32_e32 v16, 7, v0
	s_clause 0x5
	s_load_b32 s24, s[0:1], 0x30
	s_load_b96 s[16:18], s[0:1], 0x10
	s_load_b128 s[8:11], s[0:1], 0x20
	s_load_b64 s[26:27], s[0:1], 0x38
	s_load_b96 s[12:14], s[0:1], 0x48
	s_load_b64 s[22:23], s[0:1], 0x58
	v_lshl_add_u32 v0, v3, 4, v1
	v_lshlrev_b32_e32 v4, 2, v16
	s_lshl_b32 s2, ttmp9, 5
	s_lshl_b32 s0, ttmp7, 5
	v_lshlrev_b32_e32 v20, 2, v1
	v_and_b32_e32 v2, 31, v0
	v_lshrrev_b32_e32 v5, 3, v0
	v_lshrrev_b32_e32 v17, 5, v0
	s_and_b32 s3, s0, 0x1fffe0
	v_lshl_add_u32 v21, v3, 5, 0x400
	v_lshlrev_b32_e32 v0, 2, v2
	v_or_b32_e32 v6, s2, v2
	v_lshl_or_b32 v2, v5, 5, v4
	v_add_nc_u32_e32 v4, s3, v3
	v_add_nc_u32_e32 v12, s3, v5
	v_lshl_or_b32 v18, v17, 7, v0
	v_add_nc_u32_e32 v0, s2, v1
	v_add_nc_u32_e32 v19, 0x400, v2
	s_wait_kmcnt 0x0
	s_ashr_i32 s25, s24, 31
	s_cmp_neq_f32 s6, 0
	v_mad_co_i64_i32 v[8:9], null, v4, s14, 0
	v_add_nc_u32_e32 v2, 16, v0
	v_cmp_le_i32_e32 vcc_lo, v4, v0
	v_add_nc_u32_e32 v10, 16, v4
	v_cmp_gt_i32_e64 s0, s4, v6
	s_cselect_b32 s15, -1, 0
	v_cmp_le_i32_e64 s3, v4, v2
	v_mad_co_i64_i32 v[4:5], null, s18, v6, 0
	v_mad_co_i64_i32 v[6:7], null, s24, v16, 0
	s_cmp_gt_i32 s5, 0
	v_cmp_gt_i32_e64 s2, s4, v0
	s_cselect_b32 s31, -1, 0
	s_cmp_neq_f32 s7, 0
	v_lshlrev_b64_e32 v[4:5], 2, v[4:5]
	v_cmp_gt_i32_e64 s1, s4, v12
	v_cmp_gt_i32_e64 s4, s4, v2
	s_cselect_b32 s28, -1, 0
	s_and_b32 s29, vcc_lo, s2
	v_cmp_le_i32_e32 vcc_lo, v10, v0
	v_lshlrev_b32_e32 v13, 2, v17
	v_lshlrev_b64_e32 v[6:7], 2, v[6:7]
	v_lshlrev_b32_e32 v12, 2, v12
	s_and_b32 s30, s3, s4
	v_cmp_le_i32_e64 s3, v10, v2
	v_mad_co_i64_i32 v[10:11], null, v10, s14, 0
	s_and_b32 s18, vcc_lo, s2
	v_add_co_u32 v4, vcc_lo, v4, v13
	s_delay_alu instid0(VALU_DEP_1)
	v_add_co_ci_u32_e64 v5, null, 0, v5, vcc_lo
	v_add_co_u32 v6, vcc_lo, v6, v12
	s_wait_alu 0xfffd
	v_add_co_ci_u32_e64 v7, null, 0, v7, vcc_lo
	v_add_co_u32 v4, vcc_lo, s16, v4
	s_wait_alu 0xfffd
	v_add_co_ci_u32_e64 v5, null, s17, v5, vcc_lo
	v_add_co_u32 v6, vcc_lo, s10, v6
	v_lshlrev_b64_e32 v[8:9], 2, v[8:9]
	v_lshlrev_b64_e32 v[10:11], 2, v[10:11]
	v_ashrrev_i32_e32 v1, 31, v0
	v_ashrrev_i32_e32 v3, 31, v2
	s_wait_alu 0xfffd
	v_add_co_ci_u32_e64 v7, null, s11, v7, vcc_lo
	s_mov_b32 s21, 0
	s_and_b32 s4, s3, s4
	s_wait_alu 0xfffe
	s_and_b32 s16, s15, s31
	s_lshl_b64 s[2:3], s[8:9], 2
	s_lshl_b64 s[8:9], s[26:27], 2
	;; [unrolled: 1-line block ×3, first 2 shown]
	s_branch .LBB35_6
.LBB35_5:                               ;   in Loop: Header=BB35_6 Depth=1
	s_wait_alu 0xfffe
	s_or_b32 exec_lo, exec_lo, s14
	s_add_co_i32 s20, s20, 0x10000
	s_wait_alu 0xfffe
	s_cmp_lt_u32 s20, s19
	s_cbranch_scc0 .LBB35_33
.LBB35_6:                               ; =>This Loop Header: Depth=1
                                        ;     Child Loop BB35_9 Depth 2
	v_dual_mov_b32 v25, 0 :: v_dual_mov_b32 v24, 0
	v_dual_mov_b32 v23, 0 :: v_dual_mov_b32 v22, 0
	s_wait_alu 0xfffe
	s_and_not1_b32 vcc_lo, exec_lo, s16
	s_wait_alu 0xfffe
	s_cbranch_vccnz .LBB35_13
; %bb.7:                                ;   in Loop: Header=BB35_6 Depth=1
	v_mad_co_u64_u32 v[12:13], null, s2, s20, v[4:5]
	v_mad_co_u64_u32 v[14:15], null, s8, s20, v[6:7]
	v_dual_mov_b32 v22, 0 :: v_dual_mov_b32 v23, 0
	s_mov_b32 s14, 0
	s_delay_alu instid0(VALU_DEP_2) | instskip(NEXT) | instid1(VALU_DEP_3)
	v_mad_co_u64_u32 v[25:26], null, s3, s20, v[13:14]
	v_mad_co_u64_u32 v[26:27], null, s9, s20, v[15:16]
	s_delay_alu instid0(VALU_DEP_2) | instskip(SKIP_1) | instid1(VALU_DEP_3)
	v_dual_mov_b32 v24, 0 :: v_dual_mov_b32 v13, v25
	v_mov_b32_e32 v25, 0
	v_mov_b32_e32 v15, v26
	s_branch .LBB35_9
.LBB35_8:                               ;   in Loop: Header=BB35_9 Depth=2
	s_wait_alu 0xfffe
	s_or_b32 exec_lo, exec_lo, s15
	s_wait_loadcnt 0x0
	ds_store_b32 v19, v27
	s_wait_dscnt 0x0
	s_barrier_signal -1
	s_barrier_wait -1
	global_inv scope:SCOPE_SE
	ds_load_b128 v[26:29], v21
	ds_load_2addr_b32 v[42:43], v20 offset1:16
	ds_load_b128 v[30:33], v21 offset:512
	ds_load_2addr_b32 v[44:45], v20 offset0:32 offset1:48
	ds_load_2addr_b32 v[46:47], v20 offset0:64 offset1:80
	ds_load_2addr_b32 v[48:49], v20 offset0:96 offset1:112
	ds_load_b128 v[34:37], v21 offset:16
	ds_load_2addr_b32 v[50:51], v20 offset0:128 offset1:144
	ds_load_b128 v[38:41], v21 offset:528
	v_add_co_u32 v12, vcc_lo, v12, 32
	s_wait_alu 0xfffd
	v_add_co_ci_u32_e64 v13, null, 0, v13, vcc_lo
	v_add_co_u32 v14, vcc_lo, v14, s10
	s_wait_alu 0xfffd
	v_add_co_ci_u32_e64 v15, null, s11, v15, vcc_lo
	s_add_co_i32 s14, s14, 8
	s_wait_alu 0xfffe
	s_cmp_lt_i32 s14, s5
	s_wait_dscnt 0x7
	v_fmac_f32_e32 v24, v43, v26
	v_fmac_f32_e32 v25, v42, v26
	s_wait_dscnt 0x6
	v_fmac_f32_e32 v22, v43, v30
	v_fmac_f32_e32 v23, v42, v30
	ds_load_2addr_b32 v[42:43], v20 offset0:160 offset1:176
	s_wait_dscnt 0x6
	v_fmac_f32_e32 v24, v45, v27
	v_fmac_f32_e32 v25, v44, v27
	v_fmac_f32_e32 v22, v45, v31
	v_fmac_f32_e32 v23, v44, v31
	ds_load_2addr_b32 v[26:27], v20 offset0:192 offset1:208
	s_wait_dscnt 0x6
	v_fmac_f32_e32 v24, v47, v28
	v_fmac_f32_e32 v25, v46, v28
	;; [unrolled: 6-line block ×3, first 2 shown]
	v_fmac_f32_e32 v22, v49, v33
	v_fmac_f32_e32 v23, v48, v33
	s_wait_loadcnt_dscnt 0x0
	v_fmac_f32_e32 v24, v51, v34
	v_fmac_f32_e32 v25, v50, v34
	;; [unrolled: 1-line block ×4, first 2 shown]
	s_barrier_signal -1
	v_fmac_f32_e32 v24, v43, v35
	v_fmac_f32_e32 v25, v42, v35
	v_fmac_f32_e32 v22, v43, v39
	v_fmac_f32_e32 v23, v42, v39
	s_barrier_wait -1
	v_fmac_f32_e32 v24, v27, v36
	v_fmac_f32_e32 v25, v26, v36
	;; [unrolled: 1-line block ×4, first 2 shown]
	global_inv scope:SCOPE_SE
	v_fmac_f32_e32 v24, v31, v37
	v_fmac_f32_e32 v25, v30, v37
	;; [unrolled: 1-line block ×4, first 2 shown]
	s_cbranch_scc0 .LBB35_13
.LBB35_9:                               ;   Parent Loop BB35_6 Depth=1
                                        ; =>  This Inner Loop Header: Depth=2
	s_wait_alu 0xfffe
	v_add_nc_u32_e32 v26, s14, v17
	s_delay_alu instid0(VALU_DEP_1)
	v_cmp_gt_i32_e32 vcc_lo, s5, v26
	v_mov_b32_e32 v26, 0
	s_and_b32 s17, s0, vcc_lo
	s_wait_alu 0xfffe
	s_and_saveexec_b32 s15, s17
	s_cbranch_execz .LBB35_11
; %bb.10:                               ;   in Loop: Header=BB35_9 Depth=2
	global_load_b32 v26, v[12:13], off
.LBB35_11:                              ;   in Loop: Header=BB35_9 Depth=2
	s_wait_alu 0xfffe
	s_or_b32 exec_lo, exec_lo, s15
	v_add_nc_u32_e32 v27, s14, v16
	s_wait_loadcnt 0x0
	ds_store_b32 v18, v26
	v_cmp_gt_i32_e32 vcc_lo, s5, v27
	v_mov_b32_e32 v27, 0
	s_and_b32 s17, vcc_lo, s1
	s_wait_alu 0xfffe
	s_and_saveexec_b32 s15, s17
	s_cbranch_execz .LBB35_8
; %bb.12:                               ;   in Loop: Header=BB35_9 Depth=2
	global_load_b32 v27, v[14:15], off
	s_branch .LBB35_8
.LBB35_13:                              ;   in Loop: Header=BB35_6 Depth=1
	s_mul_u64 s[14:15], s[22:23], s[20:21]
	s_wait_alu 0xfffe
	s_lshl_b64 s[14:15], s[14:15], 2
	s_wait_alu 0xfffe
	s_add_nc_u64 s[14:15], s[12:13], s[14:15]
	s_wait_alu 0xfffe
	v_add_co_u32 v12, vcc_lo, s14, v8
	s_wait_alu 0xfffd
	v_add_co_ci_u32_e64 v13, null, s15, v9, vcc_lo
	s_and_saveexec_b32 s17, s29
	s_cbranch_execz .LBB35_17
; %bb.14:                               ;   in Loop: Header=BB35_6 Depth=1
	v_mul_f32_e32 v14, s6, v25
	s_and_b32 vcc_lo, exec_lo, s28
	s_wait_alu 0xfffe
	s_cbranch_vccz .LBB35_28
; %bb.15:                               ;   in Loop: Header=BB35_6 Depth=1
	v_lshlrev_b64_e32 v[25:26], 2, v[0:1]
	s_delay_alu instid0(VALU_DEP_1) | instskip(SKIP_1) | instid1(VALU_DEP_2)
	v_add_co_u32 v25, vcc_lo, v12, v25
	s_wait_alu 0xfffd
	v_add_co_ci_u32_e64 v26, null, v13, v26, vcc_lo
	global_load_b32 v15, v[25:26], off
	s_wait_loadcnt 0x0
	v_fma_f32 v15, s7, v15, v14
	global_store_b32 v[25:26], v15, off
	s_cbranch_execnz .LBB35_17
.LBB35_16:                              ;   in Loop: Header=BB35_6 Depth=1
	v_lshlrev_b64_e32 v[25:26], 2, v[0:1]
	s_delay_alu instid0(VALU_DEP_1) | instskip(SKIP_1) | instid1(VALU_DEP_2)
	v_add_co_u32 v25, vcc_lo, v12, v25
	s_wait_alu 0xfffd
	v_add_co_ci_u32_e64 v26, null, v13, v26, vcc_lo
	global_store_b32 v[25:26], v14, off
.LBB35_17:                              ;   in Loop: Header=BB35_6 Depth=1
	s_wait_alu 0xfffe
	s_or_b32 exec_lo, exec_lo, s17
	s_and_saveexec_b32 s17, s30
	s_cbranch_execz .LBB35_21
; %bb.18:                               ;   in Loop: Header=BB35_6 Depth=1
	v_mul_f32_e32 v14, s6, v24
	s_and_not1_b32 vcc_lo, exec_lo, s28
	s_wait_alu 0xfffe
	s_cbranch_vccnz .LBB35_29
; %bb.19:                               ;   in Loop: Header=BB35_6 Depth=1
	v_lshlrev_b64_e32 v[24:25], 2, v[2:3]
	s_delay_alu instid0(VALU_DEP_1) | instskip(SKIP_1) | instid1(VALU_DEP_2)
	v_add_co_u32 v24, vcc_lo, v12, v24
	s_wait_alu 0xfffd
	v_add_co_ci_u32_e64 v25, null, v13, v25, vcc_lo
	global_load_b32 v15, v[24:25], off
	s_wait_loadcnt 0x0
	v_fma_f32 v15, s7, v15, v14
	global_store_b32 v[24:25], v15, off
	s_cbranch_execnz .LBB35_21
.LBB35_20:                              ;   in Loop: Header=BB35_6 Depth=1
	v_lshlrev_b64_e32 v[24:25], 2, v[2:3]
	s_delay_alu instid0(VALU_DEP_1) | instskip(SKIP_1) | instid1(VALU_DEP_2)
	v_add_co_u32 v12, vcc_lo, v12, v24
	s_wait_alu 0xfffd
	v_add_co_ci_u32_e64 v13, null, v13, v25, vcc_lo
	global_store_b32 v[12:13], v14, off
.LBB35_21:                              ;   in Loop: Header=BB35_6 Depth=1
	s_wait_alu 0xfffe
	s_or_b32 exec_lo, exec_lo, s17
	v_add_co_u32 v14, vcc_lo, s14, v10
	s_wait_alu 0xfffd
	v_add_co_ci_u32_e64 v15, null, s15, v11, vcc_lo
	s_and_saveexec_b32 s14, s18
	s_cbranch_execz .LBB35_25
; %bb.22:                               ;   in Loop: Header=BB35_6 Depth=1
	v_lshlrev_b64_e32 v[12:13], 2, v[0:1]
	v_mul_f32_e32 v23, s6, v23
	s_and_not1_b32 vcc_lo, exec_lo, s28
	s_wait_alu 0xfffe
	s_cbranch_vccnz .LBB35_30
; %bb.23:                               ;   in Loop: Header=BB35_6 Depth=1
	s_delay_alu instid0(VALU_DEP_2)
	v_add_co_u32 v24, vcc_lo, v14, v12
	s_wait_alu 0xfffd
	v_add_co_ci_u32_e64 v25, null, v15, v13, vcc_lo
	global_load_b32 v26, v[24:25], off
	s_wait_loadcnt 0x0
	v_fma_f32 v26, s7, v26, v23
	global_store_b32 v[24:25], v26, off
	s_cbranch_execnz .LBB35_25
.LBB35_24:                              ;   in Loop: Header=BB35_6 Depth=1
	v_add_co_u32 v12, vcc_lo, v14, v12
	s_wait_alu 0xfffd
	v_add_co_ci_u32_e64 v13, null, v15, v13, vcc_lo
	global_store_b32 v[12:13], v23, off
.LBB35_25:                              ;   in Loop: Header=BB35_6 Depth=1
	s_wait_alu 0xfffe
	s_or_b32 exec_lo, exec_lo, s14
	s_and_saveexec_b32 s14, s4
	s_cbranch_execz .LBB35_5
; %bb.26:                               ;   in Loop: Header=BB35_6 Depth=1
	v_lshlrev_b64_e32 v[12:13], 2, v[2:3]
	v_mul_f32_e32 v22, s6, v22
	s_and_not1_b32 vcc_lo, exec_lo, s28
	s_wait_alu 0xfffe
	s_cbranch_vccnz .LBB35_31
; %bb.27:                               ;   in Loop: Header=BB35_6 Depth=1
	s_delay_alu instid0(VALU_DEP_2)
	v_add_co_u32 v23, vcc_lo, v14, v12
	s_wait_alu 0xfffd
	v_add_co_ci_u32_e64 v24, null, v15, v13, vcc_lo
	global_load_b32 v25, v[23:24], off
	s_wait_loadcnt 0x0
	v_fma_f32 v25, s7, v25, v22
	global_store_b32 v[23:24], v25, off
	s_cbranch_execnz .LBB35_5
	s_branch .LBB35_32
.LBB35_28:                              ;   in Loop: Header=BB35_6 Depth=1
	s_branch .LBB35_16
.LBB35_29:                              ;   in Loop: Header=BB35_6 Depth=1
	s_branch .LBB35_20
.LBB35_30:                              ;   in Loop: Header=BB35_6 Depth=1
	s_branch .LBB35_24
.LBB35_31:                              ;   in Loop: Header=BB35_6 Depth=1
.LBB35_32:                              ;   in Loop: Header=BB35_6 Depth=1
	s_delay_alu instid0(VALU_DEP_2)
	v_add_co_u32 v12, vcc_lo, v14, v12
	s_wait_alu 0xfffd
	v_add_co_ci_u32_e64 v13, null, v15, v13, vcc_lo
	global_store_b32 v[12:13], v22, off
	s_branch .LBB35_5
.LBB35_33:
	s_endpgm
	.section	.rodata,"a",@progbits
	.p2align	6, 0x0
	.amdhsa_kernel _ZL29rocblas_internal_gemmt_kernelIiLi16ELi32ELi8ELc67ELc67ELc76ELb0ELb0EffPKfPfEviT_T9_T10_S3_lS5_S3_lS4_T11_S3_li
		.amdhsa_group_segment_fixed_size 2048
		.amdhsa_private_segment_fixed_size 0
		.amdhsa_kernarg_size 100
		.amdhsa_user_sgpr_count 2
		.amdhsa_user_sgpr_dispatch_ptr 0
		.amdhsa_user_sgpr_queue_ptr 0
		.amdhsa_user_sgpr_kernarg_segment_ptr 1
		.amdhsa_user_sgpr_dispatch_id 0
		.amdhsa_user_sgpr_private_segment_size 0
		.amdhsa_wavefront_size32 1
		.amdhsa_uses_dynamic_stack 0
		.amdhsa_enable_private_segment 0
		.amdhsa_system_sgpr_workgroup_id_x 1
		.amdhsa_system_sgpr_workgroup_id_y 1
		.amdhsa_system_sgpr_workgroup_id_z 1
		.amdhsa_system_sgpr_workgroup_info 0
		.amdhsa_system_vgpr_workitem_id 1
		.amdhsa_next_free_vgpr 52
		.amdhsa_next_free_sgpr 32
		.amdhsa_reserve_vcc 1
		.amdhsa_float_round_mode_32 0
		.amdhsa_float_round_mode_16_64 0
		.amdhsa_float_denorm_mode_32 3
		.amdhsa_float_denorm_mode_16_64 3
		.amdhsa_fp16_overflow 0
		.amdhsa_workgroup_processor_mode 1
		.amdhsa_memory_ordered 1
		.amdhsa_forward_progress 1
		.amdhsa_inst_pref_size 15
		.amdhsa_round_robin_scheduling 0
		.amdhsa_exception_fp_ieee_invalid_op 0
		.amdhsa_exception_fp_denorm_src 0
		.amdhsa_exception_fp_ieee_div_zero 0
		.amdhsa_exception_fp_ieee_overflow 0
		.amdhsa_exception_fp_ieee_underflow 0
		.amdhsa_exception_fp_ieee_inexact 0
		.amdhsa_exception_int_div_zero 0
	.end_amdhsa_kernel
	.section	.text._ZL29rocblas_internal_gemmt_kernelIiLi16ELi32ELi8ELc67ELc67ELc76ELb0ELb0EffPKfPfEviT_T9_T10_S3_lS5_S3_lS4_T11_S3_li,"axG",@progbits,_ZL29rocblas_internal_gemmt_kernelIiLi16ELi32ELi8ELc67ELc67ELc76ELb0ELb0EffPKfPfEviT_T9_T10_S3_lS5_S3_lS4_T11_S3_li,comdat
.Lfunc_end35:
	.size	_ZL29rocblas_internal_gemmt_kernelIiLi16ELi32ELi8ELc67ELc67ELc76ELb0ELb0EffPKfPfEviT_T9_T10_S3_lS5_S3_lS4_T11_S3_li, .Lfunc_end35-_ZL29rocblas_internal_gemmt_kernelIiLi16ELi32ELi8ELc67ELc67ELc76ELb0ELb0EffPKfPfEviT_T9_T10_S3_lS5_S3_lS4_T11_S3_li
                                        ; -- End function
	.set _ZL29rocblas_internal_gemmt_kernelIiLi16ELi32ELi8ELc67ELc67ELc76ELb0ELb0EffPKfPfEviT_T9_T10_S3_lS5_S3_lS4_T11_S3_li.num_vgpr, 52
	.set _ZL29rocblas_internal_gemmt_kernelIiLi16ELi32ELi8ELc67ELc67ELc76ELb0ELb0EffPKfPfEviT_T9_T10_S3_lS5_S3_lS4_T11_S3_li.num_agpr, 0
	.set _ZL29rocblas_internal_gemmt_kernelIiLi16ELi32ELi8ELc67ELc67ELc76ELb0ELb0EffPKfPfEviT_T9_T10_S3_lS5_S3_lS4_T11_S3_li.numbered_sgpr, 32
	.set _ZL29rocblas_internal_gemmt_kernelIiLi16ELi32ELi8ELc67ELc67ELc76ELb0ELb0EffPKfPfEviT_T9_T10_S3_lS5_S3_lS4_T11_S3_li.num_named_barrier, 0
	.set _ZL29rocblas_internal_gemmt_kernelIiLi16ELi32ELi8ELc67ELc67ELc76ELb0ELb0EffPKfPfEviT_T9_T10_S3_lS5_S3_lS4_T11_S3_li.private_seg_size, 0
	.set _ZL29rocblas_internal_gemmt_kernelIiLi16ELi32ELi8ELc67ELc67ELc76ELb0ELb0EffPKfPfEviT_T9_T10_S3_lS5_S3_lS4_T11_S3_li.uses_vcc, 1
	.set _ZL29rocblas_internal_gemmt_kernelIiLi16ELi32ELi8ELc67ELc67ELc76ELb0ELb0EffPKfPfEviT_T9_T10_S3_lS5_S3_lS4_T11_S3_li.uses_flat_scratch, 0
	.set _ZL29rocblas_internal_gemmt_kernelIiLi16ELi32ELi8ELc67ELc67ELc76ELb0ELb0EffPKfPfEviT_T9_T10_S3_lS5_S3_lS4_T11_S3_li.has_dyn_sized_stack, 0
	.set _ZL29rocblas_internal_gemmt_kernelIiLi16ELi32ELi8ELc67ELc67ELc76ELb0ELb0EffPKfPfEviT_T9_T10_S3_lS5_S3_lS4_T11_S3_li.has_recursion, 0
	.set _ZL29rocblas_internal_gemmt_kernelIiLi16ELi32ELi8ELc67ELc67ELc76ELb0ELb0EffPKfPfEviT_T9_T10_S3_lS5_S3_lS4_T11_S3_li.has_indirect_call, 0
	.section	.AMDGPU.csdata,"",@progbits
; Kernel info:
; codeLenInByte = 1800
; TotalNumSgprs: 34
; NumVgprs: 52
; ScratchSize: 0
; MemoryBound: 0
; FloatMode: 240
; IeeeMode: 1
; LDSByteSize: 2048 bytes/workgroup (compile time only)
; SGPRBlocks: 0
; VGPRBlocks: 6
; NumSGPRsForWavesPerEU: 34
; NumVGPRsForWavesPerEU: 52
; Occupancy: 16
; WaveLimiterHint : 0
; COMPUTE_PGM_RSRC2:SCRATCH_EN: 0
; COMPUTE_PGM_RSRC2:USER_SGPR: 2
; COMPUTE_PGM_RSRC2:TRAP_HANDLER: 0
; COMPUTE_PGM_RSRC2:TGID_X_EN: 1
; COMPUTE_PGM_RSRC2:TGID_Y_EN: 1
; COMPUTE_PGM_RSRC2:TGID_Z_EN: 1
; COMPUTE_PGM_RSRC2:TIDIG_COMP_CNT: 1
	.section	.text._ZL29rocblas_internal_gemmt_kernelIiLi16ELi32ELi8ELc78ELc78ELc85ELb0ELb0EdPKdS1_PdEviT_T9_T10_S3_lS5_S3_lS4_T11_S3_li,"axG",@progbits,_ZL29rocblas_internal_gemmt_kernelIiLi16ELi32ELi8ELc78ELc78ELc85ELb0ELb0EdPKdS1_PdEviT_T9_T10_S3_lS5_S3_lS4_T11_S3_li,comdat
	.globl	_ZL29rocblas_internal_gemmt_kernelIiLi16ELi32ELi8ELc78ELc78ELc85ELb0ELb0EdPKdS1_PdEviT_T9_T10_S3_lS5_S3_lS4_T11_S3_li ; -- Begin function _ZL29rocblas_internal_gemmt_kernelIiLi16ELi32ELi8ELc78ELc78ELc85ELb0ELb0EdPKdS1_PdEviT_T9_T10_S3_lS5_S3_lS4_T11_S3_li
	.p2align	8
	.type	_ZL29rocblas_internal_gemmt_kernelIiLi16ELi32ELi8ELc78ELc78ELc85ELb0ELb0EdPKdS1_PdEviT_T9_T10_S3_lS5_S3_lS4_T11_S3_li,@function
_ZL29rocblas_internal_gemmt_kernelIiLi16ELi32ELi8ELc78ELc78ELc85ELb0ELb0EdPKdS1_PdEviT_T9_T10_S3_lS5_S3_lS4_T11_S3_li: ; @_ZL29rocblas_internal_gemmt_kernelIiLi16ELi32ELi8ELc78ELc78ELc85ELb0ELb0EdPKdS1_PdEviT_T9_T10_S3_lS5_S3_lS4_T11_S3_li
; %bb.0:
	s_load_b128 s[4:7], s[0:1], 0x38
	s_wait_kmcnt 0x0
	s_load_b64 s[6:7], s[6:7], 0x0
	s_clause 0x1
	s_load_b128 s[8:11], s[0:1], 0x8
	s_load_b64 s[20:21], s[0:1], 0x0
	s_wait_kmcnt 0x0
	s_load_b64 s[8:9], s[8:9], 0x0
	v_cmp_neq_f64_e64 s2, s[6:7], 1.0
	s_and_b32 vcc_lo, exec_lo, s2
	s_cbranch_vccnz .LBB36_2
; %bb.1:
	s_wait_kmcnt 0x0
	v_cmp_neq_f64_e64 s2, s[8:9], 0
	s_cmp_lg_u32 s21, 0
	s_cselect_b32 s3, -1, 0
	s_delay_alu instid0(SALU_CYCLE_1)
	s_and_b32 s2, s3, s2
.LBB36_2:
	s_delay_alu instid0(SALU_CYCLE_1)
	s_and_not1_b32 vcc_lo, exec_lo, s2
	s_cbranch_vccnz .LBB36_33
; %bb.3:
	s_load_b32 s19, s[0:1], 0x60
	s_lshr_b32 s22, ttmp7, 16
	s_wait_kmcnt 0x0
	s_cmp_ge_u32 s22, s19
	s_cbranch_scc1 .LBB36_33
; %bb.4:
	v_and_b32_e32 v1, 0x3ff, v0
	v_bfe_u32 v3, v0, 10, 10
	s_load_b32 s26, s[0:1], 0x18
	v_and_b32_e32 v28, 7, v0
	s_clause 0x3
	s_load_b128 s[12:15], s[0:1], 0x20
	s_load_b32 s31, s[0:1], 0x30
	s_load_b96 s[16:18], s[0:1], 0x48
	s_load_b64 s[24:25], s[0:1], 0x58
	s_lshl_b32 s0, ttmp7, 5
	v_lshl_add_u32 v0, v3, 4, v1
	s_lshl_b32 s1, ttmp9, 5
	v_lshlrev_b32_e32 v14, 3, v28
	v_cmp_neq_f64_e64 s33, s[8:9], 0
	s_and_b32 s2, s0, 0x1fffe0
	v_and_b32_e32 v2, 31, v0
	v_lshrrev_b32_e32 v29, 5, v0
	v_lshrrev_b32_e32 v0, 3, v0
	v_cmp_neq_f64_e64 s28, s[6:7], 0
	v_add_nc_u32_e32 v6, s2, v3
	v_or_b32_e32 v4, s1, v2
	v_lshlrev_b32_e32 v2, 3, v2
	v_add_nc_u32_e32 v10, s2, v0
	v_lshl_or_b32 v5, v0, 6, v14
	v_add_nc_u32_e32 v0, s1, v1
	v_cmp_gt_i32_e32 vcc_lo, s20, v6
	v_lshl_or_b32 v30, v29, 8, v2
	s_wait_kmcnt 0x0
	v_mad_co_i64_i32 v[8:9], null, v6, s18, 0
	v_add_nc_u32_e32 v2, 16, v0
	v_cmp_le_i32_e64 s2, v0, v6
	v_add_nc_u32_e32 v12, 16, v6
	v_cmp_gt_i32_e64 s1, s20, v10
	v_mad_co_i64_i32 v[10:11], null, s31, v10, 0
	v_cmp_le_i32_e64 s3, v2, v6
	v_mad_co_i64_i32 v[6:7], null, v29, s26, 0
	v_add_nc_u32_e32 v31, 0x800, v5
	v_ashrrev_i32_e32 v5, 31, v4
	s_ashr_i32 s27, s26, 31
	s_cmp_gt_i32 s21, 0
	v_cmp_gt_i32_e64 s0, s20, v4
	s_cselect_b32 s34, -1, 0
	v_lshlrev_b64_e32 v[6:7], 3, v[6:7]
	v_lshlrev_b64_e32 v[4:5], 3, v[4:5]
	s_and_b32 s29, vcc_lo, s2
	s_and_b32 s30, vcc_lo, s3
	v_cmp_gt_i32_e32 vcc_lo, s20, v12
	v_cmp_le_i32_e64 s2, v0, v12
	v_cmp_le_i32_e64 s3, v2, v12
	v_lshlrev_b64_e32 v[10:11], 3, v[10:11]
	v_mad_co_i64_i32 v[12:13], null, v12, s18, 0
	s_and_b32 s18, vcc_lo, s2
	s_and_b32 s20, vcc_lo, s3
	v_add_co_u32 v4, vcc_lo, v6, v4
	s_delay_alu instid0(VALU_DEP_1)
	v_add_co_ci_u32_e64 v5, null, v7, v5, vcc_lo
	v_add_co_u32 v6, vcc_lo, v10, v14
	s_wait_alu 0xfffd
	v_add_co_ci_u32_e64 v7, null, 0, v11, vcc_lo
	v_add_co_u32 v4, vcc_lo, s10, v4
	s_wait_alu 0xfffd
	v_add_co_ci_u32_e64 v5, null, s11, v5, vcc_lo
	v_add_co_u32 v6, vcc_lo, s14, v6
	v_lshlrev_b64_e32 v[8:9], 3, v[8:9]
	v_lshlrev_b64_e32 v[10:11], 3, v[12:13]
	v_lshlrev_b32_e32 v32, 3, v1
	v_lshl_add_u32 v33, v3, 6, 0x800
	v_ashrrev_i32_e32 v1, 31, v0
	v_ashrrev_i32_e32 v3, 31, v2
	s_wait_alu 0xfffd
	v_add_co_ci_u32_e64 v7, null, s15, v7, vcc_lo
	s_mov_b32 s23, 0
	s_and_b32 s14, s33, s34
	s_lshl_b64 s[2:3], s[12:13], 3
	s_wait_alu 0xfffe
	s_lshl_b64 s[10:11], s[26:27], 6
	s_lshl_b64 s[4:5], s[4:5], 3
	s_branch .LBB36_6
.LBB36_5:                               ;   in Loop: Header=BB36_6 Depth=1
	s_wait_alu 0xfffe
	s_or_b32 exec_lo, exec_lo, s12
	s_add_co_i32 s22, s22, 0x10000
	s_wait_alu 0xfffe
	s_cmp_lt_u32 s22, s19
	s_cbranch_scc0 .LBB36_33
.LBB36_6:                               ; =>This Loop Header: Depth=1
                                        ;     Child Loop BB36_9 Depth 2
	v_mov_b32_e32 v22, 0
	v_dual_mov_b32 v14, 0 :: v_dual_mov_b32 v23, 0
	v_dual_mov_b32 v20, 0 :: v_dual_mov_b32 v15, 0
	;; [unrolled: 1-line block ×3, first 2 shown]
	v_mov_b32_e32 v13, 0
	s_and_not1_b32 vcc_lo, exec_lo, s14
	s_wait_alu 0xfffe
	s_cbranch_vccnz .LBB36_13
; %bb.7:                                ;   in Loop: Header=BB36_6 Depth=1
	v_mad_co_u64_u32 v[16:17], null, s2, s22, v[4:5]
	v_mad_co_u64_u32 v[18:19], null, s4, s22, v[6:7]
	s_mov_b32 s12, 0
	v_mov_b32_e32 v22, 0
	v_dual_mov_b32 v23, 0 :: v_dual_mov_b32 v12, v17
	v_mov_b32_e32 v13, v19
	s_delay_alu instid0(VALU_DEP_1)
	v_mad_co_u64_u32 v[19:20], null, s3, s22, v[12:13]
	v_mad_co_u64_u32 v[24:25], null, s5, s22, v[13:14]
	v_mov_b32_e32 v12, 0
	v_dual_mov_b32 v20, 0 :: v_dual_mov_b32 v13, 0
	v_dual_mov_b32 v14, 0 :: v_dual_mov_b32 v21, 0
	v_mov_b32_e32 v15, 0
	v_mov_b32_e32 v17, v19
	;; [unrolled: 1-line block ×3, first 2 shown]
	s_branch .LBB36_9
.LBB36_8:                               ;   in Loop: Header=BB36_9 Depth=2
	s_wait_alu 0xfffe
	s_or_b32 exec_lo, exec_lo, s13
	s_wait_loadcnt 0x0
	ds_store_b64 v31, v[26:27]
	s_wait_dscnt 0x0
	s_barrier_signal -1
	s_barrier_wait -1
	global_inv scope:SCOPE_SE
	ds_load_b128 v[24:27], v33
	ds_load_2addr_b64 v[34:37], v32 offset1:16
	ds_load_b128 v[38:41], v33 offset:1024
	ds_load_b128 v[42:45], v33 offset:16
	;; [unrolled: 1-line block ×3, first 2 shown]
	v_add_co_u32 v16, vcc_lo, v16, s10
	s_wait_alu 0xfffd
	v_add_co_ci_u32_e64 v17, null, s11, v17, vcc_lo
	v_add_co_u32 v18, vcc_lo, v18, 64
	s_wait_alu 0xfffd
	v_add_co_ci_u32_e64 v19, null, 0, v19, vcc_lo
	s_add_co_i32 s12, s12, 8
	s_wait_alu 0xfffe
	s_cmp_lt_i32 s12, s21
	s_wait_dscnt 0x3
	v_fma_f64 v[22:23], v[34:35], v[24:25], v[22:23]
	v_fma_f64 v[20:21], v[36:37], v[24:25], v[20:21]
	s_wait_dscnt 0x2
	v_fma_f64 v[24:25], v[34:35], v[38:39], v[14:15]
	v_fma_f64 v[34:35], v[36:37], v[38:39], v[12:13]
	ds_load_2addr_b64 v[12:15], v32 offset0:32 offset1:48
	s_wait_dscnt 0x0
	v_fma_f64 v[22:23], v[12:13], v[26:27], v[22:23]
	v_fma_f64 v[20:21], v[14:15], v[26:27], v[20:21]
	v_fma_f64 v[24:25], v[12:13], v[40:41], v[24:25]
	v_fma_f64 v[26:27], v[14:15], v[40:41], v[34:35]
	ds_load_2addr_b64 v[12:15], v32 offset0:64 offset1:80
	s_wait_dscnt 0x0
	v_fma_f64 v[22:23], v[12:13], v[42:43], v[22:23]
	v_fma_f64 v[20:21], v[14:15], v[42:43], v[20:21]
	;; [unrolled: 6-line block ×3, first 2 shown]
	v_fma_f64 v[46:47], v[12:13], v[48:49], v[24:25]
	v_fma_f64 v[48:49], v[14:15], v[48:49], v[26:27]
	ds_load_b128 v[12:15], v33 offset:32
	ds_load_2addr_b64 v[20:23], v32 offset0:128 offset1:144
	ds_load_b128 v[24:27], v33 offset:1056
	ds_load_b128 v[34:37], v33 offset:48
	;; [unrolled: 1-line block ×3, first 2 shown]
	s_wait_dscnt 0x3
	v_fma_f64 v[42:43], v[20:21], v[12:13], v[42:43]
	v_fma_f64 v[12:13], v[22:23], v[12:13], v[44:45]
	s_wait_dscnt 0x2
	v_fma_f64 v[44:45], v[20:21], v[24:25], v[46:47]
	v_fma_f64 v[24:25], v[22:23], v[24:25], v[48:49]
	ds_load_2addr_b64 v[20:23], v32 offset0:160 offset1:176
	s_wait_dscnt 0x0
	v_fma_f64 v[42:43], v[20:21], v[14:15], v[42:43]
	v_fma_f64 v[46:47], v[22:23], v[14:15], v[12:13]
	;; [unrolled: 1-line block ×4, first 2 shown]
	ds_load_2addr_b64 v[12:15], v32 offset0:192 offset1:208
	ds_load_2addr_b64 v[24:27], v32 offset0:224 offset1:240
	s_wait_loadcnt_dscnt 0x0
	s_barrier_signal -1
	s_barrier_wait -1
	global_inv scope:SCOPE_SE
	v_fma_f64 v[42:43], v[12:13], v[34:35], v[42:43]
	v_fma_f64 v[34:35], v[14:15], v[34:35], v[46:47]
	;; [unrolled: 1-line block ×4, first 2 shown]
	s_delay_alu instid0(VALU_DEP_4) | instskip(NEXT) | instid1(VALU_DEP_4)
	v_fma_f64 v[22:23], v[24:25], v[36:37], v[42:43]
	v_fma_f64 v[20:21], v[26:27], v[36:37], v[34:35]
	s_delay_alu instid0(VALU_DEP_4) | instskip(NEXT) | instid1(VALU_DEP_4)
	v_fma_f64 v[14:15], v[24:25], v[40:41], v[12:13]
	v_fma_f64 v[12:13], v[26:27], v[40:41], v[38:39]
	s_cbranch_scc0 .LBB36_13
.LBB36_9:                               ;   Parent Loop BB36_6 Depth=1
                                        ; =>  This Inner Loop Header: Depth=2
	s_wait_alu 0xfffe
	v_add_nc_u32_e32 v24, s12, v29
	s_delay_alu instid0(VALU_DEP_1)
	v_cmp_gt_i32_e32 vcc_lo, s21, v24
	v_mov_b32_e32 v24, 0
	v_mov_b32_e32 v25, 0
	s_and_b32 s15, s0, vcc_lo
	s_wait_alu 0xfffe
	s_and_saveexec_b32 s13, s15
	s_cbranch_execz .LBB36_11
; %bb.10:                               ;   in Loop: Header=BB36_9 Depth=2
	global_load_b64 v[24:25], v[16:17], off
.LBB36_11:                              ;   in Loop: Header=BB36_9 Depth=2
	s_wait_alu 0xfffe
	s_or_b32 exec_lo, exec_lo, s13
	v_add_nc_u32_e32 v26, s12, v28
	s_wait_loadcnt 0x0
	ds_store_b64 v30, v[24:25]
	v_cmp_gt_i32_e32 vcc_lo, s21, v26
	v_mov_b32_e32 v26, 0
	v_mov_b32_e32 v27, 0
	s_and_b32 s15, vcc_lo, s1
	s_wait_alu 0xfffe
	s_and_saveexec_b32 s13, s15
	s_cbranch_execz .LBB36_8
; %bb.12:                               ;   in Loop: Header=BB36_9 Depth=2
	global_load_b64 v[26:27], v[18:19], off
	s_branch .LBB36_8
.LBB36_13:                              ;   in Loop: Header=BB36_6 Depth=1
	s_mul_u64 s[12:13], s[24:25], s[22:23]
	s_wait_alu 0xfffe
	s_lshl_b64 s[12:13], s[12:13], 3
	s_wait_alu 0xfffe
	s_add_nc_u64 s[12:13], s[16:17], s[12:13]
	s_wait_alu 0xfffe
	v_add_co_u32 v18, vcc_lo, s12, v8
	s_wait_alu 0xfffd
	v_add_co_ci_u32_e64 v19, null, s13, v9, vcc_lo
	s_and_saveexec_b32 s15, s29
	s_cbranch_execz .LBB36_17
; %bb.14:                               ;   in Loop: Header=BB36_6 Depth=1
	v_mul_f64_e32 v[16:17], s[8:9], v[22:23]
	s_and_b32 vcc_lo, exec_lo, s28
	s_wait_alu 0xfffe
	s_cbranch_vccz .LBB36_28
; %bb.15:                               ;   in Loop: Header=BB36_6 Depth=1
	v_lshlrev_b64_e32 v[22:23], 3, v[0:1]
	s_delay_alu instid0(VALU_DEP_1) | instskip(SKIP_1) | instid1(VALU_DEP_2)
	v_add_co_u32 v22, vcc_lo, v18, v22
	s_wait_alu 0xfffd
	v_add_co_ci_u32_e64 v23, null, v19, v23, vcc_lo
	global_load_b64 v[24:25], v[22:23], off
	s_wait_loadcnt 0x0
	v_fma_f64 v[24:25], s[6:7], v[24:25], v[16:17]
	global_store_b64 v[22:23], v[24:25], off
	s_cbranch_execnz .LBB36_17
.LBB36_16:                              ;   in Loop: Header=BB36_6 Depth=1
	v_lshlrev_b64_e32 v[22:23], 3, v[0:1]
	s_delay_alu instid0(VALU_DEP_1) | instskip(SKIP_1) | instid1(VALU_DEP_2)
	v_add_co_u32 v22, vcc_lo, v18, v22
	s_wait_alu 0xfffd
	v_add_co_ci_u32_e64 v23, null, v19, v23, vcc_lo
	global_store_b64 v[22:23], v[16:17], off
.LBB36_17:                              ;   in Loop: Header=BB36_6 Depth=1
	s_wait_alu 0xfffe
	s_or_b32 exec_lo, exec_lo, s15
	s_and_saveexec_b32 s15, s30
	s_cbranch_execz .LBB36_21
; %bb.18:                               ;   in Loop: Header=BB36_6 Depth=1
	v_mul_f64_e32 v[16:17], s[8:9], v[20:21]
	s_and_not1_b32 vcc_lo, exec_lo, s28
	s_wait_alu 0xfffe
	s_cbranch_vccnz .LBB36_29
; %bb.19:                               ;   in Loop: Header=BB36_6 Depth=1
	v_lshlrev_b64_e32 v[20:21], 3, v[2:3]
	s_delay_alu instid0(VALU_DEP_1) | instskip(SKIP_1) | instid1(VALU_DEP_2)
	v_add_co_u32 v20, vcc_lo, v18, v20
	s_wait_alu 0xfffd
	v_add_co_ci_u32_e64 v21, null, v19, v21, vcc_lo
	global_load_b64 v[22:23], v[20:21], off
	s_wait_loadcnt 0x0
	v_fma_f64 v[22:23], s[6:7], v[22:23], v[16:17]
	global_store_b64 v[20:21], v[22:23], off
	s_cbranch_execnz .LBB36_21
.LBB36_20:                              ;   in Loop: Header=BB36_6 Depth=1
	v_lshlrev_b64_e32 v[20:21], 3, v[2:3]
	s_delay_alu instid0(VALU_DEP_1) | instskip(SKIP_1) | instid1(VALU_DEP_2)
	v_add_co_u32 v18, vcc_lo, v18, v20
	s_wait_alu 0xfffd
	v_add_co_ci_u32_e64 v19, null, v19, v21, vcc_lo
	global_store_b64 v[18:19], v[16:17], off
.LBB36_21:                              ;   in Loop: Header=BB36_6 Depth=1
	s_wait_alu 0xfffe
	s_or_b32 exec_lo, exec_lo, s15
	v_add_co_u32 v18, vcc_lo, s12, v10
	s_wait_alu 0xfffd
	v_add_co_ci_u32_e64 v19, null, s13, v11, vcc_lo
	s_and_saveexec_b32 s12, s18
	s_cbranch_execz .LBB36_25
; %bb.22:                               ;   in Loop: Header=BB36_6 Depth=1
	v_mul_f64_e32 v[14:15], s[8:9], v[14:15]
	v_lshlrev_b64_e32 v[16:17], 3, v[0:1]
	s_and_not1_b32 vcc_lo, exec_lo, s28
	s_wait_alu 0xfffe
	s_cbranch_vccnz .LBB36_30
; %bb.23:                               ;   in Loop: Header=BB36_6 Depth=1
	s_delay_alu instid0(VALU_DEP_1)
	v_add_co_u32 v20, vcc_lo, v18, v16
	s_wait_alu 0xfffd
	v_add_co_ci_u32_e64 v21, null, v19, v17, vcc_lo
	global_load_b64 v[22:23], v[20:21], off
	s_wait_loadcnt 0x0
	v_fma_f64 v[22:23], s[6:7], v[22:23], v[14:15]
	global_store_b64 v[20:21], v[22:23], off
	s_cbranch_execnz .LBB36_25
.LBB36_24:                              ;   in Loop: Header=BB36_6 Depth=1
	s_delay_alu instid0(VALU_DEP_1)
	v_add_co_u32 v16, vcc_lo, v18, v16
	s_wait_alu 0xfffd
	v_add_co_ci_u32_e64 v17, null, v19, v17, vcc_lo
	global_store_b64 v[16:17], v[14:15], off
.LBB36_25:                              ;   in Loop: Header=BB36_6 Depth=1
	s_wait_alu 0xfffe
	s_or_b32 exec_lo, exec_lo, s12
	s_and_saveexec_b32 s12, s20
	s_cbranch_execz .LBB36_5
; %bb.26:                               ;   in Loop: Header=BB36_6 Depth=1
	v_mul_f64_e32 v[12:13], s[8:9], v[12:13]
	v_lshlrev_b64_e32 v[14:15], 3, v[2:3]
	s_and_not1_b32 vcc_lo, exec_lo, s28
	s_wait_alu 0xfffe
	s_cbranch_vccnz .LBB36_31
; %bb.27:                               ;   in Loop: Header=BB36_6 Depth=1
	s_delay_alu instid0(VALU_DEP_1)
	v_add_co_u32 v16, vcc_lo, v18, v14
	s_wait_alu 0xfffd
	v_add_co_ci_u32_e64 v17, null, v19, v15, vcc_lo
	global_load_b64 v[20:21], v[16:17], off
	s_wait_loadcnt 0x0
	v_fma_f64 v[20:21], s[6:7], v[20:21], v[12:13]
	global_store_b64 v[16:17], v[20:21], off
	s_cbranch_execnz .LBB36_5
	s_branch .LBB36_32
.LBB36_28:                              ;   in Loop: Header=BB36_6 Depth=1
	s_branch .LBB36_16
.LBB36_29:                              ;   in Loop: Header=BB36_6 Depth=1
	s_branch .LBB36_20
.LBB36_30:                              ;   in Loop: Header=BB36_6 Depth=1
	s_branch .LBB36_24
.LBB36_31:                              ;   in Loop: Header=BB36_6 Depth=1
.LBB36_32:                              ;   in Loop: Header=BB36_6 Depth=1
	s_delay_alu instid0(VALU_DEP_1)
	v_add_co_u32 v14, vcc_lo, v18, v14
	s_wait_alu 0xfffd
	v_add_co_ci_u32_e64 v15, null, v19, v15, vcc_lo
	global_store_b64 v[14:15], v[12:13], off
	s_branch .LBB36_5
.LBB36_33:
	s_endpgm
	.section	.rodata,"a",@progbits
	.p2align	6, 0x0
	.amdhsa_kernel _ZL29rocblas_internal_gemmt_kernelIiLi16ELi32ELi8ELc78ELc78ELc85ELb0ELb0EdPKdS1_PdEviT_T9_T10_S3_lS5_S3_lS4_T11_S3_li
		.amdhsa_group_segment_fixed_size 4096
		.amdhsa_private_segment_fixed_size 0
		.amdhsa_kernarg_size 100
		.amdhsa_user_sgpr_count 2
		.amdhsa_user_sgpr_dispatch_ptr 0
		.amdhsa_user_sgpr_queue_ptr 0
		.amdhsa_user_sgpr_kernarg_segment_ptr 1
		.amdhsa_user_sgpr_dispatch_id 0
		.amdhsa_user_sgpr_private_segment_size 0
		.amdhsa_wavefront_size32 1
		.amdhsa_uses_dynamic_stack 0
		.amdhsa_enable_private_segment 0
		.amdhsa_system_sgpr_workgroup_id_x 1
		.amdhsa_system_sgpr_workgroup_id_y 1
		.amdhsa_system_sgpr_workgroup_id_z 1
		.amdhsa_system_sgpr_workgroup_info 0
		.amdhsa_system_vgpr_workitem_id 1
		.amdhsa_next_free_vgpr 50
		.amdhsa_next_free_sgpr 35
		.amdhsa_reserve_vcc 1
		.amdhsa_float_round_mode_32 0
		.amdhsa_float_round_mode_16_64 0
		.amdhsa_float_denorm_mode_32 3
		.amdhsa_float_denorm_mode_16_64 3
		.amdhsa_fp16_overflow 0
		.amdhsa_workgroup_processor_mode 1
		.amdhsa_memory_ordered 1
		.amdhsa_forward_progress 1
		.amdhsa_inst_pref_size 16
		.amdhsa_round_robin_scheduling 0
		.amdhsa_exception_fp_ieee_invalid_op 0
		.amdhsa_exception_fp_denorm_src 0
		.amdhsa_exception_fp_ieee_div_zero 0
		.amdhsa_exception_fp_ieee_overflow 0
		.amdhsa_exception_fp_ieee_underflow 0
		.amdhsa_exception_fp_ieee_inexact 0
		.amdhsa_exception_int_div_zero 0
	.end_amdhsa_kernel
	.section	.text._ZL29rocblas_internal_gemmt_kernelIiLi16ELi32ELi8ELc78ELc78ELc85ELb0ELb0EdPKdS1_PdEviT_T9_T10_S3_lS5_S3_lS4_T11_S3_li,"axG",@progbits,_ZL29rocblas_internal_gemmt_kernelIiLi16ELi32ELi8ELc78ELc78ELc85ELb0ELb0EdPKdS1_PdEviT_T9_T10_S3_lS5_S3_lS4_T11_S3_li,comdat
.Lfunc_end36:
	.size	_ZL29rocblas_internal_gemmt_kernelIiLi16ELi32ELi8ELc78ELc78ELc85ELb0ELb0EdPKdS1_PdEviT_T9_T10_S3_lS5_S3_lS4_T11_S3_li, .Lfunc_end36-_ZL29rocblas_internal_gemmt_kernelIiLi16ELi32ELi8ELc78ELc78ELc85ELb0ELb0EdPKdS1_PdEviT_T9_T10_S3_lS5_S3_lS4_T11_S3_li
                                        ; -- End function
	.set _ZL29rocblas_internal_gemmt_kernelIiLi16ELi32ELi8ELc78ELc78ELc85ELb0ELb0EdPKdS1_PdEviT_T9_T10_S3_lS5_S3_lS4_T11_S3_li.num_vgpr, 50
	.set _ZL29rocblas_internal_gemmt_kernelIiLi16ELi32ELi8ELc78ELc78ELc85ELb0ELb0EdPKdS1_PdEviT_T9_T10_S3_lS5_S3_lS4_T11_S3_li.num_agpr, 0
	.set _ZL29rocblas_internal_gemmt_kernelIiLi16ELi32ELi8ELc78ELc78ELc85ELb0ELb0EdPKdS1_PdEviT_T9_T10_S3_lS5_S3_lS4_T11_S3_li.numbered_sgpr, 35
	.set _ZL29rocblas_internal_gemmt_kernelIiLi16ELi32ELi8ELc78ELc78ELc85ELb0ELb0EdPKdS1_PdEviT_T9_T10_S3_lS5_S3_lS4_T11_S3_li.num_named_barrier, 0
	.set _ZL29rocblas_internal_gemmt_kernelIiLi16ELi32ELi8ELc78ELc78ELc85ELb0ELb0EdPKdS1_PdEviT_T9_T10_S3_lS5_S3_lS4_T11_S3_li.private_seg_size, 0
	.set _ZL29rocblas_internal_gemmt_kernelIiLi16ELi32ELi8ELc78ELc78ELc85ELb0ELb0EdPKdS1_PdEviT_T9_T10_S3_lS5_S3_lS4_T11_S3_li.uses_vcc, 1
	.set _ZL29rocblas_internal_gemmt_kernelIiLi16ELi32ELi8ELc78ELc78ELc85ELb0ELb0EdPKdS1_PdEviT_T9_T10_S3_lS5_S3_lS4_T11_S3_li.uses_flat_scratch, 0
	.set _ZL29rocblas_internal_gemmt_kernelIiLi16ELi32ELi8ELc78ELc78ELc85ELb0ELb0EdPKdS1_PdEviT_T9_T10_S3_lS5_S3_lS4_T11_S3_li.has_dyn_sized_stack, 0
	.set _ZL29rocblas_internal_gemmt_kernelIiLi16ELi32ELi8ELc78ELc78ELc85ELb0ELb0EdPKdS1_PdEviT_T9_T10_S3_lS5_S3_lS4_T11_S3_li.has_recursion, 0
	.set _ZL29rocblas_internal_gemmt_kernelIiLi16ELi32ELi8ELc78ELc78ELc85ELb0ELb0EdPKdS1_PdEviT_T9_T10_S3_lS5_S3_lS4_T11_S3_li.has_indirect_call, 0
	.section	.AMDGPU.csdata,"",@progbits
; Kernel info:
; codeLenInByte = 2044
; TotalNumSgprs: 37
; NumVgprs: 50
; ScratchSize: 0
; MemoryBound: 0
; FloatMode: 240
; IeeeMode: 1
; LDSByteSize: 4096 bytes/workgroup (compile time only)
; SGPRBlocks: 0
; VGPRBlocks: 6
; NumSGPRsForWavesPerEU: 37
; NumVGPRsForWavesPerEU: 50
; Occupancy: 16
; WaveLimiterHint : 0
; COMPUTE_PGM_RSRC2:SCRATCH_EN: 0
; COMPUTE_PGM_RSRC2:USER_SGPR: 2
; COMPUTE_PGM_RSRC2:TRAP_HANDLER: 0
; COMPUTE_PGM_RSRC2:TGID_X_EN: 1
; COMPUTE_PGM_RSRC2:TGID_Y_EN: 1
; COMPUTE_PGM_RSRC2:TGID_Z_EN: 1
; COMPUTE_PGM_RSRC2:TIDIG_COMP_CNT: 1
	.section	.text._ZL29rocblas_internal_gemmt_kernelIiLi16ELi32ELi8ELc78ELc84ELc85ELb0ELb0EdPKdS1_PdEviT_T9_T10_S3_lS5_S3_lS4_T11_S3_li,"axG",@progbits,_ZL29rocblas_internal_gemmt_kernelIiLi16ELi32ELi8ELc78ELc84ELc85ELb0ELb0EdPKdS1_PdEviT_T9_T10_S3_lS5_S3_lS4_T11_S3_li,comdat
	.globl	_ZL29rocblas_internal_gemmt_kernelIiLi16ELi32ELi8ELc78ELc84ELc85ELb0ELb0EdPKdS1_PdEviT_T9_T10_S3_lS5_S3_lS4_T11_S3_li ; -- Begin function _ZL29rocblas_internal_gemmt_kernelIiLi16ELi32ELi8ELc78ELc84ELc85ELb0ELb0EdPKdS1_PdEviT_T9_T10_S3_lS5_S3_lS4_T11_S3_li
	.p2align	8
	.type	_ZL29rocblas_internal_gemmt_kernelIiLi16ELi32ELi8ELc78ELc84ELc85ELb0ELb0EdPKdS1_PdEviT_T9_T10_S3_lS5_S3_lS4_T11_S3_li,@function
_ZL29rocblas_internal_gemmt_kernelIiLi16ELi32ELi8ELc78ELc84ELc85ELb0ELb0EdPKdS1_PdEviT_T9_T10_S3_lS5_S3_lS4_T11_S3_li: ; @_ZL29rocblas_internal_gemmt_kernelIiLi16ELi32ELi8ELc78ELc84ELc85ELb0ELb0EdPKdS1_PdEviT_T9_T10_S3_lS5_S3_lS4_T11_S3_li
; %bb.0:
	s_load_b128 s[4:7], s[0:1], 0x38
	s_wait_kmcnt 0x0
	s_load_b64 s[6:7], s[6:7], 0x0
	s_clause 0x1
	s_load_b128 s[8:11], s[0:1], 0x8
	s_load_b64 s[20:21], s[0:1], 0x0
	s_wait_kmcnt 0x0
	s_load_b64 s[8:9], s[8:9], 0x0
	v_cmp_neq_f64_e64 s2, s[6:7], 1.0
	s_and_b32 vcc_lo, exec_lo, s2
	s_cbranch_vccnz .LBB37_2
; %bb.1:
	s_wait_kmcnt 0x0
	v_cmp_neq_f64_e64 s2, s[8:9], 0
	s_cmp_lg_u32 s21, 0
	s_cselect_b32 s3, -1, 0
	s_delay_alu instid0(SALU_CYCLE_1)
	s_and_b32 s2, s3, s2
.LBB37_2:
	s_delay_alu instid0(SALU_CYCLE_1)
	s_and_not1_b32 vcc_lo, exec_lo, s2
	s_cbranch_vccnz .LBB37_33
; %bb.3:
	s_load_b32 s19, s[0:1], 0x60
	s_lshr_b32 s22, ttmp7, 16
	s_wait_kmcnt 0x0
	s_cmp_ge_u32 s22, s19
	s_cbranch_scc1 .LBB37_33
; %bb.4:
	v_and_b32_e32 v1, 0x3ff, v0
	v_bfe_u32 v2, v0, 10, 10
	v_and_b32_e32 v28, 7, v0
	s_clause 0x4
	s_load_b32 s26, s[0:1], 0x18
	s_load_b32 s28, s[0:1], 0x30
	s_load_b96 s[16:18], s[0:1], 0x48
	s_load_b64 s[24:25], s[0:1], 0x58
	s_load_b128 s[12:15], s[0:1], 0x20
	v_lshl_add_u32 v0, v2, 4, v1
	v_lshlrev_b32_e32 v6, 3, v28
	s_lshl_b32 s0, ttmp7, 5
	s_lshl_b32 s2, ttmp9, 5
	s_and_b32 s3, s0, 0x1fffe0
	v_and_b32_e32 v3, 31, v0
	v_lshrrev_b32_e32 v5, 3, v0
	v_lshrrev_b32_e32 v29, 5, v0
	v_cmp_neq_f64_e64 s34, s[8:9], 0
	v_cmp_neq_f64_e64 s30, s[6:7], 0
	v_lshlrev_b32_e32 v0, 3, v3
	v_or_b32_e32 v4, s2, v3
	v_add_nc_u32_e32 v14, s3, v5
	v_lshl_or_b32 v3, v5, 6, v6
	v_add_nc_u32_e32 v5, s3, v2
	v_lshl_or_b32 v30, v29, 8, v0
	v_add_nc_u32_e32 v0, s2, v1
	v_lshl_add_u32 v33, v2, 6, 0x800
	s_wait_kmcnt 0x0
	s_ashr_i32 s27, s26, 31
	v_cmp_gt_i32_e32 vcc_lo, s20, v5
	s_ashr_i32 s29, s28, 31
	v_cmp_le_i32_e64 s2, v0, v5
	v_add_nc_u32_e32 v2, 16, v0
	v_mad_co_i64_i32 v[6:7], null, v29, s26, 0
	s_cmp_gt_i32 s21, 0
	v_mad_co_i64_i32 v[8:9], null, v5, s18, 0
	s_cselect_b32 s35, -1, 0
	s_and_b32 s31, vcc_lo, s2
	v_cmp_le_i32_e64 s2, v2, v5
	v_add_nc_u32_e32 v12, 16, v5
	v_ashrrev_i32_e32 v5, 31, v4
	v_cmp_gt_i32_e64 s0, s20, v4
	v_lshlrev_b64_e32 v[6:7], 3, v[6:7]
	v_mad_co_i64_i32 v[10:11], null, s28, v28, 0
	s_delay_alu instid0(VALU_DEP_4)
	v_lshlrev_b64_e32 v[4:5], 3, v[4:5]
	s_and_b32 s33, vcc_lo, s2
	v_cmp_gt_i32_e32 vcc_lo, s20, v12
	v_cmp_le_i32_e64 s2, v0, v12
	v_cmp_le_i32_e64 s3, v2, v12
	v_cmp_gt_i32_e64 s1, s20, v14
	v_mad_co_i64_i32 v[12:13], null, v12, s18, 0
	s_and_b32 s18, vcc_lo, s2
	s_and_b32 s20, vcc_lo, s3
	v_add_co_u32 v4, vcc_lo, v6, v4
	s_delay_alu instid0(VALU_DEP_1) | instskip(SKIP_2) | instid1(VALU_DEP_4)
	v_add_co_ci_u32_e64 v5, null, v7, v5, vcc_lo
	v_lshlrev_b64_e32 v[6:7], 3, v[10:11]
	v_lshlrev_b32_e32 v10, 3, v14
	v_add_co_u32 v4, vcc_lo, s10, v4
	s_wait_alu 0xfffd
	v_add_co_ci_u32_e64 v5, null, s11, v5, vcc_lo
	s_delay_alu instid0(VALU_DEP_3) | instskip(SKIP_3) | instid1(VALU_DEP_3)
	v_add_co_u32 v6, vcc_lo, v6, v10
	s_wait_alu 0xfffd
	v_add_co_ci_u32_e64 v7, null, 0, v7, vcc_lo
	v_lshlrev_b64_e32 v[8:9], 3, v[8:9]
	v_add_co_u32 v6, vcc_lo, s14, v6
	v_lshlrev_b64_e32 v[10:11], 3, v[12:13]
	v_add_nc_u32_e32 v31, 0x800, v3
	v_lshlrev_b32_e32 v32, 3, v1
	v_ashrrev_i32_e32 v1, 31, v0
	v_ashrrev_i32_e32 v3, 31, v2
	s_wait_alu 0xfffd
	v_add_co_ci_u32_e64 v7, null, s15, v7, vcc_lo
	s_mov_b32 s23, 0
	s_lshl_b64 s[2:3], s[12:13], 3
	s_and_b32 s34, s34, s35
	s_lshl_b64 s[10:11], s[26:27], 6
	s_lshl_b64 s[4:5], s[4:5], 3
	;; [unrolled: 1-line block ×3, first 2 shown]
	s_branch .LBB37_6
.LBB37_5:                               ;   in Loop: Header=BB37_6 Depth=1
	s_wait_alu 0xfffe
	s_or_b32 exec_lo, exec_lo, s14
	s_add_co_i32 s22, s22, 0x10000
	s_wait_alu 0xfffe
	s_cmp_lt_u32 s22, s19
	s_cbranch_scc0 .LBB37_33
.LBB37_6:                               ; =>This Loop Header: Depth=1
                                        ;     Child Loop BB37_9 Depth 2
	v_mov_b32_e32 v22, 0
	v_dual_mov_b32 v14, 0 :: v_dual_mov_b32 v23, 0
	v_dual_mov_b32 v20, 0 :: v_dual_mov_b32 v15, 0
	;; [unrolled: 1-line block ×3, first 2 shown]
	v_mov_b32_e32 v13, 0
	s_and_not1_b32 vcc_lo, exec_lo, s34
	s_wait_alu 0xfffe
	s_cbranch_vccnz .LBB37_13
; %bb.7:                                ;   in Loop: Header=BB37_6 Depth=1
	v_mad_co_u64_u32 v[16:17], null, s2, s22, v[4:5]
	v_mad_co_u64_u32 v[18:19], null, s4, s22, v[6:7]
	s_mov_b32 s14, 0
	v_mov_b32_e32 v22, 0
	v_dual_mov_b32 v23, 0 :: v_dual_mov_b32 v12, v17
	v_mov_b32_e32 v13, v19
	s_delay_alu instid0(VALU_DEP_1)
	v_mad_co_u64_u32 v[19:20], null, s3, s22, v[12:13]
	v_mad_co_u64_u32 v[24:25], null, s5, s22, v[13:14]
	v_mov_b32_e32 v12, 0
	v_dual_mov_b32 v20, 0 :: v_dual_mov_b32 v13, 0
	v_dual_mov_b32 v14, 0 :: v_dual_mov_b32 v21, 0
	v_mov_b32_e32 v15, 0
	v_mov_b32_e32 v17, v19
	;; [unrolled: 1-line block ×3, first 2 shown]
	s_branch .LBB37_9
.LBB37_8:                               ;   in Loop: Header=BB37_9 Depth=2
	s_wait_alu 0xfffe
	s_or_b32 exec_lo, exec_lo, s15
	s_wait_loadcnt 0x0
	ds_store_b64 v31, v[26:27]
	s_wait_dscnt 0x0
	s_barrier_signal -1
	s_barrier_wait -1
	global_inv scope:SCOPE_SE
	ds_load_b128 v[24:27], v33
	ds_load_2addr_b64 v[34:37], v32 offset1:16
	ds_load_b128 v[38:41], v33 offset:1024
	ds_load_b128 v[42:45], v33 offset:16
	ds_load_b128 v[46:49], v33 offset:1040
	v_add_co_u32 v16, vcc_lo, v16, s10
	s_wait_alu 0xfffd
	v_add_co_ci_u32_e64 v17, null, s11, v17, vcc_lo
	v_add_co_u32 v18, vcc_lo, v18, s12
	s_wait_alu 0xfffd
	v_add_co_ci_u32_e64 v19, null, s13, v19, vcc_lo
	s_add_co_i32 s14, s14, 8
	s_wait_alu 0xfffe
	s_cmp_lt_i32 s14, s21
	s_wait_dscnt 0x3
	v_fma_f64 v[22:23], v[34:35], v[24:25], v[22:23]
	v_fma_f64 v[20:21], v[36:37], v[24:25], v[20:21]
	s_wait_dscnt 0x2
	v_fma_f64 v[24:25], v[34:35], v[38:39], v[14:15]
	v_fma_f64 v[34:35], v[36:37], v[38:39], v[12:13]
	ds_load_2addr_b64 v[12:15], v32 offset0:32 offset1:48
	s_wait_dscnt 0x0
	v_fma_f64 v[22:23], v[12:13], v[26:27], v[22:23]
	v_fma_f64 v[20:21], v[14:15], v[26:27], v[20:21]
	v_fma_f64 v[24:25], v[12:13], v[40:41], v[24:25]
	v_fma_f64 v[26:27], v[14:15], v[40:41], v[34:35]
	ds_load_2addr_b64 v[12:15], v32 offset0:64 offset1:80
	s_wait_dscnt 0x0
	v_fma_f64 v[22:23], v[12:13], v[42:43], v[22:23]
	v_fma_f64 v[20:21], v[14:15], v[42:43], v[20:21]
	;; [unrolled: 6-line block ×3, first 2 shown]
	v_fma_f64 v[46:47], v[12:13], v[48:49], v[24:25]
	v_fma_f64 v[48:49], v[14:15], v[48:49], v[26:27]
	ds_load_b128 v[12:15], v33 offset:32
	ds_load_2addr_b64 v[20:23], v32 offset0:128 offset1:144
	ds_load_b128 v[24:27], v33 offset:1056
	ds_load_b128 v[34:37], v33 offset:48
	;; [unrolled: 1-line block ×3, first 2 shown]
	s_wait_dscnt 0x3
	v_fma_f64 v[42:43], v[20:21], v[12:13], v[42:43]
	v_fma_f64 v[12:13], v[22:23], v[12:13], v[44:45]
	s_wait_dscnt 0x2
	v_fma_f64 v[44:45], v[20:21], v[24:25], v[46:47]
	v_fma_f64 v[24:25], v[22:23], v[24:25], v[48:49]
	ds_load_2addr_b64 v[20:23], v32 offset0:160 offset1:176
	s_wait_dscnt 0x0
	v_fma_f64 v[42:43], v[20:21], v[14:15], v[42:43]
	v_fma_f64 v[46:47], v[22:23], v[14:15], v[12:13]
	;; [unrolled: 1-line block ×4, first 2 shown]
	ds_load_2addr_b64 v[12:15], v32 offset0:192 offset1:208
	ds_load_2addr_b64 v[24:27], v32 offset0:224 offset1:240
	s_wait_loadcnt_dscnt 0x0
	s_barrier_signal -1
	s_barrier_wait -1
	global_inv scope:SCOPE_SE
	v_fma_f64 v[42:43], v[12:13], v[34:35], v[42:43]
	v_fma_f64 v[34:35], v[14:15], v[34:35], v[46:47]
	;; [unrolled: 1-line block ×4, first 2 shown]
	s_delay_alu instid0(VALU_DEP_4) | instskip(NEXT) | instid1(VALU_DEP_4)
	v_fma_f64 v[22:23], v[24:25], v[36:37], v[42:43]
	v_fma_f64 v[20:21], v[26:27], v[36:37], v[34:35]
	s_delay_alu instid0(VALU_DEP_4) | instskip(NEXT) | instid1(VALU_DEP_4)
	v_fma_f64 v[14:15], v[24:25], v[40:41], v[12:13]
	v_fma_f64 v[12:13], v[26:27], v[40:41], v[38:39]
	s_cbranch_scc0 .LBB37_13
.LBB37_9:                               ;   Parent Loop BB37_6 Depth=1
                                        ; =>  This Inner Loop Header: Depth=2
	s_wait_alu 0xfffe
	v_add_nc_u32_e32 v24, s14, v29
	s_delay_alu instid0(VALU_DEP_1)
	v_cmp_gt_i32_e32 vcc_lo, s21, v24
	v_mov_b32_e32 v24, 0
	v_mov_b32_e32 v25, 0
	s_and_b32 s26, s0, vcc_lo
	s_wait_alu 0xfffe
	s_and_saveexec_b32 s15, s26
	s_cbranch_execz .LBB37_11
; %bb.10:                               ;   in Loop: Header=BB37_9 Depth=2
	global_load_b64 v[24:25], v[16:17], off
.LBB37_11:                              ;   in Loop: Header=BB37_9 Depth=2
	s_wait_alu 0xfffe
	s_or_b32 exec_lo, exec_lo, s15
	v_add_nc_u32_e32 v26, s14, v28
	s_wait_loadcnt 0x0
	ds_store_b64 v30, v[24:25]
	v_cmp_gt_i32_e32 vcc_lo, s21, v26
	v_mov_b32_e32 v26, 0
	v_mov_b32_e32 v27, 0
	s_and_b32 s26, vcc_lo, s1
	s_wait_alu 0xfffe
	s_and_saveexec_b32 s15, s26
	s_cbranch_execz .LBB37_8
; %bb.12:                               ;   in Loop: Header=BB37_9 Depth=2
	global_load_b64 v[26:27], v[18:19], off
	s_branch .LBB37_8
.LBB37_13:                              ;   in Loop: Header=BB37_6 Depth=1
	s_mul_u64 s[14:15], s[24:25], s[22:23]
	s_wait_alu 0xfffe
	s_lshl_b64 s[14:15], s[14:15], 3
	s_wait_alu 0xfffe
	s_add_nc_u64 s[14:15], s[16:17], s[14:15]
	s_wait_alu 0xfffe
	v_add_co_u32 v18, vcc_lo, s14, v8
	s_wait_alu 0xfffd
	v_add_co_ci_u32_e64 v19, null, s15, v9, vcc_lo
	s_and_saveexec_b32 s26, s31
	s_cbranch_execz .LBB37_17
; %bb.14:                               ;   in Loop: Header=BB37_6 Depth=1
	v_mul_f64_e32 v[16:17], s[8:9], v[22:23]
	s_and_b32 vcc_lo, exec_lo, s30
	s_wait_alu 0xfffe
	s_cbranch_vccz .LBB37_28
; %bb.15:                               ;   in Loop: Header=BB37_6 Depth=1
	v_lshlrev_b64_e32 v[22:23], 3, v[0:1]
	s_delay_alu instid0(VALU_DEP_1) | instskip(SKIP_1) | instid1(VALU_DEP_2)
	v_add_co_u32 v22, vcc_lo, v18, v22
	s_wait_alu 0xfffd
	v_add_co_ci_u32_e64 v23, null, v19, v23, vcc_lo
	global_load_b64 v[24:25], v[22:23], off
	s_wait_loadcnt 0x0
	v_fma_f64 v[24:25], s[6:7], v[24:25], v[16:17]
	global_store_b64 v[22:23], v[24:25], off
	s_cbranch_execnz .LBB37_17
.LBB37_16:                              ;   in Loop: Header=BB37_6 Depth=1
	v_lshlrev_b64_e32 v[22:23], 3, v[0:1]
	s_delay_alu instid0(VALU_DEP_1) | instskip(SKIP_1) | instid1(VALU_DEP_2)
	v_add_co_u32 v22, vcc_lo, v18, v22
	s_wait_alu 0xfffd
	v_add_co_ci_u32_e64 v23, null, v19, v23, vcc_lo
	global_store_b64 v[22:23], v[16:17], off
.LBB37_17:                              ;   in Loop: Header=BB37_6 Depth=1
	s_wait_alu 0xfffe
	s_or_b32 exec_lo, exec_lo, s26
	s_and_saveexec_b32 s26, s33
	s_cbranch_execz .LBB37_21
; %bb.18:                               ;   in Loop: Header=BB37_6 Depth=1
	v_mul_f64_e32 v[16:17], s[8:9], v[20:21]
	s_and_not1_b32 vcc_lo, exec_lo, s30
	s_wait_alu 0xfffe
	s_cbranch_vccnz .LBB37_29
; %bb.19:                               ;   in Loop: Header=BB37_6 Depth=1
	v_lshlrev_b64_e32 v[20:21], 3, v[2:3]
	s_delay_alu instid0(VALU_DEP_1) | instskip(SKIP_1) | instid1(VALU_DEP_2)
	v_add_co_u32 v20, vcc_lo, v18, v20
	s_wait_alu 0xfffd
	v_add_co_ci_u32_e64 v21, null, v19, v21, vcc_lo
	global_load_b64 v[22:23], v[20:21], off
	s_wait_loadcnt 0x0
	v_fma_f64 v[22:23], s[6:7], v[22:23], v[16:17]
	global_store_b64 v[20:21], v[22:23], off
	s_cbranch_execnz .LBB37_21
.LBB37_20:                              ;   in Loop: Header=BB37_6 Depth=1
	v_lshlrev_b64_e32 v[20:21], 3, v[2:3]
	s_delay_alu instid0(VALU_DEP_1) | instskip(SKIP_1) | instid1(VALU_DEP_2)
	v_add_co_u32 v18, vcc_lo, v18, v20
	s_wait_alu 0xfffd
	v_add_co_ci_u32_e64 v19, null, v19, v21, vcc_lo
	global_store_b64 v[18:19], v[16:17], off
.LBB37_21:                              ;   in Loop: Header=BB37_6 Depth=1
	s_wait_alu 0xfffe
	s_or_b32 exec_lo, exec_lo, s26
	v_add_co_u32 v18, vcc_lo, s14, v10
	s_wait_alu 0xfffd
	v_add_co_ci_u32_e64 v19, null, s15, v11, vcc_lo
	s_and_saveexec_b32 s14, s18
	s_cbranch_execz .LBB37_25
; %bb.22:                               ;   in Loop: Header=BB37_6 Depth=1
	v_mul_f64_e32 v[14:15], s[8:9], v[14:15]
	v_lshlrev_b64_e32 v[16:17], 3, v[0:1]
	s_and_not1_b32 vcc_lo, exec_lo, s30
	s_wait_alu 0xfffe
	s_cbranch_vccnz .LBB37_30
; %bb.23:                               ;   in Loop: Header=BB37_6 Depth=1
	s_delay_alu instid0(VALU_DEP_1)
	v_add_co_u32 v20, vcc_lo, v18, v16
	s_wait_alu 0xfffd
	v_add_co_ci_u32_e64 v21, null, v19, v17, vcc_lo
	global_load_b64 v[22:23], v[20:21], off
	s_wait_loadcnt 0x0
	v_fma_f64 v[22:23], s[6:7], v[22:23], v[14:15]
	global_store_b64 v[20:21], v[22:23], off
	s_cbranch_execnz .LBB37_25
.LBB37_24:                              ;   in Loop: Header=BB37_6 Depth=1
	s_delay_alu instid0(VALU_DEP_1)
	v_add_co_u32 v16, vcc_lo, v18, v16
	s_wait_alu 0xfffd
	v_add_co_ci_u32_e64 v17, null, v19, v17, vcc_lo
	global_store_b64 v[16:17], v[14:15], off
.LBB37_25:                              ;   in Loop: Header=BB37_6 Depth=1
	s_wait_alu 0xfffe
	s_or_b32 exec_lo, exec_lo, s14
	s_and_saveexec_b32 s14, s20
	s_cbranch_execz .LBB37_5
; %bb.26:                               ;   in Loop: Header=BB37_6 Depth=1
	v_mul_f64_e32 v[12:13], s[8:9], v[12:13]
	v_lshlrev_b64_e32 v[14:15], 3, v[2:3]
	s_and_not1_b32 vcc_lo, exec_lo, s30
	s_wait_alu 0xfffe
	s_cbranch_vccnz .LBB37_31
; %bb.27:                               ;   in Loop: Header=BB37_6 Depth=1
	s_delay_alu instid0(VALU_DEP_1)
	v_add_co_u32 v16, vcc_lo, v18, v14
	s_wait_alu 0xfffd
	v_add_co_ci_u32_e64 v17, null, v19, v15, vcc_lo
	global_load_b64 v[20:21], v[16:17], off
	s_wait_loadcnt 0x0
	v_fma_f64 v[20:21], s[6:7], v[20:21], v[12:13]
	global_store_b64 v[16:17], v[20:21], off
	s_cbranch_execnz .LBB37_5
	s_branch .LBB37_32
.LBB37_28:                              ;   in Loop: Header=BB37_6 Depth=1
	s_branch .LBB37_16
.LBB37_29:                              ;   in Loop: Header=BB37_6 Depth=1
	s_branch .LBB37_20
.LBB37_30:                              ;   in Loop: Header=BB37_6 Depth=1
	s_branch .LBB37_24
.LBB37_31:                              ;   in Loop: Header=BB37_6 Depth=1
.LBB37_32:                              ;   in Loop: Header=BB37_6 Depth=1
	s_delay_alu instid0(VALU_DEP_1)
	v_add_co_u32 v14, vcc_lo, v18, v14
	s_wait_alu 0xfffd
	v_add_co_ci_u32_e64 v15, null, v19, v15, vcc_lo
	global_store_b64 v[14:15], v[12:13], off
	s_branch .LBB37_5
.LBB37_33:
	s_endpgm
	.section	.rodata,"a",@progbits
	.p2align	6, 0x0
	.amdhsa_kernel _ZL29rocblas_internal_gemmt_kernelIiLi16ELi32ELi8ELc78ELc84ELc85ELb0ELb0EdPKdS1_PdEviT_T9_T10_S3_lS5_S3_lS4_T11_S3_li
		.amdhsa_group_segment_fixed_size 4096
		.amdhsa_private_segment_fixed_size 0
		.amdhsa_kernarg_size 100
		.amdhsa_user_sgpr_count 2
		.amdhsa_user_sgpr_dispatch_ptr 0
		.amdhsa_user_sgpr_queue_ptr 0
		.amdhsa_user_sgpr_kernarg_segment_ptr 1
		.amdhsa_user_sgpr_dispatch_id 0
		.amdhsa_user_sgpr_private_segment_size 0
		.amdhsa_wavefront_size32 1
		.amdhsa_uses_dynamic_stack 0
		.amdhsa_enable_private_segment 0
		.amdhsa_system_sgpr_workgroup_id_x 1
		.amdhsa_system_sgpr_workgroup_id_y 1
		.amdhsa_system_sgpr_workgroup_id_z 1
		.amdhsa_system_sgpr_workgroup_info 0
		.amdhsa_system_vgpr_workitem_id 1
		.amdhsa_next_free_vgpr 50
		.amdhsa_next_free_sgpr 36
		.amdhsa_reserve_vcc 1
		.amdhsa_float_round_mode_32 0
		.amdhsa_float_round_mode_16_64 0
		.amdhsa_float_denorm_mode_32 3
		.amdhsa_float_denorm_mode_16_64 3
		.amdhsa_fp16_overflow 0
		.amdhsa_workgroup_processor_mode 1
		.amdhsa_memory_ordered 1
		.amdhsa_forward_progress 1
		.amdhsa_inst_pref_size 17
		.amdhsa_round_robin_scheduling 0
		.amdhsa_exception_fp_ieee_invalid_op 0
		.amdhsa_exception_fp_denorm_src 0
		.amdhsa_exception_fp_ieee_div_zero 0
		.amdhsa_exception_fp_ieee_overflow 0
		.amdhsa_exception_fp_ieee_underflow 0
		.amdhsa_exception_fp_ieee_inexact 0
		.amdhsa_exception_int_div_zero 0
	.end_amdhsa_kernel
	.section	.text._ZL29rocblas_internal_gemmt_kernelIiLi16ELi32ELi8ELc78ELc84ELc85ELb0ELb0EdPKdS1_PdEviT_T9_T10_S3_lS5_S3_lS4_T11_S3_li,"axG",@progbits,_ZL29rocblas_internal_gemmt_kernelIiLi16ELi32ELi8ELc78ELc84ELc85ELb0ELb0EdPKdS1_PdEviT_T9_T10_S3_lS5_S3_lS4_T11_S3_li,comdat
.Lfunc_end37:
	.size	_ZL29rocblas_internal_gemmt_kernelIiLi16ELi32ELi8ELc78ELc84ELc85ELb0ELb0EdPKdS1_PdEviT_T9_T10_S3_lS5_S3_lS4_T11_S3_li, .Lfunc_end37-_ZL29rocblas_internal_gemmt_kernelIiLi16ELi32ELi8ELc78ELc84ELc85ELb0ELb0EdPKdS1_PdEviT_T9_T10_S3_lS5_S3_lS4_T11_S3_li
                                        ; -- End function
	.set _ZL29rocblas_internal_gemmt_kernelIiLi16ELi32ELi8ELc78ELc84ELc85ELb0ELb0EdPKdS1_PdEviT_T9_T10_S3_lS5_S3_lS4_T11_S3_li.num_vgpr, 50
	.set _ZL29rocblas_internal_gemmt_kernelIiLi16ELi32ELi8ELc78ELc84ELc85ELb0ELb0EdPKdS1_PdEviT_T9_T10_S3_lS5_S3_lS4_T11_S3_li.num_agpr, 0
	.set _ZL29rocblas_internal_gemmt_kernelIiLi16ELi32ELi8ELc78ELc84ELc85ELb0ELb0EdPKdS1_PdEviT_T9_T10_S3_lS5_S3_lS4_T11_S3_li.numbered_sgpr, 36
	.set _ZL29rocblas_internal_gemmt_kernelIiLi16ELi32ELi8ELc78ELc84ELc85ELb0ELb0EdPKdS1_PdEviT_T9_T10_S3_lS5_S3_lS4_T11_S3_li.num_named_barrier, 0
	.set _ZL29rocblas_internal_gemmt_kernelIiLi16ELi32ELi8ELc78ELc84ELc85ELb0ELb0EdPKdS1_PdEviT_T9_T10_S3_lS5_S3_lS4_T11_S3_li.private_seg_size, 0
	.set _ZL29rocblas_internal_gemmt_kernelIiLi16ELi32ELi8ELc78ELc84ELc85ELb0ELb0EdPKdS1_PdEviT_T9_T10_S3_lS5_S3_lS4_T11_S3_li.uses_vcc, 1
	.set _ZL29rocblas_internal_gemmt_kernelIiLi16ELi32ELi8ELc78ELc84ELc85ELb0ELb0EdPKdS1_PdEviT_T9_T10_S3_lS5_S3_lS4_T11_S3_li.uses_flat_scratch, 0
	.set _ZL29rocblas_internal_gemmt_kernelIiLi16ELi32ELi8ELc78ELc84ELc85ELb0ELb0EdPKdS1_PdEviT_T9_T10_S3_lS5_S3_lS4_T11_S3_li.has_dyn_sized_stack, 0
	.set _ZL29rocblas_internal_gemmt_kernelIiLi16ELi32ELi8ELc78ELc84ELc85ELb0ELb0EdPKdS1_PdEviT_T9_T10_S3_lS5_S3_lS4_T11_S3_li.has_recursion, 0
	.set _ZL29rocblas_internal_gemmt_kernelIiLi16ELi32ELi8ELc78ELc84ELc85ELb0ELb0EdPKdS1_PdEviT_T9_T10_S3_lS5_S3_lS4_T11_S3_li.has_indirect_call, 0
	.section	.AMDGPU.csdata,"",@progbits
; Kernel info:
; codeLenInByte = 2060
; TotalNumSgprs: 38
; NumVgprs: 50
; ScratchSize: 0
; MemoryBound: 0
; FloatMode: 240
; IeeeMode: 1
; LDSByteSize: 4096 bytes/workgroup (compile time only)
; SGPRBlocks: 0
; VGPRBlocks: 6
; NumSGPRsForWavesPerEU: 38
; NumVGPRsForWavesPerEU: 50
; Occupancy: 16
; WaveLimiterHint : 0
; COMPUTE_PGM_RSRC2:SCRATCH_EN: 0
; COMPUTE_PGM_RSRC2:USER_SGPR: 2
; COMPUTE_PGM_RSRC2:TRAP_HANDLER: 0
; COMPUTE_PGM_RSRC2:TGID_X_EN: 1
; COMPUTE_PGM_RSRC2:TGID_Y_EN: 1
; COMPUTE_PGM_RSRC2:TGID_Z_EN: 1
; COMPUTE_PGM_RSRC2:TIDIG_COMP_CNT: 1
	.section	.text._ZL29rocblas_internal_gemmt_kernelIiLi16ELi32ELi8ELc78ELc67ELc85ELb0ELb0EdPKdS1_PdEviT_T9_T10_S3_lS5_S3_lS4_T11_S3_li,"axG",@progbits,_ZL29rocblas_internal_gemmt_kernelIiLi16ELi32ELi8ELc78ELc67ELc85ELb0ELb0EdPKdS1_PdEviT_T9_T10_S3_lS5_S3_lS4_T11_S3_li,comdat
	.globl	_ZL29rocblas_internal_gemmt_kernelIiLi16ELi32ELi8ELc78ELc67ELc85ELb0ELb0EdPKdS1_PdEviT_T9_T10_S3_lS5_S3_lS4_T11_S3_li ; -- Begin function _ZL29rocblas_internal_gemmt_kernelIiLi16ELi32ELi8ELc78ELc67ELc85ELb0ELb0EdPKdS1_PdEviT_T9_T10_S3_lS5_S3_lS4_T11_S3_li
	.p2align	8
	.type	_ZL29rocblas_internal_gemmt_kernelIiLi16ELi32ELi8ELc78ELc67ELc85ELb0ELb0EdPKdS1_PdEviT_T9_T10_S3_lS5_S3_lS4_T11_S3_li,@function
_ZL29rocblas_internal_gemmt_kernelIiLi16ELi32ELi8ELc78ELc67ELc85ELb0ELb0EdPKdS1_PdEviT_T9_T10_S3_lS5_S3_lS4_T11_S3_li: ; @_ZL29rocblas_internal_gemmt_kernelIiLi16ELi32ELi8ELc78ELc67ELc85ELb0ELb0EdPKdS1_PdEviT_T9_T10_S3_lS5_S3_lS4_T11_S3_li
; %bb.0:
	s_load_b128 s[4:7], s[0:1], 0x38
	s_wait_kmcnt 0x0
	s_load_b64 s[6:7], s[6:7], 0x0
	s_clause 0x1
	s_load_b128 s[8:11], s[0:1], 0x8
	s_load_b64 s[20:21], s[0:1], 0x0
	s_wait_kmcnt 0x0
	s_load_b64 s[8:9], s[8:9], 0x0
	v_cmp_neq_f64_e64 s2, s[6:7], 1.0
	s_and_b32 vcc_lo, exec_lo, s2
	s_cbranch_vccnz .LBB38_2
; %bb.1:
	s_wait_kmcnt 0x0
	v_cmp_neq_f64_e64 s2, s[8:9], 0
	s_cmp_lg_u32 s21, 0
	s_cselect_b32 s3, -1, 0
	s_delay_alu instid0(SALU_CYCLE_1)
	s_and_b32 s2, s3, s2
.LBB38_2:
	s_delay_alu instid0(SALU_CYCLE_1)
	s_and_not1_b32 vcc_lo, exec_lo, s2
	s_cbranch_vccnz .LBB38_33
; %bb.3:
	s_load_b32 s19, s[0:1], 0x60
	s_lshr_b32 s22, ttmp7, 16
	s_wait_kmcnt 0x0
	s_cmp_ge_u32 s22, s19
	s_cbranch_scc1 .LBB38_33
; %bb.4:
	v_and_b32_e32 v1, 0x3ff, v0
	v_bfe_u32 v2, v0, 10, 10
	v_and_b32_e32 v28, 7, v0
	s_clause 0x4
	s_load_b32 s26, s[0:1], 0x18
	s_load_b32 s28, s[0:1], 0x30
	s_load_b96 s[16:18], s[0:1], 0x48
	s_load_b64 s[24:25], s[0:1], 0x58
	s_load_b128 s[12:15], s[0:1], 0x20
	v_lshl_add_u32 v0, v2, 4, v1
	v_lshlrev_b32_e32 v6, 3, v28
	s_lshl_b32 s0, ttmp7, 5
	s_lshl_b32 s2, ttmp9, 5
	s_and_b32 s3, s0, 0x1fffe0
	v_and_b32_e32 v3, 31, v0
	v_lshrrev_b32_e32 v5, 3, v0
	v_lshrrev_b32_e32 v29, 5, v0
	v_cmp_neq_f64_e64 s34, s[8:9], 0
	v_cmp_neq_f64_e64 s30, s[6:7], 0
	v_lshlrev_b32_e32 v0, 3, v3
	v_or_b32_e32 v4, s2, v3
	v_add_nc_u32_e32 v14, s3, v5
	v_lshl_or_b32 v3, v5, 6, v6
	v_add_nc_u32_e32 v5, s3, v2
	v_lshl_or_b32 v30, v29, 8, v0
	v_add_nc_u32_e32 v0, s2, v1
	v_lshl_add_u32 v33, v2, 6, 0x800
	s_wait_kmcnt 0x0
	s_ashr_i32 s27, s26, 31
	v_cmp_gt_i32_e32 vcc_lo, s20, v5
	s_ashr_i32 s29, s28, 31
	v_cmp_le_i32_e64 s2, v0, v5
	v_add_nc_u32_e32 v2, 16, v0
	v_mad_co_i64_i32 v[6:7], null, v29, s26, 0
	s_cmp_gt_i32 s21, 0
	v_mad_co_i64_i32 v[8:9], null, v5, s18, 0
	s_cselect_b32 s35, -1, 0
	s_and_b32 s31, vcc_lo, s2
	v_cmp_le_i32_e64 s2, v2, v5
	v_add_nc_u32_e32 v12, 16, v5
	v_ashrrev_i32_e32 v5, 31, v4
	v_cmp_gt_i32_e64 s0, s20, v4
	v_lshlrev_b64_e32 v[6:7], 3, v[6:7]
	v_mad_co_i64_i32 v[10:11], null, s28, v28, 0
	s_delay_alu instid0(VALU_DEP_4)
	v_lshlrev_b64_e32 v[4:5], 3, v[4:5]
	s_and_b32 s33, vcc_lo, s2
	v_cmp_gt_i32_e32 vcc_lo, s20, v12
	v_cmp_le_i32_e64 s2, v0, v12
	v_cmp_le_i32_e64 s3, v2, v12
	v_cmp_gt_i32_e64 s1, s20, v14
	v_mad_co_i64_i32 v[12:13], null, v12, s18, 0
	s_and_b32 s18, vcc_lo, s2
	s_and_b32 s20, vcc_lo, s3
	v_add_co_u32 v4, vcc_lo, v6, v4
	s_delay_alu instid0(VALU_DEP_1) | instskip(SKIP_2) | instid1(VALU_DEP_4)
	v_add_co_ci_u32_e64 v5, null, v7, v5, vcc_lo
	v_lshlrev_b64_e32 v[6:7], 3, v[10:11]
	v_lshlrev_b32_e32 v10, 3, v14
	v_add_co_u32 v4, vcc_lo, s10, v4
	s_wait_alu 0xfffd
	v_add_co_ci_u32_e64 v5, null, s11, v5, vcc_lo
	s_delay_alu instid0(VALU_DEP_3) | instskip(SKIP_3) | instid1(VALU_DEP_3)
	v_add_co_u32 v6, vcc_lo, v6, v10
	s_wait_alu 0xfffd
	v_add_co_ci_u32_e64 v7, null, 0, v7, vcc_lo
	v_lshlrev_b64_e32 v[8:9], 3, v[8:9]
	v_add_co_u32 v6, vcc_lo, s14, v6
	v_lshlrev_b64_e32 v[10:11], 3, v[12:13]
	v_add_nc_u32_e32 v31, 0x800, v3
	v_lshlrev_b32_e32 v32, 3, v1
	v_ashrrev_i32_e32 v1, 31, v0
	v_ashrrev_i32_e32 v3, 31, v2
	s_wait_alu 0xfffd
	v_add_co_ci_u32_e64 v7, null, s15, v7, vcc_lo
	s_mov_b32 s23, 0
	s_lshl_b64 s[2:3], s[12:13], 3
	s_and_b32 s34, s34, s35
	s_lshl_b64 s[10:11], s[26:27], 6
	s_lshl_b64 s[4:5], s[4:5], 3
	;; [unrolled: 1-line block ×3, first 2 shown]
	s_branch .LBB38_6
.LBB38_5:                               ;   in Loop: Header=BB38_6 Depth=1
	s_wait_alu 0xfffe
	s_or_b32 exec_lo, exec_lo, s14
	s_add_co_i32 s22, s22, 0x10000
	s_wait_alu 0xfffe
	s_cmp_lt_u32 s22, s19
	s_cbranch_scc0 .LBB38_33
.LBB38_6:                               ; =>This Loop Header: Depth=1
                                        ;     Child Loop BB38_9 Depth 2
	v_mov_b32_e32 v22, 0
	v_dual_mov_b32 v14, 0 :: v_dual_mov_b32 v23, 0
	v_dual_mov_b32 v20, 0 :: v_dual_mov_b32 v15, 0
	;; [unrolled: 1-line block ×3, first 2 shown]
	v_mov_b32_e32 v13, 0
	s_and_not1_b32 vcc_lo, exec_lo, s34
	s_wait_alu 0xfffe
	s_cbranch_vccnz .LBB38_13
; %bb.7:                                ;   in Loop: Header=BB38_6 Depth=1
	v_mad_co_u64_u32 v[16:17], null, s2, s22, v[4:5]
	v_mad_co_u64_u32 v[18:19], null, s4, s22, v[6:7]
	s_mov_b32 s14, 0
	v_mov_b32_e32 v22, 0
	v_dual_mov_b32 v23, 0 :: v_dual_mov_b32 v12, v17
	v_mov_b32_e32 v13, v19
	s_delay_alu instid0(VALU_DEP_1)
	v_mad_co_u64_u32 v[19:20], null, s3, s22, v[12:13]
	v_mad_co_u64_u32 v[24:25], null, s5, s22, v[13:14]
	v_mov_b32_e32 v12, 0
	v_dual_mov_b32 v20, 0 :: v_dual_mov_b32 v13, 0
	v_dual_mov_b32 v14, 0 :: v_dual_mov_b32 v21, 0
	v_mov_b32_e32 v15, 0
	v_mov_b32_e32 v17, v19
	;; [unrolled: 1-line block ×3, first 2 shown]
	s_branch .LBB38_9
.LBB38_8:                               ;   in Loop: Header=BB38_9 Depth=2
	s_wait_alu 0xfffe
	s_or_b32 exec_lo, exec_lo, s15
	s_wait_loadcnt 0x0
	ds_store_b64 v31, v[26:27]
	s_wait_dscnt 0x0
	s_barrier_signal -1
	s_barrier_wait -1
	global_inv scope:SCOPE_SE
	ds_load_b128 v[24:27], v33
	ds_load_2addr_b64 v[34:37], v32 offset1:16
	ds_load_b128 v[38:41], v33 offset:1024
	ds_load_b128 v[42:45], v33 offset:16
	;; [unrolled: 1-line block ×3, first 2 shown]
	v_add_co_u32 v16, vcc_lo, v16, s10
	s_wait_alu 0xfffd
	v_add_co_ci_u32_e64 v17, null, s11, v17, vcc_lo
	v_add_co_u32 v18, vcc_lo, v18, s12
	s_wait_alu 0xfffd
	v_add_co_ci_u32_e64 v19, null, s13, v19, vcc_lo
	s_add_co_i32 s14, s14, 8
	s_wait_alu 0xfffe
	s_cmp_lt_i32 s14, s21
	s_wait_dscnt 0x3
	v_fma_f64 v[22:23], v[34:35], v[24:25], v[22:23]
	v_fma_f64 v[20:21], v[36:37], v[24:25], v[20:21]
	s_wait_dscnt 0x2
	v_fma_f64 v[24:25], v[34:35], v[38:39], v[14:15]
	v_fma_f64 v[34:35], v[36:37], v[38:39], v[12:13]
	ds_load_2addr_b64 v[12:15], v32 offset0:32 offset1:48
	s_wait_dscnt 0x0
	v_fma_f64 v[22:23], v[12:13], v[26:27], v[22:23]
	v_fma_f64 v[20:21], v[14:15], v[26:27], v[20:21]
	v_fma_f64 v[24:25], v[12:13], v[40:41], v[24:25]
	v_fma_f64 v[26:27], v[14:15], v[40:41], v[34:35]
	ds_load_2addr_b64 v[12:15], v32 offset0:64 offset1:80
	s_wait_dscnt 0x0
	v_fma_f64 v[22:23], v[12:13], v[42:43], v[22:23]
	v_fma_f64 v[20:21], v[14:15], v[42:43], v[20:21]
	;; [unrolled: 6-line block ×3, first 2 shown]
	v_fma_f64 v[46:47], v[12:13], v[48:49], v[24:25]
	v_fma_f64 v[48:49], v[14:15], v[48:49], v[26:27]
	ds_load_b128 v[12:15], v33 offset:32
	ds_load_2addr_b64 v[20:23], v32 offset0:128 offset1:144
	ds_load_b128 v[24:27], v33 offset:1056
	ds_load_b128 v[34:37], v33 offset:48
	;; [unrolled: 1-line block ×3, first 2 shown]
	s_wait_dscnt 0x3
	v_fma_f64 v[42:43], v[20:21], v[12:13], v[42:43]
	v_fma_f64 v[12:13], v[22:23], v[12:13], v[44:45]
	s_wait_dscnt 0x2
	v_fma_f64 v[44:45], v[20:21], v[24:25], v[46:47]
	v_fma_f64 v[24:25], v[22:23], v[24:25], v[48:49]
	ds_load_2addr_b64 v[20:23], v32 offset0:160 offset1:176
	s_wait_dscnt 0x0
	v_fma_f64 v[42:43], v[20:21], v[14:15], v[42:43]
	v_fma_f64 v[46:47], v[22:23], v[14:15], v[12:13]
	;; [unrolled: 1-line block ×4, first 2 shown]
	ds_load_2addr_b64 v[12:15], v32 offset0:192 offset1:208
	ds_load_2addr_b64 v[24:27], v32 offset0:224 offset1:240
	s_wait_loadcnt_dscnt 0x0
	s_barrier_signal -1
	s_barrier_wait -1
	global_inv scope:SCOPE_SE
	v_fma_f64 v[42:43], v[12:13], v[34:35], v[42:43]
	v_fma_f64 v[34:35], v[14:15], v[34:35], v[46:47]
	;; [unrolled: 1-line block ×4, first 2 shown]
	s_delay_alu instid0(VALU_DEP_4) | instskip(NEXT) | instid1(VALU_DEP_4)
	v_fma_f64 v[22:23], v[24:25], v[36:37], v[42:43]
	v_fma_f64 v[20:21], v[26:27], v[36:37], v[34:35]
	s_delay_alu instid0(VALU_DEP_4) | instskip(NEXT) | instid1(VALU_DEP_4)
	v_fma_f64 v[14:15], v[24:25], v[40:41], v[12:13]
	v_fma_f64 v[12:13], v[26:27], v[40:41], v[38:39]
	s_cbranch_scc0 .LBB38_13
.LBB38_9:                               ;   Parent Loop BB38_6 Depth=1
                                        ; =>  This Inner Loop Header: Depth=2
	s_wait_alu 0xfffe
	v_add_nc_u32_e32 v24, s14, v29
	s_delay_alu instid0(VALU_DEP_1)
	v_cmp_gt_i32_e32 vcc_lo, s21, v24
	v_mov_b32_e32 v24, 0
	v_mov_b32_e32 v25, 0
	s_and_b32 s26, s0, vcc_lo
	s_wait_alu 0xfffe
	s_and_saveexec_b32 s15, s26
	s_cbranch_execz .LBB38_11
; %bb.10:                               ;   in Loop: Header=BB38_9 Depth=2
	global_load_b64 v[24:25], v[16:17], off
.LBB38_11:                              ;   in Loop: Header=BB38_9 Depth=2
	s_wait_alu 0xfffe
	s_or_b32 exec_lo, exec_lo, s15
	v_add_nc_u32_e32 v26, s14, v28
	s_wait_loadcnt 0x0
	ds_store_b64 v30, v[24:25]
	v_cmp_gt_i32_e32 vcc_lo, s21, v26
	v_mov_b32_e32 v26, 0
	v_mov_b32_e32 v27, 0
	s_and_b32 s26, vcc_lo, s1
	s_wait_alu 0xfffe
	s_and_saveexec_b32 s15, s26
	s_cbranch_execz .LBB38_8
; %bb.12:                               ;   in Loop: Header=BB38_9 Depth=2
	global_load_b64 v[26:27], v[18:19], off
	s_branch .LBB38_8
.LBB38_13:                              ;   in Loop: Header=BB38_6 Depth=1
	s_mul_u64 s[14:15], s[24:25], s[22:23]
	s_wait_alu 0xfffe
	s_lshl_b64 s[14:15], s[14:15], 3
	s_wait_alu 0xfffe
	s_add_nc_u64 s[14:15], s[16:17], s[14:15]
	s_wait_alu 0xfffe
	v_add_co_u32 v18, vcc_lo, s14, v8
	s_wait_alu 0xfffd
	v_add_co_ci_u32_e64 v19, null, s15, v9, vcc_lo
	s_and_saveexec_b32 s26, s31
	s_cbranch_execz .LBB38_17
; %bb.14:                               ;   in Loop: Header=BB38_6 Depth=1
	v_mul_f64_e32 v[16:17], s[8:9], v[22:23]
	s_and_b32 vcc_lo, exec_lo, s30
	s_wait_alu 0xfffe
	s_cbranch_vccz .LBB38_28
; %bb.15:                               ;   in Loop: Header=BB38_6 Depth=1
	v_lshlrev_b64_e32 v[22:23], 3, v[0:1]
	s_delay_alu instid0(VALU_DEP_1) | instskip(SKIP_1) | instid1(VALU_DEP_2)
	v_add_co_u32 v22, vcc_lo, v18, v22
	s_wait_alu 0xfffd
	v_add_co_ci_u32_e64 v23, null, v19, v23, vcc_lo
	global_load_b64 v[24:25], v[22:23], off
	s_wait_loadcnt 0x0
	v_fma_f64 v[24:25], s[6:7], v[24:25], v[16:17]
	global_store_b64 v[22:23], v[24:25], off
	s_cbranch_execnz .LBB38_17
.LBB38_16:                              ;   in Loop: Header=BB38_6 Depth=1
	v_lshlrev_b64_e32 v[22:23], 3, v[0:1]
	s_delay_alu instid0(VALU_DEP_1) | instskip(SKIP_1) | instid1(VALU_DEP_2)
	v_add_co_u32 v22, vcc_lo, v18, v22
	s_wait_alu 0xfffd
	v_add_co_ci_u32_e64 v23, null, v19, v23, vcc_lo
	global_store_b64 v[22:23], v[16:17], off
.LBB38_17:                              ;   in Loop: Header=BB38_6 Depth=1
	s_wait_alu 0xfffe
	s_or_b32 exec_lo, exec_lo, s26
	s_and_saveexec_b32 s26, s33
	s_cbranch_execz .LBB38_21
; %bb.18:                               ;   in Loop: Header=BB38_6 Depth=1
	v_mul_f64_e32 v[16:17], s[8:9], v[20:21]
	s_and_not1_b32 vcc_lo, exec_lo, s30
	s_wait_alu 0xfffe
	s_cbranch_vccnz .LBB38_29
; %bb.19:                               ;   in Loop: Header=BB38_6 Depth=1
	v_lshlrev_b64_e32 v[20:21], 3, v[2:3]
	s_delay_alu instid0(VALU_DEP_1) | instskip(SKIP_1) | instid1(VALU_DEP_2)
	v_add_co_u32 v20, vcc_lo, v18, v20
	s_wait_alu 0xfffd
	v_add_co_ci_u32_e64 v21, null, v19, v21, vcc_lo
	global_load_b64 v[22:23], v[20:21], off
	s_wait_loadcnt 0x0
	v_fma_f64 v[22:23], s[6:7], v[22:23], v[16:17]
	global_store_b64 v[20:21], v[22:23], off
	s_cbranch_execnz .LBB38_21
.LBB38_20:                              ;   in Loop: Header=BB38_6 Depth=1
	v_lshlrev_b64_e32 v[20:21], 3, v[2:3]
	s_delay_alu instid0(VALU_DEP_1) | instskip(SKIP_1) | instid1(VALU_DEP_2)
	v_add_co_u32 v18, vcc_lo, v18, v20
	s_wait_alu 0xfffd
	v_add_co_ci_u32_e64 v19, null, v19, v21, vcc_lo
	global_store_b64 v[18:19], v[16:17], off
.LBB38_21:                              ;   in Loop: Header=BB38_6 Depth=1
	s_wait_alu 0xfffe
	s_or_b32 exec_lo, exec_lo, s26
	v_add_co_u32 v18, vcc_lo, s14, v10
	s_wait_alu 0xfffd
	v_add_co_ci_u32_e64 v19, null, s15, v11, vcc_lo
	s_and_saveexec_b32 s14, s18
	s_cbranch_execz .LBB38_25
; %bb.22:                               ;   in Loop: Header=BB38_6 Depth=1
	v_mul_f64_e32 v[14:15], s[8:9], v[14:15]
	v_lshlrev_b64_e32 v[16:17], 3, v[0:1]
	s_and_not1_b32 vcc_lo, exec_lo, s30
	s_wait_alu 0xfffe
	s_cbranch_vccnz .LBB38_30
; %bb.23:                               ;   in Loop: Header=BB38_6 Depth=1
	s_delay_alu instid0(VALU_DEP_1)
	v_add_co_u32 v20, vcc_lo, v18, v16
	s_wait_alu 0xfffd
	v_add_co_ci_u32_e64 v21, null, v19, v17, vcc_lo
	global_load_b64 v[22:23], v[20:21], off
	s_wait_loadcnt 0x0
	v_fma_f64 v[22:23], s[6:7], v[22:23], v[14:15]
	global_store_b64 v[20:21], v[22:23], off
	s_cbranch_execnz .LBB38_25
.LBB38_24:                              ;   in Loop: Header=BB38_6 Depth=1
	s_delay_alu instid0(VALU_DEP_1)
	v_add_co_u32 v16, vcc_lo, v18, v16
	s_wait_alu 0xfffd
	v_add_co_ci_u32_e64 v17, null, v19, v17, vcc_lo
	global_store_b64 v[16:17], v[14:15], off
.LBB38_25:                              ;   in Loop: Header=BB38_6 Depth=1
	s_wait_alu 0xfffe
	s_or_b32 exec_lo, exec_lo, s14
	s_and_saveexec_b32 s14, s20
	s_cbranch_execz .LBB38_5
; %bb.26:                               ;   in Loop: Header=BB38_6 Depth=1
	v_mul_f64_e32 v[12:13], s[8:9], v[12:13]
	v_lshlrev_b64_e32 v[14:15], 3, v[2:3]
	s_and_not1_b32 vcc_lo, exec_lo, s30
	s_wait_alu 0xfffe
	s_cbranch_vccnz .LBB38_31
; %bb.27:                               ;   in Loop: Header=BB38_6 Depth=1
	s_delay_alu instid0(VALU_DEP_1)
	v_add_co_u32 v16, vcc_lo, v18, v14
	s_wait_alu 0xfffd
	v_add_co_ci_u32_e64 v17, null, v19, v15, vcc_lo
	global_load_b64 v[20:21], v[16:17], off
	s_wait_loadcnt 0x0
	v_fma_f64 v[20:21], s[6:7], v[20:21], v[12:13]
	global_store_b64 v[16:17], v[20:21], off
	s_cbranch_execnz .LBB38_5
	s_branch .LBB38_32
.LBB38_28:                              ;   in Loop: Header=BB38_6 Depth=1
	s_branch .LBB38_16
.LBB38_29:                              ;   in Loop: Header=BB38_6 Depth=1
	s_branch .LBB38_20
.LBB38_30:                              ;   in Loop: Header=BB38_6 Depth=1
	s_branch .LBB38_24
.LBB38_31:                              ;   in Loop: Header=BB38_6 Depth=1
.LBB38_32:                              ;   in Loop: Header=BB38_6 Depth=1
	s_delay_alu instid0(VALU_DEP_1)
	v_add_co_u32 v14, vcc_lo, v18, v14
	s_wait_alu 0xfffd
	v_add_co_ci_u32_e64 v15, null, v19, v15, vcc_lo
	global_store_b64 v[14:15], v[12:13], off
	s_branch .LBB38_5
.LBB38_33:
	s_endpgm
	.section	.rodata,"a",@progbits
	.p2align	6, 0x0
	.amdhsa_kernel _ZL29rocblas_internal_gemmt_kernelIiLi16ELi32ELi8ELc78ELc67ELc85ELb0ELb0EdPKdS1_PdEviT_T9_T10_S3_lS5_S3_lS4_T11_S3_li
		.amdhsa_group_segment_fixed_size 4096
		.amdhsa_private_segment_fixed_size 0
		.amdhsa_kernarg_size 100
		.amdhsa_user_sgpr_count 2
		.amdhsa_user_sgpr_dispatch_ptr 0
		.amdhsa_user_sgpr_queue_ptr 0
		.amdhsa_user_sgpr_kernarg_segment_ptr 1
		.amdhsa_user_sgpr_dispatch_id 0
		.amdhsa_user_sgpr_private_segment_size 0
		.amdhsa_wavefront_size32 1
		.amdhsa_uses_dynamic_stack 0
		.amdhsa_enable_private_segment 0
		.amdhsa_system_sgpr_workgroup_id_x 1
		.amdhsa_system_sgpr_workgroup_id_y 1
		.amdhsa_system_sgpr_workgroup_id_z 1
		.amdhsa_system_sgpr_workgroup_info 0
		.amdhsa_system_vgpr_workitem_id 1
		.amdhsa_next_free_vgpr 50
		.amdhsa_next_free_sgpr 36
		.amdhsa_reserve_vcc 1
		.amdhsa_float_round_mode_32 0
		.amdhsa_float_round_mode_16_64 0
		.amdhsa_float_denorm_mode_32 3
		.amdhsa_float_denorm_mode_16_64 3
		.amdhsa_fp16_overflow 0
		.amdhsa_workgroup_processor_mode 1
		.amdhsa_memory_ordered 1
		.amdhsa_forward_progress 1
		.amdhsa_inst_pref_size 17
		.amdhsa_round_robin_scheduling 0
		.amdhsa_exception_fp_ieee_invalid_op 0
		.amdhsa_exception_fp_denorm_src 0
		.amdhsa_exception_fp_ieee_div_zero 0
		.amdhsa_exception_fp_ieee_overflow 0
		.amdhsa_exception_fp_ieee_underflow 0
		.amdhsa_exception_fp_ieee_inexact 0
		.amdhsa_exception_int_div_zero 0
	.end_amdhsa_kernel
	.section	.text._ZL29rocblas_internal_gemmt_kernelIiLi16ELi32ELi8ELc78ELc67ELc85ELb0ELb0EdPKdS1_PdEviT_T9_T10_S3_lS5_S3_lS4_T11_S3_li,"axG",@progbits,_ZL29rocblas_internal_gemmt_kernelIiLi16ELi32ELi8ELc78ELc67ELc85ELb0ELb0EdPKdS1_PdEviT_T9_T10_S3_lS5_S3_lS4_T11_S3_li,comdat
.Lfunc_end38:
	.size	_ZL29rocblas_internal_gemmt_kernelIiLi16ELi32ELi8ELc78ELc67ELc85ELb0ELb0EdPKdS1_PdEviT_T9_T10_S3_lS5_S3_lS4_T11_S3_li, .Lfunc_end38-_ZL29rocblas_internal_gemmt_kernelIiLi16ELi32ELi8ELc78ELc67ELc85ELb0ELb0EdPKdS1_PdEviT_T9_T10_S3_lS5_S3_lS4_T11_S3_li
                                        ; -- End function
	.set _ZL29rocblas_internal_gemmt_kernelIiLi16ELi32ELi8ELc78ELc67ELc85ELb0ELb0EdPKdS1_PdEviT_T9_T10_S3_lS5_S3_lS4_T11_S3_li.num_vgpr, 50
	.set _ZL29rocblas_internal_gemmt_kernelIiLi16ELi32ELi8ELc78ELc67ELc85ELb0ELb0EdPKdS1_PdEviT_T9_T10_S3_lS5_S3_lS4_T11_S3_li.num_agpr, 0
	.set _ZL29rocblas_internal_gemmt_kernelIiLi16ELi32ELi8ELc78ELc67ELc85ELb0ELb0EdPKdS1_PdEviT_T9_T10_S3_lS5_S3_lS4_T11_S3_li.numbered_sgpr, 36
	.set _ZL29rocblas_internal_gemmt_kernelIiLi16ELi32ELi8ELc78ELc67ELc85ELb0ELb0EdPKdS1_PdEviT_T9_T10_S3_lS5_S3_lS4_T11_S3_li.num_named_barrier, 0
	.set _ZL29rocblas_internal_gemmt_kernelIiLi16ELi32ELi8ELc78ELc67ELc85ELb0ELb0EdPKdS1_PdEviT_T9_T10_S3_lS5_S3_lS4_T11_S3_li.private_seg_size, 0
	.set _ZL29rocblas_internal_gemmt_kernelIiLi16ELi32ELi8ELc78ELc67ELc85ELb0ELb0EdPKdS1_PdEviT_T9_T10_S3_lS5_S3_lS4_T11_S3_li.uses_vcc, 1
	.set _ZL29rocblas_internal_gemmt_kernelIiLi16ELi32ELi8ELc78ELc67ELc85ELb0ELb0EdPKdS1_PdEviT_T9_T10_S3_lS5_S3_lS4_T11_S3_li.uses_flat_scratch, 0
	.set _ZL29rocblas_internal_gemmt_kernelIiLi16ELi32ELi8ELc78ELc67ELc85ELb0ELb0EdPKdS1_PdEviT_T9_T10_S3_lS5_S3_lS4_T11_S3_li.has_dyn_sized_stack, 0
	.set _ZL29rocblas_internal_gemmt_kernelIiLi16ELi32ELi8ELc78ELc67ELc85ELb0ELb0EdPKdS1_PdEviT_T9_T10_S3_lS5_S3_lS4_T11_S3_li.has_recursion, 0
	.set _ZL29rocblas_internal_gemmt_kernelIiLi16ELi32ELi8ELc78ELc67ELc85ELb0ELb0EdPKdS1_PdEviT_T9_T10_S3_lS5_S3_lS4_T11_S3_li.has_indirect_call, 0
	.section	.AMDGPU.csdata,"",@progbits
; Kernel info:
; codeLenInByte = 2060
; TotalNumSgprs: 38
; NumVgprs: 50
; ScratchSize: 0
; MemoryBound: 0
; FloatMode: 240
; IeeeMode: 1
; LDSByteSize: 4096 bytes/workgroup (compile time only)
; SGPRBlocks: 0
; VGPRBlocks: 6
; NumSGPRsForWavesPerEU: 38
; NumVGPRsForWavesPerEU: 50
; Occupancy: 16
; WaveLimiterHint : 0
; COMPUTE_PGM_RSRC2:SCRATCH_EN: 0
; COMPUTE_PGM_RSRC2:USER_SGPR: 2
; COMPUTE_PGM_RSRC2:TRAP_HANDLER: 0
; COMPUTE_PGM_RSRC2:TGID_X_EN: 1
; COMPUTE_PGM_RSRC2:TGID_Y_EN: 1
; COMPUTE_PGM_RSRC2:TGID_Z_EN: 1
; COMPUTE_PGM_RSRC2:TIDIG_COMP_CNT: 1
	.section	.text._ZL29rocblas_internal_gemmt_kernelIiLi16ELi32ELi8ELc84ELc78ELc85ELb0ELb0EdPKdS1_PdEviT_T9_T10_S3_lS5_S3_lS4_T11_S3_li,"axG",@progbits,_ZL29rocblas_internal_gemmt_kernelIiLi16ELi32ELi8ELc84ELc78ELc85ELb0ELb0EdPKdS1_PdEviT_T9_T10_S3_lS5_S3_lS4_T11_S3_li,comdat
	.globl	_ZL29rocblas_internal_gemmt_kernelIiLi16ELi32ELi8ELc84ELc78ELc85ELb0ELb0EdPKdS1_PdEviT_T9_T10_S3_lS5_S3_lS4_T11_S3_li ; -- Begin function _ZL29rocblas_internal_gemmt_kernelIiLi16ELi32ELi8ELc84ELc78ELc85ELb0ELb0EdPKdS1_PdEviT_T9_T10_S3_lS5_S3_lS4_T11_S3_li
	.p2align	8
	.type	_ZL29rocblas_internal_gemmt_kernelIiLi16ELi32ELi8ELc84ELc78ELc85ELb0ELb0EdPKdS1_PdEviT_T9_T10_S3_lS5_S3_lS4_T11_S3_li,@function
_ZL29rocblas_internal_gemmt_kernelIiLi16ELi32ELi8ELc84ELc78ELc85ELb0ELb0EdPKdS1_PdEviT_T9_T10_S3_lS5_S3_lS4_T11_S3_li: ; @_ZL29rocblas_internal_gemmt_kernelIiLi16ELi32ELi8ELc84ELc78ELc85ELb0ELb0EdPKdS1_PdEviT_T9_T10_S3_lS5_S3_lS4_T11_S3_li
; %bb.0:
	s_load_b128 s[4:7], s[0:1], 0x38
	s_wait_kmcnt 0x0
	s_load_b64 s[6:7], s[6:7], 0x0
	s_clause 0x1
	s_load_b128 s[8:11], s[0:1], 0x8
	s_load_b64 s[20:21], s[0:1], 0x0
	s_wait_kmcnt 0x0
	s_load_b64 s[8:9], s[8:9], 0x0
	v_cmp_neq_f64_e64 s2, s[6:7], 1.0
	s_and_b32 vcc_lo, exec_lo, s2
	s_cbranch_vccnz .LBB39_2
; %bb.1:
	s_wait_kmcnt 0x0
	v_cmp_neq_f64_e64 s2, s[8:9], 0
	s_cmp_lg_u32 s21, 0
	s_cselect_b32 s3, -1, 0
	s_delay_alu instid0(SALU_CYCLE_1)
	s_and_b32 s2, s3, s2
.LBB39_2:
	s_delay_alu instid0(SALU_CYCLE_1)
	s_and_not1_b32 vcc_lo, exec_lo, s2
	s_cbranch_vccnz .LBB39_33
; %bb.3:
	s_load_b32 s19, s[0:1], 0x60
	s_lshr_b32 s22, ttmp7, 16
	s_wait_kmcnt 0x0
	s_cmp_ge_u32 s22, s19
	s_cbranch_scc1 .LBB39_33
; %bb.4:
	v_and_b32_e32 v1, 0x3ff, v0
	v_bfe_u32 v2, v0, 10, 10
	v_and_b32_e32 v28, 7, v0
	s_clause 0x4
	s_load_b32 s29, s[0:1], 0x18
	s_load_b128 s[12:15], s[0:1], 0x20
	s_load_b32 s30, s[0:1], 0x30
	s_load_b96 s[16:18], s[0:1], 0x48
	s_load_b64 s[24:25], s[0:1], 0x58
	v_cmp_neq_f64_e64 s31, s[8:9], 0
	s_lshl_b32 s1, ttmp9, 5
	v_lshl_add_u32 v0, v2, 4, v1
	v_lshlrev_b32_e32 v12, 3, v28
	v_cmp_neq_f64_e64 s26, s[6:7], 0
	v_add_nc_u32_e32 v10, s1, v1
	s_lshl_b32 s0, ttmp7, 5
	v_and_b32_e32 v3, 31, v0
	v_lshrrev_b32_e32 v4, 3, v0
	v_lshrrev_b32_e32 v29, 5, v0
	s_wait_alu 0xfffe
	s_and_b32 s2, s0, 0x1fffe0
	v_lshl_add_u32 v33, v2, 6, 0x800
	v_lshlrev_b32_e32 v0, 3, v3
	v_or_b32_e32 v5, s1, v3
	v_lshl_or_b32 v3, v4, 6, v12
	v_add_nc_u32_e32 v8, s2, v4
	v_add_nc_u32_e32 v4, s2, v2
	v_lshl_or_b32 v30, v29, 8, v0
	v_add_nc_u32_e32 v0, 16, v10
	v_add_nc_u32_e32 v31, 0x800, v3
	s_wait_kmcnt 0x0
	v_mad_co_i64_i32 v[2:3], null, s29, v5, 0
	v_cmp_gt_i32_e64 s0, s20, v5
	v_cmp_gt_i32_e32 vcc_lo, s20, v4
	v_cmp_le_i32_e64 s2, v10, v4
	v_cmp_le_i32_e64 s3, v0, v4
	v_mad_co_i64_i32 v[6:7], null, v4, s18, 0
	v_add_nc_u32_e32 v13, 16, v4
	v_mad_co_i64_i32 v[4:5], null, s30, v8, 0
	v_lshlrev_b64_e32 v[2:3], 3, v[2:3]
	v_lshlrev_b32_e32 v14, 3, v29
	s_cmp_gt_i32 s21, 0
	v_cmp_gt_i32_e64 s1, s20, v8
	s_cselect_b32 s33, -1, 0
	s_and_b32 s28, vcc_lo, s3
	v_lshlrev_b64_e32 v[4:5], 3, v[4:5]
	v_mad_co_i64_i32 v[8:9], null, v13, s18, 0
	v_add_co_u32 v2, s3, v2, v14
	s_and_b32 s27, vcc_lo, s2
	v_cmp_gt_i32_e32 vcc_lo, s20, v13
	v_cmp_le_i32_e64 s2, v10, v13
	v_add_co_ci_u32_e64 v3, null, 0, v3, s3
	v_add_co_u32 v4, s3, v4, v12
	v_ashrrev_i32_e32 v11, 31, v10
	s_wait_alu 0xf1ff
	v_add_co_ci_u32_e64 v5, null, 0, v5, s3
	v_add_co_u32 v2, s3, s10, v2
	s_and_b32 s18, vcc_lo, s2
	v_cmp_le_i32_e64 s2, v0, v13
	v_add_co_ci_u32_e64 v3, null, s11, v3, s3
	v_add_co_u32 v4, s3, s14, v4
	v_lshlrev_b64_e32 v[6:7], 3, v[6:7]
	v_lshlrev_b64_e32 v[8:9], 3, v[8:9]
	;; [unrolled: 1-line block ×3, first 2 shown]
	v_lshlrev_b32_e32 v32, 3, v1
	v_ashrrev_i32_e32 v1, 31, v0
	s_wait_alu 0xf1ff
	v_add_co_ci_u32_e64 v5, null, s15, v5, s3
	s_mov_b32 s23, 0
	s_and_b32 s14, s31, s33
	s_and_b32 s15, vcc_lo, s2
	s_lshl_b64 s[2:3], s[12:13], 3
	s_lshl_b64 s[4:5], s[4:5], 3
	s_branch .LBB39_6
.LBB39_5:                               ;   in Loop: Header=BB39_6 Depth=1
	s_wait_alu 0xfffe
	s_or_b32 exec_lo, exec_lo, s10
	s_add_co_i32 s22, s22, 0x10000
	s_wait_alu 0xfffe
	s_cmp_lt_u32 s22, s19
	s_cbranch_scc0 .LBB39_33
.LBB39_6:                               ; =>This Loop Header: Depth=1
                                        ;     Child Loop BB39_9 Depth 2
	v_mov_b32_e32 v22, 0
	v_dual_mov_b32 v14, 0 :: v_dual_mov_b32 v23, 0
	v_dual_mov_b32 v20, 0 :: v_dual_mov_b32 v15, 0
	;; [unrolled: 1-line block ×3, first 2 shown]
	v_mov_b32_e32 v13, 0
	s_wait_alu 0xfffe
	s_and_not1_b32 vcc_lo, exec_lo, s14
	s_wait_alu 0xfffe
	s_cbranch_vccnz .LBB39_13
; %bb.7:                                ;   in Loop: Header=BB39_6 Depth=1
	v_mad_co_u64_u32 v[16:17], null, s2, s22, v[2:3]
	v_mad_co_u64_u32 v[18:19], null, s4, s22, v[4:5]
	s_mov_b32 s10, 0
	v_mov_b32_e32 v22, 0
	v_dual_mov_b32 v23, 0 :: v_dual_mov_b32 v12, v17
	v_mov_b32_e32 v13, v19
	s_delay_alu instid0(VALU_DEP_1)
	v_mad_co_u64_u32 v[19:20], null, s3, s22, v[12:13]
	v_mad_co_u64_u32 v[24:25], null, s5, s22, v[13:14]
	v_mov_b32_e32 v12, 0
	v_dual_mov_b32 v20, 0 :: v_dual_mov_b32 v13, 0
	v_dual_mov_b32 v14, 0 :: v_dual_mov_b32 v21, 0
	v_mov_b32_e32 v15, 0
	v_mov_b32_e32 v17, v19
	;; [unrolled: 1-line block ×3, first 2 shown]
	s_branch .LBB39_9
.LBB39_8:                               ;   in Loop: Header=BB39_9 Depth=2
	s_wait_alu 0xfffe
	s_or_b32 exec_lo, exec_lo, s11
	s_wait_loadcnt 0x0
	ds_store_b64 v31, v[26:27]
	s_wait_dscnt 0x0
	s_barrier_signal -1
	s_barrier_wait -1
	global_inv scope:SCOPE_SE
	ds_load_b128 v[24:27], v33
	ds_load_2addr_b64 v[34:37], v32 offset1:16
	ds_load_b128 v[38:41], v33 offset:1024
	ds_load_b128 v[42:45], v33 offset:16
	;; [unrolled: 1-line block ×3, first 2 shown]
	v_add_co_u32 v16, vcc_lo, v16, 64
	s_wait_alu 0xfffd
	v_add_co_ci_u32_e64 v17, null, 0, v17, vcc_lo
	v_add_co_u32 v18, vcc_lo, v18, 64
	s_wait_alu 0xfffd
	v_add_co_ci_u32_e64 v19, null, 0, v19, vcc_lo
	s_add_co_i32 s10, s10, 8
	s_wait_alu 0xfffe
	s_cmp_lt_i32 s10, s21
	s_wait_dscnt 0x3
	v_fma_f64 v[22:23], v[34:35], v[24:25], v[22:23]
	v_fma_f64 v[20:21], v[36:37], v[24:25], v[20:21]
	s_wait_dscnt 0x2
	v_fma_f64 v[24:25], v[34:35], v[38:39], v[14:15]
	v_fma_f64 v[34:35], v[36:37], v[38:39], v[12:13]
	ds_load_2addr_b64 v[12:15], v32 offset0:32 offset1:48
	s_wait_dscnt 0x0
	v_fma_f64 v[22:23], v[12:13], v[26:27], v[22:23]
	v_fma_f64 v[20:21], v[14:15], v[26:27], v[20:21]
	v_fma_f64 v[24:25], v[12:13], v[40:41], v[24:25]
	v_fma_f64 v[26:27], v[14:15], v[40:41], v[34:35]
	ds_load_2addr_b64 v[12:15], v32 offset0:64 offset1:80
	s_wait_dscnt 0x0
	v_fma_f64 v[22:23], v[12:13], v[42:43], v[22:23]
	v_fma_f64 v[20:21], v[14:15], v[42:43], v[20:21]
	;; [unrolled: 6-line block ×3, first 2 shown]
	v_fma_f64 v[46:47], v[12:13], v[48:49], v[24:25]
	v_fma_f64 v[48:49], v[14:15], v[48:49], v[26:27]
	ds_load_b128 v[12:15], v33 offset:32
	ds_load_2addr_b64 v[20:23], v32 offset0:128 offset1:144
	ds_load_b128 v[24:27], v33 offset:1056
	ds_load_b128 v[34:37], v33 offset:48
	;; [unrolled: 1-line block ×3, first 2 shown]
	s_wait_dscnt 0x3
	v_fma_f64 v[42:43], v[20:21], v[12:13], v[42:43]
	v_fma_f64 v[12:13], v[22:23], v[12:13], v[44:45]
	s_wait_dscnt 0x2
	v_fma_f64 v[44:45], v[20:21], v[24:25], v[46:47]
	v_fma_f64 v[24:25], v[22:23], v[24:25], v[48:49]
	ds_load_2addr_b64 v[20:23], v32 offset0:160 offset1:176
	s_wait_dscnt 0x0
	v_fma_f64 v[42:43], v[20:21], v[14:15], v[42:43]
	v_fma_f64 v[46:47], v[22:23], v[14:15], v[12:13]
	;; [unrolled: 1-line block ×4, first 2 shown]
	ds_load_2addr_b64 v[12:15], v32 offset0:192 offset1:208
	ds_load_2addr_b64 v[24:27], v32 offset0:224 offset1:240
	s_wait_loadcnt_dscnt 0x0
	s_barrier_signal -1
	s_barrier_wait -1
	global_inv scope:SCOPE_SE
	v_fma_f64 v[42:43], v[12:13], v[34:35], v[42:43]
	v_fma_f64 v[34:35], v[14:15], v[34:35], v[46:47]
	;; [unrolled: 1-line block ×4, first 2 shown]
	s_delay_alu instid0(VALU_DEP_4) | instskip(NEXT) | instid1(VALU_DEP_4)
	v_fma_f64 v[22:23], v[24:25], v[36:37], v[42:43]
	v_fma_f64 v[20:21], v[26:27], v[36:37], v[34:35]
	s_delay_alu instid0(VALU_DEP_4) | instskip(NEXT) | instid1(VALU_DEP_4)
	v_fma_f64 v[14:15], v[24:25], v[40:41], v[12:13]
	v_fma_f64 v[12:13], v[26:27], v[40:41], v[38:39]
	s_cbranch_scc0 .LBB39_13
.LBB39_9:                               ;   Parent Loop BB39_6 Depth=1
                                        ; =>  This Inner Loop Header: Depth=2
	s_wait_alu 0xfffe
	v_add_nc_u32_e32 v24, s10, v29
	s_delay_alu instid0(VALU_DEP_1) | instskip(SKIP_3) | instid1(SALU_CYCLE_1)
	v_cmp_gt_i32_e32 vcc_lo, s21, v24
	v_mov_b32_e32 v24, 0
	v_mov_b32_e32 v25, 0
	s_and_b32 s12, s0, vcc_lo
	s_and_saveexec_b32 s11, s12
	s_cbranch_execz .LBB39_11
; %bb.10:                               ;   in Loop: Header=BB39_9 Depth=2
	global_load_b64 v[24:25], v[16:17], off
.LBB39_11:                              ;   in Loop: Header=BB39_9 Depth=2
	s_wait_alu 0xfffe
	s_or_b32 exec_lo, exec_lo, s11
	v_add_nc_u32_e32 v26, s10, v28
	s_wait_loadcnt 0x0
	ds_store_b64 v30, v[24:25]
	v_cmp_gt_i32_e32 vcc_lo, s21, v26
	v_mov_b32_e32 v26, 0
	v_mov_b32_e32 v27, 0
	s_and_b32 s12, vcc_lo, s1
	s_delay_alu instid0(SALU_CYCLE_1)
	s_and_saveexec_b32 s11, s12
	s_cbranch_execz .LBB39_8
; %bb.12:                               ;   in Loop: Header=BB39_9 Depth=2
	global_load_b64 v[26:27], v[18:19], off
	s_branch .LBB39_8
.LBB39_13:                              ;   in Loop: Header=BB39_6 Depth=1
	s_mul_u64 s[10:11], s[24:25], s[22:23]
	s_wait_alu 0xfffe
	s_lshl_b64 s[10:11], s[10:11], 3
	s_wait_alu 0xfffe
	s_add_nc_u64 s[10:11], s[16:17], s[10:11]
	s_wait_alu 0xfffe
	v_add_co_u32 v18, vcc_lo, s10, v6
	s_wait_alu 0xfffd
	v_add_co_ci_u32_e64 v19, null, s11, v7, vcc_lo
	s_and_saveexec_b32 s12, s27
	s_cbranch_execz .LBB39_17
; %bb.14:                               ;   in Loop: Header=BB39_6 Depth=1
	v_mul_f64_e32 v[16:17], s[8:9], v[22:23]
	s_and_b32 vcc_lo, exec_lo, s26
	s_wait_alu 0xfffe
	s_cbranch_vccz .LBB39_28
; %bb.15:                               ;   in Loop: Header=BB39_6 Depth=1
	v_add_co_u32 v22, vcc_lo, v18, v10
	s_wait_alu 0xfffd
	v_add_co_ci_u32_e64 v23, null, v19, v11, vcc_lo
	global_load_b64 v[24:25], v[22:23], off
	s_wait_loadcnt 0x0
	v_fma_f64 v[24:25], s[6:7], v[24:25], v[16:17]
	global_store_b64 v[22:23], v[24:25], off
	s_cbranch_execnz .LBB39_17
.LBB39_16:                              ;   in Loop: Header=BB39_6 Depth=1
	v_add_co_u32 v22, vcc_lo, v18, v10
	s_wait_alu 0xfffd
	v_add_co_ci_u32_e64 v23, null, v19, v11, vcc_lo
	global_store_b64 v[22:23], v[16:17], off
.LBB39_17:                              ;   in Loop: Header=BB39_6 Depth=1
	s_or_b32 exec_lo, exec_lo, s12
	s_and_saveexec_b32 s12, s28
	s_cbranch_execz .LBB39_21
; %bb.18:                               ;   in Loop: Header=BB39_6 Depth=1
	v_mul_f64_e32 v[16:17], s[8:9], v[20:21]
	s_and_not1_b32 vcc_lo, exec_lo, s26
	s_wait_alu 0xfffe
	s_cbranch_vccnz .LBB39_29
; %bb.19:                               ;   in Loop: Header=BB39_6 Depth=1
	v_lshlrev_b64_e32 v[20:21], 3, v[0:1]
	s_delay_alu instid0(VALU_DEP_1) | instskip(SKIP_1) | instid1(VALU_DEP_2)
	v_add_co_u32 v20, vcc_lo, v18, v20
	s_wait_alu 0xfffd
	v_add_co_ci_u32_e64 v21, null, v19, v21, vcc_lo
	global_load_b64 v[22:23], v[20:21], off
	s_wait_loadcnt 0x0
	v_fma_f64 v[22:23], s[6:7], v[22:23], v[16:17]
	global_store_b64 v[20:21], v[22:23], off
	s_cbranch_execnz .LBB39_21
.LBB39_20:                              ;   in Loop: Header=BB39_6 Depth=1
	v_lshlrev_b64_e32 v[20:21], 3, v[0:1]
	s_delay_alu instid0(VALU_DEP_1) | instskip(SKIP_1) | instid1(VALU_DEP_2)
	v_add_co_u32 v18, vcc_lo, v18, v20
	s_wait_alu 0xfffd
	v_add_co_ci_u32_e64 v19, null, v19, v21, vcc_lo
	global_store_b64 v[18:19], v[16:17], off
.LBB39_21:                              ;   in Loop: Header=BB39_6 Depth=1
	s_or_b32 exec_lo, exec_lo, s12
	v_add_co_u32 v16, vcc_lo, s10, v8
	s_wait_alu 0xfffd
	v_add_co_ci_u32_e64 v17, null, s11, v9, vcc_lo
	s_and_saveexec_b32 s10, s18
	s_cbranch_execz .LBB39_25
; %bb.22:                               ;   in Loop: Header=BB39_6 Depth=1
	v_mul_f64_e32 v[14:15], s[8:9], v[14:15]
	s_and_not1_b32 vcc_lo, exec_lo, s26
	s_wait_alu 0xfffe
	s_cbranch_vccnz .LBB39_30
; %bb.23:                               ;   in Loop: Header=BB39_6 Depth=1
	v_add_co_u32 v18, vcc_lo, v16, v10
	s_wait_alu 0xfffd
	v_add_co_ci_u32_e64 v19, null, v17, v11, vcc_lo
	global_load_b64 v[20:21], v[18:19], off
	s_wait_loadcnt 0x0
	v_fma_f64 v[20:21], s[6:7], v[20:21], v[14:15]
	global_store_b64 v[18:19], v[20:21], off
	s_cbranch_execnz .LBB39_25
.LBB39_24:                              ;   in Loop: Header=BB39_6 Depth=1
	v_add_co_u32 v18, vcc_lo, v16, v10
	s_wait_alu 0xfffd
	v_add_co_ci_u32_e64 v19, null, v17, v11, vcc_lo
	global_store_b64 v[18:19], v[14:15], off
.LBB39_25:                              ;   in Loop: Header=BB39_6 Depth=1
	s_wait_alu 0xfffe
	s_or_b32 exec_lo, exec_lo, s10
	s_and_saveexec_b32 s10, s15
	s_cbranch_execz .LBB39_5
; %bb.26:                               ;   in Loop: Header=BB39_6 Depth=1
	v_mul_f64_e32 v[12:13], s[8:9], v[12:13]
	v_lshlrev_b64_e32 v[14:15], 3, v[0:1]
	s_and_not1_b32 vcc_lo, exec_lo, s26
	s_wait_alu 0xfffe
	s_cbranch_vccnz .LBB39_31
; %bb.27:                               ;   in Loop: Header=BB39_6 Depth=1
	s_delay_alu instid0(VALU_DEP_1)
	v_add_co_u32 v18, vcc_lo, v16, v14
	s_wait_alu 0xfffd
	v_add_co_ci_u32_e64 v19, null, v17, v15, vcc_lo
	global_load_b64 v[20:21], v[18:19], off
	s_wait_loadcnt 0x0
	v_fma_f64 v[20:21], s[6:7], v[20:21], v[12:13]
	global_store_b64 v[18:19], v[20:21], off
	s_cbranch_execnz .LBB39_5
	s_branch .LBB39_32
.LBB39_28:                              ;   in Loop: Header=BB39_6 Depth=1
	s_branch .LBB39_16
.LBB39_29:                              ;   in Loop: Header=BB39_6 Depth=1
	s_branch .LBB39_20
.LBB39_30:                              ;   in Loop: Header=BB39_6 Depth=1
	s_branch .LBB39_24
.LBB39_31:                              ;   in Loop: Header=BB39_6 Depth=1
.LBB39_32:                              ;   in Loop: Header=BB39_6 Depth=1
	s_delay_alu instid0(VALU_DEP_1)
	v_add_co_u32 v14, vcc_lo, v16, v14
	s_wait_alu 0xfffd
	v_add_co_ci_u32_e64 v15, null, v17, v15, vcc_lo
	global_store_b64 v[14:15], v[12:13], off
	s_branch .LBB39_5
.LBB39_33:
	s_endpgm
	.section	.rodata,"a",@progbits
	.p2align	6, 0x0
	.amdhsa_kernel _ZL29rocblas_internal_gemmt_kernelIiLi16ELi32ELi8ELc84ELc78ELc85ELb0ELb0EdPKdS1_PdEviT_T9_T10_S3_lS5_S3_lS4_T11_S3_li
		.amdhsa_group_segment_fixed_size 4096
		.amdhsa_private_segment_fixed_size 0
		.amdhsa_kernarg_size 100
		.amdhsa_user_sgpr_count 2
		.amdhsa_user_sgpr_dispatch_ptr 0
		.amdhsa_user_sgpr_queue_ptr 0
		.amdhsa_user_sgpr_kernarg_segment_ptr 1
		.amdhsa_user_sgpr_dispatch_id 0
		.amdhsa_user_sgpr_private_segment_size 0
		.amdhsa_wavefront_size32 1
		.amdhsa_uses_dynamic_stack 0
		.amdhsa_enable_private_segment 0
		.amdhsa_system_sgpr_workgroup_id_x 1
		.amdhsa_system_sgpr_workgroup_id_y 1
		.amdhsa_system_sgpr_workgroup_id_z 1
		.amdhsa_system_sgpr_workgroup_info 0
		.amdhsa_system_vgpr_workitem_id 1
		.amdhsa_next_free_vgpr 50
		.amdhsa_next_free_sgpr 34
		.amdhsa_reserve_vcc 1
		.amdhsa_float_round_mode_32 0
		.amdhsa_float_round_mode_16_64 0
		.amdhsa_float_denorm_mode_32 3
		.amdhsa_float_denorm_mode_16_64 3
		.amdhsa_fp16_overflow 0
		.amdhsa_workgroup_processor_mode 1
		.amdhsa_memory_ordered 1
		.amdhsa_forward_progress 1
		.amdhsa_inst_pref_size 16
		.amdhsa_round_robin_scheduling 0
		.amdhsa_exception_fp_ieee_invalid_op 0
		.amdhsa_exception_fp_denorm_src 0
		.amdhsa_exception_fp_ieee_div_zero 0
		.amdhsa_exception_fp_ieee_overflow 0
		.amdhsa_exception_fp_ieee_underflow 0
		.amdhsa_exception_fp_ieee_inexact 0
		.amdhsa_exception_int_div_zero 0
	.end_amdhsa_kernel
	.section	.text._ZL29rocblas_internal_gemmt_kernelIiLi16ELi32ELi8ELc84ELc78ELc85ELb0ELb0EdPKdS1_PdEviT_T9_T10_S3_lS5_S3_lS4_T11_S3_li,"axG",@progbits,_ZL29rocblas_internal_gemmt_kernelIiLi16ELi32ELi8ELc84ELc78ELc85ELb0ELb0EdPKdS1_PdEviT_T9_T10_S3_lS5_S3_lS4_T11_S3_li,comdat
.Lfunc_end39:
	.size	_ZL29rocblas_internal_gemmt_kernelIiLi16ELi32ELi8ELc84ELc78ELc85ELb0ELb0EdPKdS1_PdEviT_T9_T10_S3_lS5_S3_lS4_T11_S3_li, .Lfunc_end39-_ZL29rocblas_internal_gemmt_kernelIiLi16ELi32ELi8ELc84ELc78ELc85ELb0ELb0EdPKdS1_PdEviT_T9_T10_S3_lS5_S3_lS4_T11_S3_li
                                        ; -- End function
	.set _ZL29rocblas_internal_gemmt_kernelIiLi16ELi32ELi8ELc84ELc78ELc85ELb0ELb0EdPKdS1_PdEviT_T9_T10_S3_lS5_S3_lS4_T11_S3_li.num_vgpr, 50
	.set _ZL29rocblas_internal_gemmt_kernelIiLi16ELi32ELi8ELc84ELc78ELc85ELb0ELb0EdPKdS1_PdEviT_T9_T10_S3_lS5_S3_lS4_T11_S3_li.num_agpr, 0
	.set _ZL29rocblas_internal_gemmt_kernelIiLi16ELi32ELi8ELc84ELc78ELc85ELb0ELb0EdPKdS1_PdEviT_T9_T10_S3_lS5_S3_lS4_T11_S3_li.numbered_sgpr, 34
	.set _ZL29rocblas_internal_gemmt_kernelIiLi16ELi32ELi8ELc84ELc78ELc85ELb0ELb0EdPKdS1_PdEviT_T9_T10_S3_lS5_S3_lS4_T11_S3_li.num_named_barrier, 0
	.set _ZL29rocblas_internal_gemmt_kernelIiLi16ELi32ELi8ELc84ELc78ELc85ELb0ELb0EdPKdS1_PdEviT_T9_T10_S3_lS5_S3_lS4_T11_S3_li.private_seg_size, 0
	.set _ZL29rocblas_internal_gemmt_kernelIiLi16ELi32ELi8ELc84ELc78ELc85ELb0ELb0EdPKdS1_PdEviT_T9_T10_S3_lS5_S3_lS4_T11_S3_li.uses_vcc, 1
	.set _ZL29rocblas_internal_gemmt_kernelIiLi16ELi32ELi8ELc84ELc78ELc85ELb0ELb0EdPKdS1_PdEviT_T9_T10_S3_lS5_S3_lS4_T11_S3_li.uses_flat_scratch, 0
	.set _ZL29rocblas_internal_gemmt_kernelIiLi16ELi32ELi8ELc84ELc78ELc85ELb0ELb0EdPKdS1_PdEviT_T9_T10_S3_lS5_S3_lS4_T11_S3_li.has_dyn_sized_stack, 0
	.set _ZL29rocblas_internal_gemmt_kernelIiLi16ELi32ELi8ELc84ELc78ELc85ELb0ELb0EdPKdS1_PdEviT_T9_T10_S3_lS5_S3_lS4_T11_S3_li.has_recursion, 0
	.set _ZL29rocblas_internal_gemmt_kernelIiLi16ELi32ELi8ELc84ELc78ELc85ELb0ELb0EdPKdS1_PdEviT_T9_T10_S3_lS5_S3_lS4_T11_S3_li.has_indirect_call, 0
	.section	.AMDGPU.csdata,"",@progbits
; Kernel info:
; codeLenInByte = 1992
; TotalNumSgprs: 36
; NumVgprs: 50
; ScratchSize: 0
; MemoryBound: 0
; FloatMode: 240
; IeeeMode: 1
; LDSByteSize: 4096 bytes/workgroup (compile time only)
; SGPRBlocks: 0
; VGPRBlocks: 6
; NumSGPRsForWavesPerEU: 36
; NumVGPRsForWavesPerEU: 50
; Occupancy: 16
; WaveLimiterHint : 0
; COMPUTE_PGM_RSRC2:SCRATCH_EN: 0
; COMPUTE_PGM_RSRC2:USER_SGPR: 2
; COMPUTE_PGM_RSRC2:TRAP_HANDLER: 0
; COMPUTE_PGM_RSRC2:TGID_X_EN: 1
; COMPUTE_PGM_RSRC2:TGID_Y_EN: 1
; COMPUTE_PGM_RSRC2:TGID_Z_EN: 1
; COMPUTE_PGM_RSRC2:TIDIG_COMP_CNT: 1
	.section	.text._ZL29rocblas_internal_gemmt_kernelIiLi16ELi32ELi8ELc84ELc84ELc85ELb0ELb0EdPKdS1_PdEviT_T9_T10_S3_lS5_S3_lS4_T11_S3_li,"axG",@progbits,_ZL29rocblas_internal_gemmt_kernelIiLi16ELi32ELi8ELc84ELc84ELc85ELb0ELb0EdPKdS1_PdEviT_T9_T10_S3_lS5_S3_lS4_T11_S3_li,comdat
	.globl	_ZL29rocblas_internal_gemmt_kernelIiLi16ELi32ELi8ELc84ELc84ELc85ELb0ELb0EdPKdS1_PdEviT_T9_T10_S3_lS5_S3_lS4_T11_S3_li ; -- Begin function _ZL29rocblas_internal_gemmt_kernelIiLi16ELi32ELi8ELc84ELc84ELc85ELb0ELb0EdPKdS1_PdEviT_T9_T10_S3_lS5_S3_lS4_T11_S3_li
	.p2align	8
	.type	_ZL29rocblas_internal_gemmt_kernelIiLi16ELi32ELi8ELc84ELc84ELc85ELb0ELb0EdPKdS1_PdEviT_T9_T10_S3_lS5_S3_lS4_T11_S3_li,@function
_ZL29rocblas_internal_gemmt_kernelIiLi16ELi32ELi8ELc84ELc84ELc85ELb0ELb0EdPKdS1_PdEviT_T9_T10_S3_lS5_S3_lS4_T11_S3_li: ; @_ZL29rocblas_internal_gemmt_kernelIiLi16ELi32ELi8ELc84ELc84ELc85ELb0ELb0EdPKdS1_PdEviT_T9_T10_S3_lS5_S3_lS4_T11_S3_li
; %bb.0:
	s_load_b128 s[4:7], s[0:1], 0x38
	s_wait_kmcnt 0x0
	s_load_b64 s[6:7], s[6:7], 0x0
	s_clause 0x1
	s_load_b128 s[8:11], s[0:1], 0x8
	s_load_b64 s[20:21], s[0:1], 0x0
	s_wait_kmcnt 0x0
	s_load_b64 s[8:9], s[8:9], 0x0
	v_cmp_neq_f64_e64 s2, s[6:7], 1.0
	s_and_b32 vcc_lo, exec_lo, s2
	s_cbranch_vccnz .LBB40_2
; %bb.1:
	s_wait_kmcnt 0x0
	v_cmp_neq_f64_e64 s2, s[8:9], 0
	s_cmp_lg_u32 s21, 0
	s_cselect_b32 s3, -1, 0
	s_delay_alu instid0(SALU_CYCLE_1)
	s_and_b32 s2, s3, s2
.LBB40_2:
	s_delay_alu instid0(SALU_CYCLE_1)
	s_and_not1_b32 vcc_lo, exec_lo, s2
	s_cbranch_vccnz .LBB40_33
; %bb.3:
	s_load_b32 s19, s[0:1], 0x60
	s_lshr_b32 s22, ttmp7, 16
	s_wait_kmcnt 0x0
	s_cmp_ge_u32 s22, s19
	s_cbranch_scc1 .LBB40_33
; %bb.4:
	v_and_b32_e32 v1, 0x3ff, v0
	v_bfe_u32 v2, v0, 10, 10
	v_and_b32_e32 v28, 7, v0
	s_clause 0x4
	s_load_b32 s31, s[0:1], 0x18
	s_load_b128 s[12:15], s[0:1], 0x20
	s_load_b96 s[16:18], s[0:1], 0x48
	s_load_b64 s[24:25], s[0:1], 0x58
	s_load_b32 s26, s[0:1], 0x30
	v_lshl_add_u32 v0, v2, 4, v1
	v_lshlrev_b32_e32 v4, 3, v28
	s_lshl_b32 s0, ttmp7, 5
	s_lshl_b32 s1, ttmp9, 5
	v_cmp_neq_f64_e64 s33, s[8:9], 0
	v_and_b32_e32 v3, 31, v0
	v_lshrrev_b32_e32 v29, 5, v0
	v_lshrrev_b32_e32 v0, 3, v0
	s_and_b32 s2, s0, 0x1fffe0
	v_add_nc_u32_e32 v10, s1, v1
	v_or_b32_e32 v5, s1, v3
	v_lshlrev_b32_e32 v3, 3, v3
	v_add_nc_u32_e32 v12, s2, v0
	v_lshl_or_b32 v0, v0, 6, v4
	v_cmp_neq_f64_e64 s28, s[6:7], 0
	v_lshl_add_u32 v33, v2, 6, 0x800
	v_lshl_or_b32 v30, v29, 8, v3
	v_add_nc_u32_e32 v3, s2, v2
	v_add_nc_u32_e32 v31, 0x800, v0
	v_add_nc_u32_e32 v0, 16, v10
	v_cmp_gt_i32_e64 s0, s20, v5
	s_wait_kmcnt 0x0
	s_ashr_i32 s27, s26, 31
	v_cmp_gt_i32_e32 vcc_lo, s20, v3
	v_cmp_le_i32_e64 s2, v10, v3
	v_cmp_le_i32_e64 s3, v0, v3
	v_mad_co_i64_i32 v[6:7], null, v3, s18, 0
	v_add_nc_u32_e32 v8, 16, v3
	v_mad_co_i64_i32 v[2:3], null, s31, v5, 0
	v_mad_co_i64_i32 v[4:5], null, s26, v28, 0
	s_cmp_gt_i32 s21, 0
	v_lshlrev_b32_e32 v13, 3, v29
	s_cselect_b32 s34, -1, 0
	s_and_b32 s29, vcc_lo, s2
	v_lshlrev_b64_e32 v[2:3], 3, v[2:3]
	s_and_b32 s30, vcc_lo, s3
	v_cmp_gt_i32_e32 vcc_lo, s20, v8
	v_cmp_le_i32_e64 s2, v10, v8
	v_cmp_le_i32_e64 s3, v0, v8
	v_lshlrev_b64_e32 v[4:5], 3, v[4:5]
	v_cmp_gt_i32_e64 s1, s20, v12
	v_lshlrev_b32_e32 v12, 3, v12
	v_mad_co_i64_i32 v[8:9], null, v8, s18, 0
	s_and_b32 s18, vcc_lo, s2
	s_and_b32 s20, vcc_lo, s3
	v_add_co_u32 v2, vcc_lo, v2, v13
	s_delay_alu instid0(VALU_DEP_1)
	v_add_co_ci_u32_e64 v3, null, 0, v3, vcc_lo
	v_add_co_u32 v4, vcc_lo, v4, v12
	v_ashrrev_i32_e32 v11, 31, v10
	s_wait_alu 0xfffd
	v_add_co_ci_u32_e64 v5, null, 0, v5, vcc_lo
	v_add_co_u32 v2, vcc_lo, s10, v2
	s_wait_alu 0xfffd
	v_add_co_ci_u32_e64 v3, null, s11, v3, vcc_lo
	v_add_co_u32 v4, vcc_lo, s14, v4
	v_lshlrev_b64_e32 v[6:7], 3, v[6:7]
	v_lshlrev_b64_e32 v[8:9], 3, v[8:9]
	;; [unrolled: 1-line block ×3, first 2 shown]
	v_lshlrev_b32_e32 v32, 3, v1
	v_ashrrev_i32_e32 v1, 31, v0
	s_wait_alu 0xfffd
	v_add_co_ci_u32_e64 v5, null, s15, v5, vcc_lo
	s_mov_b32 s23, 0
	s_and_b32 s14, s33, s34
	s_lshl_b64 s[2:3], s[12:13], 3
	s_lshl_b64 s[4:5], s[4:5], 3
	;; [unrolled: 1-line block ×3, first 2 shown]
	s_branch .LBB40_6
.LBB40_5:                               ;   in Loop: Header=BB40_6 Depth=1
	s_wait_alu 0xfffe
	s_or_b32 exec_lo, exec_lo, s12
	s_add_co_i32 s22, s22, 0x10000
	s_wait_alu 0xfffe
	s_cmp_lt_u32 s22, s19
	s_cbranch_scc0 .LBB40_33
.LBB40_6:                               ; =>This Loop Header: Depth=1
                                        ;     Child Loop BB40_9 Depth 2
	v_mov_b32_e32 v22, 0
	v_dual_mov_b32 v14, 0 :: v_dual_mov_b32 v23, 0
	v_dual_mov_b32 v20, 0 :: v_dual_mov_b32 v15, 0
	;; [unrolled: 1-line block ×3, first 2 shown]
	v_mov_b32_e32 v13, 0
	s_wait_alu 0xfffe
	s_and_not1_b32 vcc_lo, exec_lo, s14
	s_wait_alu 0xfffe
	s_cbranch_vccnz .LBB40_13
; %bb.7:                                ;   in Loop: Header=BB40_6 Depth=1
	v_mad_co_u64_u32 v[16:17], null, s2, s22, v[2:3]
	v_mad_co_u64_u32 v[18:19], null, s4, s22, v[4:5]
	s_mov_b32 s12, 0
	v_mov_b32_e32 v22, 0
	v_dual_mov_b32 v23, 0 :: v_dual_mov_b32 v12, v17
	v_mov_b32_e32 v13, v19
	s_delay_alu instid0(VALU_DEP_1)
	v_mad_co_u64_u32 v[19:20], null, s3, s22, v[12:13]
	v_mad_co_u64_u32 v[24:25], null, s5, s22, v[13:14]
	v_mov_b32_e32 v12, 0
	v_dual_mov_b32 v20, 0 :: v_dual_mov_b32 v13, 0
	v_dual_mov_b32 v14, 0 :: v_dual_mov_b32 v21, 0
	v_mov_b32_e32 v15, 0
	v_mov_b32_e32 v17, v19
	;; [unrolled: 1-line block ×3, first 2 shown]
	s_branch .LBB40_9
.LBB40_8:                               ;   in Loop: Header=BB40_9 Depth=2
	s_wait_alu 0xfffe
	s_or_b32 exec_lo, exec_lo, s13
	s_wait_loadcnt 0x0
	ds_store_b64 v31, v[26:27]
	s_wait_dscnt 0x0
	s_barrier_signal -1
	s_barrier_wait -1
	global_inv scope:SCOPE_SE
	ds_load_b128 v[24:27], v33
	ds_load_2addr_b64 v[34:37], v32 offset1:16
	ds_load_b128 v[38:41], v33 offset:1024
	ds_load_b128 v[42:45], v33 offset:16
	;; [unrolled: 1-line block ×3, first 2 shown]
	v_add_co_u32 v16, vcc_lo, v16, 64
	s_wait_alu 0xfffd
	v_add_co_ci_u32_e64 v17, null, 0, v17, vcc_lo
	v_add_co_u32 v18, vcc_lo, v18, s10
	s_wait_alu 0xfffd
	v_add_co_ci_u32_e64 v19, null, s11, v19, vcc_lo
	s_add_co_i32 s12, s12, 8
	s_wait_alu 0xfffe
	s_cmp_lt_i32 s12, s21
	s_wait_dscnt 0x3
	v_fma_f64 v[22:23], v[34:35], v[24:25], v[22:23]
	v_fma_f64 v[20:21], v[36:37], v[24:25], v[20:21]
	s_wait_dscnt 0x2
	v_fma_f64 v[24:25], v[34:35], v[38:39], v[14:15]
	v_fma_f64 v[34:35], v[36:37], v[38:39], v[12:13]
	ds_load_2addr_b64 v[12:15], v32 offset0:32 offset1:48
	s_wait_dscnt 0x0
	v_fma_f64 v[22:23], v[12:13], v[26:27], v[22:23]
	v_fma_f64 v[20:21], v[14:15], v[26:27], v[20:21]
	v_fma_f64 v[24:25], v[12:13], v[40:41], v[24:25]
	v_fma_f64 v[26:27], v[14:15], v[40:41], v[34:35]
	ds_load_2addr_b64 v[12:15], v32 offset0:64 offset1:80
	s_wait_dscnt 0x0
	v_fma_f64 v[22:23], v[12:13], v[42:43], v[22:23]
	v_fma_f64 v[20:21], v[14:15], v[42:43], v[20:21]
	;; [unrolled: 6-line block ×3, first 2 shown]
	v_fma_f64 v[46:47], v[12:13], v[48:49], v[24:25]
	v_fma_f64 v[48:49], v[14:15], v[48:49], v[26:27]
	ds_load_b128 v[12:15], v33 offset:32
	ds_load_2addr_b64 v[20:23], v32 offset0:128 offset1:144
	ds_load_b128 v[24:27], v33 offset:1056
	ds_load_b128 v[34:37], v33 offset:48
	;; [unrolled: 1-line block ×3, first 2 shown]
	s_wait_dscnt 0x3
	v_fma_f64 v[42:43], v[20:21], v[12:13], v[42:43]
	v_fma_f64 v[12:13], v[22:23], v[12:13], v[44:45]
	s_wait_dscnt 0x2
	v_fma_f64 v[44:45], v[20:21], v[24:25], v[46:47]
	v_fma_f64 v[24:25], v[22:23], v[24:25], v[48:49]
	ds_load_2addr_b64 v[20:23], v32 offset0:160 offset1:176
	s_wait_dscnt 0x0
	v_fma_f64 v[42:43], v[20:21], v[14:15], v[42:43]
	v_fma_f64 v[46:47], v[22:23], v[14:15], v[12:13]
	;; [unrolled: 1-line block ×4, first 2 shown]
	ds_load_2addr_b64 v[12:15], v32 offset0:192 offset1:208
	ds_load_2addr_b64 v[24:27], v32 offset0:224 offset1:240
	s_wait_loadcnt_dscnt 0x0
	s_barrier_signal -1
	s_barrier_wait -1
	global_inv scope:SCOPE_SE
	v_fma_f64 v[42:43], v[12:13], v[34:35], v[42:43]
	v_fma_f64 v[34:35], v[14:15], v[34:35], v[46:47]
	;; [unrolled: 1-line block ×4, first 2 shown]
	s_delay_alu instid0(VALU_DEP_4) | instskip(NEXT) | instid1(VALU_DEP_4)
	v_fma_f64 v[22:23], v[24:25], v[36:37], v[42:43]
	v_fma_f64 v[20:21], v[26:27], v[36:37], v[34:35]
	s_delay_alu instid0(VALU_DEP_4) | instskip(NEXT) | instid1(VALU_DEP_4)
	v_fma_f64 v[14:15], v[24:25], v[40:41], v[12:13]
	v_fma_f64 v[12:13], v[26:27], v[40:41], v[38:39]
	s_cbranch_scc0 .LBB40_13
.LBB40_9:                               ;   Parent Loop BB40_6 Depth=1
                                        ; =>  This Inner Loop Header: Depth=2
	s_wait_alu 0xfffe
	v_add_nc_u32_e32 v24, s12, v29
	s_delay_alu instid0(VALU_DEP_1)
	v_cmp_gt_i32_e32 vcc_lo, s21, v24
	v_mov_b32_e32 v24, 0
	v_mov_b32_e32 v25, 0
	s_and_b32 s15, s0, vcc_lo
	s_wait_alu 0xfffe
	s_and_saveexec_b32 s13, s15
	s_cbranch_execz .LBB40_11
; %bb.10:                               ;   in Loop: Header=BB40_9 Depth=2
	global_load_b64 v[24:25], v[16:17], off
.LBB40_11:                              ;   in Loop: Header=BB40_9 Depth=2
	s_wait_alu 0xfffe
	s_or_b32 exec_lo, exec_lo, s13
	v_add_nc_u32_e32 v26, s12, v28
	s_wait_loadcnt 0x0
	ds_store_b64 v30, v[24:25]
	v_cmp_gt_i32_e32 vcc_lo, s21, v26
	v_mov_b32_e32 v26, 0
	v_mov_b32_e32 v27, 0
	s_and_b32 s15, vcc_lo, s1
	s_wait_alu 0xfffe
	s_and_saveexec_b32 s13, s15
	s_cbranch_execz .LBB40_8
; %bb.12:                               ;   in Loop: Header=BB40_9 Depth=2
	global_load_b64 v[26:27], v[18:19], off
	s_branch .LBB40_8
.LBB40_13:                              ;   in Loop: Header=BB40_6 Depth=1
	s_mul_u64 s[12:13], s[24:25], s[22:23]
	s_wait_alu 0xfffe
	s_lshl_b64 s[12:13], s[12:13], 3
	s_wait_alu 0xfffe
	s_add_nc_u64 s[12:13], s[16:17], s[12:13]
	s_wait_alu 0xfffe
	v_add_co_u32 v18, vcc_lo, s12, v6
	s_wait_alu 0xfffd
	v_add_co_ci_u32_e64 v19, null, s13, v7, vcc_lo
	s_and_saveexec_b32 s15, s29
	s_cbranch_execz .LBB40_17
; %bb.14:                               ;   in Loop: Header=BB40_6 Depth=1
	v_mul_f64_e32 v[16:17], s[8:9], v[22:23]
	s_and_b32 vcc_lo, exec_lo, s28
	s_wait_alu 0xfffe
	s_cbranch_vccz .LBB40_28
; %bb.15:                               ;   in Loop: Header=BB40_6 Depth=1
	v_add_co_u32 v22, vcc_lo, v18, v10
	s_wait_alu 0xfffd
	v_add_co_ci_u32_e64 v23, null, v19, v11, vcc_lo
	global_load_b64 v[24:25], v[22:23], off
	s_wait_loadcnt 0x0
	v_fma_f64 v[24:25], s[6:7], v[24:25], v[16:17]
	global_store_b64 v[22:23], v[24:25], off
	s_cbranch_execnz .LBB40_17
.LBB40_16:                              ;   in Loop: Header=BB40_6 Depth=1
	v_add_co_u32 v22, vcc_lo, v18, v10
	s_wait_alu 0xfffd
	v_add_co_ci_u32_e64 v23, null, v19, v11, vcc_lo
	global_store_b64 v[22:23], v[16:17], off
.LBB40_17:                              ;   in Loop: Header=BB40_6 Depth=1
	s_wait_alu 0xfffe
	s_or_b32 exec_lo, exec_lo, s15
	s_and_saveexec_b32 s15, s30
	s_cbranch_execz .LBB40_21
; %bb.18:                               ;   in Loop: Header=BB40_6 Depth=1
	v_mul_f64_e32 v[16:17], s[8:9], v[20:21]
	s_and_not1_b32 vcc_lo, exec_lo, s28
	s_wait_alu 0xfffe
	s_cbranch_vccnz .LBB40_29
; %bb.19:                               ;   in Loop: Header=BB40_6 Depth=1
	v_lshlrev_b64_e32 v[20:21], 3, v[0:1]
	s_delay_alu instid0(VALU_DEP_1) | instskip(SKIP_1) | instid1(VALU_DEP_2)
	v_add_co_u32 v20, vcc_lo, v18, v20
	s_wait_alu 0xfffd
	v_add_co_ci_u32_e64 v21, null, v19, v21, vcc_lo
	global_load_b64 v[22:23], v[20:21], off
	s_wait_loadcnt 0x0
	v_fma_f64 v[22:23], s[6:7], v[22:23], v[16:17]
	global_store_b64 v[20:21], v[22:23], off
	s_cbranch_execnz .LBB40_21
.LBB40_20:                              ;   in Loop: Header=BB40_6 Depth=1
	v_lshlrev_b64_e32 v[20:21], 3, v[0:1]
	s_delay_alu instid0(VALU_DEP_1) | instskip(SKIP_1) | instid1(VALU_DEP_2)
	v_add_co_u32 v18, vcc_lo, v18, v20
	s_wait_alu 0xfffd
	v_add_co_ci_u32_e64 v19, null, v19, v21, vcc_lo
	global_store_b64 v[18:19], v[16:17], off
.LBB40_21:                              ;   in Loop: Header=BB40_6 Depth=1
	s_wait_alu 0xfffe
	s_or_b32 exec_lo, exec_lo, s15
	v_add_co_u32 v16, vcc_lo, s12, v8
	s_wait_alu 0xfffd
	v_add_co_ci_u32_e64 v17, null, s13, v9, vcc_lo
	s_and_saveexec_b32 s12, s18
	s_cbranch_execz .LBB40_25
; %bb.22:                               ;   in Loop: Header=BB40_6 Depth=1
	v_mul_f64_e32 v[14:15], s[8:9], v[14:15]
	s_and_not1_b32 vcc_lo, exec_lo, s28
	s_wait_alu 0xfffe
	s_cbranch_vccnz .LBB40_30
; %bb.23:                               ;   in Loop: Header=BB40_6 Depth=1
	v_add_co_u32 v18, vcc_lo, v16, v10
	s_wait_alu 0xfffd
	v_add_co_ci_u32_e64 v19, null, v17, v11, vcc_lo
	global_load_b64 v[20:21], v[18:19], off
	s_wait_loadcnt 0x0
	v_fma_f64 v[20:21], s[6:7], v[20:21], v[14:15]
	global_store_b64 v[18:19], v[20:21], off
	s_cbranch_execnz .LBB40_25
.LBB40_24:                              ;   in Loop: Header=BB40_6 Depth=1
	v_add_co_u32 v18, vcc_lo, v16, v10
	s_wait_alu 0xfffd
	v_add_co_ci_u32_e64 v19, null, v17, v11, vcc_lo
	global_store_b64 v[18:19], v[14:15], off
.LBB40_25:                              ;   in Loop: Header=BB40_6 Depth=1
	s_wait_alu 0xfffe
	s_or_b32 exec_lo, exec_lo, s12
	s_and_saveexec_b32 s12, s20
	s_cbranch_execz .LBB40_5
; %bb.26:                               ;   in Loop: Header=BB40_6 Depth=1
	v_mul_f64_e32 v[12:13], s[8:9], v[12:13]
	v_lshlrev_b64_e32 v[14:15], 3, v[0:1]
	s_and_not1_b32 vcc_lo, exec_lo, s28
	s_wait_alu 0xfffe
	s_cbranch_vccnz .LBB40_31
; %bb.27:                               ;   in Loop: Header=BB40_6 Depth=1
	s_delay_alu instid0(VALU_DEP_1)
	v_add_co_u32 v18, vcc_lo, v16, v14
	s_wait_alu 0xfffd
	v_add_co_ci_u32_e64 v19, null, v17, v15, vcc_lo
	global_load_b64 v[20:21], v[18:19], off
	s_wait_loadcnt 0x0
	v_fma_f64 v[20:21], s[6:7], v[20:21], v[12:13]
	global_store_b64 v[18:19], v[20:21], off
	s_cbranch_execnz .LBB40_5
	s_branch .LBB40_32
.LBB40_28:                              ;   in Loop: Header=BB40_6 Depth=1
	s_branch .LBB40_16
.LBB40_29:                              ;   in Loop: Header=BB40_6 Depth=1
	s_branch .LBB40_20
.LBB40_30:                              ;   in Loop: Header=BB40_6 Depth=1
	s_branch .LBB40_24
.LBB40_31:                              ;   in Loop: Header=BB40_6 Depth=1
.LBB40_32:                              ;   in Loop: Header=BB40_6 Depth=1
	s_delay_alu instid0(VALU_DEP_1)
	v_add_co_u32 v14, vcc_lo, v16, v14
	s_wait_alu 0xfffd
	v_add_co_ci_u32_e64 v15, null, v17, v15, vcc_lo
	global_store_b64 v[14:15], v[12:13], off
	s_branch .LBB40_5
.LBB40_33:
	s_endpgm
	.section	.rodata,"a",@progbits
	.p2align	6, 0x0
	.amdhsa_kernel _ZL29rocblas_internal_gemmt_kernelIiLi16ELi32ELi8ELc84ELc84ELc85ELb0ELb0EdPKdS1_PdEviT_T9_T10_S3_lS5_S3_lS4_T11_S3_li
		.amdhsa_group_segment_fixed_size 4096
		.amdhsa_private_segment_fixed_size 0
		.amdhsa_kernarg_size 100
		.amdhsa_user_sgpr_count 2
		.amdhsa_user_sgpr_dispatch_ptr 0
		.amdhsa_user_sgpr_queue_ptr 0
		.amdhsa_user_sgpr_kernarg_segment_ptr 1
		.amdhsa_user_sgpr_dispatch_id 0
		.amdhsa_user_sgpr_private_segment_size 0
		.amdhsa_wavefront_size32 1
		.amdhsa_uses_dynamic_stack 0
		.amdhsa_enable_private_segment 0
		.amdhsa_system_sgpr_workgroup_id_x 1
		.amdhsa_system_sgpr_workgroup_id_y 1
		.amdhsa_system_sgpr_workgroup_id_z 1
		.amdhsa_system_sgpr_workgroup_info 0
		.amdhsa_system_vgpr_workitem_id 1
		.amdhsa_next_free_vgpr 50
		.amdhsa_next_free_sgpr 35
		.amdhsa_reserve_vcc 1
		.amdhsa_float_round_mode_32 0
		.amdhsa_float_round_mode_16_64 0
		.amdhsa_float_denorm_mode_32 3
		.amdhsa_float_denorm_mode_16_64 3
		.amdhsa_fp16_overflow 0
		.amdhsa_workgroup_processor_mode 1
		.amdhsa_memory_ordered 1
		.amdhsa_forward_progress 1
		.amdhsa_inst_pref_size 16
		.amdhsa_round_robin_scheduling 0
		.amdhsa_exception_fp_ieee_invalid_op 0
		.amdhsa_exception_fp_denorm_src 0
		.amdhsa_exception_fp_ieee_div_zero 0
		.amdhsa_exception_fp_ieee_overflow 0
		.amdhsa_exception_fp_ieee_underflow 0
		.amdhsa_exception_fp_ieee_inexact 0
		.amdhsa_exception_int_div_zero 0
	.end_amdhsa_kernel
	.section	.text._ZL29rocblas_internal_gemmt_kernelIiLi16ELi32ELi8ELc84ELc84ELc85ELb0ELb0EdPKdS1_PdEviT_T9_T10_S3_lS5_S3_lS4_T11_S3_li,"axG",@progbits,_ZL29rocblas_internal_gemmt_kernelIiLi16ELi32ELi8ELc84ELc84ELc85ELb0ELb0EdPKdS1_PdEviT_T9_T10_S3_lS5_S3_lS4_T11_S3_li,comdat
.Lfunc_end40:
	.size	_ZL29rocblas_internal_gemmt_kernelIiLi16ELi32ELi8ELc84ELc84ELc85ELb0ELb0EdPKdS1_PdEviT_T9_T10_S3_lS5_S3_lS4_T11_S3_li, .Lfunc_end40-_ZL29rocblas_internal_gemmt_kernelIiLi16ELi32ELi8ELc84ELc84ELc85ELb0ELb0EdPKdS1_PdEviT_T9_T10_S3_lS5_S3_lS4_T11_S3_li
                                        ; -- End function
	.set _ZL29rocblas_internal_gemmt_kernelIiLi16ELi32ELi8ELc84ELc84ELc85ELb0ELb0EdPKdS1_PdEviT_T9_T10_S3_lS5_S3_lS4_T11_S3_li.num_vgpr, 50
	.set _ZL29rocblas_internal_gemmt_kernelIiLi16ELi32ELi8ELc84ELc84ELc85ELb0ELb0EdPKdS1_PdEviT_T9_T10_S3_lS5_S3_lS4_T11_S3_li.num_agpr, 0
	.set _ZL29rocblas_internal_gemmt_kernelIiLi16ELi32ELi8ELc84ELc84ELc85ELb0ELb0EdPKdS1_PdEviT_T9_T10_S3_lS5_S3_lS4_T11_S3_li.numbered_sgpr, 35
	.set _ZL29rocblas_internal_gemmt_kernelIiLi16ELi32ELi8ELc84ELc84ELc85ELb0ELb0EdPKdS1_PdEviT_T9_T10_S3_lS5_S3_lS4_T11_S3_li.num_named_barrier, 0
	.set _ZL29rocblas_internal_gemmt_kernelIiLi16ELi32ELi8ELc84ELc84ELc85ELb0ELb0EdPKdS1_PdEviT_T9_T10_S3_lS5_S3_lS4_T11_S3_li.private_seg_size, 0
	.set _ZL29rocblas_internal_gemmt_kernelIiLi16ELi32ELi8ELc84ELc84ELc85ELb0ELb0EdPKdS1_PdEviT_T9_T10_S3_lS5_S3_lS4_T11_S3_li.uses_vcc, 1
	.set _ZL29rocblas_internal_gemmt_kernelIiLi16ELi32ELi8ELc84ELc84ELc85ELb0ELb0EdPKdS1_PdEviT_T9_T10_S3_lS5_S3_lS4_T11_S3_li.uses_flat_scratch, 0
	.set _ZL29rocblas_internal_gemmt_kernelIiLi16ELi32ELi8ELc84ELc84ELc85ELb0ELb0EdPKdS1_PdEviT_T9_T10_S3_lS5_S3_lS4_T11_S3_li.has_dyn_sized_stack, 0
	.set _ZL29rocblas_internal_gemmt_kernelIiLi16ELi32ELi8ELc84ELc84ELc85ELb0ELb0EdPKdS1_PdEviT_T9_T10_S3_lS5_S3_lS4_T11_S3_li.has_recursion, 0
	.set _ZL29rocblas_internal_gemmt_kernelIiLi16ELi32ELi8ELc84ELc84ELc85ELb0ELb0EdPKdS1_PdEviT_T9_T10_S3_lS5_S3_lS4_T11_S3_li.has_indirect_call, 0
	.section	.AMDGPU.csdata,"",@progbits
; Kernel info:
; codeLenInByte = 2020
; TotalNumSgprs: 37
; NumVgprs: 50
; ScratchSize: 0
; MemoryBound: 0
; FloatMode: 240
; IeeeMode: 1
; LDSByteSize: 4096 bytes/workgroup (compile time only)
; SGPRBlocks: 0
; VGPRBlocks: 6
; NumSGPRsForWavesPerEU: 37
; NumVGPRsForWavesPerEU: 50
; Occupancy: 16
; WaveLimiterHint : 0
; COMPUTE_PGM_RSRC2:SCRATCH_EN: 0
; COMPUTE_PGM_RSRC2:USER_SGPR: 2
; COMPUTE_PGM_RSRC2:TRAP_HANDLER: 0
; COMPUTE_PGM_RSRC2:TGID_X_EN: 1
; COMPUTE_PGM_RSRC2:TGID_Y_EN: 1
; COMPUTE_PGM_RSRC2:TGID_Z_EN: 1
; COMPUTE_PGM_RSRC2:TIDIG_COMP_CNT: 1
	.section	.text._ZL29rocblas_internal_gemmt_kernelIiLi16ELi32ELi8ELc84ELc67ELc85ELb0ELb0EdPKdS1_PdEviT_T9_T10_S3_lS5_S3_lS4_T11_S3_li,"axG",@progbits,_ZL29rocblas_internal_gemmt_kernelIiLi16ELi32ELi8ELc84ELc67ELc85ELb0ELb0EdPKdS1_PdEviT_T9_T10_S3_lS5_S3_lS4_T11_S3_li,comdat
	.globl	_ZL29rocblas_internal_gemmt_kernelIiLi16ELi32ELi8ELc84ELc67ELc85ELb0ELb0EdPKdS1_PdEviT_T9_T10_S3_lS5_S3_lS4_T11_S3_li ; -- Begin function _ZL29rocblas_internal_gemmt_kernelIiLi16ELi32ELi8ELc84ELc67ELc85ELb0ELb0EdPKdS1_PdEviT_T9_T10_S3_lS5_S3_lS4_T11_S3_li
	.p2align	8
	.type	_ZL29rocblas_internal_gemmt_kernelIiLi16ELi32ELi8ELc84ELc67ELc85ELb0ELb0EdPKdS1_PdEviT_T9_T10_S3_lS5_S3_lS4_T11_S3_li,@function
_ZL29rocblas_internal_gemmt_kernelIiLi16ELi32ELi8ELc84ELc67ELc85ELb0ELb0EdPKdS1_PdEviT_T9_T10_S3_lS5_S3_lS4_T11_S3_li: ; @_ZL29rocblas_internal_gemmt_kernelIiLi16ELi32ELi8ELc84ELc67ELc85ELb0ELb0EdPKdS1_PdEviT_T9_T10_S3_lS5_S3_lS4_T11_S3_li
; %bb.0:
	s_load_b128 s[4:7], s[0:1], 0x38
	s_wait_kmcnt 0x0
	s_load_b64 s[6:7], s[6:7], 0x0
	s_clause 0x1
	s_load_b128 s[8:11], s[0:1], 0x8
	s_load_b64 s[20:21], s[0:1], 0x0
	s_wait_kmcnt 0x0
	s_load_b64 s[8:9], s[8:9], 0x0
	v_cmp_neq_f64_e64 s2, s[6:7], 1.0
	s_and_b32 vcc_lo, exec_lo, s2
	s_cbranch_vccnz .LBB41_2
; %bb.1:
	s_wait_kmcnt 0x0
	v_cmp_neq_f64_e64 s2, s[8:9], 0
	s_cmp_lg_u32 s21, 0
	s_cselect_b32 s3, -1, 0
	s_delay_alu instid0(SALU_CYCLE_1)
	s_and_b32 s2, s3, s2
.LBB41_2:
	s_delay_alu instid0(SALU_CYCLE_1)
	s_and_not1_b32 vcc_lo, exec_lo, s2
	s_cbranch_vccnz .LBB41_33
; %bb.3:
	s_load_b32 s19, s[0:1], 0x60
	s_lshr_b32 s22, ttmp7, 16
	s_wait_kmcnt 0x0
	s_cmp_ge_u32 s22, s19
	s_cbranch_scc1 .LBB41_33
; %bb.4:
	v_and_b32_e32 v1, 0x3ff, v0
	v_bfe_u32 v2, v0, 10, 10
	v_and_b32_e32 v28, 7, v0
	s_clause 0x4
	s_load_b32 s31, s[0:1], 0x18
	s_load_b128 s[12:15], s[0:1], 0x20
	s_load_b96 s[16:18], s[0:1], 0x48
	s_load_b64 s[24:25], s[0:1], 0x58
	s_load_b32 s26, s[0:1], 0x30
	v_lshl_add_u32 v0, v2, 4, v1
	v_lshlrev_b32_e32 v4, 3, v28
	s_lshl_b32 s0, ttmp7, 5
	s_lshl_b32 s1, ttmp9, 5
	v_cmp_neq_f64_e64 s33, s[8:9], 0
	v_and_b32_e32 v3, 31, v0
	v_lshrrev_b32_e32 v29, 5, v0
	v_lshrrev_b32_e32 v0, 3, v0
	s_and_b32 s2, s0, 0x1fffe0
	v_add_nc_u32_e32 v10, s1, v1
	v_or_b32_e32 v5, s1, v3
	v_lshlrev_b32_e32 v3, 3, v3
	v_add_nc_u32_e32 v12, s2, v0
	v_lshl_or_b32 v0, v0, 6, v4
	v_cmp_neq_f64_e64 s28, s[6:7], 0
	v_lshl_add_u32 v33, v2, 6, 0x800
	v_lshl_or_b32 v30, v29, 8, v3
	v_add_nc_u32_e32 v3, s2, v2
	v_add_nc_u32_e32 v31, 0x800, v0
	;; [unrolled: 1-line block ×3, first 2 shown]
	v_cmp_gt_i32_e64 s0, s20, v5
	s_wait_kmcnt 0x0
	s_ashr_i32 s27, s26, 31
	v_cmp_gt_i32_e32 vcc_lo, s20, v3
	v_cmp_le_i32_e64 s2, v10, v3
	v_cmp_le_i32_e64 s3, v0, v3
	v_mad_co_i64_i32 v[6:7], null, v3, s18, 0
	v_add_nc_u32_e32 v8, 16, v3
	v_mad_co_i64_i32 v[2:3], null, s31, v5, 0
	v_mad_co_i64_i32 v[4:5], null, s26, v28, 0
	s_cmp_gt_i32 s21, 0
	v_lshlrev_b32_e32 v13, 3, v29
	s_cselect_b32 s34, -1, 0
	s_and_b32 s29, vcc_lo, s2
	v_lshlrev_b64_e32 v[2:3], 3, v[2:3]
	s_and_b32 s30, vcc_lo, s3
	v_cmp_gt_i32_e32 vcc_lo, s20, v8
	v_cmp_le_i32_e64 s2, v10, v8
	v_cmp_le_i32_e64 s3, v0, v8
	v_lshlrev_b64_e32 v[4:5], 3, v[4:5]
	v_cmp_gt_i32_e64 s1, s20, v12
	v_lshlrev_b32_e32 v12, 3, v12
	v_mad_co_i64_i32 v[8:9], null, v8, s18, 0
	s_and_b32 s18, vcc_lo, s2
	s_and_b32 s20, vcc_lo, s3
	v_add_co_u32 v2, vcc_lo, v2, v13
	s_delay_alu instid0(VALU_DEP_1)
	v_add_co_ci_u32_e64 v3, null, 0, v3, vcc_lo
	v_add_co_u32 v4, vcc_lo, v4, v12
	v_ashrrev_i32_e32 v11, 31, v10
	s_wait_alu 0xfffd
	v_add_co_ci_u32_e64 v5, null, 0, v5, vcc_lo
	v_add_co_u32 v2, vcc_lo, s10, v2
	s_wait_alu 0xfffd
	v_add_co_ci_u32_e64 v3, null, s11, v3, vcc_lo
	v_add_co_u32 v4, vcc_lo, s14, v4
	v_lshlrev_b64_e32 v[6:7], 3, v[6:7]
	v_lshlrev_b64_e32 v[8:9], 3, v[8:9]
	;; [unrolled: 1-line block ×3, first 2 shown]
	v_lshlrev_b32_e32 v32, 3, v1
	v_ashrrev_i32_e32 v1, 31, v0
	s_wait_alu 0xfffd
	v_add_co_ci_u32_e64 v5, null, s15, v5, vcc_lo
	s_mov_b32 s23, 0
	s_and_b32 s14, s33, s34
	s_lshl_b64 s[2:3], s[12:13], 3
	s_lshl_b64 s[4:5], s[4:5], 3
	;; [unrolled: 1-line block ×3, first 2 shown]
	s_branch .LBB41_6
.LBB41_5:                               ;   in Loop: Header=BB41_6 Depth=1
	s_wait_alu 0xfffe
	s_or_b32 exec_lo, exec_lo, s12
	s_add_co_i32 s22, s22, 0x10000
	s_wait_alu 0xfffe
	s_cmp_lt_u32 s22, s19
	s_cbranch_scc0 .LBB41_33
.LBB41_6:                               ; =>This Loop Header: Depth=1
                                        ;     Child Loop BB41_9 Depth 2
	v_mov_b32_e32 v22, 0
	v_dual_mov_b32 v14, 0 :: v_dual_mov_b32 v23, 0
	v_dual_mov_b32 v20, 0 :: v_dual_mov_b32 v15, 0
	;; [unrolled: 1-line block ×3, first 2 shown]
	v_mov_b32_e32 v13, 0
	s_wait_alu 0xfffe
	s_and_not1_b32 vcc_lo, exec_lo, s14
	s_wait_alu 0xfffe
	s_cbranch_vccnz .LBB41_13
; %bb.7:                                ;   in Loop: Header=BB41_6 Depth=1
	v_mad_co_u64_u32 v[16:17], null, s2, s22, v[2:3]
	v_mad_co_u64_u32 v[18:19], null, s4, s22, v[4:5]
	s_mov_b32 s12, 0
	v_mov_b32_e32 v22, 0
	v_dual_mov_b32 v23, 0 :: v_dual_mov_b32 v12, v17
	v_mov_b32_e32 v13, v19
	s_delay_alu instid0(VALU_DEP_1)
	v_mad_co_u64_u32 v[19:20], null, s3, s22, v[12:13]
	v_mad_co_u64_u32 v[24:25], null, s5, s22, v[13:14]
	v_mov_b32_e32 v12, 0
	v_dual_mov_b32 v20, 0 :: v_dual_mov_b32 v13, 0
	v_dual_mov_b32 v14, 0 :: v_dual_mov_b32 v21, 0
	v_mov_b32_e32 v15, 0
	v_mov_b32_e32 v17, v19
	;; [unrolled: 1-line block ×3, first 2 shown]
	s_branch .LBB41_9
.LBB41_8:                               ;   in Loop: Header=BB41_9 Depth=2
	s_wait_alu 0xfffe
	s_or_b32 exec_lo, exec_lo, s13
	s_wait_loadcnt 0x0
	ds_store_b64 v31, v[26:27]
	s_wait_dscnt 0x0
	s_barrier_signal -1
	s_barrier_wait -1
	global_inv scope:SCOPE_SE
	ds_load_b128 v[24:27], v33
	ds_load_2addr_b64 v[34:37], v32 offset1:16
	ds_load_b128 v[38:41], v33 offset:1024
	ds_load_b128 v[42:45], v33 offset:16
	;; [unrolled: 1-line block ×3, first 2 shown]
	v_add_co_u32 v16, vcc_lo, v16, 64
	s_wait_alu 0xfffd
	v_add_co_ci_u32_e64 v17, null, 0, v17, vcc_lo
	v_add_co_u32 v18, vcc_lo, v18, s10
	s_wait_alu 0xfffd
	v_add_co_ci_u32_e64 v19, null, s11, v19, vcc_lo
	s_add_co_i32 s12, s12, 8
	s_wait_alu 0xfffe
	s_cmp_lt_i32 s12, s21
	s_wait_dscnt 0x3
	v_fma_f64 v[22:23], v[34:35], v[24:25], v[22:23]
	v_fma_f64 v[20:21], v[36:37], v[24:25], v[20:21]
	s_wait_dscnt 0x2
	v_fma_f64 v[24:25], v[34:35], v[38:39], v[14:15]
	v_fma_f64 v[34:35], v[36:37], v[38:39], v[12:13]
	ds_load_2addr_b64 v[12:15], v32 offset0:32 offset1:48
	s_wait_dscnt 0x0
	v_fma_f64 v[22:23], v[12:13], v[26:27], v[22:23]
	v_fma_f64 v[20:21], v[14:15], v[26:27], v[20:21]
	v_fma_f64 v[24:25], v[12:13], v[40:41], v[24:25]
	v_fma_f64 v[26:27], v[14:15], v[40:41], v[34:35]
	ds_load_2addr_b64 v[12:15], v32 offset0:64 offset1:80
	s_wait_dscnt 0x0
	v_fma_f64 v[22:23], v[12:13], v[42:43], v[22:23]
	v_fma_f64 v[20:21], v[14:15], v[42:43], v[20:21]
	;; [unrolled: 6-line block ×3, first 2 shown]
	v_fma_f64 v[46:47], v[12:13], v[48:49], v[24:25]
	v_fma_f64 v[48:49], v[14:15], v[48:49], v[26:27]
	ds_load_b128 v[12:15], v33 offset:32
	ds_load_2addr_b64 v[20:23], v32 offset0:128 offset1:144
	ds_load_b128 v[24:27], v33 offset:1056
	ds_load_b128 v[34:37], v33 offset:48
	;; [unrolled: 1-line block ×3, first 2 shown]
	s_wait_dscnt 0x3
	v_fma_f64 v[42:43], v[20:21], v[12:13], v[42:43]
	v_fma_f64 v[12:13], v[22:23], v[12:13], v[44:45]
	s_wait_dscnt 0x2
	v_fma_f64 v[44:45], v[20:21], v[24:25], v[46:47]
	v_fma_f64 v[24:25], v[22:23], v[24:25], v[48:49]
	ds_load_2addr_b64 v[20:23], v32 offset0:160 offset1:176
	s_wait_dscnt 0x0
	v_fma_f64 v[42:43], v[20:21], v[14:15], v[42:43]
	v_fma_f64 v[46:47], v[22:23], v[14:15], v[12:13]
	;; [unrolled: 1-line block ×4, first 2 shown]
	ds_load_2addr_b64 v[12:15], v32 offset0:192 offset1:208
	ds_load_2addr_b64 v[24:27], v32 offset0:224 offset1:240
	s_wait_loadcnt_dscnt 0x0
	s_barrier_signal -1
	s_barrier_wait -1
	global_inv scope:SCOPE_SE
	v_fma_f64 v[42:43], v[12:13], v[34:35], v[42:43]
	v_fma_f64 v[34:35], v[14:15], v[34:35], v[46:47]
	;; [unrolled: 1-line block ×4, first 2 shown]
	s_delay_alu instid0(VALU_DEP_4) | instskip(NEXT) | instid1(VALU_DEP_4)
	v_fma_f64 v[22:23], v[24:25], v[36:37], v[42:43]
	v_fma_f64 v[20:21], v[26:27], v[36:37], v[34:35]
	s_delay_alu instid0(VALU_DEP_4) | instskip(NEXT) | instid1(VALU_DEP_4)
	v_fma_f64 v[14:15], v[24:25], v[40:41], v[12:13]
	v_fma_f64 v[12:13], v[26:27], v[40:41], v[38:39]
	s_cbranch_scc0 .LBB41_13
.LBB41_9:                               ;   Parent Loop BB41_6 Depth=1
                                        ; =>  This Inner Loop Header: Depth=2
	s_wait_alu 0xfffe
	v_add_nc_u32_e32 v24, s12, v29
	s_delay_alu instid0(VALU_DEP_1)
	v_cmp_gt_i32_e32 vcc_lo, s21, v24
	v_mov_b32_e32 v24, 0
	v_mov_b32_e32 v25, 0
	s_and_b32 s15, s0, vcc_lo
	s_wait_alu 0xfffe
	s_and_saveexec_b32 s13, s15
	s_cbranch_execz .LBB41_11
; %bb.10:                               ;   in Loop: Header=BB41_9 Depth=2
	global_load_b64 v[24:25], v[16:17], off
.LBB41_11:                              ;   in Loop: Header=BB41_9 Depth=2
	s_wait_alu 0xfffe
	s_or_b32 exec_lo, exec_lo, s13
	v_add_nc_u32_e32 v26, s12, v28
	s_wait_loadcnt 0x0
	ds_store_b64 v30, v[24:25]
	v_cmp_gt_i32_e32 vcc_lo, s21, v26
	v_mov_b32_e32 v26, 0
	v_mov_b32_e32 v27, 0
	s_and_b32 s15, vcc_lo, s1
	s_wait_alu 0xfffe
	s_and_saveexec_b32 s13, s15
	s_cbranch_execz .LBB41_8
; %bb.12:                               ;   in Loop: Header=BB41_9 Depth=2
	global_load_b64 v[26:27], v[18:19], off
	s_branch .LBB41_8
.LBB41_13:                              ;   in Loop: Header=BB41_6 Depth=1
	s_mul_u64 s[12:13], s[24:25], s[22:23]
	s_wait_alu 0xfffe
	s_lshl_b64 s[12:13], s[12:13], 3
	s_wait_alu 0xfffe
	s_add_nc_u64 s[12:13], s[16:17], s[12:13]
	s_wait_alu 0xfffe
	v_add_co_u32 v18, vcc_lo, s12, v6
	s_wait_alu 0xfffd
	v_add_co_ci_u32_e64 v19, null, s13, v7, vcc_lo
	s_and_saveexec_b32 s15, s29
	s_cbranch_execz .LBB41_17
; %bb.14:                               ;   in Loop: Header=BB41_6 Depth=1
	v_mul_f64_e32 v[16:17], s[8:9], v[22:23]
	s_and_b32 vcc_lo, exec_lo, s28
	s_wait_alu 0xfffe
	s_cbranch_vccz .LBB41_28
; %bb.15:                               ;   in Loop: Header=BB41_6 Depth=1
	v_add_co_u32 v22, vcc_lo, v18, v10
	s_wait_alu 0xfffd
	v_add_co_ci_u32_e64 v23, null, v19, v11, vcc_lo
	global_load_b64 v[24:25], v[22:23], off
	s_wait_loadcnt 0x0
	v_fma_f64 v[24:25], s[6:7], v[24:25], v[16:17]
	global_store_b64 v[22:23], v[24:25], off
	s_cbranch_execnz .LBB41_17
.LBB41_16:                              ;   in Loop: Header=BB41_6 Depth=1
	v_add_co_u32 v22, vcc_lo, v18, v10
	s_wait_alu 0xfffd
	v_add_co_ci_u32_e64 v23, null, v19, v11, vcc_lo
	global_store_b64 v[22:23], v[16:17], off
.LBB41_17:                              ;   in Loop: Header=BB41_6 Depth=1
	s_wait_alu 0xfffe
	s_or_b32 exec_lo, exec_lo, s15
	s_and_saveexec_b32 s15, s30
	s_cbranch_execz .LBB41_21
; %bb.18:                               ;   in Loop: Header=BB41_6 Depth=1
	v_mul_f64_e32 v[16:17], s[8:9], v[20:21]
	s_and_not1_b32 vcc_lo, exec_lo, s28
	s_wait_alu 0xfffe
	s_cbranch_vccnz .LBB41_29
; %bb.19:                               ;   in Loop: Header=BB41_6 Depth=1
	v_lshlrev_b64_e32 v[20:21], 3, v[0:1]
	s_delay_alu instid0(VALU_DEP_1) | instskip(SKIP_1) | instid1(VALU_DEP_2)
	v_add_co_u32 v20, vcc_lo, v18, v20
	s_wait_alu 0xfffd
	v_add_co_ci_u32_e64 v21, null, v19, v21, vcc_lo
	global_load_b64 v[22:23], v[20:21], off
	s_wait_loadcnt 0x0
	v_fma_f64 v[22:23], s[6:7], v[22:23], v[16:17]
	global_store_b64 v[20:21], v[22:23], off
	s_cbranch_execnz .LBB41_21
.LBB41_20:                              ;   in Loop: Header=BB41_6 Depth=1
	v_lshlrev_b64_e32 v[20:21], 3, v[0:1]
	s_delay_alu instid0(VALU_DEP_1) | instskip(SKIP_1) | instid1(VALU_DEP_2)
	v_add_co_u32 v18, vcc_lo, v18, v20
	s_wait_alu 0xfffd
	v_add_co_ci_u32_e64 v19, null, v19, v21, vcc_lo
	global_store_b64 v[18:19], v[16:17], off
.LBB41_21:                              ;   in Loop: Header=BB41_6 Depth=1
	s_wait_alu 0xfffe
	s_or_b32 exec_lo, exec_lo, s15
	v_add_co_u32 v16, vcc_lo, s12, v8
	s_wait_alu 0xfffd
	v_add_co_ci_u32_e64 v17, null, s13, v9, vcc_lo
	s_and_saveexec_b32 s12, s18
	s_cbranch_execz .LBB41_25
; %bb.22:                               ;   in Loop: Header=BB41_6 Depth=1
	v_mul_f64_e32 v[14:15], s[8:9], v[14:15]
	s_and_not1_b32 vcc_lo, exec_lo, s28
	s_wait_alu 0xfffe
	s_cbranch_vccnz .LBB41_30
; %bb.23:                               ;   in Loop: Header=BB41_6 Depth=1
	v_add_co_u32 v18, vcc_lo, v16, v10
	s_wait_alu 0xfffd
	v_add_co_ci_u32_e64 v19, null, v17, v11, vcc_lo
	global_load_b64 v[20:21], v[18:19], off
	s_wait_loadcnt 0x0
	v_fma_f64 v[20:21], s[6:7], v[20:21], v[14:15]
	global_store_b64 v[18:19], v[20:21], off
	s_cbranch_execnz .LBB41_25
.LBB41_24:                              ;   in Loop: Header=BB41_6 Depth=1
	v_add_co_u32 v18, vcc_lo, v16, v10
	s_wait_alu 0xfffd
	v_add_co_ci_u32_e64 v19, null, v17, v11, vcc_lo
	global_store_b64 v[18:19], v[14:15], off
.LBB41_25:                              ;   in Loop: Header=BB41_6 Depth=1
	s_wait_alu 0xfffe
	s_or_b32 exec_lo, exec_lo, s12
	s_and_saveexec_b32 s12, s20
	s_cbranch_execz .LBB41_5
; %bb.26:                               ;   in Loop: Header=BB41_6 Depth=1
	v_mul_f64_e32 v[12:13], s[8:9], v[12:13]
	v_lshlrev_b64_e32 v[14:15], 3, v[0:1]
	s_and_not1_b32 vcc_lo, exec_lo, s28
	s_wait_alu 0xfffe
	s_cbranch_vccnz .LBB41_31
; %bb.27:                               ;   in Loop: Header=BB41_6 Depth=1
	s_delay_alu instid0(VALU_DEP_1)
	v_add_co_u32 v18, vcc_lo, v16, v14
	s_wait_alu 0xfffd
	v_add_co_ci_u32_e64 v19, null, v17, v15, vcc_lo
	global_load_b64 v[20:21], v[18:19], off
	s_wait_loadcnt 0x0
	v_fma_f64 v[20:21], s[6:7], v[20:21], v[12:13]
	global_store_b64 v[18:19], v[20:21], off
	s_cbranch_execnz .LBB41_5
	s_branch .LBB41_32
.LBB41_28:                              ;   in Loop: Header=BB41_6 Depth=1
	s_branch .LBB41_16
.LBB41_29:                              ;   in Loop: Header=BB41_6 Depth=1
	s_branch .LBB41_20
.LBB41_30:                              ;   in Loop: Header=BB41_6 Depth=1
	s_branch .LBB41_24
.LBB41_31:                              ;   in Loop: Header=BB41_6 Depth=1
.LBB41_32:                              ;   in Loop: Header=BB41_6 Depth=1
	s_delay_alu instid0(VALU_DEP_1)
	v_add_co_u32 v14, vcc_lo, v16, v14
	s_wait_alu 0xfffd
	v_add_co_ci_u32_e64 v15, null, v17, v15, vcc_lo
	global_store_b64 v[14:15], v[12:13], off
	s_branch .LBB41_5
.LBB41_33:
	s_endpgm
	.section	.rodata,"a",@progbits
	.p2align	6, 0x0
	.amdhsa_kernel _ZL29rocblas_internal_gemmt_kernelIiLi16ELi32ELi8ELc84ELc67ELc85ELb0ELb0EdPKdS1_PdEviT_T9_T10_S3_lS5_S3_lS4_T11_S3_li
		.amdhsa_group_segment_fixed_size 4096
		.amdhsa_private_segment_fixed_size 0
		.amdhsa_kernarg_size 100
		.amdhsa_user_sgpr_count 2
		.amdhsa_user_sgpr_dispatch_ptr 0
		.amdhsa_user_sgpr_queue_ptr 0
		.amdhsa_user_sgpr_kernarg_segment_ptr 1
		.amdhsa_user_sgpr_dispatch_id 0
		.amdhsa_user_sgpr_private_segment_size 0
		.amdhsa_wavefront_size32 1
		.amdhsa_uses_dynamic_stack 0
		.amdhsa_enable_private_segment 0
		.amdhsa_system_sgpr_workgroup_id_x 1
		.amdhsa_system_sgpr_workgroup_id_y 1
		.amdhsa_system_sgpr_workgroup_id_z 1
		.amdhsa_system_sgpr_workgroup_info 0
		.amdhsa_system_vgpr_workitem_id 1
		.amdhsa_next_free_vgpr 50
		.amdhsa_next_free_sgpr 35
		.amdhsa_reserve_vcc 1
		.amdhsa_float_round_mode_32 0
		.amdhsa_float_round_mode_16_64 0
		.amdhsa_float_denorm_mode_32 3
		.amdhsa_float_denorm_mode_16_64 3
		.amdhsa_fp16_overflow 0
		.amdhsa_workgroup_processor_mode 1
		.amdhsa_memory_ordered 1
		.amdhsa_forward_progress 1
		.amdhsa_inst_pref_size 16
		.amdhsa_round_robin_scheduling 0
		.amdhsa_exception_fp_ieee_invalid_op 0
		.amdhsa_exception_fp_denorm_src 0
		.amdhsa_exception_fp_ieee_div_zero 0
		.amdhsa_exception_fp_ieee_overflow 0
		.amdhsa_exception_fp_ieee_underflow 0
		.amdhsa_exception_fp_ieee_inexact 0
		.amdhsa_exception_int_div_zero 0
	.end_amdhsa_kernel
	.section	.text._ZL29rocblas_internal_gemmt_kernelIiLi16ELi32ELi8ELc84ELc67ELc85ELb0ELb0EdPKdS1_PdEviT_T9_T10_S3_lS5_S3_lS4_T11_S3_li,"axG",@progbits,_ZL29rocblas_internal_gemmt_kernelIiLi16ELi32ELi8ELc84ELc67ELc85ELb0ELb0EdPKdS1_PdEviT_T9_T10_S3_lS5_S3_lS4_T11_S3_li,comdat
.Lfunc_end41:
	.size	_ZL29rocblas_internal_gemmt_kernelIiLi16ELi32ELi8ELc84ELc67ELc85ELb0ELb0EdPKdS1_PdEviT_T9_T10_S3_lS5_S3_lS4_T11_S3_li, .Lfunc_end41-_ZL29rocblas_internal_gemmt_kernelIiLi16ELi32ELi8ELc84ELc67ELc85ELb0ELb0EdPKdS1_PdEviT_T9_T10_S3_lS5_S3_lS4_T11_S3_li
                                        ; -- End function
	.set _ZL29rocblas_internal_gemmt_kernelIiLi16ELi32ELi8ELc84ELc67ELc85ELb0ELb0EdPKdS1_PdEviT_T9_T10_S3_lS5_S3_lS4_T11_S3_li.num_vgpr, 50
	.set _ZL29rocblas_internal_gemmt_kernelIiLi16ELi32ELi8ELc84ELc67ELc85ELb0ELb0EdPKdS1_PdEviT_T9_T10_S3_lS5_S3_lS4_T11_S3_li.num_agpr, 0
	.set _ZL29rocblas_internal_gemmt_kernelIiLi16ELi32ELi8ELc84ELc67ELc85ELb0ELb0EdPKdS1_PdEviT_T9_T10_S3_lS5_S3_lS4_T11_S3_li.numbered_sgpr, 35
	.set _ZL29rocblas_internal_gemmt_kernelIiLi16ELi32ELi8ELc84ELc67ELc85ELb0ELb0EdPKdS1_PdEviT_T9_T10_S3_lS5_S3_lS4_T11_S3_li.num_named_barrier, 0
	.set _ZL29rocblas_internal_gemmt_kernelIiLi16ELi32ELi8ELc84ELc67ELc85ELb0ELb0EdPKdS1_PdEviT_T9_T10_S3_lS5_S3_lS4_T11_S3_li.private_seg_size, 0
	.set _ZL29rocblas_internal_gemmt_kernelIiLi16ELi32ELi8ELc84ELc67ELc85ELb0ELb0EdPKdS1_PdEviT_T9_T10_S3_lS5_S3_lS4_T11_S3_li.uses_vcc, 1
	.set _ZL29rocblas_internal_gemmt_kernelIiLi16ELi32ELi8ELc84ELc67ELc85ELb0ELb0EdPKdS1_PdEviT_T9_T10_S3_lS5_S3_lS4_T11_S3_li.uses_flat_scratch, 0
	.set _ZL29rocblas_internal_gemmt_kernelIiLi16ELi32ELi8ELc84ELc67ELc85ELb0ELb0EdPKdS1_PdEviT_T9_T10_S3_lS5_S3_lS4_T11_S3_li.has_dyn_sized_stack, 0
	.set _ZL29rocblas_internal_gemmt_kernelIiLi16ELi32ELi8ELc84ELc67ELc85ELb0ELb0EdPKdS1_PdEviT_T9_T10_S3_lS5_S3_lS4_T11_S3_li.has_recursion, 0
	.set _ZL29rocblas_internal_gemmt_kernelIiLi16ELi32ELi8ELc84ELc67ELc85ELb0ELb0EdPKdS1_PdEviT_T9_T10_S3_lS5_S3_lS4_T11_S3_li.has_indirect_call, 0
	.section	.AMDGPU.csdata,"",@progbits
; Kernel info:
; codeLenInByte = 2020
; TotalNumSgprs: 37
; NumVgprs: 50
; ScratchSize: 0
; MemoryBound: 0
; FloatMode: 240
; IeeeMode: 1
; LDSByteSize: 4096 bytes/workgroup (compile time only)
; SGPRBlocks: 0
; VGPRBlocks: 6
; NumSGPRsForWavesPerEU: 37
; NumVGPRsForWavesPerEU: 50
; Occupancy: 16
; WaveLimiterHint : 0
; COMPUTE_PGM_RSRC2:SCRATCH_EN: 0
; COMPUTE_PGM_RSRC2:USER_SGPR: 2
; COMPUTE_PGM_RSRC2:TRAP_HANDLER: 0
; COMPUTE_PGM_RSRC2:TGID_X_EN: 1
; COMPUTE_PGM_RSRC2:TGID_Y_EN: 1
; COMPUTE_PGM_RSRC2:TGID_Z_EN: 1
; COMPUTE_PGM_RSRC2:TIDIG_COMP_CNT: 1
	.section	.text._ZL29rocblas_internal_gemmt_kernelIiLi16ELi32ELi8ELc67ELc78ELc85ELb0ELb0EdPKdS1_PdEviT_T9_T10_S3_lS5_S3_lS4_T11_S3_li,"axG",@progbits,_ZL29rocblas_internal_gemmt_kernelIiLi16ELi32ELi8ELc67ELc78ELc85ELb0ELb0EdPKdS1_PdEviT_T9_T10_S3_lS5_S3_lS4_T11_S3_li,comdat
	.globl	_ZL29rocblas_internal_gemmt_kernelIiLi16ELi32ELi8ELc67ELc78ELc85ELb0ELb0EdPKdS1_PdEviT_T9_T10_S3_lS5_S3_lS4_T11_S3_li ; -- Begin function _ZL29rocblas_internal_gemmt_kernelIiLi16ELi32ELi8ELc67ELc78ELc85ELb0ELb0EdPKdS1_PdEviT_T9_T10_S3_lS5_S3_lS4_T11_S3_li
	.p2align	8
	.type	_ZL29rocblas_internal_gemmt_kernelIiLi16ELi32ELi8ELc67ELc78ELc85ELb0ELb0EdPKdS1_PdEviT_T9_T10_S3_lS5_S3_lS4_T11_S3_li,@function
_ZL29rocblas_internal_gemmt_kernelIiLi16ELi32ELi8ELc67ELc78ELc85ELb0ELb0EdPKdS1_PdEviT_T9_T10_S3_lS5_S3_lS4_T11_S3_li: ; @_ZL29rocblas_internal_gemmt_kernelIiLi16ELi32ELi8ELc67ELc78ELc85ELb0ELb0EdPKdS1_PdEviT_T9_T10_S3_lS5_S3_lS4_T11_S3_li
; %bb.0:
	s_load_b128 s[4:7], s[0:1], 0x38
	s_wait_kmcnt 0x0
	s_load_b64 s[6:7], s[6:7], 0x0
	s_clause 0x1
	s_load_b128 s[8:11], s[0:1], 0x8
	s_load_b64 s[20:21], s[0:1], 0x0
	s_wait_kmcnt 0x0
	s_load_b64 s[8:9], s[8:9], 0x0
	v_cmp_neq_f64_e64 s2, s[6:7], 1.0
	s_and_b32 vcc_lo, exec_lo, s2
	s_cbranch_vccnz .LBB42_2
; %bb.1:
	s_wait_kmcnt 0x0
	v_cmp_neq_f64_e64 s2, s[8:9], 0
	s_cmp_lg_u32 s21, 0
	s_cselect_b32 s3, -1, 0
	s_delay_alu instid0(SALU_CYCLE_1)
	s_and_b32 s2, s3, s2
.LBB42_2:
	s_delay_alu instid0(SALU_CYCLE_1)
	s_and_not1_b32 vcc_lo, exec_lo, s2
	s_cbranch_vccnz .LBB42_33
; %bb.3:
	s_load_b32 s19, s[0:1], 0x60
	s_lshr_b32 s22, ttmp7, 16
	s_wait_kmcnt 0x0
	s_cmp_ge_u32 s22, s19
	s_cbranch_scc1 .LBB42_33
; %bb.4:
	v_and_b32_e32 v1, 0x3ff, v0
	v_bfe_u32 v2, v0, 10, 10
	v_and_b32_e32 v28, 7, v0
	s_clause 0x4
	s_load_b32 s29, s[0:1], 0x18
	s_load_b128 s[12:15], s[0:1], 0x20
	s_load_b32 s30, s[0:1], 0x30
	s_load_b96 s[16:18], s[0:1], 0x48
	s_load_b64 s[24:25], s[0:1], 0x58
	v_cmp_neq_f64_e64 s31, s[8:9], 0
	s_lshl_b32 s1, ttmp9, 5
	v_lshl_add_u32 v0, v2, 4, v1
	v_lshlrev_b32_e32 v12, 3, v28
	v_cmp_neq_f64_e64 s26, s[6:7], 0
	v_add_nc_u32_e32 v10, s1, v1
	s_lshl_b32 s0, ttmp7, 5
	v_and_b32_e32 v3, 31, v0
	v_lshrrev_b32_e32 v4, 3, v0
	v_lshrrev_b32_e32 v29, 5, v0
	s_wait_alu 0xfffe
	s_and_b32 s2, s0, 0x1fffe0
	v_lshl_add_u32 v33, v2, 6, 0x800
	v_lshlrev_b32_e32 v0, 3, v3
	v_or_b32_e32 v5, s1, v3
	v_lshl_or_b32 v3, v4, 6, v12
	v_add_nc_u32_e32 v8, s2, v4
	v_add_nc_u32_e32 v4, s2, v2
	v_lshl_or_b32 v30, v29, 8, v0
	v_add_nc_u32_e32 v0, 16, v10
	v_add_nc_u32_e32 v31, 0x800, v3
	s_wait_kmcnt 0x0
	v_mad_co_i64_i32 v[2:3], null, s29, v5, 0
	v_cmp_gt_i32_e64 s0, s20, v5
	v_cmp_gt_i32_e32 vcc_lo, s20, v4
	v_cmp_le_i32_e64 s2, v10, v4
	v_cmp_le_i32_e64 s3, v0, v4
	v_mad_co_i64_i32 v[6:7], null, v4, s18, 0
	v_add_nc_u32_e32 v13, 16, v4
	v_mad_co_i64_i32 v[4:5], null, s30, v8, 0
	v_lshlrev_b64_e32 v[2:3], 3, v[2:3]
	v_lshlrev_b32_e32 v14, 3, v29
	s_cmp_gt_i32 s21, 0
	v_cmp_gt_i32_e64 s1, s20, v8
	s_cselect_b32 s33, -1, 0
	s_and_b32 s28, vcc_lo, s3
	v_lshlrev_b64_e32 v[4:5], 3, v[4:5]
	v_mad_co_i64_i32 v[8:9], null, v13, s18, 0
	v_add_co_u32 v2, s3, v2, v14
	s_and_b32 s27, vcc_lo, s2
	v_cmp_gt_i32_e32 vcc_lo, s20, v13
	v_cmp_le_i32_e64 s2, v10, v13
	v_add_co_ci_u32_e64 v3, null, 0, v3, s3
	v_add_co_u32 v4, s3, v4, v12
	v_ashrrev_i32_e32 v11, 31, v10
	s_wait_alu 0xf1ff
	v_add_co_ci_u32_e64 v5, null, 0, v5, s3
	v_add_co_u32 v2, s3, s10, v2
	s_and_b32 s18, vcc_lo, s2
	v_cmp_le_i32_e64 s2, v0, v13
	v_add_co_ci_u32_e64 v3, null, s11, v3, s3
	v_add_co_u32 v4, s3, s14, v4
	v_lshlrev_b64_e32 v[6:7], 3, v[6:7]
	v_lshlrev_b64_e32 v[8:9], 3, v[8:9]
	;; [unrolled: 1-line block ×3, first 2 shown]
	v_lshlrev_b32_e32 v32, 3, v1
	v_ashrrev_i32_e32 v1, 31, v0
	s_wait_alu 0xf1ff
	v_add_co_ci_u32_e64 v5, null, s15, v5, s3
	s_mov_b32 s23, 0
	s_and_b32 s14, s31, s33
	s_and_b32 s15, vcc_lo, s2
	s_lshl_b64 s[2:3], s[12:13], 3
	s_lshl_b64 s[4:5], s[4:5], 3
	s_branch .LBB42_6
.LBB42_5:                               ;   in Loop: Header=BB42_6 Depth=1
	s_wait_alu 0xfffe
	s_or_b32 exec_lo, exec_lo, s10
	s_add_co_i32 s22, s22, 0x10000
	s_wait_alu 0xfffe
	s_cmp_lt_u32 s22, s19
	s_cbranch_scc0 .LBB42_33
.LBB42_6:                               ; =>This Loop Header: Depth=1
                                        ;     Child Loop BB42_9 Depth 2
	v_mov_b32_e32 v22, 0
	v_dual_mov_b32 v14, 0 :: v_dual_mov_b32 v23, 0
	v_dual_mov_b32 v20, 0 :: v_dual_mov_b32 v15, 0
	v_dual_mov_b32 v12, 0 :: v_dual_mov_b32 v21, 0
	v_mov_b32_e32 v13, 0
	s_wait_alu 0xfffe
	s_and_not1_b32 vcc_lo, exec_lo, s14
	s_wait_alu 0xfffe
	s_cbranch_vccnz .LBB42_13
; %bb.7:                                ;   in Loop: Header=BB42_6 Depth=1
	v_mad_co_u64_u32 v[16:17], null, s2, s22, v[2:3]
	v_mad_co_u64_u32 v[18:19], null, s4, s22, v[4:5]
	s_mov_b32 s10, 0
	v_mov_b32_e32 v22, 0
	v_dual_mov_b32 v23, 0 :: v_dual_mov_b32 v12, v17
	v_mov_b32_e32 v13, v19
	s_delay_alu instid0(VALU_DEP_1)
	v_mad_co_u64_u32 v[19:20], null, s3, s22, v[12:13]
	v_mad_co_u64_u32 v[24:25], null, s5, s22, v[13:14]
	v_mov_b32_e32 v12, 0
	v_dual_mov_b32 v20, 0 :: v_dual_mov_b32 v13, 0
	v_dual_mov_b32 v14, 0 :: v_dual_mov_b32 v21, 0
	v_mov_b32_e32 v15, 0
	v_mov_b32_e32 v17, v19
	;; [unrolled: 1-line block ×3, first 2 shown]
	s_branch .LBB42_9
.LBB42_8:                               ;   in Loop: Header=BB42_9 Depth=2
	s_wait_alu 0xfffe
	s_or_b32 exec_lo, exec_lo, s11
	s_wait_loadcnt 0x0
	ds_store_b64 v31, v[26:27]
	s_wait_dscnt 0x0
	s_barrier_signal -1
	s_barrier_wait -1
	global_inv scope:SCOPE_SE
	ds_load_b128 v[24:27], v33
	ds_load_2addr_b64 v[34:37], v32 offset1:16
	ds_load_b128 v[38:41], v33 offset:1024
	ds_load_b128 v[42:45], v33 offset:16
	;; [unrolled: 1-line block ×3, first 2 shown]
	v_add_co_u32 v16, vcc_lo, v16, 64
	s_wait_alu 0xfffd
	v_add_co_ci_u32_e64 v17, null, 0, v17, vcc_lo
	v_add_co_u32 v18, vcc_lo, v18, 64
	s_wait_alu 0xfffd
	v_add_co_ci_u32_e64 v19, null, 0, v19, vcc_lo
	s_add_co_i32 s10, s10, 8
	s_wait_alu 0xfffe
	s_cmp_lt_i32 s10, s21
	s_wait_dscnt 0x3
	v_fma_f64 v[22:23], v[34:35], v[24:25], v[22:23]
	v_fma_f64 v[20:21], v[36:37], v[24:25], v[20:21]
	s_wait_dscnt 0x2
	v_fma_f64 v[24:25], v[34:35], v[38:39], v[14:15]
	v_fma_f64 v[34:35], v[36:37], v[38:39], v[12:13]
	ds_load_2addr_b64 v[12:15], v32 offset0:32 offset1:48
	s_wait_dscnt 0x0
	v_fma_f64 v[22:23], v[12:13], v[26:27], v[22:23]
	v_fma_f64 v[20:21], v[14:15], v[26:27], v[20:21]
	v_fma_f64 v[24:25], v[12:13], v[40:41], v[24:25]
	v_fma_f64 v[26:27], v[14:15], v[40:41], v[34:35]
	ds_load_2addr_b64 v[12:15], v32 offset0:64 offset1:80
	s_wait_dscnt 0x0
	v_fma_f64 v[22:23], v[12:13], v[42:43], v[22:23]
	v_fma_f64 v[20:21], v[14:15], v[42:43], v[20:21]
	;; [unrolled: 6-line block ×3, first 2 shown]
	v_fma_f64 v[46:47], v[12:13], v[48:49], v[24:25]
	v_fma_f64 v[48:49], v[14:15], v[48:49], v[26:27]
	ds_load_b128 v[12:15], v33 offset:32
	ds_load_2addr_b64 v[20:23], v32 offset0:128 offset1:144
	ds_load_b128 v[24:27], v33 offset:1056
	ds_load_b128 v[34:37], v33 offset:48
	;; [unrolled: 1-line block ×3, first 2 shown]
	s_wait_dscnt 0x3
	v_fma_f64 v[42:43], v[20:21], v[12:13], v[42:43]
	v_fma_f64 v[12:13], v[22:23], v[12:13], v[44:45]
	s_wait_dscnt 0x2
	v_fma_f64 v[44:45], v[20:21], v[24:25], v[46:47]
	v_fma_f64 v[24:25], v[22:23], v[24:25], v[48:49]
	ds_load_2addr_b64 v[20:23], v32 offset0:160 offset1:176
	s_wait_dscnt 0x0
	v_fma_f64 v[42:43], v[20:21], v[14:15], v[42:43]
	v_fma_f64 v[46:47], v[22:23], v[14:15], v[12:13]
	;; [unrolled: 1-line block ×4, first 2 shown]
	ds_load_2addr_b64 v[12:15], v32 offset0:192 offset1:208
	ds_load_2addr_b64 v[24:27], v32 offset0:224 offset1:240
	s_wait_loadcnt_dscnt 0x0
	s_barrier_signal -1
	s_barrier_wait -1
	global_inv scope:SCOPE_SE
	v_fma_f64 v[42:43], v[12:13], v[34:35], v[42:43]
	v_fma_f64 v[34:35], v[14:15], v[34:35], v[46:47]
	;; [unrolled: 1-line block ×4, first 2 shown]
	s_delay_alu instid0(VALU_DEP_4) | instskip(NEXT) | instid1(VALU_DEP_4)
	v_fma_f64 v[22:23], v[24:25], v[36:37], v[42:43]
	v_fma_f64 v[20:21], v[26:27], v[36:37], v[34:35]
	s_delay_alu instid0(VALU_DEP_4) | instskip(NEXT) | instid1(VALU_DEP_4)
	v_fma_f64 v[14:15], v[24:25], v[40:41], v[12:13]
	v_fma_f64 v[12:13], v[26:27], v[40:41], v[38:39]
	s_cbranch_scc0 .LBB42_13
.LBB42_9:                               ;   Parent Loop BB42_6 Depth=1
                                        ; =>  This Inner Loop Header: Depth=2
	s_wait_alu 0xfffe
	v_add_nc_u32_e32 v24, s10, v29
	s_delay_alu instid0(VALU_DEP_1) | instskip(SKIP_3) | instid1(SALU_CYCLE_1)
	v_cmp_gt_i32_e32 vcc_lo, s21, v24
	v_mov_b32_e32 v24, 0
	v_mov_b32_e32 v25, 0
	s_and_b32 s12, s0, vcc_lo
	s_and_saveexec_b32 s11, s12
	s_cbranch_execz .LBB42_11
; %bb.10:                               ;   in Loop: Header=BB42_9 Depth=2
	global_load_b64 v[24:25], v[16:17], off
.LBB42_11:                              ;   in Loop: Header=BB42_9 Depth=2
	s_wait_alu 0xfffe
	s_or_b32 exec_lo, exec_lo, s11
	v_add_nc_u32_e32 v26, s10, v28
	s_wait_loadcnt 0x0
	ds_store_b64 v30, v[24:25]
	v_cmp_gt_i32_e32 vcc_lo, s21, v26
	v_mov_b32_e32 v26, 0
	v_mov_b32_e32 v27, 0
	s_and_b32 s12, vcc_lo, s1
	s_delay_alu instid0(SALU_CYCLE_1)
	s_and_saveexec_b32 s11, s12
	s_cbranch_execz .LBB42_8
; %bb.12:                               ;   in Loop: Header=BB42_9 Depth=2
	global_load_b64 v[26:27], v[18:19], off
	s_branch .LBB42_8
.LBB42_13:                              ;   in Loop: Header=BB42_6 Depth=1
	s_mul_u64 s[10:11], s[24:25], s[22:23]
	s_wait_alu 0xfffe
	s_lshl_b64 s[10:11], s[10:11], 3
	s_wait_alu 0xfffe
	s_add_nc_u64 s[10:11], s[16:17], s[10:11]
	s_wait_alu 0xfffe
	v_add_co_u32 v18, vcc_lo, s10, v6
	s_wait_alu 0xfffd
	v_add_co_ci_u32_e64 v19, null, s11, v7, vcc_lo
	s_and_saveexec_b32 s12, s27
	s_cbranch_execz .LBB42_17
; %bb.14:                               ;   in Loop: Header=BB42_6 Depth=1
	v_mul_f64_e32 v[16:17], s[8:9], v[22:23]
	s_and_b32 vcc_lo, exec_lo, s26
	s_wait_alu 0xfffe
	s_cbranch_vccz .LBB42_28
; %bb.15:                               ;   in Loop: Header=BB42_6 Depth=1
	v_add_co_u32 v22, vcc_lo, v18, v10
	s_wait_alu 0xfffd
	v_add_co_ci_u32_e64 v23, null, v19, v11, vcc_lo
	global_load_b64 v[24:25], v[22:23], off
	s_wait_loadcnt 0x0
	v_fma_f64 v[24:25], s[6:7], v[24:25], v[16:17]
	global_store_b64 v[22:23], v[24:25], off
	s_cbranch_execnz .LBB42_17
.LBB42_16:                              ;   in Loop: Header=BB42_6 Depth=1
	v_add_co_u32 v22, vcc_lo, v18, v10
	s_wait_alu 0xfffd
	v_add_co_ci_u32_e64 v23, null, v19, v11, vcc_lo
	global_store_b64 v[22:23], v[16:17], off
.LBB42_17:                              ;   in Loop: Header=BB42_6 Depth=1
	s_or_b32 exec_lo, exec_lo, s12
	s_and_saveexec_b32 s12, s28
	s_cbranch_execz .LBB42_21
; %bb.18:                               ;   in Loop: Header=BB42_6 Depth=1
	v_mul_f64_e32 v[16:17], s[8:9], v[20:21]
	s_and_not1_b32 vcc_lo, exec_lo, s26
	s_wait_alu 0xfffe
	s_cbranch_vccnz .LBB42_29
; %bb.19:                               ;   in Loop: Header=BB42_6 Depth=1
	v_lshlrev_b64_e32 v[20:21], 3, v[0:1]
	s_delay_alu instid0(VALU_DEP_1) | instskip(SKIP_1) | instid1(VALU_DEP_2)
	v_add_co_u32 v20, vcc_lo, v18, v20
	s_wait_alu 0xfffd
	v_add_co_ci_u32_e64 v21, null, v19, v21, vcc_lo
	global_load_b64 v[22:23], v[20:21], off
	s_wait_loadcnt 0x0
	v_fma_f64 v[22:23], s[6:7], v[22:23], v[16:17]
	global_store_b64 v[20:21], v[22:23], off
	s_cbranch_execnz .LBB42_21
.LBB42_20:                              ;   in Loop: Header=BB42_6 Depth=1
	v_lshlrev_b64_e32 v[20:21], 3, v[0:1]
	s_delay_alu instid0(VALU_DEP_1) | instskip(SKIP_1) | instid1(VALU_DEP_2)
	v_add_co_u32 v18, vcc_lo, v18, v20
	s_wait_alu 0xfffd
	v_add_co_ci_u32_e64 v19, null, v19, v21, vcc_lo
	global_store_b64 v[18:19], v[16:17], off
.LBB42_21:                              ;   in Loop: Header=BB42_6 Depth=1
	s_or_b32 exec_lo, exec_lo, s12
	v_add_co_u32 v16, vcc_lo, s10, v8
	s_wait_alu 0xfffd
	v_add_co_ci_u32_e64 v17, null, s11, v9, vcc_lo
	s_and_saveexec_b32 s10, s18
	s_cbranch_execz .LBB42_25
; %bb.22:                               ;   in Loop: Header=BB42_6 Depth=1
	v_mul_f64_e32 v[14:15], s[8:9], v[14:15]
	s_and_not1_b32 vcc_lo, exec_lo, s26
	s_wait_alu 0xfffe
	s_cbranch_vccnz .LBB42_30
; %bb.23:                               ;   in Loop: Header=BB42_6 Depth=1
	v_add_co_u32 v18, vcc_lo, v16, v10
	s_wait_alu 0xfffd
	v_add_co_ci_u32_e64 v19, null, v17, v11, vcc_lo
	global_load_b64 v[20:21], v[18:19], off
	s_wait_loadcnt 0x0
	v_fma_f64 v[20:21], s[6:7], v[20:21], v[14:15]
	global_store_b64 v[18:19], v[20:21], off
	s_cbranch_execnz .LBB42_25
.LBB42_24:                              ;   in Loop: Header=BB42_6 Depth=1
	v_add_co_u32 v18, vcc_lo, v16, v10
	s_wait_alu 0xfffd
	v_add_co_ci_u32_e64 v19, null, v17, v11, vcc_lo
	global_store_b64 v[18:19], v[14:15], off
.LBB42_25:                              ;   in Loop: Header=BB42_6 Depth=1
	s_wait_alu 0xfffe
	s_or_b32 exec_lo, exec_lo, s10
	s_and_saveexec_b32 s10, s15
	s_cbranch_execz .LBB42_5
; %bb.26:                               ;   in Loop: Header=BB42_6 Depth=1
	v_mul_f64_e32 v[12:13], s[8:9], v[12:13]
	v_lshlrev_b64_e32 v[14:15], 3, v[0:1]
	s_and_not1_b32 vcc_lo, exec_lo, s26
	s_wait_alu 0xfffe
	s_cbranch_vccnz .LBB42_31
; %bb.27:                               ;   in Loop: Header=BB42_6 Depth=1
	s_delay_alu instid0(VALU_DEP_1)
	v_add_co_u32 v18, vcc_lo, v16, v14
	s_wait_alu 0xfffd
	v_add_co_ci_u32_e64 v19, null, v17, v15, vcc_lo
	global_load_b64 v[20:21], v[18:19], off
	s_wait_loadcnt 0x0
	v_fma_f64 v[20:21], s[6:7], v[20:21], v[12:13]
	global_store_b64 v[18:19], v[20:21], off
	s_cbranch_execnz .LBB42_5
	s_branch .LBB42_32
.LBB42_28:                              ;   in Loop: Header=BB42_6 Depth=1
	s_branch .LBB42_16
.LBB42_29:                              ;   in Loop: Header=BB42_6 Depth=1
	s_branch .LBB42_20
.LBB42_30:                              ;   in Loop: Header=BB42_6 Depth=1
	s_branch .LBB42_24
.LBB42_31:                              ;   in Loop: Header=BB42_6 Depth=1
.LBB42_32:                              ;   in Loop: Header=BB42_6 Depth=1
	s_delay_alu instid0(VALU_DEP_1)
	v_add_co_u32 v14, vcc_lo, v16, v14
	s_wait_alu 0xfffd
	v_add_co_ci_u32_e64 v15, null, v17, v15, vcc_lo
	global_store_b64 v[14:15], v[12:13], off
	s_branch .LBB42_5
.LBB42_33:
	s_endpgm
	.section	.rodata,"a",@progbits
	.p2align	6, 0x0
	.amdhsa_kernel _ZL29rocblas_internal_gemmt_kernelIiLi16ELi32ELi8ELc67ELc78ELc85ELb0ELb0EdPKdS1_PdEviT_T9_T10_S3_lS5_S3_lS4_T11_S3_li
		.amdhsa_group_segment_fixed_size 4096
		.amdhsa_private_segment_fixed_size 0
		.amdhsa_kernarg_size 100
		.amdhsa_user_sgpr_count 2
		.amdhsa_user_sgpr_dispatch_ptr 0
		.amdhsa_user_sgpr_queue_ptr 0
		.amdhsa_user_sgpr_kernarg_segment_ptr 1
		.amdhsa_user_sgpr_dispatch_id 0
		.amdhsa_user_sgpr_private_segment_size 0
		.amdhsa_wavefront_size32 1
		.amdhsa_uses_dynamic_stack 0
		.amdhsa_enable_private_segment 0
		.amdhsa_system_sgpr_workgroup_id_x 1
		.amdhsa_system_sgpr_workgroup_id_y 1
		.amdhsa_system_sgpr_workgroup_id_z 1
		.amdhsa_system_sgpr_workgroup_info 0
		.amdhsa_system_vgpr_workitem_id 1
		.amdhsa_next_free_vgpr 50
		.amdhsa_next_free_sgpr 34
		.amdhsa_reserve_vcc 1
		.amdhsa_float_round_mode_32 0
		.amdhsa_float_round_mode_16_64 0
		.amdhsa_float_denorm_mode_32 3
		.amdhsa_float_denorm_mode_16_64 3
		.amdhsa_fp16_overflow 0
		.amdhsa_workgroup_processor_mode 1
		.amdhsa_memory_ordered 1
		.amdhsa_forward_progress 1
		.amdhsa_inst_pref_size 16
		.amdhsa_round_robin_scheduling 0
		.amdhsa_exception_fp_ieee_invalid_op 0
		.amdhsa_exception_fp_denorm_src 0
		.amdhsa_exception_fp_ieee_div_zero 0
		.amdhsa_exception_fp_ieee_overflow 0
		.amdhsa_exception_fp_ieee_underflow 0
		.amdhsa_exception_fp_ieee_inexact 0
		.amdhsa_exception_int_div_zero 0
	.end_amdhsa_kernel
	.section	.text._ZL29rocblas_internal_gemmt_kernelIiLi16ELi32ELi8ELc67ELc78ELc85ELb0ELb0EdPKdS1_PdEviT_T9_T10_S3_lS5_S3_lS4_T11_S3_li,"axG",@progbits,_ZL29rocblas_internal_gemmt_kernelIiLi16ELi32ELi8ELc67ELc78ELc85ELb0ELb0EdPKdS1_PdEviT_T9_T10_S3_lS5_S3_lS4_T11_S3_li,comdat
.Lfunc_end42:
	.size	_ZL29rocblas_internal_gemmt_kernelIiLi16ELi32ELi8ELc67ELc78ELc85ELb0ELb0EdPKdS1_PdEviT_T9_T10_S3_lS5_S3_lS4_T11_S3_li, .Lfunc_end42-_ZL29rocblas_internal_gemmt_kernelIiLi16ELi32ELi8ELc67ELc78ELc85ELb0ELb0EdPKdS1_PdEviT_T9_T10_S3_lS5_S3_lS4_T11_S3_li
                                        ; -- End function
	.set _ZL29rocblas_internal_gemmt_kernelIiLi16ELi32ELi8ELc67ELc78ELc85ELb0ELb0EdPKdS1_PdEviT_T9_T10_S3_lS5_S3_lS4_T11_S3_li.num_vgpr, 50
	.set _ZL29rocblas_internal_gemmt_kernelIiLi16ELi32ELi8ELc67ELc78ELc85ELb0ELb0EdPKdS1_PdEviT_T9_T10_S3_lS5_S3_lS4_T11_S3_li.num_agpr, 0
	.set _ZL29rocblas_internal_gemmt_kernelIiLi16ELi32ELi8ELc67ELc78ELc85ELb0ELb0EdPKdS1_PdEviT_T9_T10_S3_lS5_S3_lS4_T11_S3_li.numbered_sgpr, 34
	.set _ZL29rocblas_internal_gemmt_kernelIiLi16ELi32ELi8ELc67ELc78ELc85ELb0ELb0EdPKdS1_PdEviT_T9_T10_S3_lS5_S3_lS4_T11_S3_li.num_named_barrier, 0
	.set _ZL29rocblas_internal_gemmt_kernelIiLi16ELi32ELi8ELc67ELc78ELc85ELb0ELb0EdPKdS1_PdEviT_T9_T10_S3_lS5_S3_lS4_T11_S3_li.private_seg_size, 0
	.set _ZL29rocblas_internal_gemmt_kernelIiLi16ELi32ELi8ELc67ELc78ELc85ELb0ELb0EdPKdS1_PdEviT_T9_T10_S3_lS5_S3_lS4_T11_S3_li.uses_vcc, 1
	.set _ZL29rocblas_internal_gemmt_kernelIiLi16ELi32ELi8ELc67ELc78ELc85ELb0ELb0EdPKdS1_PdEviT_T9_T10_S3_lS5_S3_lS4_T11_S3_li.uses_flat_scratch, 0
	.set _ZL29rocblas_internal_gemmt_kernelIiLi16ELi32ELi8ELc67ELc78ELc85ELb0ELb0EdPKdS1_PdEviT_T9_T10_S3_lS5_S3_lS4_T11_S3_li.has_dyn_sized_stack, 0
	.set _ZL29rocblas_internal_gemmt_kernelIiLi16ELi32ELi8ELc67ELc78ELc85ELb0ELb0EdPKdS1_PdEviT_T9_T10_S3_lS5_S3_lS4_T11_S3_li.has_recursion, 0
	.set _ZL29rocblas_internal_gemmt_kernelIiLi16ELi32ELi8ELc67ELc78ELc85ELb0ELb0EdPKdS1_PdEviT_T9_T10_S3_lS5_S3_lS4_T11_S3_li.has_indirect_call, 0
	.section	.AMDGPU.csdata,"",@progbits
; Kernel info:
; codeLenInByte = 1992
; TotalNumSgprs: 36
; NumVgprs: 50
; ScratchSize: 0
; MemoryBound: 0
; FloatMode: 240
; IeeeMode: 1
; LDSByteSize: 4096 bytes/workgroup (compile time only)
; SGPRBlocks: 0
; VGPRBlocks: 6
; NumSGPRsForWavesPerEU: 36
; NumVGPRsForWavesPerEU: 50
; Occupancy: 16
; WaveLimiterHint : 0
; COMPUTE_PGM_RSRC2:SCRATCH_EN: 0
; COMPUTE_PGM_RSRC2:USER_SGPR: 2
; COMPUTE_PGM_RSRC2:TRAP_HANDLER: 0
; COMPUTE_PGM_RSRC2:TGID_X_EN: 1
; COMPUTE_PGM_RSRC2:TGID_Y_EN: 1
; COMPUTE_PGM_RSRC2:TGID_Z_EN: 1
; COMPUTE_PGM_RSRC2:TIDIG_COMP_CNT: 1
	.section	.text._ZL29rocblas_internal_gemmt_kernelIiLi16ELi32ELi8ELc67ELc84ELc85ELb0ELb0EdPKdS1_PdEviT_T9_T10_S3_lS5_S3_lS4_T11_S3_li,"axG",@progbits,_ZL29rocblas_internal_gemmt_kernelIiLi16ELi32ELi8ELc67ELc84ELc85ELb0ELb0EdPKdS1_PdEviT_T9_T10_S3_lS5_S3_lS4_T11_S3_li,comdat
	.globl	_ZL29rocblas_internal_gemmt_kernelIiLi16ELi32ELi8ELc67ELc84ELc85ELb0ELb0EdPKdS1_PdEviT_T9_T10_S3_lS5_S3_lS4_T11_S3_li ; -- Begin function _ZL29rocblas_internal_gemmt_kernelIiLi16ELi32ELi8ELc67ELc84ELc85ELb0ELb0EdPKdS1_PdEviT_T9_T10_S3_lS5_S3_lS4_T11_S3_li
	.p2align	8
	.type	_ZL29rocblas_internal_gemmt_kernelIiLi16ELi32ELi8ELc67ELc84ELc85ELb0ELb0EdPKdS1_PdEviT_T9_T10_S3_lS5_S3_lS4_T11_S3_li,@function
_ZL29rocblas_internal_gemmt_kernelIiLi16ELi32ELi8ELc67ELc84ELc85ELb0ELb0EdPKdS1_PdEviT_T9_T10_S3_lS5_S3_lS4_T11_S3_li: ; @_ZL29rocblas_internal_gemmt_kernelIiLi16ELi32ELi8ELc67ELc84ELc85ELb0ELb0EdPKdS1_PdEviT_T9_T10_S3_lS5_S3_lS4_T11_S3_li
; %bb.0:
	s_load_b128 s[4:7], s[0:1], 0x38
	s_wait_kmcnt 0x0
	s_load_b64 s[6:7], s[6:7], 0x0
	s_clause 0x1
	s_load_b128 s[8:11], s[0:1], 0x8
	s_load_b64 s[20:21], s[0:1], 0x0
	s_wait_kmcnt 0x0
	s_load_b64 s[8:9], s[8:9], 0x0
	v_cmp_neq_f64_e64 s2, s[6:7], 1.0
	s_and_b32 vcc_lo, exec_lo, s2
	s_cbranch_vccnz .LBB43_2
; %bb.1:
	s_wait_kmcnt 0x0
	v_cmp_neq_f64_e64 s2, s[8:9], 0
	s_cmp_lg_u32 s21, 0
	s_cselect_b32 s3, -1, 0
	s_delay_alu instid0(SALU_CYCLE_1)
	s_and_b32 s2, s3, s2
.LBB43_2:
	s_delay_alu instid0(SALU_CYCLE_1)
	s_and_not1_b32 vcc_lo, exec_lo, s2
	s_cbranch_vccnz .LBB43_33
; %bb.3:
	s_load_b32 s19, s[0:1], 0x60
	s_lshr_b32 s22, ttmp7, 16
	s_wait_kmcnt 0x0
	s_cmp_ge_u32 s22, s19
	s_cbranch_scc1 .LBB43_33
; %bb.4:
	v_and_b32_e32 v1, 0x3ff, v0
	v_bfe_u32 v2, v0, 10, 10
	v_and_b32_e32 v28, 7, v0
	s_clause 0x4
	s_load_b32 s31, s[0:1], 0x18
	s_load_b128 s[12:15], s[0:1], 0x20
	s_load_b96 s[16:18], s[0:1], 0x48
	s_load_b64 s[24:25], s[0:1], 0x58
	s_load_b32 s26, s[0:1], 0x30
	v_lshl_add_u32 v0, v2, 4, v1
	v_lshlrev_b32_e32 v4, 3, v28
	s_lshl_b32 s0, ttmp7, 5
	s_lshl_b32 s1, ttmp9, 5
	v_cmp_neq_f64_e64 s33, s[8:9], 0
	v_and_b32_e32 v3, 31, v0
	v_lshrrev_b32_e32 v29, 5, v0
	v_lshrrev_b32_e32 v0, 3, v0
	s_and_b32 s2, s0, 0x1fffe0
	v_add_nc_u32_e32 v10, s1, v1
	v_or_b32_e32 v5, s1, v3
	v_lshlrev_b32_e32 v3, 3, v3
	v_add_nc_u32_e32 v12, s2, v0
	v_lshl_or_b32 v0, v0, 6, v4
	v_cmp_neq_f64_e64 s28, s[6:7], 0
	v_lshl_add_u32 v33, v2, 6, 0x800
	v_lshl_or_b32 v30, v29, 8, v3
	v_add_nc_u32_e32 v3, s2, v2
	v_add_nc_u32_e32 v31, 0x800, v0
	;; [unrolled: 1-line block ×3, first 2 shown]
	v_cmp_gt_i32_e64 s0, s20, v5
	s_wait_kmcnt 0x0
	s_ashr_i32 s27, s26, 31
	v_cmp_gt_i32_e32 vcc_lo, s20, v3
	v_cmp_le_i32_e64 s2, v10, v3
	v_cmp_le_i32_e64 s3, v0, v3
	v_mad_co_i64_i32 v[6:7], null, v3, s18, 0
	v_add_nc_u32_e32 v8, 16, v3
	v_mad_co_i64_i32 v[2:3], null, s31, v5, 0
	v_mad_co_i64_i32 v[4:5], null, s26, v28, 0
	s_cmp_gt_i32 s21, 0
	v_lshlrev_b32_e32 v13, 3, v29
	s_cselect_b32 s34, -1, 0
	s_and_b32 s29, vcc_lo, s2
	v_lshlrev_b64_e32 v[2:3], 3, v[2:3]
	s_and_b32 s30, vcc_lo, s3
	v_cmp_gt_i32_e32 vcc_lo, s20, v8
	v_cmp_le_i32_e64 s2, v10, v8
	v_cmp_le_i32_e64 s3, v0, v8
	v_lshlrev_b64_e32 v[4:5], 3, v[4:5]
	v_cmp_gt_i32_e64 s1, s20, v12
	v_lshlrev_b32_e32 v12, 3, v12
	v_mad_co_i64_i32 v[8:9], null, v8, s18, 0
	s_and_b32 s18, vcc_lo, s2
	s_and_b32 s20, vcc_lo, s3
	v_add_co_u32 v2, vcc_lo, v2, v13
	s_delay_alu instid0(VALU_DEP_1)
	v_add_co_ci_u32_e64 v3, null, 0, v3, vcc_lo
	v_add_co_u32 v4, vcc_lo, v4, v12
	v_ashrrev_i32_e32 v11, 31, v10
	s_wait_alu 0xfffd
	v_add_co_ci_u32_e64 v5, null, 0, v5, vcc_lo
	v_add_co_u32 v2, vcc_lo, s10, v2
	s_wait_alu 0xfffd
	v_add_co_ci_u32_e64 v3, null, s11, v3, vcc_lo
	v_add_co_u32 v4, vcc_lo, s14, v4
	v_lshlrev_b64_e32 v[6:7], 3, v[6:7]
	v_lshlrev_b64_e32 v[8:9], 3, v[8:9]
	;; [unrolled: 1-line block ×3, first 2 shown]
	v_lshlrev_b32_e32 v32, 3, v1
	v_ashrrev_i32_e32 v1, 31, v0
	s_wait_alu 0xfffd
	v_add_co_ci_u32_e64 v5, null, s15, v5, vcc_lo
	s_mov_b32 s23, 0
	s_and_b32 s14, s33, s34
	s_lshl_b64 s[2:3], s[12:13], 3
	s_lshl_b64 s[4:5], s[4:5], 3
	s_lshl_b64 s[10:11], s[26:27], 6
	s_branch .LBB43_6
.LBB43_5:                               ;   in Loop: Header=BB43_6 Depth=1
	s_wait_alu 0xfffe
	s_or_b32 exec_lo, exec_lo, s12
	s_add_co_i32 s22, s22, 0x10000
	s_wait_alu 0xfffe
	s_cmp_lt_u32 s22, s19
	s_cbranch_scc0 .LBB43_33
.LBB43_6:                               ; =>This Loop Header: Depth=1
                                        ;     Child Loop BB43_9 Depth 2
	v_mov_b32_e32 v22, 0
	v_dual_mov_b32 v14, 0 :: v_dual_mov_b32 v23, 0
	v_dual_mov_b32 v20, 0 :: v_dual_mov_b32 v15, 0
	v_dual_mov_b32 v12, 0 :: v_dual_mov_b32 v21, 0
	v_mov_b32_e32 v13, 0
	s_wait_alu 0xfffe
	s_and_not1_b32 vcc_lo, exec_lo, s14
	s_wait_alu 0xfffe
	s_cbranch_vccnz .LBB43_13
; %bb.7:                                ;   in Loop: Header=BB43_6 Depth=1
	v_mad_co_u64_u32 v[16:17], null, s2, s22, v[2:3]
	v_mad_co_u64_u32 v[18:19], null, s4, s22, v[4:5]
	s_mov_b32 s12, 0
	v_mov_b32_e32 v22, 0
	v_dual_mov_b32 v23, 0 :: v_dual_mov_b32 v12, v17
	v_mov_b32_e32 v13, v19
	s_delay_alu instid0(VALU_DEP_1)
	v_mad_co_u64_u32 v[19:20], null, s3, s22, v[12:13]
	v_mad_co_u64_u32 v[24:25], null, s5, s22, v[13:14]
	v_mov_b32_e32 v12, 0
	v_dual_mov_b32 v20, 0 :: v_dual_mov_b32 v13, 0
	v_dual_mov_b32 v14, 0 :: v_dual_mov_b32 v21, 0
	v_mov_b32_e32 v15, 0
	v_mov_b32_e32 v17, v19
	;; [unrolled: 1-line block ×3, first 2 shown]
	s_branch .LBB43_9
.LBB43_8:                               ;   in Loop: Header=BB43_9 Depth=2
	s_wait_alu 0xfffe
	s_or_b32 exec_lo, exec_lo, s13
	s_wait_loadcnt 0x0
	ds_store_b64 v31, v[26:27]
	s_wait_dscnt 0x0
	s_barrier_signal -1
	s_barrier_wait -1
	global_inv scope:SCOPE_SE
	ds_load_b128 v[24:27], v33
	ds_load_2addr_b64 v[34:37], v32 offset1:16
	ds_load_b128 v[38:41], v33 offset:1024
	ds_load_b128 v[42:45], v33 offset:16
	;; [unrolled: 1-line block ×3, first 2 shown]
	v_add_co_u32 v16, vcc_lo, v16, 64
	s_wait_alu 0xfffd
	v_add_co_ci_u32_e64 v17, null, 0, v17, vcc_lo
	v_add_co_u32 v18, vcc_lo, v18, s10
	s_wait_alu 0xfffd
	v_add_co_ci_u32_e64 v19, null, s11, v19, vcc_lo
	s_add_co_i32 s12, s12, 8
	s_wait_alu 0xfffe
	s_cmp_lt_i32 s12, s21
	s_wait_dscnt 0x3
	v_fma_f64 v[22:23], v[34:35], v[24:25], v[22:23]
	v_fma_f64 v[20:21], v[36:37], v[24:25], v[20:21]
	s_wait_dscnt 0x2
	v_fma_f64 v[24:25], v[34:35], v[38:39], v[14:15]
	v_fma_f64 v[34:35], v[36:37], v[38:39], v[12:13]
	ds_load_2addr_b64 v[12:15], v32 offset0:32 offset1:48
	s_wait_dscnt 0x0
	v_fma_f64 v[22:23], v[12:13], v[26:27], v[22:23]
	v_fma_f64 v[20:21], v[14:15], v[26:27], v[20:21]
	v_fma_f64 v[24:25], v[12:13], v[40:41], v[24:25]
	v_fma_f64 v[26:27], v[14:15], v[40:41], v[34:35]
	ds_load_2addr_b64 v[12:15], v32 offset0:64 offset1:80
	s_wait_dscnt 0x0
	v_fma_f64 v[22:23], v[12:13], v[42:43], v[22:23]
	v_fma_f64 v[20:21], v[14:15], v[42:43], v[20:21]
	;; [unrolled: 6-line block ×3, first 2 shown]
	v_fma_f64 v[46:47], v[12:13], v[48:49], v[24:25]
	v_fma_f64 v[48:49], v[14:15], v[48:49], v[26:27]
	ds_load_b128 v[12:15], v33 offset:32
	ds_load_2addr_b64 v[20:23], v32 offset0:128 offset1:144
	ds_load_b128 v[24:27], v33 offset:1056
	ds_load_b128 v[34:37], v33 offset:48
	;; [unrolled: 1-line block ×3, first 2 shown]
	s_wait_dscnt 0x3
	v_fma_f64 v[42:43], v[20:21], v[12:13], v[42:43]
	v_fma_f64 v[12:13], v[22:23], v[12:13], v[44:45]
	s_wait_dscnt 0x2
	v_fma_f64 v[44:45], v[20:21], v[24:25], v[46:47]
	v_fma_f64 v[24:25], v[22:23], v[24:25], v[48:49]
	ds_load_2addr_b64 v[20:23], v32 offset0:160 offset1:176
	s_wait_dscnt 0x0
	v_fma_f64 v[42:43], v[20:21], v[14:15], v[42:43]
	v_fma_f64 v[46:47], v[22:23], v[14:15], v[12:13]
	;; [unrolled: 1-line block ×4, first 2 shown]
	ds_load_2addr_b64 v[12:15], v32 offset0:192 offset1:208
	ds_load_2addr_b64 v[24:27], v32 offset0:224 offset1:240
	s_wait_loadcnt_dscnt 0x0
	s_barrier_signal -1
	s_barrier_wait -1
	global_inv scope:SCOPE_SE
	v_fma_f64 v[42:43], v[12:13], v[34:35], v[42:43]
	v_fma_f64 v[34:35], v[14:15], v[34:35], v[46:47]
	;; [unrolled: 1-line block ×4, first 2 shown]
	s_delay_alu instid0(VALU_DEP_4) | instskip(NEXT) | instid1(VALU_DEP_4)
	v_fma_f64 v[22:23], v[24:25], v[36:37], v[42:43]
	v_fma_f64 v[20:21], v[26:27], v[36:37], v[34:35]
	s_delay_alu instid0(VALU_DEP_4) | instskip(NEXT) | instid1(VALU_DEP_4)
	v_fma_f64 v[14:15], v[24:25], v[40:41], v[12:13]
	v_fma_f64 v[12:13], v[26:27], v[40:41], v[38:39]
	s_cbranch_scc0 .LBB43_13
.LBB43_9:                               ;   Parent Loop BB43_6 Depth=1
                                        ; =>  This Inner Loop Header: Depth=2
	s_wait_alu 0xfffe
	v_add_nc_u32_e32 v24, s12, v29
	s_delay_alu instid0(VALU_DEP_1)
	v_cmp_gt_i32_e32 vcc_lo, s21, v24
	v_mov_b32_e32 v24, 0
	v_mov_b32_e32 v25, 0
	s_and_b32 s15, s0, vcc_lo
	s_wait_alu 0xfffe
	s_and_saveexec_b32 s13, s15
	s_cbranch_execz .LBB43_11
; %bb.10:                               ;   in Loop: Header=BB43_9 Depth=2
	global_load_b64 v[24:25], v[16:17], off
.LBB43_11:                              ;   in Loop: Header=BB43_9 Depth=2
	s_wait_alu 0xfffe
	s_or_b32 exec_lo, exec_lo, s13
	v_add_nc_u32_e32 v26, s12, v28
	s_wait_loadcnt 0x0
	ds_store_b64 v30, v[24:25]
	v_cmp_gt_i32_e32 vcc_lo, s21, v26
	v_mov_b32_e32 v26, 0
	v_mov_b32_e32 v27, 0
	s_and_b32 s15, vcc_lo, s1
	s_wait_alu 0xfffe
	s_and_saveexec_b32 s13, s15
	s_cbranch_execz .LBB43_8
; %bb.12:                               ;   in Loop: Header=BB43_9 Depth=2
	global_load_b64 v[26:27], v[18:19], off
	s_branch .LBB43_8
.LBB43_13:                              ;   in Loop: Header=BB43_6 Depth=1
	s_mul_u64 s[12:13], s[24:25], s[22:23]
	s_wait_alu 0xfffe
	s_lshl_b64 s[12:13], s[12:13], 3
	s_wait_alu 0xfffe
	s_add_nc_u64 s[12:13], s[16:17], s[12:13]
	s_wait_alu 0xfffe
	v_add_co_u32 v18, vcc_lo, s12, v6
	s_wait_alu 0xfffd
	v_add_co_ci_u32_e64 v19, null, s13, v7, vcc_lo
	s_and_saveexec_b32 s15, s29
	s_cbranch_execz .LBB43_17
; %bb.14:                               ;   in Loop: Header=BB43_6 Depth=1
	v_mul_f64_e32 v[16:17], s[8:9], v[22:23]
	s_and_b32 vcc_lo, exec_lo, s28
	s_wait_alu 0xfffe
	s_cbranch_vccz .LBB43_28
; %bb.15:                               ;   in Loop: Header=BB43_6 Depth=1
	v_add_co_u32 v22, vcc_lo, v18, v10
	s_wait_alu 0xfffd
	v_add_co_ci_u32_e64 v23, null, v19, v11, vcc_lo
	global_load_b64 v[24:25], v[22:23], off
	s_wait_loadcnt 0x0
	v_fma_f64 v[24:25], s[6:7], v[24:25], v[16:17]
	global_store_b64 v[22:23], v[24:25], off
	s_cbranch_execnz .LBB43_17
.LBB43_16:                              ;   in Loop: Header=BB43_6 Depth=1
	v_add_co_u32 v22, vcc_lo, v18, v10
	s_wait_alu 0xfffd
	v_add_co_ci_u32_e64 v23, null, v19, v11, vcc_lo
	global_store_b64 v[22:23], v[16:17], off
.LBB43_17:                              ;   in Loop: Header=BB43_6 Depth=1
	s_wait_alu 0xfffe
	s_or_b32 exec_lo, exec_lo, s15
	s_and_saveexec_b32 s15, s30
	s_cbranch_execz .LBB43_21
; %bb.18:                               ;   in Loop: Header=BB43_6 Depth=1
	v_mul_f64_e32 v[16:17], s[8:9], v[20:21]
	s_and_not1_b32 vcc_lo, exec_lo, s28
	s_wait_alu 0xfffe
	s_cbranch_vccnz .LBB43_29
; %bb.19:                               ;   in Loop: Header=BB43_6 Depth=1
	v_lshlrev_b64_e32 v[20:21], 3, v[0:1]
	s_delay_alu instid0(VALU_DEP_1) | instskip(SKIP_1) | instid1(VALU_DEP_2)
	v_add_co_u32 v20, vcc_lo, v18, v20
	s_wait_alu 0xfffd
	v_add_co_ci_u32_e64 v21, null, v19, v21, vcc_lo
	global_load_b64 v[22:23], v[20:21], off
	s_wait_loadcnt 0x0
	v_fma_f64 v[22:23], s[6:7], v[22:23], v[16:17]
	global_store_b64 v[20:21], v[22:23], off
	s_cbranch_execnz .LBB43_21
.LBB43_20:                              ;   in Loop: Header=BB43_6 Depth=1
	v_lshlrev_b64_e32 v[20:21], 3, v[0:1]
	s_delay_alu instid0(VALU_DEP_1) | instskip(SKIP_1) | instid1(VALU_DEP_2)
	v_add_co_u32 v18, vcc_lo, v18, v20
	s_wait_alu 0xfffd
	v_add_co_ci_u32_e64 v19, null, v19, v21, vcc_lo
	global_store_b64 v[18:19], v[16:17], off
.LBB43_21:                              ;   in Loop: Header=BB43_6 Depth=1
	s_wait_alu 0xfffe
	s_or_b32 exec_lo, exec_lo, s15
	v_add_co_u32 v16, vcc_lo, s12, v8
	s_wait_alu 0xfffd
	v_add_co_ci_u32_e64 v17, null, s13, v9, vcc_lo
	s_and_saveexec_b32 s12, s18
	s_cbranch_execz .LBB43_25
; %bb.22:                               ;   in Loop: Header=BB43_6 Depth=1
	v_mul_f64_e32 v[14:15], s[8:9], v[14:15]
	s_and_not1_b32 vcc_lo, exec_lo, s28
	s_wait_alu 0xfffe
	s_cbranch_vccnz .LBB43_30
; %bb.23:                               ;   in Loop: Header=BB43_6 Depth=1
	v_add_co_u32 v18, vcc_lo, v16, v10
	s_wait_alu 0xfffd
	v_add_co_ci_u32_e64 v19, null, v17, v11, vcc_lo
	global_load_b64 v[20:21], v[18:19], off
	s_wait_loadcnt 0x0
	v_fma_f64 v[20:21], s[6:7], v[20:21], v[14:15]
	global_store_b64 v[18:19], v[20:21], off
	s_cbranch_execnz .LBB43_25
.LBB43_24:                              ;   in Loop: Header=BB43_6 Depth=1
	v_add_co_u32 v18, vcc_lo, v16, v10
	s_wait_alu 0xfffd
	v_add_co_ci_u32_e64 v19, null, v17, v11, vcc_lo
	global_store_b64 v[18:19], v[14:15], off
.LBB43_25:                              ;   in Loop: Header=BB43_6 Depth=1
	s_wait_alu 0xfffe
	s_or_b32 exec_lo, exec_lo, s12
	s_and_saveexec_b32 s12, s20
	s_cbranch_execz .LBB43_5
; %bb.26:                               ;   in Loop: Header=BB43_6 Depth=1
	v_mul_f64_e32 v[12:13], s[8:9], v[12:13]
	v_lshlrev_b64_e32 v[14:15], 3, v[0:1]
	s_and_not1_b32 vcc_lo, exec_lo, s28
	s_wait_alu 0xfffe
	s_cbranch_vccnz .LBB43_31
; %bb.27:                               ;   in Loop: Header=BB43_6 Depth=1
	s_delay_alu instid0(VALU_DEP_1)
	v_add_co_u32 v18, vcc_lo, v16, v14
	s_wait_alu 0xfffd
	v_add_co_ci_u32_e64 v19, null, v17, v15, vcc_lo
	global_load_b64 v[20:21], v[18:19], off
	s_wait_loadcnt 0x0
	v_fma_f64 v[20:21], s[6:7], v[20:21], v[12:13]
	global_store_b64 v[18:19], v[20:21], off
	s_cbranch_execnz .LBB43_5
	s_branch .LBB43_32
.LBB43_28:                              ;   in Loop: Header=BB43_6 Depth=1
	s_branch .LBB43_16
.LBB43_29:                              ;   in Loop: Header=BB43_6 Depth=1
	s_branch .LBB43_20
.LBB43_30:                              ;   in Loop: Header=BB43_6 Depth=1
	s_branch .LBB43_24
.LBB43_31:                              ;   in Loop: Header=BB43_6 Depth=1
.LBB43_32:                              ;   in Loop: Header=BB43_6 Depth=1
	s_delay_alu instid0(VALU_DEP_1)
	v_add_co_u32 v14, vcc_lo, v16, v14
	s_wait_alu 0xfffd
	v_add_co_ci_u32_e64 v15, null, v17, v15, vcc_lo
	global_store_b64 v[14:15], v[12:13], off
	s_branch .LBB43_5
.LBB43_33:
	s_endpgm
	.section	.rodata,"a",@progbits
	.p2align	6, 0x0
	.amdhsa_kernel _ZL29rocblas_internal_gemmt_kernelIiLi16ELi32ELi8ELc67ELc84ELc85ELb0ELb0EdPKdS1_PdEviT_T9_T10_S3_lS5_S3_lS4_T11_S3_li
		.amdhsa_group_segment_fixed_size 4096
		.amdhsa_private_segment_fixed_size 0
		.amdhsa_kernarg_size 100
		.amdhsa_user_sgpr_count 2
		.amdhsa_user_sgpr_dispatch_ptr 0
		.amdhsa_user_sgpr_queue_ptr 0
		.amdhsa_user_sgpr_kernarg_segment_ptr 1
		.amdhsa_user_sgpr_dispatch_id 0
		.amdhsa_user_sgpr_private_segment_size 0
		.amdhsa_wavefront_size32 1
		.amdhsa_uses_dynamic_stack 0
		.amdhsa_enable_private_segment 0
		.amdhsa_system_sgpr_workgroup_id_x 1
		.amdhsa_system_sgpr_workgroup_id_y 1
		.amdhsa_system_sgpr_workgroup_id_z 1
		.amdhsa_system_sgpr_workgroup_info 0
		.amdhsa_system_vgpr_workitem_id 1
		.amdhsa_next_free_vgpr 50
		.amdhsa_next_free_sgpr 35
		.amdhsa_reserve_vcc 1
		.amdhsa_float_round_mode_32 0
		.amdhsa_float_round_mode_16_64 0
		.amdhsa_float_denorm_mode_32 3
		.amdhsa_float_denorm_mode_16_64 3
		.amdhsa_fp16_overflow 0
		.amdhsa_workgroup_processor_mode 1
		.amdhsa_memory_ordered 1
		.amdhsa_forward_progress 1
		.amdhsa_inst_pref_size 16
		.amdhsa_round_robin_scheduling 0
		.amdhsa_exception_fp_ieee_invalid_op 0
		.amdhsa_exception_fp_denorm_src 0
		.amdhsa_exception_fp_ieee_div_zero 0
		.amdhsa_exception_fp_ieee_overflow 0
		.amdhsa_exception_fp_ieee_underflow 0
		.amdhsa_exception_fp_ieee_inexact 0
		.amdhsa_exception_int_div_zero 0
	.end_amdhsa_kernel
	.section	.text._ZL29rocblas_internal_gemmt_kernelIiLi16ELi32ELi8ELc67ELc84ELc85ELb0ELb0EdPKdS1_PdEviT_T9_T10_S3_lS5_S3_lS4_T11_S3_li,"axG",@progbits,_ZL29rocblas_internal_gemmt_kernelIiLi16ELi32ELi8ELc67ELc84ELc85ELb0ELb0EdPKdS1_PdEviT_T9_T10_S3_lS5_S3_lS4_T11_S3_li,comdat
.Lfunc_end43:
	.size	_ZL29rocblas_internal_gemmt_kernelIiLi16ELi32ELi8ELc67ELc84ELc85ELb0ELb0EdPKdS1_PdEviT_T9_T10_S3_lS5_S3_lS4_T11_S3_li, .Lfunc_end43-_ZL29rocblas_internal_gemmt_kernelIiLi16ELi32ELi8ELc67ELc84ELc85ELb0ELb0EdPKdS1_PdEviT_T9_T10_S3_lS5_S3_lS4_T11_S3_li
                                        ; -- End function
	.set _ZL29rocblas_internal_gemmt_kernelIiLi16ELi32ELi8ELc67ELc84ELc85ELb0ELb0EdPKdS1_PdEviT_T9_T10_S3_lS5_S3_lS4_T11_S3_li.num_vgpr, 50
	.set _ZL29rocblas_internal_gemmt_kernelIiLi16ELi32ELi8ELc67ELc84ELc85ELb0ELb0EdPKdS1_PdEviT_T9_T10_S3_lS5_S3_lS4_T11_S3_li.num_agpr, 0
	.set _ZL29rocblas_internal_gemmt_kernelIiLi16ELi32ELi8ELc67ELc84ELc85ELb0ELb0EdPKdS1_PdEviT_T9_T10_S3_lS5_S3_lS4_T11_S3_li.numbered_sgpr, 35
	.set _ZL29rocblas_internal_gemmt_kernelIiLi16ELi32ELi8ELc67ELc84ELc85ELb0ELb0EdPKdS1_PdEviT_T9_T10_S3_lS5_S3_lS4_T11_S3_li.num_named_barrier, 0
	.set _ZL29rocblas_internal_gemmt_kernelIiLi16ELi32ELi8ELc67ELc84ELc85ELb0ELb0EdPKdS1_PdEviT_T9_T10_S3_lS5_S3_lS4_T11_S3_li.private_seg_size, 0
	.set _ZL29rocblas_internal_gemmt_kernelIiLi16ELi32ELi8ELc67ELc84ELc85ELb0ELb0EdPKdS1_PdEviT_T9_T10_S3_lS5_S3_lS4_T11_S3_li.uses_vcc, 1
	.set _ZL29rocblas_internal_gemmt_kernelIiLi16ELi32ELi8ELc67ELc84ELc85ELb0ELb0EdPKdS1_PdEviT_T9_T10_S3_lS5_S3_lS4_T11_S3_li.uses_flat_scratch, 0
	.set _ZL29rocblas_internal_gemmt_kernelIiLi16ELi32ELi8ELc67ELc84ELc85ELb0ELb0EdPKdS1_PdEviT_T9_T10_S3_lS5_S3_lS4_T11_S3_li.has_dyn_sized_stack, 0
	.set _ZL29rocblas_internal_gemmt_kernelIiLi16ELi32ELi8ELc67ELc84ELc85ELb0ELb0EdPKdS1_PdEviT_T9_T10_S3_lS5_S3_lS4_T11_S3_li.has_recursion, 0
	.set _ZL29rocblas_internal_gemmt_kernelIiLi16ELi32ELi8ELc67ELc84ELc85ELb0ELb0EdPKdS1_PdEviT_T9_T10_S3_lS5_S3_lS4_T11_S3_li.has_indirect_call, 0
	.section	.AMDGPU.csdata,"",@progbits
; Kernel info:
; codeLenInByte = 2020
; TotalNumSgprs: 37
; NumVgprs: 50
; ScratchSize: 0
; MemoryBound: 0
; FloatMode: 240
; IeeeMode: 1
; LDSByteSize: 4096 bytes/workgroup (compile time only)
; SGPRBlocks: 0
; VGPRBlocks: 6
; NumSGPRsForWavesPerEU: 37
; NumVGPRsForWavesPerEU: 50
; Occupancy: 16
; WaveLimiterHint : 0
; COMPUTE_PGM_RSRC2:SCRATCH_EN: 0
; COMPUTE_PGM_RSRC2:USER_SGPR: 2
; COMPUTE_PGM_RSRC2:TRAP_HANDLER: 0
; COMPUTE_PGM_RSRC2:TGID_X_EN: 1
; COMPUTE_PGM_RSRC2:TGID_Y_EN: 1
; COMPUTE_PGM_RSRC2:TGID_Z_EN: 1
; COMPUTE_PGM_RSRC2:TIDIG_COMP_CNT: 1
	.section	.text._ZL29rocblas_internal_gemmt_kernelIiLi16ELi32ELi8ELc67ELc67ELc85ELb0ELb0EdPKdS1_PdEviT_T9_T10_S3_lS5_S3_lS4_T11_S3_li,"axG",@progbits,_ZL29rocblas_internal_gemmt_kernelIiLi16ELi32ELi8ELc67ELc67ELc85ELb0ELb0EdPKdS1_PdEviT_T9_T10_S3_lS5_S3_lS4_T11_S3_li,comdat
	.globl	_ZL29rocblas_internal_gemmt_kernelIiLi16ELi32ELi8ELc67ELc67ELc85ELb0ELb0EdPKdS1_PdEviT_T9_T10_S3_lS5_S3_lS4_T11_S3_li ; -- Begin function _ZL29rocblas_internal_gemmt_kernelIiLi16ELi32ELi8ELc67ELc67ELc85ELb0ELb0EdPKdS1_PdEviT_T9_T10_S3_lS5_S3_lS4_T11_S3_li
	.p2align	8
	.type	_ZL29rocblas_internal_gemmt_kernelIiLi16ELi32ELi8ELc67ELc67ELc85ELb0ELb0EdPKdS1_PdEviT_T9_T10_S3_lS5_S3_lS4_T11_S3_li,@function
_ZL29rocblas_internal_gemmt_kernelIiLi16ELi32ELi8ELc67ELc67ELc85ELb0ELb0EdPKdS1_PdEviT_T9_T10_S3_lS5_S3_lS4_T11_S3_li: ; @_ZL29rocblas_internal_gemmt_kernelIiLi16ELi32ELi8ELc67ELc67ELc85ELb0ELb0EdPKdS1_PdEviT_T9_T10_S3_lS5_S3_lS4_T11_S3_li
; %bb.0:
	s_load_b128 s[4:7], s[0:1], 0x38
	s_wait_kmcnt 0x0
	s_load_b64 s[6:7], s[6:7], 0x0
	s_clause 0x1
	s_load_b128 s[8:11], s[0:1], 0x8
	s_load_b64 s[20:21], s[0:1], 0x0
	s_wait_kmcnt 0x0
	s_load_b64 s[8:9], s[8:9], 0x0
	v_cmp_neq_f64_e64 s2, s[6:7], 1.0
	s_and_b32 vcc_lo, exec_lo, s2
	s_cbranch_vccnz .LBB44_2
; %bb.1:
	s_wait_kmcnt 0x0
	v_cmp_neq_f64_e64 s2, s[8:9], 0
	s_cmp_lg_u32 s21, 0
	s_cselect_b32 s3, -1, 0
	s_delay_alu instid0(SALU_CYCLE_1)
	s_and_b32 s2, s3, s2
.LBB44_2:
	s_delay_alu instid0(SALU_CYCLE_1)
	s_and_not1_b32 vcc_lo, exec_lo, s2
	s_cbranch_vccnz .LBB44_33
; %bb.3:
	s_load_b32 s19, s[0:1], 0x60
	s_lshr_b32 s22, ttmp7, 16
	s_wait_kmcnt 0x0
	s_cmp_ge_u32 s22, s19
	s_cbranch_scc1 .LBB44_33
; %bb.4:
	v_and_b32_e32 v1, 0x3ff, v0
	v_bfe_u32 v2, v0, 10, 10
	v_and_b32_e32 v28, 7, v0
	s_clause 0x4
	s_load_b32 s31, s[0:1], 0x18
	s_load_b128 s[12:15], s[0:1], 0x20
	s_load_b96 s[16:18], s[0:1], 0x48
	s_load_b64 s[24:25], s[0:1], 0x58
	s_load_b32 s26, s[0:1], 0x30
	v_lshl_add_u32 v0, v2, 4, v1
	v_lshlrev_b32_e32 v4, 3, v28
	s_lshl_b32 s0, ttmp7, 5
	s_lshl_b32 s1, ttmp9, 5
	v_cmp_neq_f64_e64 s33, s[8:9], 0
	v_and_b32_e32 v3, 31, v0
	v_lshrrev_b32_e32 v29, 5, v0
	v_lshrrev_b32_e32 v0, 3, v0
	s_and_b32 s2, s0, 0x1fffe0
	v_add_nc_u32_e32 v10, s1, v1
	v_or_b32_e32 v5, s1, v3
	v_lshlrev_b32_e32 v3, 3, v3
	v_add_nc_u32_e32 v12, s2, v0
	v_lshl_or_b32 v0, v0, 6, v4
	v_cmp_neq_f64_e64 s28, s[6:7], 0
	v_lshl_add_u32 v33, v2, 6, 0x800
	v_lshl_or_b32 v30, v29, 8, v3
	v_add_nc_u32_e32 v3, s2, v2
	v_add_nc_u32_e32 v31, 0x800, v0
	;; [unrolled: 1-line block ×3, first 2 shown]
	v_cmp_gt_i32_e64 s0, s20, v5
	s_wait_kmcnt 0x0
	s_ashr_i32 s27, s26, 31
	v_cmp_gt_i32_e32 vcc_lo, s20, v3
	v_cmp_le_i32_e64 s2, v10, v3
	v_cmp_le_i32_e64 s3, v0, v3
	v_mad_co_i64_i32 v[6:7], null, v3, s18, 0
	v_add_nc_u32_e32 v8, 16, v3
	v_mad_co_i64_i32 v[2:3], null, s31, v5, 0
	v_mad_co_i64_i32 v[4:5], null, s26, v28, 0
	s_cmp_gt_i32 s21, 0
	v_lshlrev_b32_e32 v13, 3, v29
	s_cselect_b32 s34, -1, 0
	s_and_b32 s29, vcc_lo, s2
	v_lshlrev_b64_e32 v[2:3], 3, v[2:3]
	s_and_b32 s30, vcc_lo, s3
	v_cmp_gt_i32_e32 vcc_lo, s20, v8
	v_cmp_le_i32_e64 s2, v10, v8
	v_cmp_le_i32_e64 s3, v0, v8
	v_lshlrev_b64_e32 v[4:5], 3, v[4:5]
	v_cmp_gt_i32_e64 s1, s20, v12
	v_lshlrev_b32_e32 v12, 3, v12
	v_mad_co_i64_i32 v[8:9], null, v8, s18, 0
	s_and_b32 s18, vcc_lo, s2
	s_and_b32 s20, vcc_lo, s3
	v_add_co_u32 v2, vcc_lo, v2, v13
	s_delay_alu instid0(VALU_DEP_1)
	v_add_co_ci_u32_e64 v3, null, 0, v3, vcc_lo
	v_add_co_u32 v4, vcc_lo, v4, v12
	v_ashrrev_i32_e32 v11, 31, v10
	s_wait_alu 0xfffd
	v_add_co_ci_u32_e64 v5, null, 0, v5, vcc_lo
	v_add_co_u32 v2, vcc_lo, s10, v2
	s_wait_alu 0xfffd
	v_add_co_ci_u32_e64 v3, null, s11, v3, vcc_lo
	v_add_co_u32 v4, vcc_lo, s14, v4
	v_lshlrev_b64_e32 v[6:7], 3, v[6:7]
	v_lshlrev_b64_e32 v[8:9], 3, v[8:9]
	;; [unrolled: 1-line block ×3, first 2 shown]
	v_lshlrev_b32_e32 v32, 3, v1
	v_ashrrev_i32_e32 v1, 31, v0
	s_wait_alu 0xfffd
	v_add_co_ci_u32_e64 v5, null, s15, v5, vcc_lo
	s_mov_b32 s23, 0
	s_and_b32 s14, s33, s34
	s_lshl_b64 s[2:3], s[12:13], 3
	s_lshl_b64 s[4:5], s[4:5], 3
	;; [unrolled: 1-line block ×3, first 2 shown]
	s_branch .LBB44_6
.LBB44_5:                               ;   in Loop: Header=BB44_6 Depth=1
	s_wait_alu 0xfffe
	s_or_b32 exec_lo, exec_lo, s12
	s_add_co_i32 s22, s22, 0x10000
	s_wait_alu 0xfffe
	s_cmp_lt_u32 s22, s19
	s_cbranch_scc0 .LBB44_33
.LBB44_6:                               ; =>This Loop Header: Depth=1
                                        ;     Child Loop BB44_9 Depth 2
	v_mov_b32_e32 v22, 0
	v_dual_mov_b32 v14, 0 :: v_dual_mov_b32 v23, 0
	v_dual_mov_b32 v20, 0 :: v_dual_mov_b32 v15, 0
	;; [unrolled: 1-line block ×3, first 2 shown]
	v_mov_b32_e32 v13, 0
	s_wait_alu 0xfffe
	s_and_not1_b32 vcc_lo, exec_lo, s14
	s_wait_alu 0xfffe
	s_cbranch_vccnz .LBB44_13
; %bb.7:                                ;   in Loop: Header=BB44_6 Depth=1
	v_mad_co_u64_u32 v[16:17], null, s2, s22, v[2:3]
	v_mad_co_u64_u32 v[18:19], null, s4, s22, v[4:5]
	s_mov_b32 s12, 0
	v_mov_b32_e32 v22, 0
	v_dual_mov_b32 v23, 0 :: v_dual_mov_b32 v12, v17
	v_mov_b32_e32 v13, v19
	s_delay_alu instid0(VALU_DEP_1)
	v_mad_co_u64_u32 v[19:20], null, s3, s22, v[12:13]
	v_mad_co_u64_u32 v[24:25], null, s5, s22, v[13:14]
	v_mov_b32_e32 v12, 0
	v_dual_mov_b32 v20, 0 :: v_dual_mov_b32 v13, 0
	v_dual_mov_b32 v14, 0 :: v_dual_mov_b32 v21, 0
	v_mov_b32_e32 v15, 0
	v_mov_b32_e32 v17, v19
	;; [unrolled: 1-line block ×3, first 2 shown]
	s_branch .LBB44_9
.LBB44_8:                               ;   in Loop: Header=BB44_9 Depth=2
	s_wait_alu 0xfffe
	s_or_b32 exec_lo, exec_lo, s13
	s_wait_loadcnt 0x0
	ds_store_b64 v31, v[26:27]
	s_wait_dscnt 0x0
	s_barrier_signal -1
	s_barrier_wait -1
	global_inv scope:SCOPE_SE
	ds_load_b128 v[24:27], v33
	ds_load_2addr_b64 v[34:37], v32 offset1:16
	ds_load_b128 v[38:41], v33 offset:1024
	ds_load_b128 v[42:45], v33 offset:16
	;; [unrolled: 1-line block ×3, first 2 shown]
	v_add_co_u32 v16, vcc_lo, v16, 64
	s_wait_alu 0xfffd
	v_add_co_ci_u32_e64 v17, null, 0, v17, vcc_lo
	v_add_co_u32 v18, vcc_lo, v18, s10
	s_wait_alu 0xfffd
	v_add_co_ci_u32_e64 v19, null, s11, v19, vcc_lo
	s_add_co_i32 s12, s12, 8
	s_wait_alu 0xfffe
	s_cmp_lt_i32 s12, s21
	s_wait_dscnt 0x3
	v_fma_f64 v[22:23], v[34:35], v[24:25], v[22:23]
	v_fma_f64 v[20:21], v[36:37], v[24:25], v[20:21]
	s_wait_dscnt 0x2
	v_fma_f64 v[24:25], v[34:35], v[38:39], v[14:15]
	v_fma_f64 v[34:35], v[36:37], v[38:39], v[12:13]
	ds_load_2addr_b64 v[12:15], v32 offset0:32 offset1:48
	s_wait_dscnt 0x0
	v_fma_f64 v[22:23], v[12:13], v[26:27], v[22:23]
	v_fma_f64 v[20:21], v[14:15], v[26:27], v[20:21]
	v_fma_f64 v[24:25], v[12:13], v[40:41], v[24:25]
	v_fma_f64 v[26:27], v[14:15], v[40:41], v[34:35]
	ds_load_2addr_b64 v[12:15], v32 offset0:64 offset1:80
	s_wait_dscnt 0x0
	v_fma_f64 v[22:23], v[12:13], v[42:43], v[22:23]
	v_fma_f64 v[20:21], v[14:15], v[42:43], v[20:21]
	;; [unrolled: 6-line block ×3, first 2 shown]
	v_fma_f64 v[46:47], v[12:13], v[48:49], v[24:25]
	v_fma_f64 v[48:49], v[14:15], v[48:49], v[26:27]
	ds_load_b128 v[12:15], v33 offset:32
	ds_load_2addr_b64 v[20:23], v32 offset0:128 offset1:144
	ds_load_b128 v[24:27], v33 offset:1056
	ds_load_b128 v[34:37], v33 offset:48
	;; [unrolled: 1-line block ×3, first 2 shown]
	s_wait_dscnt 0x3
	v_fma_f64 v[42:43], v[20:21], v[12:13], v[42:43]
	v_fma_f64 v[12:13], v[22:23], v[12:13], v[44:45]
	s_wait_dscnt 0x2
	v_fma_f64 v[44:45], v[20:21], v[24:25], v[46:47]
	v_fma_f64 v[24:25], v[22:23], v[24:25], v[48:49]
	ds_load_2addr_b64 v[20:23], v32 offset0:160 offset1:176
	s_wait_dscnt 0x0
	v_fma_f64 v[42:43], v[20:21], v[14:15], v[42:43]
	v_fma_f64 v[46:47], v[22:23], v[14:15], v[12:13]
	;; [unrolled: 1-line block ×4, first 2 shown]
	ds_load_2addr_b64 v[12:15], v32 offset0:192 offset1:208
	ds_load_2addr_b64 v[24:27], v32 offset0:224 offset1:240
	s_wait_loadcnt_dscnt 0x0
	s_barrier_signal -1
	s_barrier_wait -1
	global_inv scope:SCOPE_SE
	v_fma_f64 v[42:43], v[12:13], v[34:35], v[42:43]
	v_fma_f64 v[34:35], v[14:15], v[34:35], v[46:47]
	;; [unrolled: 1-line block ×4, first 2 shown]
	s_delay_alu instid0(VALU_DEP_4) | instskip(NEXT) | instid1(VALU_DEP_4)
	v_fma_f64 v[22:23], v[24:25], v[36:37], v[42:43]
	v_fma_f64 v[20:21], v[26:27], v[36:37], v[34:35]
	s_delay_alu instid0(VALU_DEP_4) | instskip(NEXT) | instid1(VALU_DEP_4)
	v_fma_f64 v[14:15], v[24:25], v[40:41], v[12:13]
	v_fma_f64 v[12:13], v[26:27], v[40:41], v[38:39]
	s_cbranch_scc0 .LBB44_13
.LBB44_9:                               ;   Parent Loop BB44_6 Depth=1
                                        ; =>  This Inner Loop Header: Depth=2
	s_wait_alu 0xfffe
	v_add_nc_u32_e32 v24, s12, v29
	s_delay_alu instid0(VALU_DEP_1)
	v_cmp_gt_i32_e32 vcc_lo, s21, v24
	v_mov_b32_e32 v24, 0
	v_mov_b32_e32 v25, 0
	s_and_b32 s15, s0, vcc_lo
	s_wait_alu 0xfffe
	s_and_saveexec_b32 s13, s15
	s_cbranch_execz .LBB44_11
; %bb.10:                               ;   in Loop: Header=BB44_9 Depth=2
	global_load_b64 v[24:25], v[16:17], off
.LBB44_11:                              ;   in Loop: Header=BB44_9 Depth=2
	s_wait_alu 0xfffe
	s_or_b32 exec_lo, exec_lo, s13
	v_add_nc_u32_e32 v26, s12, v28
	s_wait_loadcnt 0x0
	ds_store_b64 v30, v[24:25]
	v_cmp_gt_i32_e32 vcc_lo, s21, v26
	v_mov_b32_e32 v26, 0
	v_mov_b32_e32 v27, 0
	s_and_b32 s15, vcc_lo, s1
	s_wait_alu 0xfffe
	s_and_saveexec_b32 s13, s15
	s_cbranch_execz .LBB44_8
; %bb.12:                               ;   in Loop: Header=BB44_9 Depth=2
	global_load_b64 v[26:27], v[18:19], off
	s_branch .LBB44_8
.LBB44_13:                              ;   in Loop: Header=BB44_6 Depth=1
	s_mul_u64 s[12:13], s[24:25], s[22:23]
	s_wait_alu 0xfffe
	s_lshl_b64 s[12:13], s[12:13], 3
	s_wait_alu 0xfffe
	s_add_nc_u64 s[12:13], s[16:17], s[12:13]
	s_wait_alu 0xfffe
	v_add_co_u32 v18, vcc_lo, s12, v6
	s_wait_alu 0xfffd
	v_add_co_ci_u32_e64 v19, null, s13, v7, vcc_lo
	s_and_saveexec_b32 s15, s29
	s_cbranch_execz .LBB44_17
; %bb.14:                               ;   in Loop: Header=BB44_6 Depth=1
	v_mul_f64_e32 v[16:17], s[8:9], v[22:23]
	s_and_b32 vcc_lo, exec_lo, s28
	s_wait_alu 0xfffe
	s_cbranch_vccz .LBB44_28
; %bb.15:                               ;   in Loop: Header=BB44_6 Depth=1
	v_add_co_u32 v22, vcc_lo, v18, v10
	s_wait_alu 0xfffd
	v_add_co_ci_u32_e64 v23, null, v19, v11, vcc_lo
	global_load_b64 v[24:25], v[22:23], off
	s_wait_loadcnt 0x0
	v_fma_f64 v[24:25], s[6:7], v[24:25], v[16:17]
	global_store_b64 v[22:23], v[24:25], off
	s_cbranch_execnz .LBB44_17
.LBB44_16:                              ;   in Loop: Header=BB44_6 Depth=1
	v_add_co_u32 v22, vcc_lo, v18, v10
	s_wait_alu 0xfffd
	v_add_co_ci_u32_e64 v23, null, v19, v11, vcc_lo
	global_store_b64 v[22:23], v[16:17], off
.LBB44_17:                              ;   in Loop: Header=BB44_6 Depth=1
	s_wait_alu 0xfffe
	s_or_b32 exec_lo, exec_lo, s15
	s_and_saveexec_b32 s15, s30
	s_cbranch_execz .LBB44_21
; %bb.18:                               ;   in Loop: Header=BB44_6 Depth=1
	v_mul_f64_e32 v[16:17], s[8:9], v[20:21]
	s_and_not1_b32 vcc_lo, exec_lo, s28
	s_wait_alu 0xfffe
	s_cbranch_vccnz .LBB44_29
; %bb.19:                               ;   in Loop: Header=BB44_6 Depth=1
	v_lshlrev_b64_e32 v[20:21], 3, v[0:1]
	s_delay_alu instid0(VALU_DEP_1) | instskip(SKIP_1) | instid1(VALU_DEP_2)
	v_add_co_u32 v20, vcc_lo, v18, v20
	s_wait_alu 0xfffd
	v_add_co_ci_u32_e64 v21, null, v19, v21, vcc_lo
	global_load_b64 v[22:23], v[20:21], off
	s_wait_loadcnt 0x0
	v_fma_f64 v[22:23], s[6:7], v[22:23], v[16:17]
	global_store_b64 v[20:21], v[22:23], off
	s_cbranch_execnz .LBB44_21
.LBB44_20:                              ;   in Loop: Header=BB44_6 Depth=1
	v_lshlrev_b64_e32 v[20:21], 3, v[0:1]
	s_delay_alu instid0(VALU_DEP_1) | instskip(SKIP_1) | instid1(VALU_DEP_2)
	v_add_co_u32 v18, vcc_lo, v18, v20
	s_wait_alu 0xfffd
	v_add_co_ci_u32_e64 v19, null, v19, v21, vcc_lo
	global_store_b64 v[18:19], v[16:17], off
.LBB44_21:                              ;   in Loop: Header=BB44_6 Depth=1
	s_wait_alu 0xfffe
	s_or_b32 exec_lo, exec_lo, s15
	v_add_co_u32 v16, vcc_lo, s12, v8
	s_wait_alu 0xfffd
	v_add_co_ci_u32_e64 v17, null, s13, v9, vcc_lo
	s_and_saveexec_b32 s12, s18
	s_cbranch_execz .LBB44_25
; %bb.22:                               ;   in Loop: Header=BB44_6 Depth=1
	v_mul_f64_e32 v[14:15], s[8:9], v[14:15]
	s_and_not1_b32 vcc_lo, exec_lo, s28
	s_wait_alu 0xfffe
	s_cbranch_vccnz .LBB44_30
; %bb.23:                               ;   in Loop: Header=BB44_6 Depth=1
	v_add_co_u32 v18, vcc_lo, v16, v10
	s_wait_alu 0xfffd
	v_add_co_ci_u32_e64 v19, null, v17, v11, vcc_lo
	global_load_b64 v[20:21], v[18:19], off
	s_wait_loadcnt 0x0
	v_fma_f64 v[20:21], s[6:7], v[20:21], v[14:15]
	global_store_b64 v[18:19], v[20:21], off
	s_cbranch_execnz .LBB44_25
.LBB44_24:                              ;   in Loop: Header=BB44_6 Depth=1
	v_add_co_u32 v18, vcc_lo, v16, v10
	s_wait_alu 0xfffd
	v_add_co_ci_u32_e64 v19, null, v17, v11, vcc_lo
	global_store_b64 v[18:19], v[14:15], off
.LBB44_25:                              ;   in Loop: Header=BB44_6 Depth=1
	s_wait_alu 0xfffe
	s_or_b32 exec_lo, exec_lo, s12
	s_and_saveexec_b32 s12, s20
	s_cbranch_execz .LBB44_5
; %bb.26:                               ;   in Loop: Header=BB44_6 Depth=1
	v_mul_f64_e32 v[12:13], s[8:9], v[12:13]
	v_lshlrev_b64_e32 v[14:15], 3, v[0:1]
	s_and_not1_b32 vcc_lo, exec_lo, s28
	s_wait_alu 0xfffe
	s_cbranch_vccnz .LBB44_31
; %bb.27:                               ;   in Loop: Header=BB44_6 Depth=1
	s_delay_alu instid0(VALU_DEP_1)
	v_add_co_u32 v18, vcc_lo, v16, v14
	s_wait_alu 0xfffd
	v_add_co_ci_u32_e64 v19, null, v17, v15, vcc_lo
	global_load_b64 v[20:21], v[18:19], off
	s_wait_loadcnt 0x0
	v_fma_f64 v[20:21], s[6:7], v[20:21], v[12:13]
	global_store_b64 v[18:19], v[20:21], off
	s_cbranch_execnz .LBB44_5
	s_branch .LBB44_32
.LBB44_28:                              ;   in Loop: Header=BB44_6 Depth=1
	s_branch .LBB44_16
.LBB44_29:                              ;   in Loop: Header=BB44_6 Depth=1
	s_branch .LBB44_20
.LBB44_30:                              ;   in Loop: Header=BB44_6 Depth=1
	s_branch .LBB44_24
.LBB44_31:                              ;   in Loop: Header=BB44_6 Depth=1
.LBB44_32:                              ;   in Loop: Header=BB44_6 Depth=1
	s_delay_alu instid0(VALU_DEP_1)
	v_add_co_u32 v14, vcc_lo, v16, v14
	s_wait_alu 0xfffd
	v_add_co_ci_u32_e64 v15, null, v17, v15, vcc_lo
	global_store_b64 v[14:15], v[12:13], off
	s_branch .LBB44_5
.LBB44_33:
	s_endpgm
	.section	.rodata,"a",@progbits
	.p2align	6, 0x0
	.amdhsa_kernel _ZL29rocblas_internal_gemmt_kernelIiLi16ELi32ELi8ELc67ELc67ELc85ELb0ELb0EdPKdS1_PdEviT_T9_T10_S3_lS5_S3_lS4_T11_S3_li
		.amdhsa_group_segment_fixed_size 4096
		.amdhsa_private_segment_fixed_size 0
		.amdhsa_kernarg_size 100
		.amdhsa_user_sgpr_count 2
		.amdhsa_user_sgpr_dispatch_ptr 0
		.amdhsa_user_sgpr_queue_ptr 0
		.amdhsa_user_sgpr_kernarg_segment_ptr 1
		.amdhsa_user_sgpr_dispatch_id 0
		.amdhsa_user_sgpr_private_segment_size 0
		.amdhsa_wavefront_size32 1
		.amdhsa_uses_dynamic_stack 0
		.amdhsa_enable_private_segment 0
		.amdhsa_system_sgpr_workgroup_id_x 1
		.amdhsa_system_sgpr_workgroup_id_y 1
		.amdhsa_system_sgpr_workgroup_id_z 1
		.amdhsa_system_sgpr_workgroup_info 0
		.amdhsa_system_vgpr_workitem_id 1
		.amdhsa_next_free_vgpr 50
		.amdhsa_next_free_sgpr 35
		.amdhsa_reserve_vcc 1
		.amdhsa_float_round_mode_32 0
		.amdhsa_float_round_mode_16_64 0
		.amdhsa_float_denorm_mode_32 3
		.amdhsa_float_denorm_mode_16_64 3
		.amdhsa_fp16_overflow 0
		.amdhsa_workgroup_processor_mode 1
		.amdhsa_memory_ordered 1
		.amdhsa_forward_progress 1
		.amdhsa_inst_pref_size 16
		.amdhsa_round_robin_scheduling 0
		.amdhsa_exception_fp_ieee_invalid_op 0
		.amdhsa_exception_fp_denorm_src 0
		.amdhsa_exception_fp_ieee_div_zero 0
		.amdhsa_exception_fp_ieee_overflow 0
		.amdhsa_exception_fp_ieee_underflow 0
		.amdhsa_exception_fp_ieee_inexact 0
		.amdhsa_exception_int_div_zero 0
	.end_amdhsa_kernel
	.section	.text._ZL29rocblas_internal_gemmt_kernelIiLi16ELi32ELi8ELc67ELc67ELc85ELb0ELb0EdPKdS1_PdEviT_T9_T10_S3_lS5_S3_lS4_T11_S3_li,"axG",@progbits,_ZL29rocblas_internal_gemmt_kernelIiLi16ELi32ELi8ELc67ELc67ELc85ELb0ELb0EdPKdS1_PdEviT_T9_T10_S3_lS5_S3_lS4_T11_S3_li,comdat
.Lfunc_end44:
	.size	_ZL29rocblas_internal_gemmt_kernelIiLi16ELi32ELi8ELc67ELc67ELc85ELb0ELb0EdPKdS1_PdEviT_T9_T10_S3_lS5_S3_lS4_T11_S3_li, .Lfunc_end44-_ZL29rocblas_internal_gemmt_kernelIiLi16ELi32ELi8ELc67ELc67ELc85ELb0ELb0EdPKdS1_PdEviT_T9_T10_S3_lS5_S3_lS4_T11_S3_li
                                        ; -- End function
	.set _ZL29rocblas_internal_gemmt_kernelIiLi16ELi32ELi8ELc67ELc67ELc85ELb0ELb0EdPKdS1_PdEviT_T9_T10_S3_lS5_S3_lS4_T11_S3_li.num_vgpr, 50
	.set _ZL29rocblas_internal_gemmt_kernelIiLi16ELi32ELi8ELc67ELc67ELc85ELb0ELb0EdPKdS1_PdEviT_T9_T10_S3_lS5_S3_lS4_T11_S3_li.num_agpr, 0
	.set _ZL29rocblas_internal_gemmt_kernelIiLi16ELi32ELi8ELc67ELc67ELc85ELb0ELb0EdPKdS1_PdEviT_T9_T10_S3_lS5_S3_lS4_T11_S3_li.numbered_sgpr, 35
	.set _ZL29rocblas_internal_gemmt_kernelIiLi16ELi32ELi8ELc67ELc67ELc85ELb0ELb0EdPKdS1_PdEviT_T9_T10_S3_lS5_S3_lS4_T11_S3_li.num_named_barrier, 0
	.set _ZL29rocblas_internal_gemmt_kernelIiLi16ELi32ELi8ELc67ELc67ELc85ELb0ELb0EdPKdS1_PdEviT_T9_T10_S3_lS5_S3_lS4_T11_S3_li.private_seg_size, 0
	.set _ZL29rocblas_internal_gemmt_kernelIiLi16ELi32ELi8ELc67ELc67ELc85ELb0ELb0EdPKdS1_PdEviT_T9_T10_S3_lS5_S3_lS4_T11_S3_li.uses_vcc, 1
	.set _ZL29rocblas_internal_gemmt_kernelIiLi16ELi32ELi8ELc67ELc67ELc85ELb0ELb0EdPKdS1_PdEviT_T9_T10_S3_lS5_S3_lS4_T11_S3_li.uses_flat_scratch, 0
	.set _ZL29rocblas_internal_gemmt_kernelIiLi16ELi32ELi8ELc67ELc67ELc85ELb0ELb0EdPKdS1_PdEviT_T9_T10_S3_lS5_S3_lS4_T11_S3_li.has_dyn_sized_stack, 0
	.set _ZL29rocblas_internal_gemmt_kernelIiLi16ELi32ELi8ELc67ELc67ELc85ELb0ELb0EdPKdS1_PdEviT_T9_T10_S3_lS5_S3_lS4_T11_S3_li.has_recursion, 0
	.set _ZL29rocblas_internal_gemmt_kernelIiLi16ELi32ELi8ELc67ELc67ELc85ELb0ELb0EdPKdS1_PdEviT_T9_T10_S3_lS5_S3_lS4_T11_S3_li.has_indirect_call, 0
	.section	.AMDGPU.csdata,"",@progbits
; Kernel info:
; codeLenInByte = 2020
; TotalNumSgprs: 37
; NumVgprs: 50
; ScratchSize: 0
; MemoryBound: 0
; FloatMode: 240
; IeeeMode: 1
; LDSByteSize: 4096 bytes/workgroup (compile time only)
; SGPRBlocks: 0
; VGPRBlocks: 6
; NumSGPRsForWavesPerEU: 37
; NumVGPRsForWavesPerEU: 50
; Occupancy: 16
; WaveLimiterHint : 0
; COMPUTE_PGM_RSRC2:SCRATCH_EN: 0
; COMPUTE_PGM_RSRC2:USER_SGPR: 2
; COMPUTE_PGM_RSRC2:TRAP_HANDLER: 0
; COMPUTE_PGM_RSRC2:TGID_X_EN: 1
; COMPUTE_PGM_RSRC2:TGID_Y_EN: 1
; COMPUTE_PGM_RSRC2:TGID_Z_EN: 1
; COMPUTE_PGM_RSRC2:TIDIG_COMP_CNT: 1
	.section	.text._ZL29rocblas_internal_gemmt_kernelIiLi16ELi32ELi8ELc78ELc78ELc76ELb0ELb0EdPKdS1_PdEviT_T9_T10_S3_lS5_S3_lS4_T11_S3_li,"axG",@progbits,_ZL29rocblas_internal_gemmt_kernelIiLi16ELi32ELi8ELc78ELc78ELc76ELb0ELb0EdPKdS1_PdEviT_T9_T10_S3_lS5_S3_lS4_T11_S3_li,comdat
	.globl	_ZL29rocblas_internal_gemmt_kernelIiLi16ELi32ELi8ELc78ELc78ELc76ELb0ELb0EdPKdS1_PdEviT_T9_T10_S3_lS5_S3_lS4_T11_S3_li ; -- Begin function _ZL29rocblas_internal_gemmt_kernelIiLi16ELi32ELi8ELc78ELc78ELc76ELb0ELb0EdPKdS1_PdEviT_T9_T10_S3_lS5_S3_lS4_T11_S3_li
	.p2align	8
	.type	_ZL29rocblas_internal_gemmt_kernelIiLi16ELi32ELi8ELc78ELc78ELc76ELb0ELb0EdPKdS1_PdEviT_T9_T10_S3_lS5_S3_lS4_T11_S3_li,@function
_ZL29rocblas_internal_gemmt_kernelIiLi16ELi32ELi8ELc78ELc78ELc76ELb0ELb0EdPKdS1_PdEviT_T9_T10_S3_lS5_S3_lS4_T11_S3_li: ; @_ZL29rocblas_internal_gemmt_kernelIiLi16ELi32ELi8ELc78ELc78ELc76ELb0ELb0EdPKdS1_PdEviT_T9_T10_S3_lS5_S3_lS4_T11_S3_li
; %bb.0:
	s_load_b128 s[8:11], s[0:1], 0x38
	s_wait_kmcnt 0x0
	s_load_b64 s[10:11], s[10:11], 0x0
	s_clause 0x1
	s_load_b128 s[4:7], s[0:1], 0x8
	s_load_b64 s[20:21], s[0:1], 0x0
	s_wait_kmcnt 0x0
	s_load_b64 s[22:23], s[4:5], 0x0
	v_cmp_neq_f64_e64 s2, s[10:11], 1.0
	s_and_b32 vcc_lo, exec_lo, s2
	s_cbranch_vccnz .LBB45_2
; %bb.1:
	s_wait_kmcnt 0x0
	v_cmp_neq_f64_e64 s2, s[22:23], 0
	s_cmp_lg_u32 s21, 0
	s_cselect_b32 s3, -1, 0
	s_delay_alu instid0(SALU_CYCLE_1)
	s_and_b32 s2, s3, s2
.LBB45_2:
	s_delay_alu instid0(SALU_CYCLE_1)
	s_and_not1_b32 vcc_lo, exec_lo, s2
	s_cbranch_vccnz .LBB45_33
; %bb.3:
	s_load_b32 s19, s[0:1], 0x60
	s_lshr_b32 s24, ttmp7, 16
	s_wait_kmcnt 0x0
	s_cmp_ge_u32 s24, s19
	s_cbranch_scc1 .LBB45_33
; %bb.4:
	v_and_b32_e32 v1, 0x3ff, v0
	v_bfe_u32 v2, v0, 10, 10
	v_and_b32_e32 v28, 7, v0
	s_clause 0x4
	s_load_b32 s28, s[0:1], 0x18
	s_load_b128 s[12:15], s[0:1], 0x20
	s_load_b32 s4, s[0:1], 0x30
	s_load_b96 s[16:18], s[0:1], 0x48
	s_load_b64 s[26:27], s[0:1], 0x58
	s_lshl_b32 s1, ttmp9, 5
	v_lshl_add_u32 v0, v2, 4, v1
	v_cmp_neq_f64_e64 s5, s[22:23], 0
	v_lshlrev_b32_e32 v14, 3, v28
	s_lshl_b32 s0, ttmp7, 5
	v_cmp_neq_f64_e64 s30, s[10:11], 0
	v_and_b32_e32 v3, 31, v0
	v_lshrrev_b32_e32 v29, 5, v0
	v_lshrrev_b32_e32 v0, 3, v0
	s_and_b32 s2, s0, 0x1fffe0
	v_lshl_add_u32 v33, v2, 6, 0x800
	v_or_b32_e32 v4, s1, v3
	v_lshlrev_b32_e32 v3, 3, v3
	v_add_nc_u32_e32 v10, s2, v0
	v_lshl_or_b32 v5, v0, 6, v14
	v_add_nc_u32_e32 v0, s1, v1
	v_cmp_gt_i32_e64 s0, s20, v4
	v_lshl_or_b32 v30, v29, 8, v3
	v_add_nc_u32_e32 v3, s2, v2
	s_wait_kmcnt 0x0
	v_mad_co_i64_i32 v[6:7], null, v29, s28, 0
	v_cmp_gt_i32_e64 s2, s20, v0
	v_add_nc_u32_e32 v2, 16, v0
	v_cmp_le_i32_e32 vcc_lo, v3, v0
	s_ashr_i32 s29, s28, 31
	s_cmp_gt_i32 s21, 0
	v_cmp_gt_i32_e64 s1, s20, v10
	v_mad_co_i64_i32 v[10:11], null, s4, v10, 0
	v_add_nc_u32_e32 v31, 0x800, v5
	v_ashrrev_i32_e32 v5, 31, v4
	s_cselect_b32 s34, -1, 0
	s_and_b32 s31, vcc_lo, s2
	v_cmp_le_i32_e32 vcc_lo, v3, v2
	v_cmp_gt_i32_e64 s3, s20, v2
	v_add_nc_u32_e32 v12, 16, v3
	v_lshlrev_b64_e32 v[6:7], 3, v[6:7]
	v_lshlrev_b64_e32 v[4:5], 3, v[4:5]
	;; [unrolled: 1-line block ×3, first 2 shown]
	s_and_b32 s20, vcc_lo, s3
	v_cmp_le_i32_e32 vcc_lo, v12, v0
	v_mad_co_i64_i32 v[8:9], null, v3, s18, 0
	v_cmp_le_i32_e64 s4, v12, v2
	v_mad_co_i64_i32 v[12:13], null, v12, s18, 0
	s_and_b32 s18, vcc_lo, s2
	v_add_co_u32 v4, vcc_lo, v6, v4
	s_delay_alu instid0(VALU_DEP_1)
	v_add_co_ci_u32_e64 v5, null, v7, v5, vcc_lo
	v_add_co_u32 v6, vcc_lo, v10, v14
	s_wait_alu 0xfffd
	v_add_co_ci_u32_e64 v7, null, 0, v11, vcc_lo
	v_add_co_u32 v4, vcc_lo, s6, v4
	s_wait_alu 0xfffd
	v_add_co_ci_u32_e64 v5, null, s7, v5, vcc_lo
	v_add_co_u32 v6, vcc_lo, s14, v6
	v_lshlrev_b64_e32 v[8:9], 3, v[8:9]
	v_lshlrev_b64_e32 v[10:11], 3, v[12:13]
	v_lshlrev_b32_e32 v32, 3, v1
	v_ashrrev_i32_e32 v1, 31, v0
	v_ashrrev_i32_e32 v3, 31, v2
	s_wait_alu 0xfffd
	v_add_co_ci_u32_e64 v7, null, s15, v7, vcc_lo
	s_mov_b32 s25, 0
	s_and_b32 s33, s4, s3
	s_and_b32 s14, s5, s34
	s_lshl_b64 s[2:3], s[12:13], 3
	s_wait_alu 0xfffe
	s_lshl_b64 s[4:5], s[28:29], 6
	s_lshl_b64 s[6:7], s[8:9], 3
	s_branch .LBB45_6
.LBB45_5:                               ;   in Loop: Header=BB45_6 Depth=1
	s_wait_alu 0xfffe
	s_or_b32 exec_lo, exec_lo, s8
	s_add_co_i32 s24, s24, 0x10000
	s_wait_alu 0xfffe
	s_cmp_lt_u32 s24, s19
	s_cbranch_scc0 .LBB45_33
.LBB45_6:                               ; =>This Loop Header: Depth=1
                                        ;     Child Loop BB45_9 Depth 2
	v_mov_b32_e32 v22, 0
	v_dual_mov_b32 v14, 0 :: v_dual_mov_b32 v23, 0
	v_dual_mov_b32 v20, 0 :: v_dual_mov_b32 v15, 0
	;; [unrolled: 1-line block ×3, first 2 shown]
	v_mov_b32_e32 v13, 0
	s_and_not1_b32 vcc_lo, exec_lo, s14
	s_wait_alu 0xfffe
	s_cbranch_vccnz .LBB45_13
; %bb.7:                                ;   in Loop: Header=BB45_6 Depth=1
	v_mad_co_u64_u32 v[16:17], null, s2, s24, v[4:5]
	v_mad_co_u64_u32 v[18:19], null, s6, s24, v[6:7]
	s_mov_b32 s8, 0
	v_mov_b32_e32 v22, 0
	v_dual_mov_b32 v23, 0 :: v_dual_mov_b32 v12, v17
	v_mov_b32_e32 v13, v19
	s_delay_alu instid0(VALU_DEP_1)
	v_mad_co_u64_u32 v[19:20], null, s3, s24, v[12:13]
	v_mad_co_u64_u32 v[24:25], null, s7, s24, v[13:14]
	v_mov_b32_e32 v12, 0
	v_dual_mov_b32 v20, 0 :: v_dual_mov_b32 v13, 0
	v_dual_mov_b32 v14, 0 :: v_dual_mov_b32 v21, 0
	v_mov_b32_e32 v15, 0
	v_mov_b32_e32 v17, v19
	;; [unrolled: 1-line block ×3, first 2 shown]
	s_branch .LBB45_9
.LBB45_8:                               ;   in Loop: Header=BB45_9 Depth=2
	s_wait_alu 0xfffe
	s_or_b32 exec_lo, exec_lo, s9
	s_wait_loadcnt 0x0
	ds_store_b64 v31, v[26:27]
	s_wait_dscnt 0x0
	s_barrier_signal -1
	s_barrier_wait -1
	global_inv scope:SCOPE_SE
	ds_load_b128 v[24:27], v33
	ds_load_2addr_b64 v[34:37], v32 offset1:16
	ds_load_b128 v[38:41], v33 offset:1024
	ds_load_b128 v[42:45], v33 offset:16
	;; [unrolled: 1-line block ×3, first 2 shown]
	v_add_co_u32 v16, vcc_lo, v16, s4
	s_wait_alu 0xfffd
	v_add_co_ci_u32_e64 v17, null, s5, v17, vcc_lo
	v_add_co_u32 v18, vcc_lo, v18, 64
	s_wait_alu 0xfffd
	v_add_co_ci_u32_e64 v19, null, 0, v19, vcc_lo
	s_add_co_i32 s8, s8, 8
	s_wait_alu 0xfffe
	s_cmp_lt_i32 s8, s21
	s_wait_dscnt 0x3
	v_fma_f64 v[22:23], v[34:35], v[24:25], v[22:23]
	v_fma_f64 v[20:21], v[36:37], v[24:25], v[20:21]
	s_wait_dscnt 0x2
	v_fma_f64 v[24:25], v[34:35], v[38:39], v[14:15]
	v_fma_f64 v[34:35], v[36:37], v[38:39], v[12:13]
	ds_load_2addr_b64 v[12:15], v32 offset0:32 offset1:48
	s_wait_dscnt 0x0
	v_fma_f64 v[22:23], v[12:13], v[26:27], v[22:23]
	v_fma_f64 v[20:21], v[14:15], v[26:27], v[20:21]
	v_fma_f64 v[24:25], v[12:13], v[40:41], v[24:25]
	v_fma_f64 v[26:27], v[14:15], v[40:41], v[34:35]
	ds_load_2addr_b64 v[12:15], v32 offset0:64 offset1:80
	s_wait_dscnt 0x0
	v_fma_f64 v[22:23], v[12:13], v[42:43], v[22:23]
	v_fma_f64 v[20:21], v[14:15], v[42:43], v[20:21]
	;; [unrolled: 6-line block ×3, first 2 shown]
	v_fma_f64 v[46:47], v[12:13], v[48:49], v[24:25]
	v_fma_f64 v[48:49], v[14:15], v[48:49], v[26:27]
	ds_load_b128 v[12:15], v33 offset:32
	ds_load_2addr_b64 v[20:23], v32 offset0:128 offset1:144
	ds_load_b128 v[24:27], v33 offset:1056
	ds_load_b128 v[34:37], v33 offset:48
	ds_load_b128 v[38:41], v33 offset:1072
	s_wait_dscnt 0x3
	v_fma_f64 v[42:43], v[20:21], v[12:13], v[42:43]
	v_fma_f64 v[12:13], v[22:23], v[12:13], v[44:45]
	s_wait_dscnt 0x2
	v_fma_f64 v[44:45], v[20:21], v[24:25], v[46:47]
	v_fma_f64 v[24:25], v[22:23], v[24:25], v[48:49]
	ds_load_2addr_b64 v[20:23], v32 offset0:160 offset1:176
	s_wait_dscnt 0x0
	v_fma_f64 v[42:43], v[20:21], v[14:15], v[42:43]
	v_fma_f64 v[46:47], v[22:23], v[14:15], v[12:13]
	;; [unrolled: 1-line block ×4, first 2 shown]
	ds_load_2addr_b64 v[12:15], v32 offset0:192 offset1:208
	ds_load_2addr_b64 v[24:27], v32 offset0:224 offset1:240
	s_wait_loadcnt_dscnt 0x0
	s_barrier_signal -1
	s_barrier_wait -1
	global_inv scope:SCOPE_SE
	v_fma_f64 v[42:43], v[12:13], v[34:35], v[42:43]
	v_fma_f64 v[34:35], v[14:15], v[34:35], v[46:47]
	;; [unrolled: 1-line block ×4, first 2 shown]
	s_delay_alu instid0(VALU_DEP_4) | instskip(NEXT) | instid1(VALU_DEP_4)
	v_fma_f64 v[22:23], v[24:25], v[36:37], v[42:43]
	v_fma_f64 v[20:21], v[26:27], v[36:37], v[34:35]
	s_delay_alu instid0(VALU_DEP_4) | instskip(NEXT) | instid1(VALU_DEP_4)
	v_fma_f64 v[14:15], v[24:25], v[40:41], v[12:13]
	v_fma_f64 v[12:13], v[26:27], v[40:41], v[38:39]
	s_cbranch_scc0 .LBB45_13
.LBB45_9:                               ;   Parent Loop BB45_6 Depth=1
                                        ; =>  This Inner Loop Header: Depth=2
	s_wait_alu 0xfffe
	v_add_nc_u32_e32 v24, s8, v29
	s_delay_alu instid0(VALU_DEP_1) | instskip(SKIP_3) | instid1(SALU_CYCLE_1)
	v_cmp_gt_i32_e32 vcc_lo, s21, v24
	v_mov_b32_e32 v24, 0
	v_mov_b32_e32 v25, 0
	s_and_b32 s12, s0, vcc_lo
	s_and_saveexec_b32 s9, s12
	s_cbranch_execz .LBB45_11
; %bb.10:                               ;   in Loop: Header=BB45_9 Depth=2
	global_load_b64 v[24:25], v[16:17], off
.LBB45_11:                              ;   in Loop: Header=BB45_9 Depth=2
	s_wait_alu 0xfffe
	s_or_b32 exec_lo, exec_lo, s9
	v_add_nc_u32_e32 v26, s8, v28
	s_wait_loadcnt 0x0
	ds_store_b64 v30, v[24:25]
	v_cmp_gt_i32_e32 vcc_lo, s21, v26
	v_mov_b32_e32 v26, 0
	v_mov_b32_e32 v27, 0
	s_and_b32 s12, vcc_lo, s1
	s_delay_alu instid0(SALU_CYCLE_1)
	s_and_saveexec_b32 s9, s12
	s_cbranch_execz .LBB45_8
; %bb.12:                               ;   in Loop: Header=BB45_9 Depth=2
	global_load_b64 v[26:27], v[18:19], off
	s_branch .LBB45_8
.LBB45_13:                              ;   in Loop: Header=BB45_6 Depth=1
	s_mul_u64 s[8:9], s[26:27], s[24:25]
	s_wait_alu 0xfffe
	s_lshl_b64 s[8:9], s[8:9], 3
	s_wait_alu 0xfffe
	s_add_nc_u64 s[8:9], s[16:17], s[8:9]
	s_wait_alu 0xfffe
	v_add_co_u32 v18, vcc_lo, s8, v8
	s_wait_alu 0xfffd
	v_add_co_ci_u32_e64 v19, null, s9, v9, vcc_lo
	s_and_saveexec_b32 s12, s31
	s_cbranch_execz .LBB45_17
; %bb.14:                               ;   in Loop: Header=BB45_6 Depth=1
	v_mul_f64_e32 v[16:17], s[22:23], v[22:23]
	s_and_b32 vcc_lo, exec_lo, s30
	s_wait_alu 0xfffe
	s_cbranch_vccz .LBB45_28
; %bb.15:                               ;   in Loop: Header=BB45_6 Depth=1
	v_lshlrev_b64_e32 v[22:23], 3, v[0:1]
	s_delay_alu instid0(VALU_DEP_1) | instskip(SKIP_1) | instid1(VALU_DEP_2)
	v_add_co_u32 v22, vcc_lo, v18, v22
	s_wait_alu 0xfffd
	v_add_co_ci_u32_e64 v23, null, v19, v23, vcc_lo
	global_load_b64 v[24:25], v[22:23], off
	s_wait_loadcnt 0x0
	v_fma_f64 v[24:25], s[10:11], v[24:25], v[16:17]
	global_store_b64 v[22:23], v[24:25], off
	s_cbranch_execnz .LBB45_17
.LBB45_16:                              ;   in Loop: Header=BB45_6 Depth=1
	v_lshlrev_b64_e32 v[22:23], 3, v[0:1]
	s_delay_alu instid0(VALU_DEP_1) | instskip(SKIP_1) | instid1(VALU_DEP_2)
	v_add_co_u32 v22, vcc_lo, v18, v22
	s_wait_alu 0xfffd
	v_add_co_ci_u32_e64 v23, null, v19, v23, vcc_lo
	global_store_b64 v[22:23], v[16:17], off
.LBB45_17:                              ;   in Loop: Header=BB45_6 Depth=1
	s_or_b32 exec_lo, exec_lo, s12
	s_and_saveexec_b32 s12, s20
	s_cbranch_execz .LBB45_21
; %bb.18:                               ;   in Loop: Header=BB45_6 Depth=1
	v_mul_f64_e32 v[16:17], s[22:23], v[20:21]
	s_and_not1_b32 vcc_lo, exec_lo, s30
	s_wait_alu 0xfffe
	s_cbranch_vccnz .LBB45_29
; %bb.19:                               ;   in Loop: Header=BB45_6 Depth=1
	v_lshlrev_b64_e32 v[20:21], 3, v[2:3]
	s_delay_alu instid0(VALU_DEP_1) | instskip(SKIP_1) | instid1(VALU_DEP_2)
	v_add_co_u32 v20, vcc_lo, v18, v20
	s_wait_alu 0xfffd
	v_add_co_ci_u32_e64 v21, null, v19, v21, vcc_lo
	global_load_b64 v[22:23], v[20:21], off
	s_wait_loadcnt 0x0
	v_fma_f64 v[22:23], s[10:11], v[22:23], v[16:17]
	global_store_b64 v[20:21], v[22:23], off
	s_cbranch_execnz .LBB45_21
.LBB45_20:                              ;   in Loop: Header=BB45_6 Depth=1
	v_lshlrev_b64_e32 v[20:21], 3, v[2:3]
	s_delay_alu instid0(VALU_DEP_1) | instskip(SKIP_1) | instid1(VALU_DEP_2)
	v_add_co_u32 v18, vcc_lo, v18, v20
	s_wait_alu 0xfffd
	v_add_co_ci_u32_e64 v19, null, v19, v21, vcc_lo
	global_store_b64 v[18:19], v[16:17], off
.LBB45_21:                              ;   in Loop: Header=BB45_6 Depth=1
	s_or_b32 exec_lo, exec_lo, s12
	v_add_co_u32 v18, vcc_lo, s8, v10
	s_wait_alu 0xfffd
	v_add_co_ci_u32_e64 v19, null, s9, v11, vcc_lo
	s_and_saveexec_b32 s8, s18
	s_cbranch_execz .LBB45_25
; %bb.22:                               ;   in Loop: Header=BB45_6 Depth=1
	v_mul_f64_e32 v[14:15], s[22:23], v[14:15]
	v_lshlrev_b64_e32 v[16:17], 3, v[0:1]
	s_and_not1_b32 vcc_lo, exec_lo, s30
	s_wait_alu 0xfffe
	s_cbranch_vccnz .LBB45_30
; %bb.23:                               ;   in Loop: Header=BB45_6 Depth=1
	s_delay_alu instid0(VALU_DEP_1)
	v_add_co_u32 v20, vcc_lo, v18, v16
	s_wait_alu 0xfffd
	v_add_co_ci_u32_e64 v21, null, v19, v17, vcc_lo
	global_load_b64 v[22:23], v[20:21], off
	s_wait_loadcnt 0x0
	v_fma_f64 v[22:23], s[10:11], v[22:23], v[14:15]
	global_store_b64 v[20:21], v[22:23], off
	s_cbranch_execnz .LBB45_25
.LBB45_24:                              ;   in Loop: Header=BB45_6 Depth=1
	s_delay_alu instid0(VALU_DEP_1)
	v_add_co_u32 v16, vcc_lo, v18, v16
	s_wait_alu 0xfffd
	v_add_co_ci_u32_e64 v17, null, v19, v17, vcc_lo
	global_store_b64 v[16:17], v[14:15], off
.LBB45_25:                              ;   in Loop: Header=BB45_6 Depth=1
	s_wait_alu 0xfffe
	s_or_b32 exec_lo, exec_lo, s8
	s_and_saveexec_b32 s8, s33
	s_cbranch_execz .LBB45_5
; %bb.26:                               ;   in Loop: Header=BB45_6 Depth=1
	v_mul_f64_e32 v[12:13], s[22:23], v[12:13]
	v_lshlrev_b64_e32 v[14:15], 3, v[2:3]
	s_and_not1_b32 vcc_lo, exec_lo, s30
	s_wait_alu 0xfffe
	s_cbranch_vccnz .LBB45_31
; %bb.27:                               ;   in Loop: Header=BB45_6 Depth=1
	s_delay_alu instid0(VALU_DEP_1)
	v_add_co_u32 v16, vcc_lo, v18, v14
	s_wait_alu 0xfffd
	v_add_co_ci_u32_e64 v17, null, v19, v15, vcc_lo
	global_load_b64 v[20:21], v[16:17], off
	s_wait_loadcnt 0x0
	v_fma_f64 v[20:21], s[10:11], v[20:21], v[12:13]
	global_store_b64 v[16:17], v[20:21], off
	s_cbranch_execnz .LBB45_5
	s_branch .LBB45_32
.LBB45_28:                              ;   in Loop: Header=BB45_6 Depth=1
	s_branch .LBB45_16
.LBB45_29:                              ;   in Loop: Header=BB45_6 Depth=1
	s_branch .LBB45_20
.LBB45_30:                              ;   in Loop: Header=BB45_6 Depth=1
	s_branch .LBB45_24
.LBB45_31:                              ;   in Loop: Header=BB45_6 Depth=1
.LBB45_32:                              ;   in Loop: Header=BB45_6 Depth=1
	s_delay_alu instid0(VALU_DEP_1)
	v_add_co_u32 v14, vcc_lo, v18, v14
	s_wait_alu 0xfffd
	v_add_co_ci_u32_e64 v15, null, v19, v15, vcc_lo
	global_store_b64 v[14:15], v[12:13], off
	s_branch .LBB45_5
.LBB45_33:
	s_endpgm
	.section	.rodata,"a",@progbits
	.p2align	6, 0x0
	.amdhsa_kernel _ZL29rocblas_internal_gemmt_kernelIiLi16ELi32ELi8ELc78ELc78ELc76ELb0ELb0EdPKdS1_PdEviT_T9_T10_S3_lS5_S3_lS4_T11_S3_li
		.amdhsa_group_segment_fixed_size 4096
		.amdhsa_private_segment_fixed_size 0
		.amdhsa_kernarg_size 100
		.amdhsa_user_sgpr_count 2
		.amdhsa_user_sgpr_dispatch_ptr 0
		.amdhsa_user_sgpr_queue_ptr 0
		.amdhsa_user_sgpr_kernarg_segment_ptr 1
		.amdhsa_user_sgpr_dispatch_id 0
		.amdhsa_user_sgpr_private_segment_size 0
		.amdhsa_wavefront_size32 1
		.amdhsa_uses_dynamic_stack 0
		.amdhsa_enable_private_segment 0
		.amdhsa_system_sgpr_workgroup_id_x 1
		.amdhsa_system_sgpr_workgroup_id_y 1
		.amdhsa_system_sgpr_workgroup_id_z 1
		.amdhsa_system_sgpr_workgroup_info 0
		.amdhsa_system_vgpr_workitem_id 1
		.amdhsa_next_free_vgpr 50
		.amdhsa_next_free_sgpr 35
		.amdhsa_reserve_vcc 1
		.amdhsa_float_round_mode_32 0
		.amdhsa_float_round_mode_16_64 0
		.amdhsa_float_denorm_mode_32 3
		.amdhsa_float_denorm_mode_16_64 3
		.amdhsa_fp16_overflow 0
		.amdhsa_workgroup_processor_mode 1
		.amdhsa_memory_ordered 1
		.amdhsa_forward_progress 1
		.amdhsa_inst_pref_size 16
		.amdhsa_round_robin_scheduling 0
		.amdhsa_exception_fp_ieee_invalid_op 0
		.amdhsa_exception_fp_denorm_src 0
		.amdhsa_exception_fp_ieee_div_zero 0
		.amdhsa_exception_fp_ieee_overflow 0
		.amdhsa_exception_fp_ieee_underflow 0
		.amdhsa_exception_fp_ieee_inexact 0
		.amdhsa_exception_int_div_zero 0
	.end_amdhsa_kernel
	.section	.text._ZL29rocblas_internal_gemmt_kernelIiLi16ELi32ELi8ELc78ELc78ELc76ELb0ELb0EdPKdS1_PdEviT_T9_T10_S3_lS5_S3_lS4_T11_S3_li,"axG",@progbits,_ZL29rocblas_internal_gemmt_kernelIiLi16ELi32ELi8ELc78ELc78ELc76ELb0ELb0EdPKdS1_PdEviT_T9_T10_S3_lS5_S3_lS4_T11_S3_li,comdat
.Lfunc_end45:
	.size	_ZL29rocblas_internal_gemmt_kernelIiLi16ELi32ELi8ELc78ELc78ELc76ELb0ELb0EdPKdS1_PdEviT_T9_T10_S3_lS5_S3_lS4_T11_S3_li, .Lfunc_end45-_ZL29rocblas_internal_gemmt_kernelIiLi16ELi32ELi8ELc78ELc78ELc76ELb0ELb0EdPKdS1_PdEviT_T9_T10_S3_lS5_S3_lS4_T11_S3_li
                                        ; -- End function
	.set _ZL29rocblas_internal_gemmt_kernelIiLi16ELi32ELi8ELc78ELc78ELc76ELb0ELb0EdPKdS1_PdEviT_T9_T10_S3_lS5_S3_lS4_T11_S3_li.num_vgpr, 50
	.set _ZL29rocblas_internal_gemmt_kernelIiLi16ELi32ELi8ELc78ELc78ELc76ELb0ELb0EdPKdS1_PdEviT_T9_T10_S3_lS5_S3_lS4_T11_S3_li.num_agpr, 0
	.set _ZL29rocblas_internal_gemmt_kernelIiLi16ELi32ELi8ELc78ELc78ELc76ELb0ELb0EdPKdS1_PdEviT_T9_T10_S3_lS5_S3_lS4_T11_S3_li.numbered_sgpr, 35
	.set _ZL29rocblas_internal_gemmt_kernelIiLi16ELi32ELi8ELc78ELc78ELc76ELb0ELb0EdPKdS1_PdEviT_T9_T10_S3_lS5_S3_lS4_T11_S3_li.num_named_barrier, 0
	.set _ZL29rocblas_internal_gemmt_kernelIiLi16ELi32ELi8ELc78ELc78ELc76ELb0ELb0EdPKdS1_PdEviT_T9_T10_S3_lS5_S3_lS4_T11_S3_li.private_seg_size, 0
	.set _ZL29rocblas_internal_gemmt_kernelIiLi16ELi32ELi8ELc78ELc78ELc76ELb0ELb0EdPKdS1_PdEviT_T9_T10_S3_lS5_S3_lS4_T11_S3_li.uses_vcc, 1
	.set _ZL29rocblas_internal_gemmt_kernelIiLi16ELi32ELi8ELc78ELc78ELc76ELb0ELb0EdPKdS1_PdEviT_T9_T10_S3_lS5_S3_lS4_T11_S3_li.uses_flat_scratch, 0
	.set _ZL29rocblas_internal_gemmt_kernelIiLi16ELi32ELi8ELc78ELc78ELc76ELb0ELb0EdPKdS1_PdEviT_T9_T10_S3_lS5_S3_lS4_T11_S3_li.has_dyn_sized_stack, 0
	.set _ZL29rocblas_internal_gemmt_kernelIiLi16ELi32ELi8ELc78ELc78ELc76ELb0ELb0EdPKdS1_PdEviT_T9_T10_S3_lS5_S3_lS4_T11_S3_li.has_recursion, 0
	.set _ZL29rocblas_internal_gemmt_kernelIiLi16ELi32ELi8ELc78ELc78ELc76ELb0ELb0EdPKdS1_PdEviT_T9_T10_S3_lS5_S3_lS4_T11_S3_li.has_indirect_call, 0
	.section	.AMDGPU.csdata,"",@progbits
; Kernel info:
; codeLenInByte = 2028
; TotalNumSgprs: 37
; NumVgprs: 50
; ScratchSize: 0
; MemoryBound: 0
; FloatMode: 240
; IeeeMode: 1
; LDSByteSize: 4096 bytes/workgroup (compile time only)
; SGPRBlocks: 0
; VGPRBlocks: 6
; NumSGPRsForWavesPerEU: 37
; NumVGPRsForWavesPerEU: 50
; Occupancy: 16
; WaveLimiterHint : 0
; COMPUTE_PGM_RSRC2:SCRATCH_EN: 0
; COMPUTE_PGM_RSRC2:USER_SGPR: 2
; COMPUTE_PGM_RSRC2:TRAP_HANDLER: 0
; COMPUTE_PGM_RSRC2:TGID_X_EN: 1
; COMPUTE_PGM_RSRC2:TGID_Y_EN: 1
; COMPUTE_PGM_RSRC2:TGID_Z_EN: 1
; COMPUTE_PGM_RSRC2:TIDIG_COMP_CNT: 1
	.section	.text._ZL29rocblas_internal_gemmt_kernelIiLi16ELi32ELi8ELc78ELc84ELc76ELb0ELb0EdPKdS1_PdEviT_T9_T10_S3_lS5_S3_lS4_T11_S3_li,"axG",@progbits,_ZL29rocblas_internal_gemmt_kernelIiLi16ELi32ELi8ELc78ELc84ELc76ELb0ELb0EdPKdS1_PdEviT_T9_T10_S3_lS5_S3_lS4_T11_S3_li,comdat
	.globl	_ZL29rocblas_internal_gemmt_kernelIiLi16ELi32ELi8ELc78ELc84ELc76ELb0ELb0EdPKdS1_PdEviT_T9_T10_S3_lS5_S3_lS4_T11_S3_li ; -- Begin function _ZL29rocblas_internal_gemmt_kernelIiLi16ELi32ELi8ELc78ELc84ELc76ELb0ELb0EdPKdS1_PdEviT_T9_T10_S3_lS5_S3_lS4_T11_S3_li
	.p2align	8
	.type	_ZL29rocblas_internal_gemmt_kernelIiLi16ELi32ELi8ELc78ELc84ELc76ELb0ELb0EdPKdS1_PdEviT_T9_T10_S3_lS5_S3_lS4_T11_S3_li,@function
_ZL29rocblas_internal_gemmt_kernelIiLi16ELi32ELi8ELc78ELc84ELc76ELb0ELb0EdPKdS1_PdEviT_T9_T10_S3_lS5_S3_lS4_T11_S3_li: ; @_ZL29rocblas_internal_gemmt_kernelIiLi16ELi32ELi8ELc78ELc84ELc76ELb0ELb0EdPKdS1_PdEviT_T9_T10_S3_lS5_S3_lS4_T11_S3_li
; %bb.0:
	s_load_b128 s[8:11], s[0:1], 0x38
	s_wait_kmcnt 0x0
	s_load_b64 s[10:11], s[10:11], 0x0
	s_clause 0x1
	s_load_b128 s[4:7], s[0:1], 0x8
	s_load_b64 s[20:21], s[0:1], 0x0
	s_wait_kmcnt 0x0
	s_load_b64 s[22:23], s[4:5], 0x0
	v_cmp_neq_f64_e64 s2, s[10:11], 1.0
	s_and_b32 vcc_lo, exec_lo, s2
	s_cbranch_vccnz .LBB46_2
; %bb.1:
	s_wait_kmcnt 0x0
	v_cmp_neq_f64_e64 s2, s[22:23], 0
	s_cmp_lg_u32 s21, 0
	s_cselect_b32 s3, -1, 0
	s_delay_alu instid0(SALU_CYCLE_1)
	s_and_b32 s2, s3, s2
.LBB46_2:
	s_delay_alu instid0(SALU_CYCLE_1)
	s_and_not1_b32 vcc_lo, exec_lo, s2
	s_cbranch_vccnz .LBB46_33
; %bb.3:
	s_load_b32 s19, s[0:1], 0x60
	s_lshr_b32 s24, ttmp7, 16
	s_wait_kmcnt 0x0
	s_cmp_ge_u32 s24, s19
	s_cbranch_scc1 .LBB46_33
; %bb.4:
	v_and_b32_e32 v1, 0x3ff, v0
	v_bfe_u32 v2, v0, 10, 10
	v_and_b32_e32 v28, 7, v0
	s_clause 0x4
	s_load_b32 s28, s[0:1], 0x18
	s_load_b32 s30, s[0:1], 0x30
	s_load_b96 s[16:18], s[0:1], 0x48
	s_load_b64 s[26:27], s[0:1], 0x58
	s_load_b128 s[12:15], s[0:1], 0x20
	v_lshl_add_u32 v0, v2, 4, v1
	v_lshlrev_b32_e32 v6, 3, v28
	s_lshl_b32 s0, ttmp7, 5
	s_lshl_b32 s1, ttmp9, 5
	s_and_b32 s2, s0, 0x1fffe0
	v_and_b32_e32 v3, 31, v0
	v_lshrrev_b32_e32 v5, 3, v0
	v_lshrrev_b32_e32 v29, 5, v0
	v_cmp_neq_f64_e64 s5, s[22:23], 0
	v_cmp_neq_f64_e64 s33, s[10:11], 0
	v_lshlrev_b32_e32 v0, 3, v3
	v_or_b32_e32 v4, s1, v3
	v_add_nc_u32_e32 v14, s2, v5
	v_lshl_or_b32 v3, v5, 6, v6
	v_add_nc_u32_e32 v5, s2, v2
	v_lshl_or_b32 v30, v29, 8, v0
	v_add_nc_u32_e32 v0, s1, v1
	v_lshl_add_u32 v33, v2, 6, 0x800
	s_wait_kmcnt 0x0
	s_ashr_i32 s29, s28, 31
	s_ashr_i32 s31, s30, 31
	v_mad_co_i64_i32 v[6:7], null, v29, s28, 0
	v_cmp_le_i32_e32 vcc_lo, v5, v0
	v_cmp_gt_i32_e64 s2, s20, v0
	v_add_nc_u32_e32 v2, 16, v0
	s_cmp_gt_i32 s21, 0
	v_mad_co_i64_i32 v[8:9], null, v5, s18, 0
	s_cselect_b32 s36, -1, 0
	s_and_b32 s34, vcc_lo, s2
	v_cmp_le_i32_e32 vcc_lo, v5, v2
	v_add_nc_u32_e32 v12, 16, v5
	v_ashrrev_i32_e32 v5, 31, v4
	v_cmp_gt_i32_e64 s3, s20, v2
	v_cmp_gt_i32_e64 s0, s20, v4
	v_lshlrev_b64_e32 v[6:7], 3, v[6:7]
	v_mad_co_i64_i32 v[10:11], null, s30, v28, 0
	v_lshlrev_b64_e32 v[4:5], 3, v[4:5]
	v_cmp_gt_i32_e64 s1, s20, v14
	s_and_b32 s20, vcc_lo, s3
	v_cmp_le_i32_e32 vcc_lo, v12, v0
	v_cmp_le_i32_e64 s4, v12, v2
	v_mad_co_i64_i32 v[12:13], null, v12, s18, 0
	v_lshlrev_b64_e32 v[8:9], 3, v[8:9]
	s_and_b32 s18, vcc_lo, s2
	v_add_co_u32 v4, vcc_lo, v6, v4
	s_delay_alu instid0(VALU_DEP_1) | instskip(SKIP_2) | instid1(VALU_DEP_4)
	v_add_co_ci_u32_e64 v5, null, v7, v5, vcc_lo
	v_lshlrev_b64_e32 v[6:7], 3, v[10:11]
	v_lshlrev_b32_e32 v10, 3, v14
	v_add_co_u32 v4, vcc_lo, s6, v4
	s_wait_alu 0xfffd
	v_add_co_ci_u32_e64 v5, null, s7, v5, vcc_lo
	s_delay_alu instid0(VALU_DEP_3) | instskip(SKIP_3) | instid1(VALU_DEP_3)
	v_add_co_u32 v6, vcc_lo, v6, v10
	s_wait_alu 0xfffd
	v_add_co_ci_u32_e64 v7, null, 0, v7, vcc_lo
	v_lshlrev_b64_e32 v[10:11], 3, v[12:13]
	v_add_co_u32 v6, vcc_lo, s14, v6
	v_add_nc_u32_e32 v31, 0x800, v3
	v_lshlrev_b32_e32 v32, 3, v1
	v_ashrrev_i32_e32 v1, 31, v0
	v_ashrrev_i32_e32 v3, 31, v2
	s_wait_alu 0xfffd
	v_add_co_ci_u32_e64 v7, null, s15, v7, vcc_lo
	s_mov_b32 s25, 0
	s_and_b32 s35, s4, s3
	s_lshl_b64 s[2:3], s[12:13], 3
	s_and_b32 s14, s5, s36
	s_lshl_b64 s[4:5], s[28:29], 6
	s_lshl_b64 s[6:7], s[8:9], 3
	;; [unrolled: 1-line block ×3, first 2 shown]
	s_branch .LBB46_6
.LBB46_5:                               ;   in Loop: Header=BB46_6 Depth=1
	s_wait_alu 0xfffe
	s_or_b32 exec_lo, exec_lo, s12
	s_add_co_i32 s24, s24, 0x10000
	s_wait_alu 0xfffe
	s_cmp_lt_u32 s24, s19
	s_cbranch_scc0 .LBB46_33
.LBB46_6:                               ; =>This Loop Header: Depth=1
                                        ;     Child Loop BB46_9 Depth 2
	v_mov_b32_e32 v22, 0
	v_dual_mov_b32 v14, 0 :: v_dual_mov_b32 v23, 0
	v_dual_mov_b32 v20, 0 :: v_dual_mov_b32 v15, 0
	;; [unrolled: 1-line block ×3, first 2 shown]
	v_mov_b32_e32 v13, 0
	s_wait_alu 0xfffe
	s_and_not1_b32 vcc_lo, exec_lo, s14
	s_wait_alu 0xfffe
	s_cbranch_vccnz .LBB46_13
; %bb.7:                                ;   in Loop: Header=BB46_6 Depth=1
	v_mad_co_u64_u32 v[16:17], null, s2, s24, v[4:5]
	v_mad_co_u64_u32 v[18:19], null, s6, s24, v[6:7]
	s_mov_b32 s12, 0
	v_mov_b32_e32 v22, 0
	v_dual_mov_b32 v23, 0 :: v_dual_mov_b32 v12, v17
	v_mov_b32_e32 v13, v19
	s_delay_alu instid0(VALU_DEP_1)
	v_mad_co_u64_u32 v[19:20], null, s3, s24, v[12:13]
	v_mad_co_u64_u32 v[24:25], null, s7, s24, v[13:14]
	v_mov_b32_e32 v12, 0
	v_dual_mov_b32 v20, 0 :: v_dual_mov_b32 v13, 0
	v_dual_mov_b32 v14, 0 :: v_dual_mov_b32 v21, 0
	v_mov_b32_e32 v15, 0
	v_mov_b32_e32 v17, v19
	;; [unrolled: 1-line block ×3, first 2 shown]
	s_branch .LBB46_9
.LBB46_8:                               ;   in Loop: Header=BB46_9 Depth=2
	s_wait_alu 0xfffe
	s_or_b32 exec_lo, exec_lo, s13
	s_wait_loadcnt 0x0
	ds_store_b64 v31, v[26:27]
	s_wait_dscnt 0x0
	s_barrier_signal -1
	s_barrier_wait -1
	global_inv scope:SCOPE_SE
	ds_load_b128 v[24:27], v33
	ds_load_2addr_b64 v[34:37], v32 offset1:16
	ds_load_b128 v[38:41], v33 offset:1024
	ds_load_b128 v[42:45], v33 offset:16
	;; [unrolled: 1-line block ×3, first 2 shown]
	v_add_co_u32 v16, vcc_lo, v16, s4
	s_wait_alu 0xfffd
	v_add_co_ci_u32_e64 v17, null, s5, v17, vcc_lo
	v_add_co_u32 v18, vcc_lo, v18, s8
	s_wait_alu 0xfffd
	v_add_co_ci_u32_e64 v19, null, s9, v19, vcc_lo
	s_add_co_i32 s12, s12, 8
	s_wait_alu 0xfffe
	s_cmp_lt_i32 s12, s21
	s_wait_dscnt 0x3
	v_fma_f64 v[22:23], v[34:35], v[24:25], v[22:23]
	v_fma_f64 v[20:21], v[36:37], v[24:25], v[20:21]
	s_wait_dscnt 0x2
	v_fma_f64 v[24:25], v[34:35], v[38:39], v[14:15]
	v_fma_f64 v[34:35], v[36:37], v[38:39], v[12:13]
	ds_load_2addr_b64 v[12:15], v32 offset0:32 offset1:48
	s_wait_dscnt 0x0
	v_fma_f64 v[22:23], v[12:13], v[26:27], v[22:23]
	v_fma_f64 v[20:21], v[14:15], v[26:27], v[20:21]
	v_fma_f64 v[24:25], v[12:13], v[40:41], v[24:25]
	v_fma_f64 v[26:27], v[14:15], v[40:41], v[34:35]
	ds_load_2addr_b64 v[12:15], v32 offset0:64 offset1:80
	s_wait_dscnt 0x0
	v_fma_f64 v[22:23], v[12:13], v[42:43], v[22:23]
	v_fma_f64 v[20:21], v[14:15], v[42:43], v[20:21]
	;; [unrolled: 6-line block ×3, first 2 shown]
	v_fma_f64 v[46:47], v[12:13], v[48:49], v[24:25]
	v_fma_f64 v[48:49], v[14:15], v[48:49], v[26:27]
	ds_load_b128 v[12:15], v33 offset:32
	ds_load_2addr_b64 v[20:23], v32 offset0:128 offset1:144
	ds_load_b128 v[24:27], v33 offset:1056
	ds_load_b128 v[34:37], v33 offset:48
	;; [unrolled: 1-line block ×3, first 2 shown]
	s_wait_dscnt 0x3
	v_fma_f64 v[42:43], v[20:21], v[12:13], v[42:43]
	v_fma_f64 v[12:13], v[22:23], v[12:13], v[44:45]
	s_wait_dscnt 0x2
	v_fma_f64 v[44:45], v[20:21], v[24:25], v[46:47]
	v_fma_f64 v[24:25], v[22:23], v[24:25], v[48:49]
	ds_load_2addr_b64 v[20:23], v32 offset0:160 offset1:176
	s_wait_dscnt 0x0
	v_fma_f64 v[42:43], v[20:21], v[14:15], v[42:43]
	v_fma_f64 v[46:47], v[22:23], v[14:15], v[12:13]
	;; [unrolled: 1-line block ×4, first 2 shown]
	ds_load_2addr_b64 v[12:15], v32 offset0:192 offset1:208
	ds_load_2addr_b64 v[24:27], v32 offset0:224 offset1:240
	s_wait_loadcnt_dscnt 0x0
	s_barrier_signal -1
	s_barrier_wait -1
	global_inv scope:SCOPE_SE
	v_fma_f64 v[42:43], v[12:13], v[34:35], v[42:43]
	v_fma_f64 v[34:35], v[14:15], v[34:35], v[46:47]
	;; [unrolled: 1-line block ×4, first 2 shown]
	s_delay_alu instid0(VALU_DEP_4) | instskip(NEXT) | instid1(VALU_DEP_4)
	v_fma_f64 v[22:23], v[24:25], v[36:37], v[42:43]
	v_fma_f64 v[20:21], v[26:27], v[36:37], v[34:35]
	s_delay_alu instid0(VALU_DEP_4) | instskip(NEXT) | instid1(VALU_DEP_4)
	v_fma_f64 v[14:15], v[24:25], v[40:41], v[12:13]
	v_fma_f64 v[12:13], v[26:27], v[40:41], v[38:39]
	s_cbranch_scc0 .LBB46_13
.LBB46_9:                               ;   Parent Loop BB46_6 Depth=1
                                        ; =>  This Inner Loop Header: Depth=2
	s_wait_alu 0xfffe
	v_add_nc_u32_e32 v24, s12, v29
	s_delay_alu instid0(VALU_DEP_1)
	v_cmp_gt_i32_e32 vcc_lo, s21, v24
	v_mov_b32_e32 v24, 0
	v_mov_b32_e32 v25, 0
	s_and_b32 s15, s0, vcc_lo
	s_wait_alu 0xfffe
	s_and_saveexec_b32 s13, s15
	s_cbranch_execz .LBB46_11
; %bb.10:                               ;   in Loop: Header=BB46_9 Depth=2
	global_load_b64 v[24:25], v[16:17], off
.LBB46_11:                              ;   in Loop: Header=BB46_9 Depth=2
	s_wait_alu 0xfffe
	s_or_b32 exec_lo, exec_lo, s13
	v_add_nc_u32_e32 v26, s12, v28
	s_wait_loadcnt 0x0
	ds_store_b64 v30, v[24:25]
	v_cmp_gt_i32_e32 vcc_lo, s21, v26
	v_mov_b32_e32 v26, 0
	v_mov_b32_e32 v27, 0
	s_and_b32 s15, vcc_lo, s1
	s_wait_alu 0xfffe
	s_and_saveexec_b32 s13, s15
	s_cbranch_execz .LBB46_8
; %bb.12:                               ;   in Loop: Header=BB46_9 Depth=2
	global_load_b64 v[26:27], v[18:19], off
	s_branch .LBB46_8
.LBB46_13:                              ;   in Loop: Header=BB46_6 Depth=1
	s_mul_u64 s[12:13], s[26:27], s[24:25]
	s_wait_alu 0xfffe
	s_lshl_b64 s[12:13], s[12:13], 3
	s_wait_alu 0xfffe
	s_add_nc_u64 s[12:13], s[16:17], s[12:13]
	s_wait_alu 0xfffe
	v_add_co_u32 v18, vcc_lo, s12, v8
	s_wait_alu 0xfffd
	v_add_co_ci_u32_e64 v19, null, s13, v9, vcc_lo
	s_and_saveexec_b32 s15, s34
	s_cbranch_execz .LBB46_17
; %bb.14:                               ;   in Loop: Header=BB46_6 Depth=1
	v_mul_f64_e32 v[16:17], s[22:23], v[22:23]
	s_and_b32 vcc_lo, exec_lo, s33
	s_wait_alu 0xfffe
	s_cbranch_vccz .LBB46_28
; %bb.15:                               ;   in Loop: Header=BB46_6 Depth=1
	v_lshlrev_b64_e32 v[22:23], 3, v[0:1]
	s_delay_alu instid0(VALU_DEP_1) | instskip(SKIP_1) | instid1(VALU_DEP_2)
	v_add_co_u32 v22, vcc_lo, v18, v22
	s_wait_alu 0xfffd
	v_add_co_ci_u32_e64 v23, null, v19, v23, vcc_lo
	global_load_b64 v[24:25], v[22:23], off
	s_wait_loadcnt 0x0
	v_fma_f64 v[24:25], s[10:11], v[24:25], v[16:17]
	global_store_b64 v[22:23], v[24:25], off
	s_cbranch_execnz .LBB46_17
.LBB46_16:                              ;   in Loop: Header=BB46_6 Depth=1
	v_lshlrev_b64_e32 v[22:23], 3, v[0:1]
	s_delay_alu instid0(VALU_DEP_1) | instskip(SKIP_1) | instid1(VALU_DEP_2)
	v_add_co_u32 v22, vcc_lo, v18, v22
	s_wait_alu 0xfffd
	v_add_co_ci_u32_e64 v23, null, v19, v23, vcc_lo
	global_store_b64 v[22:23], v[16:17], off
.LBB46_17:                              ;   in Loop: Header=BB46_6 Depth=1
	s_wait_alu 0xfffe
	s_or_b32 exec_lo, exec_lo, s15
	s_and_saveexec_b32 s15, s20
	s_cbranch_execz .LBB46_21
; %bb.18:                               ;   in Loop: Header=BB46_6 Depth=1
	v_mul_f64_e32 v[16:17], s[22:23], v[20:21]
	s_and_not1_b32 vcc_lo, exec_lo, s33
	s_wait_alu 0xfffe
	s_cbranch_vccnz .LBB46_29
; %bb.19:                               ;   in Loop: Header=BB46_6 Depth=1
	v_lshlrev_b64_e32 v[20:21], 3, v[2:3]
	s_delay_alu instid0(VALU_DEP_1) | instskip(SKIP_1) | instid1(VALU_DEP_2)
	v_add_co_u32 v20, vcc_lo, v18, v20
	s_wait_alu 0xfffd
	v_add_co_ci_u32_e64 v21, null, v19, v21, vcc_lo
	global_load_b64 v[22:23], v[20:21], off
	s_wait_loadcnt 0x0
	v_fma_f64 v[22:23], s[10:11], v[22:23], v[16:17]
	global_store_b64 v[20:21], v[22:23], off
	s_cbranch_execnz .LBB46_21
.LBB46_20:                              ;   in Loop: Header=BB46_6 Depth=1
	v_lshlrev_b64_e32 v[20:21], 3, v[2:3]
	s_delay_alu instid0(VALU_DEP_1) | instskip(SKIP_1) | instid1(VALU_DEP_2)
	v_add_co_u32 v18, vcc_lo, v18, v20
	s_wait_alu 0xfffd
	v_add_co_ci_u32_e64 v19, null, v19, v21, vcc_lo
	global_store_b64 v[18:19], v[16:17], off
.LBB46_21:                              ;   in Loop: Header=BB46_6 Depth=1
	s_wait_alu 0xfffe
	s_or_b32 exec_lo, exec_lo, s15
	v_add_co_u32 v18, vcc_lo, s12, v10
	s_wait_alu 0xfffd
	v_add_co_ci_u32_e64 v19, null, s13, v11, vcc_lo
	s_and_saveexec_b32 s12, s18
	s_cbranch_execz .LBB46_25
; %bb.22:                               ;   in Loop: Header=BB46_6 Depth=1
	v_mul_f64_e32 v[14:15], s[22:23], v[14:15]
	v_lshlrev_b64_e32 v[16:17], 3, v[0:1]
	s_and_not1_b32 vcc_lo, exec_lo, s33
	s_wait_alu 0xfffe
	s_cbranch_vccnz .LBB46_30
; %bb.23:                               ;   in Loop: Header=BB46_6 Depth=1
	s_delay_alu instid0(VALU_DEP_1)
	v_add_co_u32 v20, vcc_lo, v18, v16
	s_wait_alu 0xfffd
	v_add_co_ci_u32_e64 v21, null, v19, v17, vcc_lo
	global_load_b64 v[22:23], v[20:21], off
	s_wait_loadcnt 0x0
	v_fma_f64 v[22:23], s[10:11], v[22:23], v[14:15]
	global_store_b64 v[20:21], v[22:23], off
	s_cbranch_execnz .LBB46_25
.LBB46_24:                              ;   in Loop: Header=BB46_6 Depth=1
	s_delay_alu instid0(VALU_DEP_1)
	v_add_co_u32 v16, vcc_lo, v18, v16
	s_wait_alu 0xfffd
	v_add_co_ci_u32_e64 v17, null, v19, v17, vcc_lo
	global_store_b64 v[16:17], v[14:15], off
.LBB46_25:                              ;   in Loop: Header=BB46_6 Depth=1
	s_wait_alu 0xfffe
	s_or_b32 exec_lo, exec_lo, s12
	s_and_saveexec_b32 s12, s35
	s_cbranch_execz .LBB46_5
; %bb.26:                               ;   in Loop: Header=BB46_6 Depth=1
	v_mul_f64_e32 v[12:13], s[22:23], v[12:13]
	v_lshlrev_b64_e32 v[14:15], 3, v[2:3]
	s_and_not1_b32 vcc_lo, exec_lo, s33
	s_wait_alu 0xfffe
	s_cbranch_vccnz .LBB46_31
; %bb.27:                               ;   in Loop: Header=BB46_6 Depth=1
	s_delay_alu instid0(VALU_DEP_1)
	v_add_co_u32 v16, vcc_lo, v18, v14
	s_wait_alu 0xfffd
	v_add_co_ci_u32_e64 v17, null, v19, v15, vcc_lo
	global_load_b64 v[20:21], v[16:17], off
	s_wait_loadcnt 0x0
	v_fma_f64 v[20:21], s[10:11], v[20:21], v[12:13]
	global_store_b64 v[16:17], v[20:21], off
	s_cbranch_execnz .LBB46_5
	s_branch .LBB46_32
.LBB46_28:                              ;   in Loop: Header=BB46_6 Depth=1
	s_branch .LBB46_16
.LBB46_29:                              ;   in Loop: Header=BB46_6 Depth=1
	s_branch .LBB46_20
.LBB46_30:                              ;   in Loop: Header=BB46_6 Depth=1
	s_branch .LBB46_24
.LBB46_31:                              ;   in Loop: Header=BB46_6 Depth=1
.LBB46_32:                              ;   in Loop: Header=BB46_6 Depth=1
	s_delay_alu instid0(VALU_DEP_1)
	v_add_co_u32 v14, vcc_lo, v18, v14
	s_wait_alu 0xfffd
	v_add_co_ci_u32_e64 v15, null, v19, v15, vcc_lo
	global_store_b64 v[14:15], v[12:13], off
	s_branch .LBB46_5
.LBB46_33:
	s_endpgm
	.section	.rodata,"a",@progbits
	.p2align	6, 0x0
	.amdhsa_kernel _ZL29rocblas_internal_gemmt_kernelIiLi16ELi32ELi8ELc78ELc84ELc76ELb0ELb0EdPKdS1_PdEviT_T9_T10_S3_lS5_S3_lS4_T11_S3_li
		.amdhsa_group_segment_fixed_size 4096
		.amdhsa_private_segment_fixed_size 0
		.amdhsa_kernarg_size 100
		.amdhsa_user_sgpr_count 2
		.amdhsa_user_sgpr_dispatch_ptr 0
		.amdhsa_user_sgpr_queue_ptr 0
		.amdhsa_user_sgpr_kernarg_segment_ptr 1
		.amdhsa_user_sgpr_dispatch_id 0
		.amdhsa_user_sgpr_private_segment_size 0
		.amdhsa_wavefront_size32 1
		.amdhsa_uses_dynamic_stack 0
		.amdhsa_enable_private_segment 0
		.amdhsa_system_sgpr_workgroup_id_x 1
		.amdhsa_system_sgpr_workgroup_id_y 1
		.amdhsa_system_sgpr_workgroup_id_z 1
		.amdhsa_system_sgpr_workgroup_info 0
		.amdhsa_system_vgpr_workitem_id 1
		.amdhsa_next_free_vgpr 50
		.amdhsa_next_free_sgpr 37
		.amdhsa_reserve_vcc 1
		.amdhsa_float_round_mode_32 0
		.amdhsa_float_round_mode_16_64 0
		.amdhsa_float_denorm_mode_32 3
		.amdhsa_float_denorm_mode_16_64 3
		.amdhsa_fp16_overflow 0
		.amdhsa_workgroup_processor_mode 1
		.amdhsa_memory_ordered 1
		.amdhsa_forward_progress 1
		.amdhsa_inst_pref_size 17
		.amdhsa_round_robin_scheduling 0
		.amdhsa_exception_fp_ieee_invalid_op 0
		.amdhsa_exception_fp_denorm_src 0
		.amdhsa_exception_fp_ieee_div_zero 0
		.amdhsa_exception_fp_ieee_overflow 0
		.amdhsa_exception_fp_ieee_underflow 0
		.amdhsa_exception_fp_ieee_inexact 0
		.amdhsa_exception_int_div_zero 0
	.end_amdhsa_kernel
	.section	.text._ZL29rocblas_internal_gemmt_kernelIiLi16ELi32ELi8ELc78ELc84ELc76ELb0ELb0EdPKdS1_PdEviT_T9_T10_S3_lS5_S3_lS4_T11_S3_li,"axG",@progbits,_ZL29rocblas_internal_gemmt_kernelIiLi16ELi32ELi8ELc78ELc84ELc76ELb0ELb0EdPKdS1_PdEviT_T9_T10_S3_lS5_S3_lS4_T11_S3_li,comdat
.Lfunc_end46:
	.size	_ZL29rocblas_internal_gemmt_kernelIiLi16ELi32ELi8ELc78ELc84ELc76ELb0ELb0EdPKdS1_PdEviT_T9_T10_S3_lS5_S3_lS4_T11_S3_li, .Lfunc_end46-_ZL29rocblas_internal_gemmt_kernelIiLi16ELi32ELi8ELc78ELc84ELc76ELb0ELb0EdPKdS1_PdEviT_T9_T10_S3_lS5_S3_lS4_T11_S3_li
                                        ; -- End function
	.set _ZL29rocblas_internal_gemmt_kernelIiLi16ELi32ELi8ELc78ELc84ELc76ELb0ELb0EdPKdS1_PdEviT_T9_T10_S3_lS5_S3_lS4_T11_S3_li.num_vgpr, 50
	.set _ZL29rocblas_internal_gemmt_kernelIiLi16ELi32ELi8ELc78ELc84ELc76ELb0ELb0EdPKdS1_PdEviT_T9_T10_S3_lS5_S3_lS4_T11_S3_li.num_agpr, 0
	.set _ZL29rocblas_internal_gemmt_kernelIiLi16ELi32ELi8ELc78ELc84ELc76ELb0ELb0EdPKdS1_PdEviT_T9_T10_S3_lS5_S3_lS4_T11_S3_li.numbered_sgpr, 37
	.set _ZL29rocblas_internal_gemmt_kernelIiLi16ELi32ELi8ELc78ELc84ELc76ELb0ELb0EdPKdS1_PdEviT_T9_T10_S3_lS5_S3_lS4_T11_S3_li.num_named_barrier, 0
	.set _ZL29rocblas_internal_gemmt_kernelIiLi16ELi32ELi8ELc78ELc84ELc76ELb0ELb0EdPKdS1_PdEviT_T9_T10_S3_lS5_S3_lS4_T11_S3_li.private_seg_size, 0
	.set _ZL29rocblas_internal_gemmt_kernelIiLi16ELi32ELi8ELc78ELc84ELc76ELb0ELb0EdPKdS1_PdEviT_T9_T10_S3_lS5_S3_lS4_T11_S3_li.uses_vcc, 1
	.set _ZL29rocblas_internal_gemmt_kernelIiLi16ELi32ELi8ELc78ELc84ELc76ELb0ELb0EdPKdS1_PdEviT_T9_T10_S3_lS5_S3_lS4_T11_S3_li.uses_flat_scratch, 0
	.set _ZL29rocblas_internal_gemmt_kernelIiLi16ELi32ELi8ELc78ELc84ELc76ELb0ELb0EdPKdS1_PdEviT_T9_T10_S3_lS5_S3_lS4_T11_S3_li.has_dyn_sized_stack, 0
	.set _ZL29rocblas_internal_gemmt_kernelIiLi16ELi32ELi8ELc78ELc84ELc76ELb0ELb0EdPKdS1_PdEviT_T9_T10_S3_lS5_S3_lS4_T11_S3_li.has_recursion, 0
	.set _ZL29rocblas_internal_gemmt_kernelIiLi16ELi32ELi8ELc78ELc84ELc76ELb0ELb0EdPKdS1_PdEviT_T9_T10_S3_lS5_S3_lS4_T11_S3_li.has_indirect_call, 0
	.section	.AMDGPU.csdata,"",@progbits
; Kernel info:
; codeLenInByte = 2056
; TotalNumSgprs: 39
; NumVgprs: 50
; ScratchSize: 0
; MemoryBound: 0
; FloatMode: 240
; IeeeMode: 1
; LDSByteSize: 4096 bytes/workgroup (compile time only)
; SGPRBlocks: 0
; VGPRBlocks: 6
; NumSGPRsForWavesPerEU: 39
; NumVGPRsForWavesPerEU: 50
; Occupancy: 16
; WaveLimiterHint : 0
; COMPUTE_PGM_RSRC2:SCRATCH_EN: 0
; COMPUTE_PGM_RSRC2:USER_SGPR: 2
; COMPUTE_PGM_RSRC2:TRAP_HANDLER: 0
; COMPUTE_PGM_RSRC2:TGID_X_EN: 1
; COMPUTE_PGM_RSRC2:TGID_Y_EN: 1
; COMPUTE_PGM_RSRC2:TGID_Z_EN: 1
; COMPUTE_PGM_RSRC2:TIDIG_COMP_CNT: 1
	.section	.text._ZL29rocblas_internal_gemmt_kernelIiLi16ELi32ELi8ELc78ELc67ELc76ELb0ELb0EdPKdS1_PdEviT_T9_T10_S3_lS5_S3_lS4_T11_S3_li,"axG",@progbits,_ZL29rocblas_internal_gemmt_kernelIiLi16ELi32ELi8ELc78ELc67ELc76ELb0ELb0EdPKdS1_PdEviT_T9_T10_S3_lS5_S3_lS4_T11_S3_li,comdat
	.globl	_ZL29rocblas_internal_gemmt_kernelIiLi16ELi32ELi8ELc78ELc67ELc76ELb0ELb0EdPKdS1_PdEviT_T9_T10_S3_lS5_S3_lS4_T11_S3_li ; -- Begin function _ZL29rocblas_internal_gemmt_kernelIiLi16ELi32ELi8ELc78ELc67ELc76ELb0ELb0EdPKdS1_PdEviT_T9_T10_S3_lS5_S3_lS4_T11_S3_li
	.p2align	8
	.type	_ZL29rocblas_internal_gemmt_kernelIiLi16ELi32ELi8ELc78ELc67ELc76ELb0ELb0EdPKdS1_PdEviT_T9_T10_S3_lS5_S3_lS4_T11_S3_li,@function
_ZL29rocblas_internal_gemmt_kernelIiLi16ELi32ELi8ELc78ELc67ELc76ELb0ELb0EdPKdS1_PdEviT_T9_T10_S3_lS5_S3_lS4_T11_S3_li: ; @_ZL29rocblas_internal_gemmt_kernelIiLi16ELi32ELi8ELc78ELc67ELc76ELb0ELb0EdPKdS1_PdEviT_T9_T10_S3_lS5_S3_lS4_T11_S3_li
; %bb.0:
	s_load_b128 s[8:11], s[0:1], 0x38
	s_wait_kmcnt 0x0
	s_load_b64 s[10:11], s[10:11], 0x0
	s_clause 0x1
	s_load_b128 s[4:7], s[0:1], 0x8
	s_load_b64 s[20:21], s[0:1], 0x0
	s_wait_kmcnt 0x0
	s_load_b64 s[22:23], s[4:5], 0x0
	v_cmp_neq_f64_e64 s2, s[10:11], 1.0
	s_and_b32 vcc_lo, exec_lo, s2
	s_cbranch_vccnz .LBB47_2
; %bb.1:
	s_wait_kmcnt 0x0
	v_cmp_neq_f64_e64 s2, s[22:23], 0
	s_cmp_lg_u32 s21, 0
	s_cselect_b32 s3, -1, 0
	s_delay_alu instid0(SALU_CYCLE_1)
	s_and_b32 s2, s3, s2
.LBB47_2:
	s_delay_alu instid0(SALU_CYCLE_1)
	s_and_not1_b32 vcc_lo, exec_lo, s2
	s_cbranch_vccnz .LBB47_33
; %bb.3:
	s_load_b32 s19, s[0:1], 0x60
	s_lshr_b32 s24, ttmp7, 16
	s_wait_kmcnt 0x0
	s_cmp_ge_u32 s24, s19
	s_cbranch_scc1 .LBB47_33
; %bb.4:
	v_and_b32_e32 v1, 0x3ff, v0
	v_bfe_u32 v2, v0, 10, 10
	v_and_b32_e32 v28, 7, v0
	s_clause 0x4
	s_load_b32 s28, s[0:1], 0x18
	s_load_b32 s30, s[0:1], 0x30
	s_load_b96 s[16:18], s[0:1], 0x48
	s_load_b64 s[26:27], s[0:1], 0x58
	s_load_b128 s[12:15], s[0:1], 0x20
	v_lshl_add_u32 v0, v2, 4, v1
	v_lshlrev_b32_e32 v6, 3, v28
	s_lshl_b32 s0, ttmp7, 5
	s_lshl_b32 s1, ttmp9, 5
	s_and_b32 s2, s0, 0x1fffe0
	v_and_b32_e32 v3, 31, v0
	v_lshrrev_b32_e32 v5, 3, v0
	v_lshrrev_b32_e32 v29, 5, v0
	v_cmp_neq_f64_e64 s5, s[22:23], 0
	v_cmp_neq_f64_e64 s33, s[10:11], 0
	v_lshlrev_b32_e32 v0, 3, v3
	v_or_b32_e32 v4, s1, v3
	v_add_nc_u32_e32 v14, s2, v5
	v_lshl_or_b32 v3, v5, 6, v6
	v_add_nc_u32_e32 v5, s2, v2
	v_lshl_or_b32 v30, v29, 8, v0
	v_add_nc_u32_e32 v0, s1, v1
	v_lshl_add_u32 v33, v2, 6, 0x800
	s_wait_kmcnt 0x0
	s_ashr_i32 s29, s28, 31
	s_ashr_i32 s31, s30, 31
	v_mad_co_i64_i32 v[6:7], null, v29, s28, 0
	v_cmp_le_i32_e32 vcc_lo, v5, v0
	v_cmp_gt_i32_e64 s2, s20, v0
	v_add_nc_u32_e32 v2, 16, v0
	s_cmp_gt_i32 s21, 0
	v_mad_co_i64_i32 v[8:9], null, v5, s18, 0
	s_cselect_b32 s36, -1, 0
	s_and_b32 s34, vcc_lo, s2
	v_cmp_le_i32_e32 vcc_lo, v5, v2
	v_add_nc_u32_e32 v12, 16, v5
	v_ashrrev_i32_e32 v5, 31, v4
	v_cmp_gt_i32_e64 s3, s20, v2
	v_cmp_gt_i32_e64 s0, s20, v4
	v_lshlrev_b64_e32 v[6:7], 3, v[6:7]
	v_mad_co_i64_i32 v[10:11], null, s30, v28, 0
	v_lshlrev_b64_e32 v[4:5], 3, v[4:5]
	v_cmp_gt_i32_e64 s1, s20, v14
	s_and_b32 s20, vcc_lo, s3
	v_cmp_le_i32_e32 vcc_lo, v12, v0
	v_cmp_le_i32_e64 s4, v12, v2
	v_mad_co_i64_i32 v[12:13], null, v12, s18, 0
	v_lshlrev_b64_e32 v[8:9], 3, v[8:9]
	s_and_b32 s18, vcc_lo, s2
	v_add_co_u32 v4, vcc_lo, v6, v4
	s_delay_alu instid0(VALU_DEP_1) | instskip(SKIP_2) | instid1(VALU_DEP_4)
	v_add_co_ci_u32_e64 v5, null, v7, v5, vcc_lo
	v_lshlrev_b64_e32 v[6:7], 3, v[10:11]
	v_lshlrev_b32_e32 v10, 3, v14
	v_add_co_u32 v4, vcc_lo, s6, v4
	s_wait_alu 0xfffd
	v_add_co_ci_u32_e64 v5, null, s7, v5, vcc_lo
	s_delay_alu instid0(VALU_DEP_3) | instskip(SKIP_3) | instid1(VALU_DEP_3)
	v_add_co_u32 v6, vcc_lo, v6, v10
	s_wait_alu 0xfffd
	v_add_co_ci_u32_e64 v7, null, 0, v7, vcc_lo
	v_lshlrev_b64_e32 v[10:11], 3, v[12:13]
	v_add_co_u32 v6, vcc_lo, s14, v6
	v_add_nc_u32_e32 v31, 0x800, v3
	v_lshlrev_b32_e32 v32, 3, v1
	v_ashrrev_i32_e32 v1, 31, v0
	v_ashrrev_i32_e32 v3, 31, v2
	s_wait_alu 0xfffd
	v_add_co_ci_u32_e64 v7, null, s15, v7, vcc_lo
	s_mov_b32 s25, 0
	s_and_b32 s35, s4, s3
	s_lshl_b64 s[2:3], s[12:13], 3
	s_and_b32 s14, s5, s36
	s_lshl_b64 s[4:5], s[28:29], 6
	s_lshl_b64 s[6:7], s[8:9], 3
	;; [unrolled: 1-line block ×3, first 2 shown]
	s_branch .LBB47_6
.LBB47_5:                               ;   in Loop: Header=BB47_6 Depth=1
	s_wait_alu 0xfffe
	s_or_b32 exec_lo, exec_lo, s12
	s_add_co_i32 s24, s24, 0x10000
	s_wait_alu 0xfffe
	s_cmp_lt_u32 s24, s19
	s_cbranch_scc0 .LBB47_33
.LBB47_6:                               ; =>This Loop Header: Depth=1
                                        ;     Child Loop BB47_9 Depth 2
	v_mov_b32_e32 v22, 0
	v_dual_mov_b32 v14, 0 :: v_dual_mov_b32 v23, 0
	v_dual_mov_b32 v20, 0 :: v_dual_mov_b32 v15, 0
	;; [unrolled: 1-line block ×3, first 2 shown]
	v_mov_b32_e32 v13, 0
	s_wait_alu 0xfffe
	s_and_not1_b32 vcc_lo, exec_lo, s14
	s_wait_alu 0xfffe
	s_cbranch_vccnz .LBB47_13
; %bb.7:                                ;   in Loop: Header=BB47_6 Depth=1
	v_mad_co_u64_u32 v[16:17], null, s2, s24, v[4:5]
	v_mad_co_u64_u32 v[18:19], null, s6, s24, v[6:7]
	s_mov_b32 s12, 0
	v_mov_b32_e32 v22, 0
	v_dual_mov_b32 v23, 0 :: v_dual_mov_b32 v12, v17
	v_mov_b32_e32 v13, v19
	s_delay_alu instid0(VALU_DEP_1)
	v_mad_co_u64_u32 v[19:20], null, s3, s24, v[12:13]
	v_mad_co_u64_u32 v[24:25], null, s7, s24, v[13:14]
	v_mov_b32_e32 v12, 0
	v_dual_mov_b32 v20, 0 :: v_dual_mov_b32 v13, 0
	v_dual_mov_b32 v14, 0 :: v_dual_mov_b32 v21, 0
	v_mov_b32_e32 v15, 0
	v_mov_b32_e32 v17, v19
	;; [unrolled: 1-line block ×3, first 2 shown]
	s_branch .LBB47_9
.LBB47_8:                               ;   in Loop: Header=BB47_9 Depth=2
	s_wait_alu 0xfffe
	s_or_b32 exec_lo, exec_lo, s13
	s_wait_loadcnt 0x0
	ds_store_b64 v31, v[26:27]
	s_wait_dscnt 0x0
	s_barrier_signal -1
	s_barrier_wait -1
	global_inv scope:SCOPE_SE
	ds_load_b128 v[24:27], v33
	ds_load_2addr_b64 v[34:37], v32 offset1:16
	ds_load_b128 v[38:41], v33 offset:1024
	ds_load_b128 v[42:45], v33 offset:16
	;; [unrolled: 1-line block ×3, first 2 shown]
	v_add_co_u32 v16, vcc_lo, v16, s4
	s_wait_alu 0xfffd
	v_add_co_ci_u32_e64 v17, null, s5, v17, vcc_lo
	v_add_co_u32 v18, vcc_lo, v18, s8
	s_wait_alu 0xfffd
	v_add_co_ci_u32_e64 v19, null, s9, v19, vcc_lo
	s_add_co_i32 s12, s12, 8
	s_wait_alu 0xfffe
	s_cmp_lt_i32 s12, s21
	s_wait_dscnt 0x3
	v_fma_f64 v[22:23], v[34:35], v[24:25], v[22:23]
	v_fma_f64 v[20:21], v[36:37], v[24:25], v[20:21]
	s_wait_dscnt 0x2
	v_fma_f64 v[24:25], v[34:35], v[38:39], v[14:15]
	v_fma_f64 v[34:35], v[36:37], v[38:39], v[12:13]
	ds_load_2addr_b64 v[12:15], v32 offset0:32 offset1:48
	s_wait_dscnt 0x0
	v_fma_f64 v[22:23], v[12:13], v[26:27], v[22:23]
	v_fma_f64 v[20:21], v[14:15], v[26:27], v[20:21]
	v_fma_f64 v[24:25], v[12:13], v[40:41], v[24:25]
	v_fma_f64 v[26:27], v[14:15], v[40:41], v[34:35]
	ds_load_2addr_b64 v[12:15], v32 offset0:64 offset1:80
	s_wait_dscnt 0x0
	v_fma_f64 v[22:23], v[12:13], v[42:43], v[22:23]
	v_fma_f64 v[20:21], v[14:15], v[42:43], v[20:21]
	;; [unrolled: 6-line block ×3, first 2 shown]
	v_fma_f64 v[46:47], v[12:13], v[48:49], v[24:25]
	v_fma_f64 v[48:49], v[14:15], v[48:49], v[26:27]
	ds_load_b128 v[12:15], v33 offset:32
	ds_load_2addr_b64 v[20:23], v32 offset0:128 offset1:144
	ds_load_b128 v[24:27], v33 offset:1056
	ds_load_b128 v[34:37], v33 offset:48
	;; [unrolled: 1-line block ×3, first 2 shown]
	s_wait_dscnt 0x3
	v_fma_f64 v[42:43], v[20:21], v[12:13], v[42:43]
	v_fma_f64 v[12:13], v[22:23], v[12:13], v[44:45]
	s_wait_dscnt 0x2
	v_fma_f64 v[44:45], v[20:21], v[24:25], v[46:47]
	v_fma_f64 v[24:25], v[22:23], v[24:25], v[48:49]
	ds_load_2addr_b64 v[20:23], v32 offset0:160 offset1:176
	s_wait_dscnt 0x0
	v_fma_f64 v[42:43], v[20:21], v[14:15], v[42:43]
	v_fma_f64 v[46:47], v[22:23], v[14:15], v[12:13]
	v_fma_f64 v[20:21], v[20:21], v[26:27], v[44:45]
	v_fma_f64 v[22:23], v[22:23], v[26:27], v[24:25]
	ds_load_2addr_b64 v[12:15], v32 offset0:192 offset1:208
	ds_load_2addr_b64 v[24:27], v32 offset0:224 offset1:240
	s_wait_loadcnt_dscnt 0x0
	s_barrier_signal -1
	s_barrier_wait -1
	global_inv scope:SCOPE_SE
	v_fma_f64 v[42:43], v[12:13], v[34:35], v[42:43]
	v_fma_f64 v[34:35], v[14:15], v[34:35], v[46:47]
	;; [unrolled: 1-line block ×4, first 2 shown]
	s_delay_alu instid0(VALU_DEP_4) | instskip(NEXT) | instid1(VALU_DEP_4)
	v_fma_f64 v[22:23], v[24:25], v[36:37], v[42:43]
	v_fma_f64 v[20:21], v[26:27], v[36:37], v[34:35]
	s_delay_alu instid0(VALU_DEP_4) | instskip(NEXT) | instid1(VALU_DEP_4)
	v_fma_f64 v[14:15], v[24:25], v[40:41], v[12:13]
	v_fma_f64 v[12:13], v[26:27], v[40:41], v[38:39]
	s_cbranch_scc0 .LBB47_13
.LBB47_9:                               ;   Parent Loop BB47_6 Depth=1
                                        ; =>  This Inner Loop Header: Depth=2
	s_wait_alu 0xfffe
	v_add_nc_u32_e32 v24, s12, v29
	s_delay_alu instid0(VALU_DEP_1)
	v_cmp_gt_i32_e32 vcc_lo, s21, v24
	v_mov_b32_e32 v24, 0
	v_mov_b32_e32 v25, 0
	s_and_b32 s15, s0, vcc_lo
	s_wait_alu 0xfffe
	s_and_saveexec_b32 s13, s15
	s_cbranch_execz .LBB47_11
; %bb.10:                               ;   in Loop: Header=BB47_9 Depth=2
	global_load_b64 v[24:25], v[16:17], off
.LBB47_11:                              ;   in Loop: Header=BB47_9 Depth=2
	s_wait_alu 0xfffe
	s_or_b32 exec_lo, exec_lo, s13
	v_add_nc_u32_e32 v26, s12, v28
	s_wait_loadcnt 0x0
	ds_store_b64 v30, v[24:25]
	v_cmp_gt_i32_e32 vcc_lo, s21, v26
	v_mov_b32_e32 v26, 0
	v_mov_b32_e32 v27, 0
	s_and_b32 s15, vcc_lo, s1
	s_wait_alu 0xfffe
	s_and_saveexec_b32 s13, s15
	s_cbranch_execz .LBB47_8
; %bb.12:                               ;   in Loop: Header=BB47_9 Depth=2
	global_load_b64 v[26:27], v[18:19], off
	s_branch .LBB47_8
.LBB47_13:                              ;   in Loop: Header=BB47_6 Depth=1
	s_mul_u64 s[12:13], s[26:27], s[24:25]
	s_wait_alu 0xfffe
	s_lshl_b64 s[12:13], s[12:13], 3
	s_wait_alu 0xfffe
	s_add_nc_u64 s[12:13], s[16:17], s[12:13]
	s_wait_alu 0xfffe
	v_add_co_u32 v18, vcc_lo, s12, v8
	s_wait_alu 0xfffd
	v_add_co_ci_u32_e64 v19, null, s13, v9, vcc_lo
	s_and_saveexec_b32 s15, s34
	s_cbranch_execz .LBB47_17
; %bb.14:                               ;   in Loop: Header=BB47_6 Depth=1
	v_mul_f64_e32 v[16:17], s[22:23], v[22:23]
	s_and_b32 vcc_lo, exec_lo, s33
	s_wait_alu 0xfffe
	s_cbranch_vccz .LBB47_28
; %bb.15:                               ;   in Loop: Header=BB47_6 Depth=1
	v_lshlrev_b64_e32 v[22:23], 3, v[0:1]
	s_delay_alu instid0(VALU_DEP_1) | instskip(SKIP_1) | instid1(VALU_DEP_2)
	v_add_co_u32 v22, vcc_lo, v18, v22
	s_wait_alu 0xfffd
	v_add_co_ci_u32_e64 v23, null, v19, v23, vcc_lo
	global_load_b64 v[24:25], v[22:23], off
	s_wait_loadcnt 0x0
	v_fma_f64 v[24:25], s[10:11], v[24:25], v[16:17]
	global_store_b64 v[22:23], v[24:25], off
	s_cbranch_execnz .LBB47_17
.LBB47_16:                              ;   in Loop: Header=BB47_6 Depth=1
	v_lshlrev_b64_e32 v[22:23], 3, v[0:1]
	s_delay_alu instid0(VALU_DEP_1) | instskip(SKIP_1) | instid1(VALU_DEP_2)
	v_add_co_u32 v22, vcc_lo, v18, v22
	s_wait_alu 0xfffd
	v_add_co_ci_u32_e64 v23, null, v19, v23, vcc_lo
	global_store_b64 v[22:23], v[16:17], off
.LBB47_17:                              ;   in Loop: Header=BB47_6 Depth=1
	s_wait_alu 0xfffe
	s_or_b32 exec_lo, exec_lo, s15
	s_and_saveexec_b32 s15, s20
	s_cbranch_execz .LBB47_21
; %bb.18:                               ;   in Loop: Header=BB47_6 Depth=1
	v_mul_f64_e32 v[16:17], s[22:23], v[20:21]
	s_and_not1_b32 vcc_lo, exec_lo, s33
	s_wait_alu 0xfffe
	s_cbranch_vccnz .LBB47_29
; %bb.19:                               ;   in Loop: Header=BB47_6 Depth=1
	v_lshlrev_b64_e32 v[20:21], 3, v[2:3]
	s_delay_alu instid0(VALU_DEP_1) | instskip(SKIP_1) | instid1(VALU_DEP_2)
	v_add_co_u32 v20, vcc_lo, v18, v20
	s_wait_alu 0xfffd
	v_add_co_ci_u32_e64 v21, null, v19, v21, vcc_lo
	global_load_b64 v[22:23], v[20:21], off
	s_wait_loadcnt 0x0
	v_fma_f64 v[22:23], s[10:11], v[22:23], v[16:17]
	global_store_b64 v[20:21], v[22:23], off
	s_cbranch_execnz .LBB47_21
.LBB47_20:                              ;   in Loop: Header=BB47_6 Depth=1
	v_lshlrev_b64_e32 v[20:21], 3, v[2:3]
	s_delay_alu instid0(VALU_DEP_1) | instskip(SKIP_1) | instid1(VALU_DEP_2)
	v_add_co_u32 v18, vcc_lo, v18, v20
	s_wait_alu 0xfffd
	v_add_co_ci_u32_e64 v19, null, v19, v21, vcc_lo
	global_store_b64 v[18:19], v[16:17], off
.LBB47_21:                              ;   in Loop: Header=BB47_6 Depth=1
	s_wait_alu 0xfffe
	s_or_b32 exec_lo, exec_lo, s15
	v_add_co_u32 v18, vcc_lo, s12, v10
	s_wait_alu 0xfffd
	v_add_co_ci_u32_e64 v19, null, s13, v11, vcc_lo
	s_and_saveexec_b32 s12, s18
	s_cbranch_execz .LBB47_25
; %bb.22:                               ;   in Loop: Header=BB47_6 Depth=1
	v_mul_f64_e32 v[14:15], s[22:23], v[14:15]
	v_lshlrev_b64_e32 v[16:17], 3, v[0:1]
	s_and_not1_b32 vcc_lo, exec_lo, s33
	s_wait_alu 0xfffe
	s_cbranch_vccnz .LBB47_30
; %bb.23:                               ;   in Loop: Header=BB47_6 Depth=1
	s_delay_alu instid0(VALU_DEP_1)
	v_add_co_u32 v20, vcc_lo, v18, v16
	s_wait_alu 0xfffd
	v_add_co_ci_u32_e64 v21, null, v19, v17, vcc_lo
	global_load_b64 v[22:23], v[20:21], off
	s_wait_loadcnt 0x0
	v_fma_f64 v[22:23], s[10:11], v[22:23], v[14:15]
	global_store_b64 v[20:21], v[22:23], off
	s_cbranch_execnz .LBB47_25
.LBB47_24:                              ;   in Loop: Header=BB47_6 Depth=1
	s_delay_alu instid0(VALU_DEP_1)
	v_add_co_u32 v16, vcc_lo, v18, v16
	s_wait_alu 0xfffd
	v_add_co_ci_u32_e64 v17, null, v19, v17, vcc_lo
	global_store_b64 v[16:17], v[14:15], off
.LBB47_25:                              ;   in Loop: Header=BB47_6 Depth=1
	s_wait_alu 0xfffe
	s_or_b32 exec_lo, exec_lo, s12
	s_and_saveexec_b32 s12, s35
	s_cbranch_execz .LBB47_5
; %bb.26:                               ;   in Loop: Header=BB47_6 Depth=1
	v_mul_f64_e32 v[12:13], s[22:23], v[12:13]
	v_lshlrev_b64_e32 v[14:15], 3, v[2:3]
	s_and_not1_b32 vcc_lo, exec_lo, s33
	s_wait_alu 0xfffe
	s_cbranch_vccnz .LBB47_31
; %bb.27:                               ;   in Loop: Header=BB47_6 Depth=1
	s_delay_alu instid0(VALU_DEP_1)
	v_add_co_u32 v16, vcc_lo, v18, v14
	s_wait_alu 0xfffd
	v_add_co_ci_u32_e64 v17, null, v19, v15, vcc_lo
	global_load_b64 v[20:21], v[16:17], off
	s_wait_loadcnt 0x0
	v_fma_f64 v[20:21], s[10:11], v[20:21], v[12:13]
	global_store_b64 v[16:17], v[20:21], off
	s_cbranch_execnz .LBB47_5
	s_branch .LBB47_32
.LBB47_28:                              ;   in Loop: Header=BB47_6 Depth=1
	s_branch .LBB47_16
.LBB47_29:                              ;   in Loop: Header=BB47_6 Depth=1
	s_branch .LBB47_20
.LBB47_30:                              ;   in Loop: Header=BB47_6 Depth=1
	s_branch .LBB47_24
.LBB47_31:                              ;   in Loop: Header=BB47_6 Depth=1
.LBB47_32:                              ;   in Loop: Header=BB47_6 Depth=1
	s_delay_alu instid0(VALU_DEP_1)
	v_add_co_u32 v14, vcc_lo, v18, v14
	s_wait_alu 0xfffd
	v_add_co_ci_u32_e64 v15, null, v19, v15, vcc_lo
	global_store_b64 v[14:15], v[12:13], off
	s_branch .LBB47_5
.LBB47_33:
	s_endpgm
	.section	.rodata,"a",@progbits
	.p2align	6, 0x0
	.amdhsa_kernel _ZL29rocblas_internal_gemmt_kernelIiLi16ELi32ELi8ELc78ELc67ELc76ELb0ELb0EdPKdS1_PdEviT_T9_T10_S3_lS5_S3_lS4_T11_S3_li
		.amdhsa_group_segment_fixed_size 4096
		.amdhsa_private_segment_fixed_size 0
		.amdhsa_kernarg_size 100
		.amdhsa_user_sgpr_count 2
		.amdhsa_user_sgpr_dispatch_ptr 0
		.amdhsa_user_sgpr_queue_ptr 0
		.amdhsa_user_sgpr_kernarg_segment_ptr 1
		.amdhsa_user_sgpr_dispatch_id 0
		.amdhsa_user_sgpr_private_segment_size 0
		.amdhsa_wavefront_size32 1
		.amdhsa_uses_dynamic_stack 0
		.amdhsa_enable_private_segment 0
		.amdhsa_system_sgpr_workgroup_id_x 1
		.amdhsa_system_sgpr_workgroup_id_y 1
		.amdhsa_system_sgpr_workgroup_id_z 1
		.amdhsa_system_sgpr_workgroup_info 0
		.amdhsa_system_vgpr_workitem_id 1
		.amdhsa_next_free_vgpr 50
		.amdhsa_next_free_sgpr 37
		.amdhsa_reserve_vcc 1
		.amdhsa_float_round_mode_32 0
		.amdhsa_float_round_mode_16_64 0
		.amdhsa_float_denorm_mode_32 3
		.amdhsa_float_denorm_mode_16_64 3
		.amdhsa_fp16_overflow 0
		.amdhsa_workgroup_processor_mode 1
		.amdhsa_memory_ordered 1
		.amdhsa_forward_progress 1
		.amdhsa_inst_pref_size 17
		.amdhsa_round_robin_scheduling 0
		.amdhsa_exception_fp_ieee_invalid_op 0
		.amdhsa_exception_fp_denorm_src 0
		.amdhsa_exception_fp_ieee_div_zero 0
		.amdhsa_exception_fp_ieee_overflow 0
		.amdhsa_exception_fp_ieee_underflow 0
		.amdhsa_exception_fp_ieee_inexact 0
		.amdhsa_exception_int_div_zero 0
	.end_amdhsa_kernel
	.section	.text._ZL29rocblas_internal_gemmt_kernelIiLi16ELi32ELi8ELc78ELc67ELc76ELb0ELb0EdPKdS1_PdEviT_T9_T10_S3_lS5_S3_lS4_T11_S3_li,"axG",@progbits,_ZL29rocblas_internal_gemmt_kernelIiLi16ELi32ELi8ELc78ELc67ELc76ELb0ELb0EdPKdS1_PdEviT_T9_T10_S3_lS5_S3_lS4_T11_S3_li,comdat
.Lfunc_end47:
	.size	_ZL29rocblas_internal_gemmt_kernelIiLi16ELi32ELi8ELc78ELc67ELc76ELb0ELb0EdPKdS1_PdEviT_T9_T10_S3_lS5_S3_lS4_T11_S3_li, .Lfunc_end47-_ZL29rocblas_internal_gemmt_kernelIiLi16ELi32ELi8ELc78ELc67ELc76ELb0ELb0EdPKdS1_PdEviT_T9_T10_S3_lS5_S3_lS4_T11_S3_li
                                        ; -- End function
	.set _ZL29rocblas_internal_gemmt_kernelIiLi16ELi32ELi8ELc78ELc67ELc76ELb0ELb0EdPKdS1_PdEviT_T9_T10_S3_lS5_S3_lS4_T11_S3_li.num_vgpr, 50
	.set _ZL29rocblas_internal_gemmt_kernelIiLi16ELi32ELi8ELc78ELc67ELc76ELb0ELb0EdPKdS1_PdEviT_T9_T10_S3_lS5_S3_lS4_T11_S3_li.num_agpr, 0
	.set _ZL29rocblas_internal_gemmt_kernelIiLi16ELi32ELi8ELc78ELc67ELc76ELb0ELb0EdPKdS1_PdEviT_T9_T10_S3_lS5_S3_lS4_T11_S3_li.numbered_sgpr, 37
	.set _ZL29rocblas_internal_gemmt_kernelIiLi16ELi32ELi8ELc78ELc67ELc76ELb0ELb0EdPKdS1_PdEviT_T9_T10_S3_lS5_S3_lS4_T11_S3_li.num_named_barrier, 0
	.set _ZL29rocblas_internal_gemmt_kernelIiLi16ELi32ELi8ELc78ELc67ELc76ELb0ELb0EdPKdS1_PdEviT_T9_T10_S3_lS5_S3_lS4_T11_S3_li.private_seg_size, 0
	.set _ZL29rocblas_internal_gemmt_kernelIiLi16ELi32ELi8ELc78ELc67ELc76ELb0ELb0EdPKdS1_PdEviT_T9_T10_S3_lS5_S3_lS4_T11_S3_li.uses_vcc, 1
	.set _ZL29rocblas_internal_gemmt_kernelIiLi16ELi32ELi8ELc78ELc67ELc76ELb0ELb0EdPKdS1_PdEviT_T9_T10_S3_lS5_S3_lS4_T11_S3_li.uses_flat_scratch, 0
	.set _ZL29rocblas_internal_gemmt_kernelIiLi16ELi32ELi8ELc78ELc67ELc76ELb0ELb0EdPKdS1_PdEviT_T9_T10_S3_lS5_S3_lS4_T11_S3_li.has_dyn_sized_stack, 0
	.set _ZL29rocblas_internal_gemmt_kernelIiLi16ELi32ELi8ELc78ELc67ELc76ELb0ELb0EdPKdS1_PdEviT_T9_T10_S3_lS5_S3_lS4_T11_S3_li.has_recursion, 0
	.set _ZL29rocblas_internal_gemmt_kernelIiLi16ELi32ELi8ELc78ELc67ELc76ELb0ELb0EdPKdS1_PdEviT_T9_T10_S3_lS5_S3_lS4_T11_S3_li.has_indirect_call, 0
	.section	.AMDGPU.csdata,"",@progbits
; Kernel info:
; codeLenInByte = 2056
; TotalNumSgprs: 39
; NumVgprs: 50
; ScratchSize: 0
; MemoryBound: 0
; FloatMode: 240
; IeeeMode: 1
; LDSByteSize: 4096 bytes/workgroup (compile time only)
; SGPRBlocks: 0
; VGPRBlocks: 6
; NumSGPRsForWavesPerEU: 39
; NumVGPRsForWavesPerEU: 50
; Occupancy: 16
; WaveLimiterHint : 0
; COMPUTE_PGM_RSRC2:SCRATCH_EN: 0
; COMPUTE_PGM_RSRC2:USER_SGPR: 2
; COMPUTE_PGM_RSRC2:TRAP_HANDLER: 0
; COMPUTE_PGM_RSRC2:TGID_X_EN: 1
; COMPUTE_PGM_RSRC2:TGID_Y_EN: 1
; COMPUTE_PGM_RSRC2:TGID_Z_EN: 1
; COMPUTE_PGM_RSRC2:TIDIG_COMP_CNT: 1
	.section	.text._ZL29rocblas_internal_gemmt_kernelIiLi16ELi32ELi8ELc84ELc78ELc76ELb0ELb0EdPKdS1_PdEviT_T9_T10_S3_lS5_S3_lS4_T11_S3_li,"axG",@progbits,_ZL29rocblas_internal_gemmt_kernelIiLi16ELi32ELi8ELc84ELc78ELc76ELb0ELb0EdPKdS1_PdEviT_T9_T10_S3_lS5_S3_lS4_T11_S3_li,comdat
	.globl	_ZL29rocblas_internal_gemmt_kernelIiLi16ELi32ELi8ELc84ELc78ELc76ELb0ELb0EdPKdS1_PdEviT_T9_T10_S3_lS5_S3_lS4_T11_S3_li ; -- Begin function _ZL29rocblas_internal_gemmt_kernelIiLi16ELi32ELi8ELc84ELc78ELc76ELb0ELb0EdPKdS1_PdEviT_T9_T10_S3_lS5_S3_lS4_T11_S3_li
	.p2align	8
	.type	_ZL29rocblas_internal_gemmt_kernelIiLi16ELi32ELi8ELc84ELc78ELc76ELb0ELb0EdPKdS1_PdEviT_T9_T10_S3_lS5_S3_lS4_T11_S3_li,@function
_ZL29rocblas_internal_gemmt_kernelIiLi16ELi32ELi8ELc84ELc78ELc76ELb0ELb0EdPKdS1_PdEviT_T9_T10_S3_lS5_S3_lS4_T11_S3_li: ; @_ZL29rocblas_internal_gemmt_kernelIiLi16ELi32ELi8ELc84ELc78ELc76ELb0ELb0EdPKdS1_PdEviT_T9_T10_S3_lS5_S3_lS4_T11_S3_li
; %bb.0:
	s_load_b128 s[4:7], s[0:1], 0x38
	s_wait_kmcnt 0x0
	s_load_b64 s[6:7], s[6:7], 0x0
	s_clause 0x1
	s_load_b128 s[8:11], s[0:1], 0x8
	s_load_b64 s[20:21], s[0:1], 0x0
	s_wait_kmcnt 0x0
	s_load_b64 s[8:9], s[8:9], 0x0
	v_cmp_neq_f64_e64 s2, s[6:7], 1.0
	s_and_b32 vcc_lo, exec_lo, s2
	s_cbranch_vccnz .LBB48_2
; %bb.1:
	s_wait_kmcnt 0x0
	v_cmp_neq_f64_e64 s2, s[8:9], 0
	s_cmp_lg_u32 s21, 0
	s_cselect_b32 s3, -1, 0
	s_delay_alu instid0(SALU_CYCLE_1)
	s_and_b32 s2, s3, s2
.LBB48_2:
	s_delay_alu instid0(SALU_CYCLE_1)
	s_and_not1_b32 vcc_lo, exec_lo, s2
	s_cbranch_vccnz .LBB48_33
; %bb.3:
	s_load_b32 s19, s[0:1], 0x60
	s_lshr_b32 s22, ttmp7, 16
	s_wait_kmcnt 0x0
	s_cmp_ge_u32 s22, s19
	s_cbranch_scc1 .LBB48_33
; %bb.4:
	v_and_b32_e32 v1, 0x3ff, v0
	v_bfe_u32 v2, v0, 10, 10
	v_and_b32_e32 v28, 7, v0
	s_clause 0x4
	s_load_b32 s28, s[0:1], 0x18
	s_load_b128 s[12:15], s[0:1], 0x20
	s_load_b32 s29, s[0:1], 0x30
	s_load_b96 s[16:18], s[0:1], 0x48
	s_load_b64 s[24:25], s[0:1], 0x58
	s_lshl_b32 s0, ttmp7, 5
	v_cmp_neq_f64_e64 s30, s[8:9], 0
	v_lshl_add_u32 v0, v2, 4, v1
	v_lshlrev_b32_e32 v12, 3, v28
	s_lshl_b32 s1, ttmp9, 5
	s_and_b32 s2, s0, 0x1fffe0
	v_cmp_neq_f64_e64 s26, s[6:7], 0
	v_and_b32_e32 v3, 31, v0
	v_lshrrev_b32_e32 v4, 3, v0
	v_lshrrev_b32_e32 v29, 5, v0
	v_add_nc_u32_e32 v10, s1, v1
	s_cmp_gt_i32 s21, 0
	v_or_b32_e32 v5, s1, v3
	v_add_nc_u32_e32 v8, s2, v4
	v_lshlrev_b32_e32 v0, 3, v3
	v_lshl_or_b32 v3, v4, 6, v12
	v_add_nc_u32_e32 v4, s2, v2
	v_cmp_gt_i32_e64 s2, s20, v10
	v_lshl_add_u32 v33, v2, 6, 0x800
	v_lshl_or_b32 v30, v29, 8, v0
	v_add_nc_u32_e32 v0, 16, v10
	v_cmp_le_i32_e32 vcc_lo, v4, v10
	v_add_nc_u32_e32 v31, 0x800, v3
	s_wait_kmcnt 0x0
	v_mad_co_i64_i32 v[2:3], null, s28, v5, 0
	s_cselect_b32 s31, -1, 0
	v_cmp_gt_i32_e64 s0, s20, v5
	v_mad_co_i64_i32 v[6:7], null, v4, s18, 0
	s_and_b32 s27, vcc_lo, s2
	v_cmp_le_i32_e32 vcc_lo, v4, v0
	v_add_nc_u32_e32 v13, 16, v4
	v_mad_co_i64_i32 v[4:5], null, s29, v8, 0
	v_cmp_gt_i32_e64 s3, s20, v0
	v_lshlrev_b64_e32 v[2:3], 3, v[2:3]
	v_cmp_gt_i32_e64 s1, s20, v8
	v_lshlrev_b32_e32 v14, 3, v29
	v_mad_co_i64_i32 v[8:9], null, v13, s18, 0
	s_and_b32 s20, vcc_lo, s3
	v_cmp_le_i32_e32 vcc_lo, v13, v10
	v_lshlrev_b64_e32 v[4:5], 3, v[4:5]
	v_ashrrev_i32_e32 v11, 31, v10
	v_lshlrev_b64_e32 v[6:7], 3, v[6:7]
	v_lshlrev_b32_e32 v32, 3, v1
	s_and_b32 s18, vcc_lo, s2
	v_add_co_u32 v2, s2, v2, v14
	s_wait_alu 0xf1ff
	v_add_co_ci_u32_e64 v3, null, 0, v3, s2
	v_add_co_u32 v4, s2, v4, v12
	s_wait_alu 0xf1ff
	v_add_co_ci_u32_e64 v5, null, 0, v5, s2
	v_add_co_u32 v2, s2, s10, v2
	v_cmp_le_i32_e32 vcc_lo, v13, v0
	s_wait_alu 0xf1ff
	v_add_co_ci_u32_e64 v3, null, s11, v3, s2
	v_add_co_u32 v4, s2, s14, v4
	v_lshlrev_b64_e32 v[8:9], 3, v[8:9]
	v_lshlrev_b64_e32 v[10:11], 3, v[10:11]
	v_ashrrev_i32_e32 v1, 31, v0
	s_wait_alu 0xf1ff
	v_add_co_ci_u32_e64 v5, null, s15, v5, s2
	s_mov_b32 s23, 0
	s_and_b32 s14, s30, s31
	s_and_b32 s15, vcc_lo, s3
	s_lshl_b64 s[2:3], s[12:13], 3
	s_lshl_b64 s[4:5], s[4:5], 3
	s_branch .LBB48_6
.LBB48_5:                               ;   in Loop: Header=BB48_6 Depth=1
	s_wait_alu 0xfffe
	s_or_b32 exec_lo, exec_lo, s10
	s_add_co_i32 s22, s22, 0x10000
	s_wait_alu 0xfffe
	s_cmp_lt_u32 s22, s19
	s_cbranch_scc0 .LBB48_33
.LBB48_6:                               ; =>This Loop Header: Depth=1
                                        ;     Child Loop BB48_9 Depth 2
	v_mov_b32_e32 v22, 0
	v_dual_mov_b32 v14, 0 :: v_dual_mov_b32 v23, 0
	v_dual_mov_b32 v20, 0 :: v_dual_mov_b32 v15, 0
	v_dual_mov_b32 v12, 0 :: v_dual_mov_b32 v21, 0
	v_mov_b32_e32 v13, 0
	s_wait_alu 0xfffe
	s_and_not1_b32 vcc_lo, exec_lo, s14
	s_wait_alu 0xfffe
	s_cbranch_vccnz .LBB48_13
; %bb.7:                                ;   in Loop: Header=BB48_6 Depth=1
	v_mad_co_u64_u32 v[16:17], null, s2, s22, v[2:3]
	v_mad_co_u64_u32 v[18:19], null, s4, s22, v[4:5]
	s_mov_b32 s10, 0
	v_mov_b32_e32 v22, 0
	v_dual_mov_b32 v23, 0 :: v_dual_mov_b32 v12, v17
	v_mov_b32_e32 v13, v19
	s_delay_alu instid0(VALU_DEP_1)
	v_mad_co_u64_u32 v[19:20], null, s3, s22, v[12:13]
	v_mad_co_u64_u32 v[24:25], null, s5, s22, v[13:14]
	v_mov_b32_e32 v12, 0
	v_dual_mov_b32 v20, 0 :: v_dual_mov_b32 v13, 0
	v_dual_mov_b32 v14, 0 :: v_dual_mov_b32 v21, 0
	v_mov_b32_e32 v15, 0
	v_mov_b32_e32 v17, v19
	;; [unrolled: 1-line block ×3, first 2 shown]
	s_branch .LBB48_9
.LBB48_8:                               ;   in Loop: Header=BB48_9 Depth=2
	s_wait_alu 0xfffe
	s_or_b32 exec_lo, exec_lo, s11
	s_wait_loadcnt 0x0
	ds_store_b64 v31, v[26:27]
	s_wait_dscnt 0x0
	s_barrier_signal -1
	s_barrier_wait -1
	global_inv scope:SCOPE_SE
	ds_load_b128 v[24:27], v33
	ds_load_2addr_b64 v[34:37], v32 offset1:16
	ds_load_b128 v[38:41], v33 offset:1024
	ds_load_b128 v[42:45], v33 offset:16
	;; [unrolled: 1-line block ×3, first 2 shown]
	v_add_co_u32 v16, vcc_lo, v16, 64
	s_wait_alu 0xfffd
	v_add_co_ci_u32_e64 v17, null, 0, v17, vcc_lo
	v_add_co_u32 v18, vcc_lo, v18, 64
	s_wait_alu 0xfffd
	v_add_co_ci_u32_e64 v19, null, 0, v19, vcc_lo
	s_add_co_i32 s10, s10, 8
	s_wait_alu 0xfffe
	s_cmp_lt_i32 s10, s21
	s_wait_dscnt 0x3
	v_fma_f64 v[22:23], v[34:35], v[24:25], v[22:23]
	v_fma_f64 v[20:21], v[36:37], v[24:25], v[20:21]
	s_wait_dscnt 0x2
	v_fma_f64 v[24:25], v[34:35], v[38:39], v[14:15]
	v_fma_f64 v[34:35], v[36:37], v[38:39], v[12:13]
	ds_load_2addr_b64 v[12:15], v32 offset0:32 offset1:48
	s_wait_dscnt 0x0
	v_fma_f64 v[22:23], v[12:13], v[26:27], v[22:23]
	v_fma_f64 v[20:21], v[14:15], v[26:27], v[20:21]
	v_fma_f64 v[24:25], v[12:13], v[40:41], v[24:25]
	v_fma_f64 v[26:27], v[14:15], v[40:41], v[34:35]
	ds_load_2addr_b64 v[12:15], v32 offset0:64 offset1:80
	s_wait_dscnt 0x0
	v_fma_f64 v[22:23], v[12:13], v[42:43], v[22:23]
	v_fma_f64 v[20:21], v[14:15], v[42:43], v[20:21]
	;; [unrolled: 6-line block ×3, first 2 shown]
	v_fma_f64 v[46:47], v[12:13], v[48:49], v[24:25]
	v_fma_f64 v[48:49], v[14:15], v[48:49], v[26:27]
	ds_load_b128 v[12:15], v33 offset:32
	ds_load_2addr_b64 v[20:23], v32 offset0:128 offset1:144
	ds_load_b128 v[24:27], v33 offset:1056
	ds_load_b128 v[34:37], v33 offset:48
	;; [unrolled: 1-line block ×3, first 2 shown]
	s_wait_dscnt 0x3
	v_fma_f64 v[42:43], v[20:21], v[12:13], v[42:43]
	v_fma_f64 v[12:13], v[22:23], v[12:13], v[44:45]
	s_wait_dscnt 0x2
	v_fma_f64 v[44:45], v[20:21], v[24:25], v[46:47]
	v_fma_f64 v[24:25], v[22:23], v[24:25], v[48:49]
	ds_load_2addr_b64 v[20:23], v32 offset0:160 offset1:176
	s_wait_dscnt 0x0
	v_fma_f64 v[42:43], v[20:21], v[14:15], v[42:43]
	v_fma_f64 v[46:47], v[22:23], v[14:15], v[12:13]
	;; [unrolled: 1-line block ×4, first 2 shown]
	ds_load_2addr_b64 v[12:15], v32 offset0:192 offset1:208
	ds_load_2addr_b64 v[24:27], v32 offset0:224 offset1:240
	s_wait_loadcnt_dscnt 0x0
	s_barrier_signal -1
	s_barrier_wait -1
	global_inv scope:SCOPE_SE
	v_fma_f64 v[42:43], v[12:13], v[34:35], v[42:43]
	v_fma_f64 v[34:35], v[14:15], v[34:35], v[46:47]
	;; [unrolled: 1-line block ×4, first 2 shown]
	s_delay_alu instid0(VALU_DEP_4) | instskip(NEXT) | instid1(VALU_DEP_4)
	v_fma_f64 v[22:23], v[24:25], v[36:37], v[42:43]
	v_fma_f64 v[20:21], v[26:27], v[36:37], v[34:35]
	s_delay_alu instid0(VALU_DEP_4) | instskip(NEXT) | instid1(VALU_DEP_4)
	v_fma_f64 v[14:15], v[24:25], v[40:41], v[12:13]
	v_fma_f64 v[12:13], v[26:27], v[40:41], v[38:39]
	s_cbranch_scc0 .LBB48_13
.LBB48_9:                               ;   Parent Loop BB48_6 Depth=1
                                        ; =>  This Inner Loop Header: Depth=2
	s_wait_alu 0xfffe
	v_add_nc_u32_e32 v24, s10, v29
	s_delay_alu instid0(VALU_DEP_1) | instskip(SKIP_3) | instid1(SALU_CYCLE_1)
	v_cmp_gt_i32_e32 vcc_lo, s21, v24
	v_mov_b32_e32 v24, 0
	v_mov_b32_e32 v25, 0
	s_and_b32 s12, s0, vcc_lo
	s_and_saveexec_b32 s11, s12
	s_cbranch_execz .LBB48_11
; %bb.10:                               ;   in Loop: Header=BB48_9 Depth=2
	global_load_b64 v[24:25], v[16:17], off
.LBB48_11:                              ;   in Loop: Header=BB48_9 Depth=2
	s_wait_alu 0xfffe
	s_or_b32 exec_lo, exec_lo, s11
	v_add_nc_u32_e32 v26, s10, v28
	s_wait_loadcnt 0x0
	ds_store_b64 v30, v[24:25]
	v_cmp_gt_i32_e32 vcc_lo, s21, v26
	v_mov_b32_e32 v26, 0
	v_mov_b32_e32 v27, 0
	s_and_b32 s12, vcc_lo, s1
	s_delay_alu instid0(SALU_CYCLE_1)
	s_and_saveexec_b32 s11, s12
	s_cbranch_execz .LBB48_8
; %bb.12:                               ;   in Loop: Header=BB48_9 Depth=2
	global_load_b64 v[26:27], v[18:19], off
	s_branch .LBB48_8
.LBB48_13:                              ;   in Loop: Header=BB48_6 Depth=1
	s_mul_u64 s[10:11], s[24:25], s[22:23]
	s_wait_alu 0xfffe
	s_lshl_b64 s[10:11], s[10:11], 3
	s_wait_alu 0xfffe
	s_add_nc_u64 s[10:11], s[16:17], s[10:11]
	s_wait_alu 0xfffe
	v_add_co_u32 v18, vcc_lo, s10, v6
	s_wait_alu 0xfffd
	v_add_co_ci_u32_e64 v19, null, s11, v7, vcc_lo
	s_and_saveexec_b32 s12, s27
	s_cbranch_execz .LBB48_17
; %bb.14:                               ;   in Loop: Header=BB48_6 Depth=1
	v_mul_f64_e32 v[16:17], s[8:9], v[22:23]
	s_and_b32 vcc_lo, exec_lo, s26
	s_wait_alu 0xfffe
	s_cbranch_vccz .LBB48_28
; %bb.15:                               ;   in Loop: Header=BB48_6 Depth=1
	v_add_co_u32 v22, vcc_lo, v18, v10
	s_wait_alu 0xfffd
	v_add_co_ci_u32_e64 v23, null, v19, v11, vcc_lo
	global_load_b64 v[24:25], v[22:23], off
	s_wait_loadcnt 0x0
	v_fma_f64 v[24:25], s[6:7], v[24:25], v[16:17]
	global_store_b64 v[22:23], v[24:25], off
	s_cbranch_execnz .LBB48_17
.LBB48_16:                              ;   in Loop: Header=BB48_6 Depth=1
	v_add_co_u32 v22, vcc_lo, v18, v10
	s_wait_alu 0xfffd
	v_add_co_ci_u32_e64 v23, null, v19, v11, vcc_lo
	global_store_b64 v[22:23], v[16:17], off
.LBB48_17:                              ;   in Loop: Header=BB48_6 Depth=1
	s_or_b32 exec_lo, exec_lo, s12
	s_and_saveexec_b32 s12, s20
	s_cbranch_execz .LBB48_21
; %bb.18:                               ;   in Loop: Header=BB48_6 Depth=1
	v_mul_f64_e32 v[16:17], s[8:9], v[20:21]
	s_and_not1_b32 vcc_lo, exec_lo, s26
	s_wait_alu 0xfffe
	s_cbranch_vccnz .LBB48_29
; %bb.19:                               ;   in Loop: Header=BB48_6 Depth=1
	v_lshlrev_b64_e32 v[20:21], 3, v[0:1]
	s_delay_alu instid0(VALU_DEP_1) | instskip(SKIP_1) | instid1(VALU_DEP_2)
	v_add_co_u32 v20, vcc_lo, v18, v20
	s_wait_alu 0xfffd
	v_add_co_ci_u32_e64 v21, null, v19, v21, vcc_lo
	global_load_b64 v[22:23], v[20:21], off
	s_wait_loadcnt 0x0
	v_fma_f64 v[22:23], s[6:7], v[22:23], v[16:17]
	global_store_b64 v[20:21], v[22:23], off
	s_cbranch_execnz .LBB48_21
.LBB48_20:                              ;   in Loop: Header=BB48_6 Depth=1
	v_lshlrev_b64_e32 v[20:21], 3, v[0:1]
	s_delay_alu instid0(VALU_DEP_1) | instskip(SKIP_1) | instid1(VALU_DEP_2)
	v_add_co_u32 v18, vcc_lo, v18, v20
	s_wait_alu 0xfffd
	v_add_co_ci_u32_e64 v19, null, v19, v21, vcc_lo
	global_store_b64 v[18:19], v[16:17], off
.LBB48_21:                              ;   in Loop: Header=BB48_6 Depth=1
	s_or_b32 exec_lo, exec_lo, s12
	v_add_co_u32 v16, vcc_lo, s10, v8
	s_wait_alu 0xfffd
	v_add_co_ci_u32_e64 v17, null, s11, v9, vcc_lo
	s_and_saveexec_b32 s10, s18
	s_cbranch_execz .LBB48_25
; %bb.22:                               ;   in Loop: Header=BB48_6 Depth=1
	v_mul_f64_e32 v[14:15], s[8:9], v[14:15]
	s_and_not1_b32 vcc_lo, exec_lo, s26
	s_wait_alu 0xfffe
	s_cbranch_vccnz .LBB48_30
; %bb.23:                               ;   in Loop: Header=BB48_6 Depth=1
	v_add_co_u32 v18, vcc_lo, v16, v10
	s_wait_alu 0xfffd
	v_add_co_ci_u32_e64 v19, null, v17, v11, vcc_lo
	global_load_b64 v[20:21], v[18:19], off
	s_wait_loadcnt 0x0
	v_fma_f64 v[20:21], s[6:7], v[20:21], v[14:15]
	global_store_b64 v[18:19], v[20:21], off
	s_cbranch_execnz .LBB48_25
.LBB48_24:                              ;   in Loop: Header=BB48_6 Depth=1
	v_add_co_u32 v18, vcc_lo, v16, v10
	s_wait_alu 0xfffd
	v_add_co_ci_u32_e64 v19, null, v17, v11, vcc_lo
	global_store_b64 v[18:19], v[14:15], off
.LBB48_25:                              ;   in Loop: Header=BB48_6 Depth=1
	s_wait_alu 0xfffe
	s_or_b32 exec_lo, exec_lo, s10
	s_and_saveexec_b32 s10, s15
	s_cbranch_execz .LBB48_5
; %bb.26:                               ;   in Loop: Header=BB48_6 Depth=1
	v_mul_f64_e32 v[12:13], s[8:9], v[12:13]
	v_lshlrev_b64_e32 v[14:15], 3, v[0:1]
	s_and_not1_b32 vcc_lo, exec_lo, s26
	s_wait_alu 0xfffe
	s_cbranch_vccnz .LBB48_31
; %bb.27:                               ;   in Loop: Header=BB48_6 Depth=1
	s_delay_alu instid0(VALU_DEP_1)
	v_add_co_u32 v18, vcc_lo, v16, v14
	s_wait_alu 0xfffd
	v_add_co_ci_u32_e64 v19, null, v17, v15, vcc_lo
	global_load_b64 v[20:21], v[18:19], off
	s_wait_loadcnt 0x0
	v_fma_f64 v[20:21], s[6:7], v[20:21], v[12:13]
	global_store_b64 v[18:19], v[20:21], off
	s_cbranch_execnz .LBB48_5
	s_branch .LBB48_32
.LBB48_28:                              ;   in Loop: Header=BB48_6 Depth=1
	s_branch .LBB48_16
.LBB48_29:                              ;   in Loop: Header=BB48_6 Depth=1
	s_branch .LBB48_20
.LBB48_30:                              ;   in Loop: Header=BB48_6 Depth=1
	s_branch .LBB48_24
.LBB48_31:                              ;   in Loop: Header=BB48_6 Depth=1
.LBB48_32:                              ;   in Loop: Header=BB48_6 Depth=1
	s_delay_alu instid0(VALU_DEP_1)
	v_add_co_u32 v14, vcc_lo, v16, v14
	s_wait_alu 0xfffd
	v_add_co_ci_u32_e64 v15, null, v17, v15, vcc_lo
	global_store_b64 v[14:15], v[12:13], off
	s_branch .LBB48_5
.LBB48_33:
	s_endpgm
	.section	.rodata,"a",@progbits
	.p2align	6, 0x0
	.amdhsa_kernel _ZL29rocblas_internal_gemmt_kernelIiLi16ELi32ELi8ELc84ELc78ELc76ELb0ELb0EdPKdS1_PdEviT_T9_T10_S3_lS5_S3_lS4_T11_S3_li
		.amdhsa_group_segment_fixed_size 4096
		.amdhsa_private_segment_fixed_size 0
		.amdhsa_kernarg_size 100
		.amdhsa_user_sgpr_count 2
		.amdhsa_user_sgpr_dispatch_ptr 0
		.amdhsa_user_sgpr_queue_ptr 0
		.amdhsa_user_sgpr_kernarg_segment_ptr 1
		.amdhsa_user_sgpr_dispatch_id 0
		.amdhsa_user_sgpr_private_segment_size 0
		.amdhsa_wavefront_size32 1
		.amdhsa_uses_dynamic_stack 0
		.amdhsa_enable_private_segment 0
		.amdhsa_system_sgpr_workgroup_id_x 1
		.amdhsa_system_sgpr_workgroup_id_y 1
		.amdhsa_system_sgpr_workgroup_id_z 1
		.amdhsa_system_sgpr_workgroup_info 0
		.amdhsa_system_vgpr_workitem_id 1
		.amdhsa_next_free_vgpr 50
		.amdhsa_next_free_sgpr 32
		.amdhsa_reserve_vcc 1
		.amdhsa_float_round_mode_32 0
		.amdhsa_float_round_mode_16_64 0
		.amdhsa_float_denorm_mode_32 3
		.amdhsa_float_denorm_mode_16_64 3
		.amdhsa_fp16_overflow 0
		.amdhsa_workgroup_processor_mode 1
		.amdhsa_memory_ordered 1
		.amdhsa_forward_progress 1
		.amdhsa_inst_pref_size 16
		.amdhsa_round_robin_scheduling 0
		.amdhsa_exception_fp_ieee_invalid_op 0
		.amdhsa_exception_fp_denorm_src 0
		.amdhsa_exception_fp_ieee_div_zero 0
		.amdhsa_exception_fp_ieee_overflow 0
		.amdhsa_exception_fp_ieee_underflow 0
		.amdhsa_exception_fp_ieee_inexact 0
		.amdhsa_exception_int_div_zero 0
	.end_amdhsa_kernel
	.section	.text._ZL29rocblas_internal_gemmt_kernelIiLi16ELi32ELi8ELc84ELc78ELc76ELb0ELb0EdPKdS1_PdEviT_T9_T10_S3_lS5_S3_lS4_T11_S3_li,"axG",@progbits,_ZL29rocblas_internal_gemmt_kernelIiLi16ELi32ELi8ELc84ELc78ELc76ELb0ELb0EdPKdS1_PdEviT_T9_T10_S3_lS5_S3_lS4_T11_S3_li,comdat
.Lfunc_end48:
	.size	_ZL29rocblas_internal_gemmt_kernelIiLi16ELi32ELi8ELc84ELc78ELc76ELb0ELb0EdPKdS1_PdEviT_T9_T10_S3_lS5_S3_lS4_T11_S3_li, .Lfunc_end48-_ZL29rocblas_internal_gemmt_kernelIiLi16ELi32ELi8ELc84ELc78ELc76ELb0ELb0EdPKdS1_PdEviT_T9_T10_S3_lS5_S3_lS4_T11_S3_li
                                        ; -- End function
	.set _ZL29rocblas_internal_gemmt_kernelIiLi16ELi32ELi8ELc84ELc78ELc76ELb0ELb0EdPKdS1_PdEviT_T9_T10_S3_lS5_S3_lS4_T11_S3_li.num_vgpr, 50
	.set _ZL29rocblas_internal_gemmt_kernelIiLi16ELi32ELi8ELc84ELc78ELc76ELb0ELb0EdPKdS1_PdEviT_T9_T10_S3_lS5_S3_lS4_T11_S3_li.num_agpr, 0
	.set _ZL29rocblas_internal_gemmt_kernelIiLi16ELi32ELi8ELc84ELc78ELc76ELb0ELb0EdPKdS1_PdEviT_T9_T10_S3_lS5_S3_lS4_T11_S3_li.numbered_sgpr, 32
	.set _ZL29rocblas_internal_gemmt_kernelIiLi16ELi32ELi8ELc84ELc78ELc76ELb0ELb0EdPKdS1_PdEviT_T9_T10_S3_lS5_S3_lS4_T11_S3_li.num_named_barrier, 0
	.set _ZL29rocblas_internal_gemmt_kernelIiLi16ELi32ELi8ELc84ELc78ELc76ELb0ELb0EdPKdS1_PdEviT_T9_T10_S3_lS5_S3_lS4_T11_S3_li.private_seg_size, 0
	.set _ZL29rocblas_internal_gemmt_kernelIiLi16ELi32ELi8ELc84ELc78ELc76ELb0ELb0EdPKdS1_PdEviT_T9_T10_S3_lS5_S3_lS4_T11_S3_li.uses_vcc, 1
	.set _ZL29rocblas_internal_gemmt_kernelIiLi16ELi32ELi8ELc84ELc78ELc76ELb0ELb0EdPKdS1_PdEviT_T9_T10_S3_lS5_S3_lS4_T11_S3_li.uses_flat_scratch, 0
	.set _ZL29rocblas_internal_gemmt_kernelIiLi16ELi32ELi8ELc84ELc78ELc76ELb0ELb0EdPKdS1_PdEviT_T9_T10_S3_lS5_S3_lS4_T11_S3_li.has_dyn_sized_stack, 0
	.set _ZL29rocblas_internal_gemmt_kernelIiLi16ELi32ELi8ELc84ELc78ELc76ELb0ELb0EdPKdS1_PdEviT_T9_T10_S3_lS5_S3_lS4_T11_S3_li.has_recursion, 0
	.set _ZL29rocblas_internal_gemmt_kernelIiLi16ELi32ELi8ELc84ELc78ELc76ELb0ELb0EdPKdS1_PdEviT_T9_T10_S3_lS5_S3_lS4_T11_S3_li.has_indirect_call, 0
	.section	.AMDGPU.csdata,"",@progbits
; Kernel info:
; codeLenInByte = 1988
; TotalNumSgprs: 34
; NumVgprs: 50
; ScratchSize: 0
; MemoryBound: 0
; FloatMode: 240
; IeeeMode: 1
; LDSByteSize: 4096 bytes/workgroup (compile time only)
; SGPRBlocks: 0
; VGPRBlocks: 6
; NumSGPRsForWavesPerEU: 34
; NumVGPRsForWavesPerEU: 50
; Occupancy: 16
; WaveLimiterHint : 0
; COMPUTE_PGM_RSRC2:SCRATCH_EN: 0
; COMPUTE_PGM_RSRC2:USER_SGPR: 2
; COMPUTE_PGM_RSRC2:TRAP_HANDLER: 0
; COMPUTE_PGM_RSRC2:TGID_X_EN: 1
; COMPUTE_PGM_RSRC2:TGID_Y_EN: 1
; COMPUTE_PGM_RSRC2:TGID_Z_EN: 1
; COMPUTE_PGM_RSRC2:TIDIG_COMP_CNT: 1
	.section	.text._ZL29rocblas_internal_gemmt_kernelIiLi16ELi32ELi8ELc84ELc84ELc76ELb0ELb0EdPKdS1_PdEviT_T9_T10_S3_lS5_S3_lS4_T11_S3_li,"axG",@progbits,_ZL29rocblas_internal_gemmt_kernelIiLi16ELi32ELi8ELc84ELc84ELc76ELb0ELb0EdPKdS1_PdEviT_T9_T10_S3_lS5_S3_lS4_T11_S3_li,comdat
	.globl	_ZL29rocblas_internal_gemmt_kernelIiLi16ELi32ELi8ELc84ELc84ELc76ELb0ELb0EdPKdS1_PdEviT_T9_T10_S3_lS5_S3_lS4_T11_S3_li ; -- Begin function _ZL29rocblas_internal_gemmt_kernelIiLi16ELi32ELi8ELc84ELc84ELc76ELb0ELb0EdPKdS1_PdEviT_T9_T10_S3_lS5_S3_lS4_T11_S3_li
	.p2align	8
	.type	_ZL29rocblas_internal_gemmt_kernelIiLi16ELi32ELi8ELc84ELc84ELc76ELb0ELb0EdPKdS1_PdEviT_T9_T10_S3_lS5_S3_lS4_T11_S3_li,@function
_ZL29rocblas_internal_gemmt_kernelIiLi16ELi32ELi8ELc84ELc84ELc76ELb0ELb0EdPKdS1_PdEviT_T9_T10_S3_lS5_S3_lS4_T11_S3_li: ; @_ZL29rocblas_internal_gemmt_kernelIiLi16ELi32ELi8ELc84ELc84ELc76ELb0ELb0EdPKdS1_PdEviT_T9_T10_S3_lS5_S3_lS4_T11_S3_li
; %bb.0:
	s_load_b128 s[8:11], s[0:1], 0x38
	s_wait_kmcnt 0x0
	s_load_b64 s[10:11], s[10:11], 0x0
	s_clause 0x1
	s_load_b128 s[4:7], s[0:1], 0x8
	s_load_b64 s[20:21], s[0:1], 0x0
	s_wait_kmcnt 0x0
	s_load_b64 s[22:23], s[4:5], 0x0
	v_cmp_neq_f64_e64 s2, s[10:11], 1.0
	s_and_b32 vcc_lo, exec_lo, s2
	s_cbranch_vccnz .LBB49_2
; %bb.1:
	s_wait_kmcnt 0x0
	v_cmp_neq_f64_e64 s2, s[22:23], 0
	s_cmp_lg_u32 s21, 0
	s_cselect_b32 s3, -1, 0
	s_delay_alu instid0(SALU_CYCLE_1)
	s_and_b32 s2, s3, s2
.LBB49_2:
	s_delay_alu instid0(SALU_CYCLE_1)
	s_and_not1_b32 vcc_lo, exec_lo, s2
	s_cbranch_vccnz .LBB49_33
; %bb.3:
	s_load_b32 s19, s[0:1], 0x60
	s_lshr_b32 s24, ttmp7, 16
	s_wait_kmcnt 0x0
	s_cmp_ge_u32 s24, s19
	s_cbranch_scc1 .LBB49_33
; %bb.4:
	v_and_b32_e32 v1, 0x3ff, v0
	v_bfe_u32 v2, v0, 10, 10
	v_and_b32_e32 v28, 7, v0
	s_clause 0x4
	s_load_b32 s5, s[0:1], 0x18
	s_load_b128 s[12:15], s[0:1], 0x20
	s_load_b96 s[16:18], s[0:1], 0x48
	s_load_b64 s[26:27], s[0:1], 0x58
	s_load_b32 s28, s[0:1], 0x30
	v_lshl_add_u32 v0, v2, 4, v1
	v_lshlrev_b32_e32 v4, 3, v28
	s_lshl_b32 s0, ttmp7, 5
	s_lshl_b32 s1, ttmp9, 5
	v_cmp_neq_f64_e64 s34, s[22:23], 0
	v_and_b32_e32 v3, 31, v0
	v_lshrrev_b32_e32 v29, 5, v0
	v_lshrrev_b32_e32 v0, 3, v0
	s_and_b32 s2, s0, 0x1fffe0
	v_add_nc_u32_e32 v10, s1, v1
	v_or_b32_e32 v5, s1, v3
	v_lshlrev_b32_e32 v3, 3, v3
	v_add_nc_u32_e32 v12, s2, v0
	v_lshl_or_b32 v0, v0, 6, v4
	v_cmp_neq_f64_e64 s30, s[10:11], 0
	v_lshl_add_u32 v33, v2, 6, 0x800
	v_lshl_or_b32 v30, v29, 8, v3
	v_add_nc_u32_e32 v3, s2, v2
	v_add_nc_u32_e32 v31, 0x800, v0
	;; [unrolled: 1-line block ×3, first 2 shown]
	v_cmp_gt_i32_e64 s0, s20, v5
	v_cmp_gt_i32_e64 s2, s20, v10
	v_cmp_le_i32_e32 vcc_lo, v3, v10
	s_wait_kmcnt 0x0
	v_mad_co_i64_i32 v[6:7], null, v3, s18, 0
	v_cmp_le_i32_e64 s3, v3, v0
	v_add_nc_u32_e32 v8, 16, v3
	v_mad_co_i64_i32 v[2:3], null, s5, v5, 0
	v_mad_co_i64_i32 v[4:5], null, s28, v28, 0
	s_ashr_i32 s29, s28, 31
	s_cmp_gt_i32 s21, 0
	v_cmp_gt_i32_e64 s1, s20, v12
	s_cselect_b32 s35, -1, 0
	v_lshlrev_b64_e32 v[2:3], 3, v[2:3]
	v_cmp_gt_i32_e64 s4, s20, v0
	s_and_b32 s20, vcc_lo, s2
	v_cmp_le_i32_e32 vcc_lo, v8, v10
	v_lshlrev_b32_e32 v13, 3, v29
	v_lshlrev_b64_e32 v[4:5], 3, v[4:5]
	v_lshlrev_b32_e32 v12, 3, v12
	s_and_b32 s31, s3, s4
	v_cmp_le_i32_e64 s3, v8, v0
	v_mad_co_i64_i32 v[8:9], null, v8, s18, 0
	s_and_b32 s18, vcc_lo, s2
	v_add_co_u32 v2, vcc_lo, v2, v13
	s_delay_alu instid0(VALU_DEP_1)
	v_add_co_ci_u32_e64 v3, null, 0, v3, vcc_lo
	v_add_co_u32 v4, vcc_lo, v4, v12
	v_ashrrev_i32_e32 v11, 31, v10
	s_wait_alu 0xfffd
	v_add_co_ci_u32_e64 v5, null, 0, v5, vcc_lo
	v_add_co_u32 v2, vcc_lo, s6, v2
	s_wait_alu 0xfffd
	v_add_co_ci_u32_e64 v3, null, s7, v3, vcc_lo
	v_add_co_u32 v4, vcc_lo, s14, v4
	v_lshlrev_b64_e32 v[6:7], 3, v[6:7]
	v_lshlrev_b64_e32 v[8:9], 3, v[8:9]
	;; [unrolled: 1-line block ×3, first 2 shown]
	v_lshlrev_b32_e32 v32, 3, v1
	v_ashrrev_i32_e32 v1, 31, v0
	s_wait_alu 0xfffd
	v_add_co_ci_u32_e64 v5, null, s15, v5, vcc_lo
	s_mov_b32 s25, 0
	s_and_b32 s33, s3, s4
	s_and_b32 s14, s34, s35
	s_lshl_b64 s[2:3], s[12:13], 3
	s_lshl_b64 s[4:5], s[8:9], 3
	s_wait_alu 0xfffe
	s_lshl_b64 s[6:7], s[28:29], 6
	s_branch .LBB49_6
.LBB49_5:                               ;   in Loop: Header=BB49_6 Depth=1
	s_wait_alu 0xfffe
	s_or_b32 exec_lo, exec_lo, s8
	s_add_co_i32 s24, s24, 0x10000
	s_wait_alu 0xfffe
	s_cmp_lt_u32 s24, s19
	s_cbranch_scc0 .LBB49_33
.LBB49_6:                               ; =>This Loop Header: Depth=1
                                        ;     Child Loop BB49_9 Depth 2
	v_mov_b32_e32 v22, 0
	v_dual_mov_b32 v14, 0 :: v_dual_mov_b32 v23, 0
	v_dual_mov_b32 v20, 0 :: v_dual_mov_b32 v15, 0
	;; [unrolled: 1-line block ×3, first 2 shown]
	v_mov_b32_e32 v13, 0
	s_and_not1_b32 vcc_lo, exec_lo, s14
	s_wait_alu 0xfffe
	s_cbranch_vccnz .LBB49_13
; %bb.7:                                ;   in Loop: Header=BB49_6 Depth=1
	v_mad_co_u64_u32 v[16:17], null, s2, s24, v[2:3]
	v_mad_co_u64_u32 v[18:19], null, s4, s24, v[4:5]
	s_mov_b32 s8, 0
	v_mov_b32_e32 v22, 0
	v_dual_mov_b32 v23, 0 :: v_dual_mov_b32 v12, v17
	v_mov_b32_e32 v13, v19
	s_delay_alu instid0(VALU_DEP_1)
	v_mad_co_u64_u32 v[19:20], null, s3, s24, v[12:13]
	v_mad_co_u64_u32 v[24:25], null, s5, s24, v[13:14]
	v_mov_b32_e32 v12, 0
	v_dual_mov_b32 v20, 0 :: v_dual_mov_b32 v13, 0
	v_dual_mov_b32 v14, 0 :: v_dual_mov_b32 v21, 0
	v_mov_b32_e32 v15, 0
	v_mov_b32_e32 v17, v19
	;; [unrolled: 1-line block ×3, first 2 shown]
	s_branch .LBB49_9
.LBB49_8:                               ;   in Loop: Header=BB49_9 Depth=2
	s_wait_alu 0xfffe
	s_or_b32 exec_lo, exec_lo, s9
	s_wait_loadcnt 0x0
	ds_store_b64 v31, v[26:27]
	s_wait_dscnt 0x0
	s_barrier_signal -1
	s_barrier_wait -1
	global_inv scope:SCOPE_SE
	ds_load_b128 v[24:27], v33
	ds_load_2addr_b64 v[34:37], v32 offset1:16
	ds_load_b128 v[38:41], v33 offset:1024
	ds_load_b128 v[42:45], v33 offset:16
	;; [unrolled: 1-line block ×3, first 2 shown]
	v_add_co_u32 v16, vcc_lo, v16, 64
	s_wait_alu 0xfffd
	v_add_co_ci_u32_e64 v17, null, 0, v17, vcc_lo
	v_add_co_u32 v18, vcc_lo, v18, s6
	s_wait_alu 0xfffd
	v_add_co_ci_u32_e64 v19, null, s7, v19, vcc_lo
	s_add_co_i32 s8, s8, 8
	s_wait_alu 0xfffe
	s_cmp_lt_i32 s8, s21
	s_wait_dscnt 0x3
	v_fma_f64 v[22:23], v[34:35], v[24:25], v[22:23]
	v_fma_f64 v[20:21], v[36:37], v[24:25], v[20:21]
	s_wait_dscnt 0x2
	v_fma_f64 v[24:25], v[34:35], v[38:39], v[14:15]
	v_fma_f64 v[34:35], v[36:37], v[38:39], v[12:13]
	ds_load_2addr_b64 v[12:15], v32 offset0:32 offset1:48
	s_wait_dscnt 0x0
	v_fma_f64 v[22:23], v[12:13], v[26:27], v[22:23]
	v_fma_f64 v[20:21], v[14:15], v[26:27], v[20:21]
	v_fma_f64 v[24:25], v[12:13], v[40:41], v[24:25]
	v_fma_f64 v[26:27], v[14:15], v[40:41], v[34:35]
	ds_load_2addr_b64 v[12:15], v32 offset0:64 offset1:80
	s_wait_dscnt 0x0
	v_fma_f64 v[22:23], v[12:13], v[42:43], v[22:23]
	v_fma_f64 v[20:21], v[14:15], v[42:43], v[20:21]
	;; [unrolled: 6-line block ×3, first 2 shown]
	v_fma_f64 v[46:47], v[12:13], v[48:49], v[24:25]
	v_fma_f64 v[48:49], v[14:15], v[48:49], v[26:27]
	ds_load_b128 v[12:15], v33 offset:32
	ds_load_2addr_b64 v[20:23], v32 offset0:128 offset1:144
	ds_load_b128 v[24:27], v33 offset:1056
	ds_load_b128 v[34:37], v33 offset:48
	;; [unrolled: 1-line block ×3, first 2 shown]
	s_wait_dscnt 0x3
	v_fma_f64 v[42:43], v[20:21], v[12:13], v[42:43]
	v_fma_f64 v[12:13], v[22:23], v[12:13], v[44:45]
	s_wait_dscnt 0x2
	v_fma_f64 v[44:45], v[20:21], v[24:25], v[46:47]
	v_fma_f64 v[24:25], v[22:23], v[24:25], v[48:49]
	ds_load_2addr_b64 v[20:23], v32 offset0:160 offset1:176
	s_wait_dscnt 0x0
	v_fma_f64 v[42:43], v[20:21], v[14:15], v[42:43]
	v_fma_f64 v[46:47], v[22:23], v[14:15], v[12:13]
	;; [unrolled: 1-line block ×4, first 2 shown]
	ds_load_2addr_b64 v[12:15], v32 offset0:192 offset1:208
	ds_load_2addr_b64 v[24:27], v32 offset0:224 offset1:240
	s_wait_loadcnt_dscnt 0x0
	s_barrier_signal -1
	s_barrier_wait -1
	global_inv scope:SCOPE_SE
	v_fma_f64 v[42:43], v[12:13], v[34:35], v[42:43]
	v_fma_f64 v[34:35], v[14:15], v[34:35], v[46:47]
	;; [unrolled: 1-line block ×4, first 2 shown]
	s_delay_alu instid0(VALU_DEP_4) | instskip(NEXT) | instid1(VALU_DEP_4)
	v_fma_f64 v[22:23], v[24:25], v[36:37], v[42:43]
	v_fma_f64 v[20:21], v[26:27], v[36:37], v[34:35]
	s_delay_alu instid0(VALU_DEP_4) | instskip(NEXT) | instid1(VALU_DEP_4)
	v_fma_f64 v[14:15], v[24:25], v[40:41], v[12:13]
	v_fma_f64 v[12:13], v[26:27], v[40:41], v[38:39]
	s_cbranch_scc0 .LBB49_13
.LBB49_9:                               ;   Parent Loop BB49_6 Depth=1
                                        ; =>  This Inner Loop Header: Depth=2
	s_wait_alu 0xfffe
	v_add_nc_u32_e32 v24, s8, v29
	s_delay_alu instid0(VALU_DEP_1) | instskip(SKIP_3) | instid1(SALU_CYCLE_1)
	v_cmp_gt_i32_e32 vcc_lo, s21, v24
	v_mov_b32_e32 v24, 0
	v_mov_b32_e32 v25, 0
	s_and_b32 s12, s0, vcc_lo
	s_and_saveexec_b32 s9, s12
	s_cbranch_execz .LBB49_11
; %bb.10:                               ;   in Loop: Header=BB49_9 Depth=2
	global_load_b64 v[24:25], v[16:17], off
.LBB49_11:                              ;   in Loop: Header=BB49_9 Depth=2
	s_wait_alu 0xfffe
	s_or_b32 exec_lo, exec_lo, s9
	v_add_nc_u32_e32 v26, s8, v28
	s_wait_loadcnt 0x0
	ds_store_b64 v30, v[24:25]
	v_cmp_gt_i32_e32 vcc_lo, s21, v26
	v_mov_b32_e32 v26, 0
	v_mov_b32_e32 v27, 0
	s_and_b32 s12, vcc_lo, s1
	s_delay_alu instid0(SALU_CYCLE_1)
	s_and_saveexec_b32 s9, s12
	s_cbranch_execz .LBB49_8
; %bb.12:                               ;   in Loop: Header=BB49_9 Depth=2
	global_load_b64 v[26:27], v[18:19], off
	s_branch .LBB49_8
.LBB49_13:                              ;   in Loop: Header=BB49_6 Depth=1
	s_mul_u64 s[8:9], s[26:27], s[24:25]
	s_wait_alu 0xfffe
	s_lshl_b64 s[8:9], s[8:9], 3
	s_wait_alu 0xfffe
	s_add_nc_u64 s[8:9], s[16:17], s[8:9]
	s_wait_alu 0xfffe
	v_add_co_u32 v18, vcc_lo, s8, v6
	s_wait_alu 0xfffd
	v_add_co_ci_u32_e64 v19, null, s9, v7, vcc_lo
	s_and_saveexec_b32 s12, s20
	s_cbranch_execz .LBB49_17
; %bb.14:                               ;   in Loop: Header=BB49_6 Depth=1
	v_mul_f64_e32 v[16:17], s[22:23], v[22:23]
	s_and_b32 vcc_lo, exec_lo, s30
	s_wait_alu 0xfffe
	s_cbranch_vccz .LBB49_28
; %bb.15:                               ;   in Loop: Header=BB49_6 Depth=1
	v_add_co_u32 v22, vcc_lo, v18, v10
	s_wait_alu 0xfffd
	v_add_co_ci_u32_e64 v23, null, v19, v11, vcc_lo
	global_load_b64 v[24:25], v[22:23], off
	s_wait_loadcnt 0x0
	v_fma_f64 v[24:25], s[10:11], v[24:25], v[16:17]
	global_store_b64 v[22:23], v[24:25], off
	s_cbranch_execnz .LBB49_17
.LBB49_16:                              ;   in Loop: Header=BB49_6 Depth=1
	v_add_co_u32 v22, vcc_lo, v18, v10
	s_wait_alu 0xfffd
	v_add_co_ci_u32_e64 v23, null, v19, v11, vcc_lo
	global_store_b64 v[22:23], v[16:17], off
.LBB49_17:                              ;   in Loop: Header=BB49_6 Depth=1
	s_or_b32 exec_lo, exec_lo, s12
	s_and_saveexec_b32 s12, s31
	s_cbranch_execz .LBB49_21
; %bb.18:                               ;   in Loop: Header=BB49_6 Depth=1
	v_mul_f64_e32 v[16:17], s[22:23], v[20:21]
	s_and_not1_b32 vcc_lo, exec_lo, s30
	s_wait_alu 0xfffe
	s_cbranch_vccnz .LBB49_29
; %bb.19:                               ;   in Loop: Header=BB49_6 Depth=1
	v_lshlrev_b64_e32 v[20:21], 3, v[0:1]
	s_delay_alu instid0(VALU_DEP_1) | instskip(SKIP_1) | instid1(VALU_DEP_2)
	v_add_co_u32 v20, vcc_lo, v18, v20
	s_wait_alu 0xfffd
	v_add_co_ci_u32_e64 v21, null, v19, v21, vcc_lo
	global_load_b64 v[22:23], v[20:21], off
	s_wait_loadcnt 0x0
	v_fma_f64 v[22:23], s[10:11], v[22:23], v[16:17]
	global_store_b64 v[20:21], v[22:23], off
	s_cbranch_execnz .LBB49_21
.LBB49_20:                              ;   in Loop: Header=BB49_6 Depth=1
	v_lshlrev_b64_e32 v[20:21], 3, v[0:1]
	s_delay_alu instid0(VALU_DEP_1) | instskip(SKIP_1) | instid1(VALU_DEP_2)
	v_add_co_u32 v18, vcc_lo, v18, v20
	s_wait_alu 0xfffd
	v_add_co_ci_u32_e64 v19, null, v19, v21, vcc_lo
	global_store_b64 v[18:19], v[16:17], off
.LBB49_21:                              ;   in Loop: Header=BB49_6 Depth=1
	s_or_b32 exec_lo, exec_lo, s12
	v_add_co_u32 v16, vcc_lo, s8, v8
	s_wait_alu 0xfffd
	v_add_co_ci_u32_e64 v17, null, s9, v9, vcc_lo
	s_and_saveexec_b32 s8, s18
	s_cbranch_execz .LBB49_25
; %bb.22:                               ;   in Loop: Header=BB49_6 Depth=1
	v_mul_f64_e32 v[14:15], s[22:23], v[14:15]
	s_and_not1_b32 vcc_lo, exec_lo, s30
	s_wait_alu 0xfffe
	s_cbranch_vccnz .LBB49_30
; %bb.23:                               ;   in Loop: Header=BB49_6 Depth=1
	v_add_co_u32 v18, vcc_lo, v16, v10
	s_wait_alu 0xfffd
	v_add_co_ci_u32_e64 v19, null, v17, v11, vcc_lo
	global_load_b64 v[20:21], v[18:19], off
	s_wait_loadcnt 0x0
	v_fma_f64 v[20:21], s[10:11], v[20:21], v[14:15]
	global_store_b64 v[18:19], v[20:21], off
	s_cbranch_execnz .LBB49_25
.LBB49_24:                              ;   in Loop: Header=BB49_6 Depth=1
	v_add_co_u32 v18, vcc_lo, v16, v10
	s_wait_alu 0xfffd
	v_add_co_ci_u32_e64 v19, null, v17, v11, vcc_lo
	global_store_b64 v[18:19], v[14:15], off
.LBB49_25:                              ;   in Loop: Header=BB49_6 Depth=1
	s_wait_alu 0xfffe
	s_or_b32 exec_lo, exec_lo, s8
	s_and_saveexec_b32 s8, s33
	s_cbranch_execz .LBB49_5
; %bb.26:                               ;   in Loop: Header=BB49_6 Depth=1
	v_mul_f64_e32 v[12:13], s[22:23], v[12:13]
	v_lshlrev_b64_e32 v[14:15], 3, v[0:1]
	s_and_not1_b32 vcc_lo, exec_lo, s30
	s_wait_alu 0xfffe
	s_cbranch_vccnz .LBB49_31
; %bb.27:                               ;   in Loop: Header=BB49_6 Depth=1
	s_delay_alu instid0(VALU_DEP_1)
	v_add_co_u32 v18, vcc_lo, v16, v14
	s_wait_alu 0xfffd
	v_add_co_ci_u32_e64 v19, null, v17, v15, vcc_lo
	global_load_b64 v[20:21], v[18:19], off
	s_wait_loadcnt 0x0
	v_fma_f64 v[20:21], s[10:11], v[20:21], v[12:13]
	global_store_b64 v[18:19], v[20:21], off
	s_cbranch_execnz .LBB49_5
	s_branch .LBB49_32
.LBB49_28:                              ;   in Loop: Header=BB49_6 Depth=1
	s_branch .LBB49_16
.LBB49_29:                              ;   in Loop: Header=BB49_6 Depth=1
	s_branch .LBB49_20
.LBB49_30:                              ;   in Loop: Header=BB49_6 Depth=1
	s_branch .LBB49_24
.LBB49_31:                              ;   in Loop: Header=BB49_6 Depth=1
.LBB49_32:                              ;   in Loop: Header=BB49_6 Depth=1
	s_delay_alu instid0(VALU_DEP_1)
	v_add_co_u32 v14, vcc_lo, v16, v14
	s_wait_alu 0xfffd
	v_add_co_ci_u32_e64 v15, null, v17, v15, vcc_lo
	global_store_b64 v[14:15], v[12:13], off
	s_branch .LBB49_5
.LBB49_33:
	s_endpgm
	.section	.rodata,"a",@progbits
	.p2align	6, 0x0
	.amdhsa_kernel _ZL29rocblas_internal_gemmt_kernelIiLi16ELi32ELi8ELc84ELc84ELc76ELb0ELb0EdPKdS1_PdEviT_T9_T10_S3_lS5_S3_lS4_T11_S3_li
		.amdhsa_group_segment_fixed_size 4096
		.amdhsa_private_segment_fixed_size 0
		.amdhsa_kernarg_size 100
		.amdhsa_user_sgpr_count 2
		.amdhsa_user_sgpr_dispatch_ptr 0
		.amdhsa_user_sgpr_queue_ptr 0
		.amdhsa_user_sgpr_kernarg_segment_ptr 1
		.amdhsa_user_sgpr_dispatch_id 0
		.amdhsa_user_sgpr_private_segment_size 0
		.amdhsa_wavefront_size32 1
		.amdhsa_uses_dynamic_stack 0
		.amdhsa_enable_private_segment 0
		.amdhsa_system_sgpr_workgroup_id_x 1
		.amdhsa_system_sgpr_workgroup_id_y 1
		.amdhsa_system_sgpr_workgroup_id_z 1
		.amdhsa_system_sgpr_workgroup_info 0
		.amdhsa_system_vgpr_workitem_id 1
		.amdhsa_next_free_vgpr 50
		.amdhsa_next_free_sgpr 36
		.amdhsa_reserve_vcc 1
		.amdhsa_float_round_mode_32 0
		.amdhsa_float_round_mode_16_64 0
		.amdhsa_float_denorm_mode_32 3
		.amdhsa_float_denorm_mode_16_64 3
		.amdhsa_fp16_overflow 0
		.amdhsa_workgroup_processor_mode 1
		.amdhsa_memory_ordered 1
		.amdhsa_forward_progress 1
		.amdhsa_inst_pref_size 16
		.amdhsa_round_robin_scheduling 0
		.amdhsa_exception_fp_ieee_invalid_op 0
		.amdhsa_exception_fp_denorm_src 0
		.amdhsa_exception_fp_ieee_div_zero 0
		.amdhsa_exception_fp_ieee_overflow 0
		.amdhsa_exception_fp_ieee_underflow 0
		.amdhsa_exception_fp_ieee_inexact 0
		.amdhsa_exception_int_div_zero 0
	.end_amdhsa_kernel
	.section	.text._ZL29rocblas_internal_gemmt_kernelIiLi16ELi32ELi8ELc84ELc84ELc76ELb0ELb0EdPKdS1_PdEviT_T9_T10_S3_lS5_S3_lS4_T11_S3_li,"axG",@progbits,_ZL29rocblas_internal_gemmt_kernelIiLi16ELi32ELi8ELc84ELc84ELc76ELb0ELb0EdPKdS1_PdEviT_T9_T10_S3_lS5_S3_lS4_T11_S3_li,comdat
.Lfunc_end49:
	.size	_ZL29rocblas_internal_gemmt_kernelIiLi16ELi32ELi8ELc84ELc84ELc76ELb0ELb0EdPKdS1_PdEviT_T9_T10_S3_lS5_S3_lS4_T11_S3_li, .Lfunc_end49-_ZL29rocblas_internal_gemmt_kernelIiLi16ELi32ELi8ELc84ELc84ELc76ELb0ELb0EdPKdS1_PdEviT_T9_T10_S3_lS5_S3_lS4_T11_S3_li
                                        ; -- End function
	.set _ZL29rocblas_internal_gemmt_kernelIiLi16ELi32ELi8ELc84ELc84ELc76ELb0ELb0EdPKdS1_PdEviT_T9_T10_S3_lS5_S3_lS4_T11_S3_li.num_vgpr, 50
	.set _ZL29rocblas_internal_gemmt_kernelIiLi16ELi32ELi8ELc84ELc84ELc76ELb0ELb0EdPKdS1_PdEviT_T9_T10_S3_lS5_S3_lS4_T11_S3_li.num_agpr, 0
	.set _ZL29rocblas_internal_gemmt_kernelIiLi16ELi32ELi8ELc84ELc84ELc76ELb0ELb0EdPKdS1_PdEviT_T9_T10_S3_lS5_S3_lS4_T11_S3_li.numbered_sgpr, 36
	.set _ZL29rocblas_internal_gemmt_kernelIiLi16ELi32ELi8ELc84ELc84ELc76ELb0ELb0EdPKdS1_PdEviT_T9_T10_S3_lS5_S3_lS4_T11_S3_li.num_named_barrier, 0
	.set _ZL29rocblas_internal_gemmt_kernelIiLi16ELi32ELi8ELc84ELc84ELc76ELb0ELb0EdPKdS1_PdEviT_T9_T10_S3_lS5_S3_lS4_T11_S3_li.private_seg_size, 0
	.set _ZL29rocblas_internal_gemmt_kernelIiLi16ELi32ELi8ELc84ELc84ELc76ELb0ELb0EdPKdS1_PdEviT_T9_T10_S3_lS5_S3_lS4_T11_S3_li.uses_vcc, 1
	.set _ZL29rocblas_internal_gemmt_kernelIiLi16ELi32ELi8ELc84ELc84ELc76ELb0ELb0EdPKdS1_PdEviT_T9_T10_S3_lS5_S3_lS4_T11_S3_li.uses_flat_scratch, 0
	.set _ZL29rocblas_internal_gemmt_kernelIiLi16ELi32ELi8ELc84ELc84ELc76ELb0ELb0EdPKdS1_PdEviT_T9_T10_S3_lS5_S3_lS4_T11_S3_li.has_dyn_sized_stack, 0
	.set _ZL29rocblas_internal_gemmt_kernelIiLi16ELi32ELi8ELc84ELc84ELc76ELb0ELb0EdPKdS1_PdEviT_T9_T10_S3_lS5_S3_lS4_T11_S3_li.has_recursion, 0
	.set _ZL29rocblas_internal_gemmt_kernelIiLi16ELi32ELi8ELc84ELc84ELc76ELb0ELb0EdPKdS1_PdEviT_T9_T10_S3_lS5_S3_lS4_T11_S3_li.has_indirect_call, 0
	.section	.AMDGPU.csdata,"",@progbits
; Kernel info:
; codeLenInByte = 2008
; TotalNumSgprs: 38
; NumVgprs: 50
; ScratchSize: 0
; MemoryBound: 0
; FloatMode: 240
; IeeeMode: 1
; LDSByteSize: 4096 bytes/workgroup (compile time only)
; SGPRBlocks: 0
; VGPRBlocks: 6
; NumSGPRsForWavesPerEU: 38
; NumVGPRsForWavesPerEU: 50
; Occupancy: 16
; WaveLimiterHint : 0
; COMPUTE_PGM_RSRC2:SCRATCH_EN: 0
; COMPUTE_PGM_RSRC2:USER_SGPR: 2
; COMPUTE_PGM_RSRC2:TRAP_HANDLER: 0
; COMPUTE_PGM_RSRC2:TGID_X_EN: 1
; COMPUTE_PGM_RSRC2:TGID_Y_EN: 1
; COMPUTE_PGM_RSRC2:TGID_Z_EN: 1
; COMPUTE_PGM_RSRC2:TIDIG_COMP_CNT: 1
	.section	.text._ZL29rocblas_internal_gemmt_kernelIiLi16ELi32ELi8ELc84ELc67ELc76ELb0ELb0EdPKdS1_PdEviT_T9_T10_S3_lS5_S3_lS4_T11_S3_li,"axG",@progbits,_ZL29rocblas_internal_gemmt_kernelIiLi16ELi32ELi8ELc84ELc67ELc76ELb0ELb0EdPKdS1_PdEviT_T9_T10_S3_lS5_S3_lS4_T11_S3_li,comdat
	.globl	_ZL29rocblas_internal_gemmt_kernelIiLi16ELi32ELi8ELc84ELc67ELc76ELb0ELb0EdPKdS1_PdEviT_T9_T10_S3_lS5_S3_lS4_T11_S3_li ; -- Begin function _ZL29rocblas_internal_gemmt_kernelIiLi16ELi32ELi8ELc84ELc67ELc76ELb0ELb0EdPKdS1_PdEviT_T9_T10_S3_lS5_S3_lS4_T11_S3_li
	.p2align	8
	.type	_ZL29rocblas_internal_gemmt_kernelIiLi16ELi32ELi8ELc84ELc67ELc76ELb0ELb0EdPKdS1_PdEviT_T9_T10_S3_lS5_S3_lS4_T11_S3_li,@function
_ZL29rocblas_internal_gemmt_kernelIiLi16ELi32ELi8ELc84ELc67ELc76ELb0ELb0EdPKdS1_PdEviT_T9_T10_S3_lS5_S3_lS4_T11_S3_li: ; @_ZL29rocblas_internal_gemmt_kernelIiLi16ELi32ELi8ELc84ELc67ELc76ELb0ELb0EdPKdS1_PdEviT_T9_T10_S3_lS5_S3_lS4_T11_S3_li
; %bb.0:
	s_load_b128 s[8:11], s[0:1], 0x38
	s_wait_kmcnt 0x0
	s_load_b64 s[10:11], s[10:11], 0x0
	s_clause 0x1
	s_load_b128 s[4:7], s[0:1], 0x8
	s_load_b64 s[20:21], s[0:1], 0x0
	s_wait_kmcnt 0x0
	s_load_b64 s[22:23], s[4:5], 0x0
	v_cmp_neq_f64_e64 s2, s[10:11], 1.0
	s_and_b32 vcc_lo, exec_lo, s2
	s_cbranch_vccnz .LBB50_2
; %bb.1:
	s_wait_kmcnt 0x0
	v_cmp_neq_f64_e64 s2, s[22:23], 0
	s_cmp_lg_u32 s21, 0
	s_cselect_b32 s3, -1, 0
	s_delay_alu instid0(SALU_CYCLE_1)
	s_and_b32 s2, s3, s2
.LBB50_2:
	s_delay_alu instid0(SALU_CYCLE_1)
	s_and_not1_b32 vcc_lo, exec_lo, s2
	s_cbranch_vccnz .LBB50_33
; %bb.3:
	s_load_b32 s19, s[0:1], 0x60
	s_lshr_b32 s24, ttmp7, 16
	s_wait_kmcnt 0x0
	s_cmp_ge_u32 s24, s19
	s_cbranch_scc1 .LBB50_33
; %bb.4:
	v_and_b32_e32 v1, 0x3ff, v0
	v_bfe_u32 v2, v0, 10, 10
	v_and_b32_e32 v28, 7, v0
	s_clause 0x4
	s_load_b32 s5, s[0:1], 0x18
	s_load_b128 s[12:15], s[0:1], 0x20
	s_load_b96 s[16:18], s[0:1], 0x48
	s_load_b64 s[26:27], s[0:1], 0x58
	s_load_b32 s28, s[0:1], 0x30
	v_lshl_add_u32 v0, v2, 4, v1
	v_lshlrev_b32_e32 v4, 3, v28
	s_lshl_b32 s0, ttmp7, 5
	s_lshl_b32 s1, ttmp9, 5
	v_cmp_neq_f64_e64 s34, s[22:23], 0
	v_and_b32_e32 v3, 31, v0
	v_lshrrev_b32_e32 v29, 5, v0
	v_lshrrev_b32_e32 v0, 3, v0
	s_and_b32 s2, s0, 0x1fffe0
	v_add_nc_u32_e32 v10, s1, v1
	v_or_b32_e32 v5, s1, v3
	v_lshlrev_b32_e32 v3, 3, v3
	v_add_nc_u32_e32 v12, s2, v0
	v_lshl_or_b32 v0, v0, 6, v4
	v_cmp_neq_f64_e64 s30, s[10:11], 0
	v_lshl_add_u32 v33, v2, 6, 0x800
	v_lshl_or_b32 v30, v29, 8, v3
	v_add_nc_u32_e32 v3, s2, v2
	v_add_nc_u32_e32 v31, 0x800, v0
	;; [unrolled: 1-line block ×3, first 2 shown]
	v_cmp_gt_i32_e64 s0, s20, v5
	v_cmp_gt_i32_e64 s2, s20, v10
	v_cmp_le_i32_e32 vcc_lo, v3, v10
	s_wait_kmcnt 0x0
	v_mad_co_i64_i32 v[6:7], null, v3, s18, 0
	v_cmp_le_i32_e64 s3, v3, v0
	v_add_nc_u32_e32 v8, 16, v3
	v_mad_co_i64_i32 v[2:3], null, s5, v5, 0
	v_mad_co_i64_i32 v[4:5], null, s28, v28, 0
	s_ashr_i32 s29, s28, 31
	s_cmp_gt_i32 s21, 0
	v_cmp_gt_i32_e64 s1, s20, v12
	s_cselect_b32 s35, -1, 0
	v_lshlrev_b64_e32 v[2:3], 3, v[2:3]
	v_cmp_gt_i32_e64 s4, s20, v0
	s_and_b32 s20, vcc_lo, s2
	v_cmp_le_i32_e32 vcc_lo, v8, v10
	v_lshlrev_b32_e32 v13, 3, v29
	v_lshlrev_b64_e32 v[4:5], 3, v[4:5]
	v_lshlrev_b32_e32 v12, 3, v12
	s_and_b32 s31, s3, s4
	v_cmp_le_i32_e64 s3, v8, v0
	v_mad_co_i64_i32 v[8:9], null, v8, s18, 0
	s_and_b32 s18, vcc_lo, s2
	v_add_co_u32 v2, vcc_lo, v2, v13
	s_delay_alu instid0(VALU_DEP_1)
	v_add_co_ci_u32_e64 v3, null, 0, v3, vcc_lo
	v_add_co_u32 v4, vcc_lo, v4, v12
	v_ashrrev_i32_e32 v11, 31, v10
	s_wait_alu 0xfffd
	v_add_co_ci_u32_e64 v5, null, 0, v5, vcc_lo
	v_add_co_u32 v2, vcc_lo, s6, v2
	s_wait_alu 0xfffd
	v_add_co_ci_u32_e64 v3, null, s7, v3, vcc_lo
	v_add_co_u32 v4, vcc_lo, s14, v4
	v_lshlrev_b64_e32 v[6:7], 3, v[6:7]
	v_lshlrev_b64_e32 v[8:9], 3, v[8:9]
	;; [unrolled: 1-line block ×3, first 2 shown]
	v_lshlrev_b32_e32 v32, 3, v1
	v_ashrrev_i32_e32 v1, 31, v0
	s_wait_alu 0xfffd
	v_add_co_ci_u32_e64 v5, null, s15, v5, vcc_lo
	s_mov_b32 s25, 0
	s_and_b32 s33, s3, s4
	s_and_b32 s14, s34, s35
	s_lshl_b64 s[2:3], s[12:13], 3
	s_lshl_b64 s[4:5], s[8:9], 3
	s_wait_alu 0xfffe
	s_lshl_b64 s[6:7], s[28:29], 6
	s_branch .LBB50_6
.LBB50_5:                               ;   in Loop: Header=BB50_6 Depth=1
	s_wait_alu 0xfffe
	s_or_b32 exec_lo, exec_lo, s8
	s_add_co_i32 s24, s24, 0x10000
	s_wait_alu 0xfffe
	s_cmp_lt_u32 s24, s19
	s_cbranch_scc0 .LBB50_33
.LBB50_6:                               ; =>This Loop Header: Depth=1
                                        ;     Child Loop BB50_9 Depth 2
	v_mov_b32_e32 v22, 0
	v_dual_mov_b32 v14, 0 :: v_dual_mov_b32 v23, 0
	v_dual_mov_b32 v20, 0 :: v_dual_mov_b32 v15, 0
	;; [unrolled: 1-line block ×3, first 2 shown]
	v_mov_b32_e32 v13, 0
	s_and_not1_b32 vcc_lo, exec_lo, s14
	s_wait_alu 0xfffe
	s_cbranch_vccnz .LBB50_13
; %bb.7:                                ;   in Loop: Header=BB50_6 Depth=1
	v_mad_co_u64_u32 v[16:17], null, s2, s24, v[2:3]
	v_mad_co_u64_u32 v[18:19], null, s4, s24, v[4:5]
	s_mov_b32 s8, 0
	v_mov_b32_e32 v22, 0
	v_dual_mov_b32 v23, 0 :: v_dual_mov_b32 v12, v17
	v_mov_b32_e32 v13, v19
	s_delay_alu instid0(VALU_DEP_1)
	v_mad_co_u64_u32 v[19:20], null, s3, s24, v[12:13]
	v_mad_co_u64_u32 v[24:25], null, s5, s24, v[13:14]
	v_mov_b32_e32 v12, 0
	v_dual_mov_b32 v20, 0 :: v_dual_mov_b32 v13, 0
	v_dual_mov_b32 v14, 0 :: v_dual_mov_b32 v21, 0
	v_mov_b32_e32 v15, 0
	v_mov_b32_e32 v17, v19
	;; [unrolled: 1-line block ×3, first 2 shown]
	s_branch .LBB50_9
.LBB50_8:                               ;   in Loop: Header=BB50_9 Depth=2
	s_wait_alu 0xfffe
	s_or_b32 exec_lo, exec_lo, s9
	s_wait_loadcnt 0x0
	ds_store_b64 v31, v[26:27]
	s_wait_dscnt 0x0
	s_barrier_signal -1
	s_barrier_wait -1
	global_inv scope:SCOPE_SE
	ds_load_b128 v[24:27], v33
	ds_load_2addr_b64 v[34:37], v32 offset1:16
	ds_load_b128 v[38:41], v33 offset:1024
	ds_load_b128 v[42:45], v33 offset:16
	;; [unrolled: 1-line block ×3, first 2 shown]
	v_add_co_u32 v16, vcc_lo, v16, 64
	s_wait_alu 0xfffd
	v_add_co_ci_u32_e64 v17, null, 0, v17, vcc_lo
	v_add_co_u32 v18, vcc_lo, v18, s6
	s_wait_alu 0xfffd
	v_add_co_ci_u32_e64 v19, null, s7, v19, vcc_lo
	s_add_co_i32 s8, s8, 8
	s_wait_alu 0xfffe
	s_cmp_lt_i32 s8, s21
	s_wait_dscnt 0x3
	v_fma_f64 v[22:23], v[34:35], v[24:25], v[22:23]
	v_fma_f64 v[20:21], v[36:37], v[24:25], v[20:21]
	s_wait_dscnt 0x2
	v_fma_f64 v[24:25], v[34:35], v[38:39], v[14:15]
	v_fma_f64 v[34:35], v[36:37], v[38:39], v[12:13]
	ds_load_2addr_b64 v[12:15], v32 offset0:32 offset1:48
	s_wait_dscnt 0x0
	v_fma_f64 v[22:23], v[12:13], v[26:27], v[22:23]
	v_fma_f64 v[20:21], v[14:15], v[26:27], v[20:21]
	v_fma_f64 v[24:25], v[12:13], v[40:41], v[24:25]
	v_fma_f64 v[26:27], v[14:15], v[40:41], v[34:35]
	ds_load_2addr_b64 v[12:15], v32 offset0:64 offset1:80
	s_wait_dscnt 0x0
	v_fma_f64 v[22:23], v[12:13], v[42:43], v[22:23]
	v_fma_f64 v[20:21], v[14:15], v[42:43], v[20:21]
	;; [unrolled: 6-line block ×3, first 2 shown]
	v_fma_f64 v[46:47], v[12:13], v[48:49], v[24:25]
	v_fma_f64 v[48:49], v[14:15], v[48:49], v[26:27]
	ds_load_b128 v[12:15], v33 offset:32
	ds_load_2addr_b64 v[20:23], v32 offset0:128 offset1:144
	ds_load_b128 v[24:27], v33 offset:1056
	ds_load_b128 v[34:37], v33 offset:48
	;; [unrolled: 1-line block ×3, first 2 shown]
	s_wait_dscnt 0x3
	v_fma_f64 v[42:43], v[20:21], v[12:13], v[42:43]
	v_fma_f64 v[12:13], v[22:23], v[12:13], v[44:45]
	s_wait_dscnt 0x2
	v_fma_f64 v[44:45], v[20:21], v[24:25], v[46:47]
	v_fma_f64 v[24:25], v[22:23], v[24:25], v[48:49]
	ds_load_2addr_b64 v[20:23], v32 offset0:160 offset1:176
	s_wait_dscnt 0x0
	v_fma_f64 v[42:43], v[20:21], v[14:15], v[42:43]
	v_fma_f64 v[46:47], v[22:23], v[14:15], v[12:13]
	;; [unrolled: 1-line block ×4, first 2 shown]
	ds_load_2addr_b64 v[12:15], v32 offset0:192 offset1:208
	ds_load_2addr_b64 v[24:27], v32 offset0:224 offset1:240
	s_wait_loadcnt_dscnt 0x0
	s_barrier_signal -1
	s_barrier_wait -1
	global_inv scope:SCOPE_SE
	v_fma_f64 v[42:43], v[12:13], v[34:35], v[42:43]
	v_fma_f64 v[34:35], v[14:15], v[34:35], v[46:47]
	;; [unrolled: 1-line block ×4, first 2 shown]
	s_delay_alu instid0(VALU_DEP_4) | instskip(NEXT) | instid1(VALU_DEP_4)
	v_fma_f64 v[22:23], v[24:25], v[36:37], v[42:43]
	v_fma_f64 v[20:21], v[26:27], v[36:37], v[34:35]
	s_delay_alu instid0(VALU_DEP_4) | instskip(NEXT) | instid1(VALU_DEP_4)
	v_fma_f64 v[14:15], v[24:25], v[40:41], v[12:13]
	v_fma_f64 v[12:13], v[26:27], v[40:41], v[38:39]
	s_cbranch_scc0 .LBB50_13
.LBB50_9:                               ;   Parent Loop BB50_6 Depth=1
                                        ; =>  This Inner Loop Header: Depth=2
	s_wait_alu 0xfffe
	v_add_nc_u32_e32 v24, s8, v29
	s_delay_alu instid0(VALU_DEP_1) | instskip(SKIP_3) | instid1(SALU_CYCLE_1)
	v_cmp_gt_i32_e32 vcc_lo, s21, v24
	v_mov_b32_e32 v24, 0
	v_mov_b32_e32 v25, 0
	s_and_b32 s12, s0, vcc_lo
	s_and_saveexec_b32 s9, s12
	s_cbranch_execz .LBB50_11
; %bb.10:                               ;   in Loop: Header=BB50_9 Depth=2
	global_load_b64 v[24:25], v[16:17], off
.LBB50_11:                              ;   in Loop: Header=BB50_9 Depth=2
	s_wait_alu 0xfffe
	s_or_b32 exec_lo, exec_lo, s9
	v_add_nc_u32_e32 v26, s8, v28
	s_wait_loadcnt 0x0
	ds_store_b64 v30, v[24:25]
	v_cmp_gt_i32_e32 vcc_lo, s21, v26
	v_mov_b32_e32 v26, 0
	v_mov_b32_e32 v27, 0
	s_and_b32 s12, vcc_lo, s1
	s_delay_alu instid0(SALU_CYCLE_1)
	s_and_saveexec_b32 s9, s12
	s_cbranch_execz .LBB50_8
; %bb.12:                               ;   in Loop: Header=BB50_9 Depth=2
	global_load_b64 v[26:27], v[18:19], off
	s_branch .LBB50_8
.LBB50_13:                              ;   in Loop: Header=BB50_6 Depth=1
	s_mul_u64 s[8:9], s[26:27], s[24:25]
	s_wait_alu 0xfffe
	s_lshl_b64 s[8:9], s[8:9], 3
	s_wait_alu 0xfffe
	s_add_nc_u64 s[8:9], s[16:17], s[8:9]
	s_wait_alu 0xfffe
	v_add_co_u32 v18, vcc_lo, s8, v6
	s_wait_alu 0xfffd
	v_add_co_ci_u32_e64 v19, null, s9, v7, vcc_lo
	s_and_saveexec_b32 s12, s20
	s_cbranch_execz .LBB50_17
; %bb.14:                               ;   in Loop: Header=BB50_6 Depth=1
	v_mul_f64_e32 v[16:17], s[22:23], v[22:23]
	s_and_b32 vcc_lo, exec_lo, s30
	s_wait_alu 0xfffe
	s_cbranch_vccz .LBB50_28
; %bb.15:                               ;   in Loop: Header=BB50_6 Depth=1
	v_add_co_u32 v22, vcc_lo, v18, v10
	s_wait_alu 0xfffd
	v_add_co_ci_u32_e64 v23, null, v19, v11, vcc_lo
	global_load_b64 v[24:25], v[22:23], off
	s_wait_loadcnt 0x0
	v_fma_f64 v[24:25], s[10:11], v[24:25], v[16:17]
	global_store_b64 v[22:23], v[24:25], off
	s_cbranch_execnz .LBB50_17
.LBB50_16:                              ;   in Loop: Header=BB50_6 Depth=1
	v_add_co_u32 v22, vcc_lo, v18, v10
	s_wait_alu 0xfffd
	v_add_co_ci_u32_e64 v23, null, v19, v11, vcc_lo
	global_store_b64 v[22:23], v[16:17], off
.LBB50_17:                              ;   in Loop: Header=BB50_6 Depth=1
	s_or_b32 exec_lo, exec_lo, s12
	s_and_saveexec_b32 s12, s31
	s_cbranch_execz .LBB50_21
; %bb.18:                               ;   in Loop: Header=BB50_6 Depth=1
	v_mul_f64_e32 v[16:17], s[22:23], v[20:21]
	s_and_not1_b32 vcc_lo, exec_lo, s30
	s_wait_alu 0xfffe
	s_cbranch_vccnz .LBB50_29
; %bb.19:                               ;   in Loop: Header=BB50_6 Depth=1
	v_lshlrev_b64_e32 v[20:21], 3, v[0:1]
	s_delay_alu instid0(VALU_DEP_1) | instskip(SKIP_1) | instid1(VALU_DEP_2)
	v_add_co_u32 v20, vcc_lo, v18, v20
	s_wait_alu 0xfffd
	v_add_co_ci_u32_e64 v21, null, v19, v21, vcc_lo
	global_load_b64 v[22:23], v[20:21], off
	s_wait_loadcnt 0x0
	v_fma_f64 v[22:23], s[10:11], v[22:23], v[16:17]
	global_store_b64 v[20:21], v[22:23], off
	s_cbranch_execnz .LBB50_21
.LBB50_20:                              ;   in Loop: Header=BB50_6 Depth=1
	v_lshlrev_b64_e32 v[20:21], 3, v[0:1]
	s_delay_alu instid0(VALU_DEP_1) | instskip(SKIP_1) | instid1(VALU_DEP_2)
	v_add_co_u32 v18, vcc_lo, v18, v20
	s_wait_alu 0xfffd
	v_add_co_ci_u32_e64 v19, null, v19, v21, vcc_lo
	global_store_b64 v[18:19], v[16:17], off
.LBB50_21:                              ;   in Loop: Header=BB50_6 Depth=1
	s_or_b32 exec_lo, exec_lo, s12
	v_add_co_u32 v16, vcc_lo, s8, v8
	s_wait_alu 0xfffd
	v_add_co_ci_u32_e64 v17, null, s9, v9, vcc_lo
	s_and_saveexec_b32 s8, s18
	s_cbranch_execz .LBB50_25
; %bb.22:                               ;   in Loop: Header=BB50_6 Depth=1
	v_mul_f64_e32 v[14:15], s[22:23], v[14:15]
	s_and_not1_b32 vcc_lo, exec_lo, s30
	s_wait_alu 0xfffe
	s_cbranch_vccnz .LBB50_30
; %bb.23:                               ;   in Loop: Header=BB50_6 Depth=1
	v_add_co_u32 v18, vcc_lo, v16, v10
	s_wait_alu 0xfffd
	v_add_co_ci_u32_e64 v19, null, v17, v11, vcc_lo
	global_load_b64 v[20:21], v[18:19], off
	s_wait_loadcnt 0x0
	v_fma_f64 v[20:21], s[10:11], v[20:21], v[14:15]
	global_store_b64 v[18:19], v[20:21], off
	s_cbranch_execnz .LBB50_25
.LBB50_24:                              ;   in Loop: Header=BB50_6 Depth=1
	v_add_co_u32 v18, vcc_lo, v16, v10
	s_wait_alu 0xfffd
	v_add_co_ci_u32_e64 v19, null, v17, v11, vcc_lo
	global_store_b64 v[18:19], v[14:15], off
.LBB50_25:                              ;   in Loop: Header=BB50_6 Depth=1
	s_wait_alu 0xfffe
	s_or_b32 exec_lo, exec_lo, s8
	s_and_saveexec_b32 s8, s33
	s_cbranch_execz .LBB50_5
; %bb.26:                               ;   in Loop: Header=BB50_6 Depth=1
	v_mul_f64_e32 v[12:13], s[22:23], v[12:13]
	v_lshlrev_b64_e32 v[14:15], 3, v[0:1]
	s_and_not1_b32 vcc_lo, exec_lo, s30
	s_wait_alu 0xfffe
	s_cbranch_vccnz .LBB50_31
; %bb.27:                               ;   in Loop: Header=BB50_6 Depth=1
	s_delay_alu instid0(VALU_DEP_1)
	v_add_co_u32 v18, vcc_lo, v16, v14
	s_wait_alu 0xfffd
	v_add_co_ci_u32_e64 v19, null, v17, v15, vcc_lo
	global_load_b64 v[20:21], v[18:19], off
	s_wait_loadcnt 0x0
	v_fma_f64 v[20:21], s[10:11], v[20:21], v[12:13]
	global_store_b64 v[18:19], v[20:21], off
	s_cbranch_execnz .LBB50_5
	s_branch .LBB50_32
.LBB50_28:                              ;   in Loop: Header=BB50_6 Depth=1
	s_branch .LBB50_16
.LBB50_29:                              ;   in Loop: Header=BB50_6 Depth=1
	s_branch .LBB50_20
.LBB50_30:                              ;   in Loop: Header=BB50_6 Depth=1
	s_branch .LBB50_24
.LBB50_31:                              ;   in Loop: Header=BB50_6 Depth=1
.LBB50_32:                              ;   in Loop: Header=BB50_6 Depth=1
	s_delay_alu instid0(VALU_DEP_1)
	v_add_co_u32 v14, vcc_lo, v16, v14
	s_wait_alu 0xfffd
	v_add_co_ci_u32_e64 v15, null, v17, v15, vcc_lo
	global_store_b64 v[14:15], v[12:13], off
	s_branch .LBB50_5
.LBB50_33:
	s_endpgm
	.section	.rodata,"a",@progbits
	.p2align	6, 0x0
	.amdhsa_kernel _ZL29rocblas_internal_gemmt_kernelIiLi16ELi32ELi8ELc84ELc67ELc76ELb0ELb0EdPKdS1_PdEviT_T9_T10_S3_lS5_S3_lS4_T11_S3_li
		.amdhsa_group_segment_fixed_size 4096
		.amdhsa_private_segment_fixed_size 0
		.amdhsa_kernarg_size 100
		.amdhsa_user_sgpr_count 2
		.amdhsa_user_sgpr_dispatch_ptr 0
		.amdhsa_user_sgpr_queue_ptr 0
		.amdhsa_user_sgpr_kernarg_segment_ptr 1
		.amdhsa_user_sgpr_dispatch_id 0
		.amdhsa_user_sgpr_private_segment_size 0
		.amdhsa_wavefront_size32 1
		.amdhsa_uses_dynamic_stack 0
		.amdhsa_enable_private_segment 0
		.amdhsa_system_sgpr_workgroup_id_x 1
		.amdhsa_system_sgpr_workgroup_id_y 1
		.amdhsa_system_sgpr_workgroup_id_z 1
		.amdhsa_system_sgpr_workgroup_info 0
		.amdhsa_system_vgpr_workitem_id 1
		.amdhsa_next_free_vgpr 50
		.amdhsa_next_free_sgpr 36
		.amdhsa_reserve_vcc 1
		.amdhsa_float_round_mode_32 0
		.amdhsa_float_round_mode_16_64 0
		.amdhsa_float_denorm_mode_32 3
		.amdhsa_float_denorm_mode_16_64 3
		.amdhsa_fp16_overflow 0
		.amdhsa_workgroup_processor_mode 1
		.amdhsa_memory_ordered 1
		.amdhsa_forward_progress 1
		.amdhsa_inst_pref_size 16
		.amdhsa_round_robin_scheduling 0
		.amdhsa_exception_fp_ieee_invalid_op 0
		.amdhsa_exception_fp_denorm_src 0
		.amdhsa_exception_fp_ieee_div_zero 0
		.amdhsa_exception_fp_ieee_overflow 0
		.amdhsa_exception_fp_ieee_underflow 0
		.amdhsa_exception_fp_ieee_inexact 0
		.amdhsa_exception_int_div_zero 0
	.end_amdhsa_kernel
	.section	.text._ZL29rocblas_internal_gemmt_kernelIiLi16ELi32ELi8ELc84ELc67ELc76ELb0ELb0EdPKdS1_PdEviT_T9_T10_S3_lS5_S3_lS4_T11_S3_li,"axG",@progbits,_ZL29rocblas_internal_gemmt_kernelIiLi16ELi32ELi8ELc84ELc67ELc76ELb0ELb0EdPKdS1_PdEviT_T9_T10_S3_lS5_S3_lS4_T11_S3_li,comdat
.Lfunc_end50:
	.size	_ZL29rocblas_internal_gemmt_kernelIiLi16ELi32ELi8ELc84ELc67ELc76ELb0ELb0EdPKdS1_PdEviT_T9_T10_S3_lS5_S3_lS4_T11_S3_li, .Lfunc_end50-_ZL29rocblas_internal_gemmt_kernelIiLi16ELi32ELi8ELc84ELc67ELc76ELb0ELb0EdPKdS1_PdEviT_T9_T10_S3_lS5_S3_lS4_T11_S3_li
                                        ; -- End function
	.set _ZL29rocblas_internal_gemmt_kernelIiLi16ELi32ELi8ELc84ELc67ELc76ELb0ELb0EdPKdS1_PdEviT_T9_T10_S3_lS5_S3_lS4_T11_S3_li.num_vgpr, 50
	.set _ZL29rocblas_internal_gemmt_kernelIiLi16ELi32ELi8ELc84ELc67ELc76ELb0ELb0EdPKdS1_PdEviT_T9_T10_S3_lS5_S3_lS4_T11_S3_li.num_agpr, 0
	.set _ZL29rocblas_internal_gemmt_kernelIiLi16ELi32ELi8ELc84ELc67ELc76ELb0ELb0EdPKdS1_PdEviT_T9_T10_S3_lS5_S3_lS4_T11_S3_li.numbered_sgpr, 36
	.set _ZL29rocblas_internal_gemmt_kernelIiLi16ELi32ELi8ELc84ELc67ELc76ELb0ELb0EdPKdS1_PdEviT_T9_T10_S3_lS5_S3_lS4_T11_S3_li.num_named_barrier, 0
	.set _ZL29rocblas_internal_gemmt_kernelIiLi16ELi32ELi8ELc84ELc67ELc76ELb0ELb0EdPKdS1_PdEviT_T9_T10_S3_lS5_S3_lS4_T11_S3_li.private_seg_size, 0
	.set _ZL29rocblas_internal_gemmt_kernelIiLi16ELi32ELi8ELc84ELc67ELc76ELb0ELb0EdPKdS1_PdEviT_T9_T10_S3_lS5_S3_lS4_T11_S3_li.uses_vcc, 1
	.set _ZL29rocblas_internal_gemmt_kernelIiLi16ELi32ELi8ELc84ELc67ELc76ELb0ELb0EdPKdS1_PdEviT_T9_T10_S3_lS5_S3_lS4_T11_S3_li.uses_flat_scratch, 0
	.set _ZL29rocblas_internal_gemmt_kernelIiLi16ELi32ELi8ELc84ELc67ELc76ELb0ELb0EdPKdS1_PdEviT_T9_T10_S3_lS5_S3_lS4_T11_S3_li.has_dyn_sized_stack, 0
	.set _ZL29rocblas_internal_gemmt_kernelIiLi16ELi32ELi8ELc84ELc67ELc76ELb0ELb0EdPKdS1_PdEviT_T9_T10_S3_lS5_S3_lS4_T11_S3_li.has_recursion, 0
	.set _ZL29rocblas_internal_gemmt_kernelIiLi16ELi32ELi8ELc84ELc67ELc76ELb0ELb0EdPKdS1_PdEviT_T9_T10_S3_lS5_S3_lS4_T11_S3_li.has_indirect_call, 0
	.section	.AMDGPU.csdata,"",@progbits
; Kernel info:
; codeLenInByte = 2008
; TotalNumSgprs: 38
; NumVgprs: 50
; ScratchSize: 0
; MemoryBound: 0
; FloatMode: 240
; IeeeMode: 1
; LDSByteSize: 4096 bytes/workgroup (compile time only)
; SGPRBlocks: 0
; VGPRBlocks: 6
; NumSGPRsForWavesPerEU: 38
; NumVGPRsForWavesPerEU: 50
; Occupancy: 16
; WaveLimiterHint : 0
; COMPUTE_PGM_RSRC2:SCRATCH_EN: 0
; COMPUTE_PGM_RSRC2:USER_SGPR: 2
; COMPUTE_PGM_RSRC2:TRAP_HANDLER: 0
; COMPUTE_PGM_RSRC2:TGID_X_EN: 1
; COMPUTE_PGM_RSRC2:TGID_Y_EN: 1
; COMPUTE_PGM_RSRC2:TGID_Z_EN: 1
; COMPUTE_PGM_RSRC2:TIDIG_COMP_CNT: 1
	.section	.text._ZL29rocblas_internal_gemmt_kernelIiLi16ELi32ELi8ELc67ELc78ELc76ELb0ELb0EdPKdS1_PdEviT_T9_T10_S3_lS5_S3_lS4_T11_S3_li,"axG",@progbits,_ZL29rocblas_internal_gemmt_kernelIiLi16ELi32ELi8ELc67ELc78ELc76ELb0ELb0EdPKdS1_PdEviT_T9_T10_S3_lS5_S3_lS4_T11_S3_li,comdat
	.globl	_ZL29rocblas_internal_gemmt_kernelIiLi16ELi32ELi8ELc67ELc78ELc76ELb0ELb0EdPKdS1_PdEviT_T9_T10_S3_lS5_S3_lS4_T11_S3_li ; -- Begin function _ZL29rocblas_internal_gemmt_kernelIiLi16ELi32ELi8ELc67ELc78ELc76ELb0ELb0EdPKdS1_PdEviT_T9_T10_S3_lS5_S3_lS4_T11_S3_li
	.p2align	8
	.type	_ZL29rocblas_internal_gemmt_kernelIiLi16ELi32ELi8ELc67ELc78ELc76ELb0ELb0EdPKdS1_PdEviT_T9_T10_S3_lS5_S3_lS4_T11_S3_li,@function
_ZL29rocblas_internal_gemmt_kernelIiLi16ELi32ELi8ELc67ELc78ELc76ELb0ELb0EdPKdS1_PdEviT_T9_T10_S3_lS5_S3_lS4_T11_S3_li: ; @_ZL29rocblas_internal_gemmt_kernelIiLi16ELi32ELi8ELc67ELc78ELc76ELb0ELb0EdPKdS1_PdEviT_T9_T10_S3_lS5_S3_lS4_T11_S3_li
; %bb.0:
	s_load_b128 s[4:7], s[0:1], 0x38
	s_wait_kmcnt 0x0
	s_load_b64 s[6:7], s[6:7], 0x0
	s_clause 0x1
	s_load_b128 s[8:11], s[0:1], 0x8
	s_load_b64 s[20:21], s[0:1], 0x0
	s_wait_kmcnt 0x0
	s_load_b64 s[8:9], s[8:9], 0x0
	v_cmp_neq_f64_e64 s2, s[6:7], 1.0
	s_and_b32 vcc_lo, exec_lo, s2
	s_cbranch_vccnz .LBB51_2
; %bb.1:
	s_wait_kmcnt 0x0
	v_cmp_neq_f64_e64 s2, s[8:9], 0
	s_cmp_lg_u32 s21, 0
	s_cselect_b32 s3, -1, 0
	s_delay_alu instid0(SALU_CYCLE_1)
	s_and_b32 s2, s3, s2
.LBB51_2:
	s_delay_alu instid0(SALU_CYCLE_1)
	s_and_not1_b32 vcc_lo, exec_lo, s2
	s_cbranch_vccnz .LBB51_33
; %bb.3:
	s_load_b32 s19, s[0:1], 0x60
	s_lshr_b32 s22, ttmp7, 16
	s_wait_kmcnt 0x0
	s_cmp_ge_u32 s22, s19
	s_cbranch_scc1 .LBB51_33
; %bb.4:
	v_and_b32_e32 v1, 0x3ff, v0
	v_bfe_u32 v2, v0, 10, 10
	v_and_b32_e32 v28, 7, v0
	s_clause 0x4
	s_load_b32 s28, s[0:1], 0x18
	s_load_b128 s[12:15], s[0:1], 0x20
	s_load_b32 s29, s[0:1], 0x30
	s_load_b96 s[16:18], s[0:1], 0x48
	s_load_b64 s[24:25], s[0:1], 0x58
	s_lshl_b32 s0, ttmp7, 5
	v_cmp_neq_f64_e64 s30, s[8:9], 0
	v_lshl_add_u32 v0, v2, 4, v1
	v_lshlrev_b32_e32 v12, 3, v28
	s_lshl_b32 s1, ttmp9, 5
	s_and_b32 s2, s0, 0x1fffe0
	v_cmp_neq_f64_e64 s26, s[6:7], 0
	v_and_b32_e32 v3, 31, v0
	v_lshrrev_b32_e32 v4, 3, v0
	v_lshrrev_b32_e32 v29, 5, v0
	v_add_nc_u32_e32 v10, s1, v1
	s_cmp_gt_i32 s21, 0
	v_or_b32_e32 v5, s1, v3
	v_add_nc_u32_e32 v8, s2, v4
	v_lshlrev_b32_e32 v0, 3, v3
	v_lshl_or_b32 v3, v4, 6, v12
	v_add_nc_u32_e32 v4, s2, v2
	v_cmp_gt_i32_e64 s2, s20, v10
	v_lshl_add_u32 v33, v2, 6, 0x800
	v_lshl_or_b32 v30, v29, 8, v0
	v_add_nc_u32_e32 v0, 16, v10
	v_cmp_le_i32_e32 vcc_lo, v4, v10
	v_add_nc_u32_e32 v31, 0x800, v3
	s_wait_kmcnt 0x0
	v_mad_co_i64_i32 v[2:3], null, s28, v5, 0
	s_cselect_b32 s31, -1, 0
	v_cmp_gt_i32_e64 s0, s20, v5
	v_mad_co_i64_i32 v[6:7], null, v4, s18, 0
	s_and_b32 s27, vcc_lo, s2
	v_cmp_le_i32_e32 vcc_lo, v4, v0
	v_add_nc_u32_e32 v13, 16, v4
	v_mad_co_i64_i32 v[4:5], null, s29, v8, 0
	v_cmp_gt_i32_e64 s3, s20, v0
	v_lshlrev_b64_e32 v[2:3], 3, v[2:3]
	v_cmp_gt_i32_e64 s1, s20, v8
	v_lshlrev_b32_e32 v14, 3, v29
	v_mad_co_i64_i32 v[8:9], null, v13, s18, 0
	s_and_b32 s20, vcc_lo, s3
	v_cmp_le_i32_e32 vcc_lo, v13, v10
	v_lshlrev_b64_e32 v[4:5], 3, v[4:5]
	v_ashrrev_i32_e32 v11, 31, v10
	v_lshlrev_b64_e32 v[6:7], 3, v[6:7]
	v_lshlrev_b32_e32 v32, 3, v1
	s_and_b32 s18, vcc_lo, s2
	v_add_co_u32 v2, s2, v2, v14
	s_wait_alu 0xf1ff
	v_add_co_ci_u32_e64 v3, null, 0, v3, s2
	v_add_co_u32 v4, s2, v4, v12
	s_wait_alu 0xf1ff
	v_add_co_ci_u32_e64 v5, null, 0, v5, s2
	v_add_co_u32 v2, s2, s10, v2
	v_cmp_le_i32_e32 vcc_lo, v13, v0
	s_wait_alu 0xf1ff
	v_add_co_ci_u32_e64 v3, null, s11, v3, s2
	v_add_co_u32 v4, s2, s14, v4
	v_lshlrev_b64_e32 v[8:9], 3, v[8:9]
	v_lshlrev_b64_e32 v[10:11], 3, v[10:11]
	v_ashrrev_i32_e32 v1, 31, v0
	s_wait_alu 0xf1ff
	v_add_co_ci_u32_e64 v5, null, s15, v5, s2
	s_mov_b32 s23, 0
	s_and_b32 s14, s30, s31
	s_and_b32 s15, vcc_lo, s3
	s_lshl_b64 s[2:3], s[12:13], 3
	s_lshl_b64 s[4:5], s[4:5], 3
	s_branch .LBB51_6
.LBB51_5:                               ;   in Loop: Header=BB51_6 Depth=1
	s_wait_alu 0xfffe
	s_or_b32 exec_lo, exec_lo, s10
	s_add_co_i32 s22, s22, 0x10000
	s_wait_alu 0xfffe
	s_cmp_lt_u32 s22, s19
	s_cbranch_scc0 .LBB51_33
.LBB51_6:                               ; =>This Loop Header: Depth=1
                                        ;     Child Loop BB51_9 Depth 2
	v_mov_b32_e32 v22, 0
	v_dual_mov_b32 v14, 0 :: v_dual_mov_b32 v23, 0
	v_dual_mov_b32 v20, 0 :: v_dual_mov_b32 v15, 0
	;; [unrolled: 1-line block ×3, first 2 shown]
	v_mov_b32_e32 v13, 0
	s_wait_alu 0xfffe
	s_and_not1_b32 vcc_lo, exec_lo, s14
	s_wait_alu 0xfffe
	s_cbranch_vccnz .LBB51_13
; %bb.7:                                ;   in Loop: Header=BB51_6 Depth=1
	v_mad_co_u64_u32 v[16:17], null, s2, s22, v[2:3]
	v_mad_co_u64_u32 v[18:19], null, s4, s22, v[4:5]
	s_mov_b32 s10, 0
	v_mov_b32_e32 v22, 0
	v_dual_mov_b32 v23, 0 :: v_dual_mov_b32 v12, v17
	v_mov_b32_e32 v13, v19
	s_delay_alu instid0(VALU_DEP_1)
	v_mad_co_u64_u32 v[19:20], null, s3, s22, v[12:13]
	v_mad_co_u64_u32 v[24:25], null, s5, s22, v[13:14]
	v_mov_b32_e32 v12, 0
	v_dual_mov_b32 v20, 0 :: v_dual_mov_b32 v13, 0
	v_dual_mov_b32 v14, 0 :: v_dual_mov_b32 v21, 0
	v_mov_b32_e32 v15, 0
	v_mov_b32_e32 v17, v19
	;; [unrolled: 1-line block ×3, first 2 shown]
	s_branch .LBB51_9
.LBB51_8:                               ;   in Loop: Header=BB51_9 Depth=2
	s_wait_alu 0xfffe
	s_or_b32 exec_lo, exec_lo, s11
	s_wait_loadcnt 0x0
	ds_store_b64 v31, v[26:27]
	s_wait_dscnt 0x0
	s_barrier_signal -1
	s_barrier_wait -1
	global_inv scope:SCOPE_SE
	ds_load_b128 v[24:27], v33
	ds_load_2addr_b64 v[34:37], v32 offset1:16
	ds_load_b128 v[38:41], v33 offset:1024
	ds_load_b128 v[42:45], v33 offset:16
	;; [unrolled: 1-line block ×3, first 2 shown]
	v_add_co_u32 v16, vcc_lo, v16, 64
	s_wait_alu 0xfffd
	v_add_co_ci_u32_e64 v17, null, 0, v17, vcc_lo
	v_add_co_u32 v18, vcc_lo, v18, 64
	s_wait_alu 0xfffd
	v_add_co_ci_u32_e64 v19, null, 0, v19, vcc_lo
	s_add_co_i32 s10, s10, 8
	s_wait_alu 0xfffe
	s_cmp_lt_i32 s10, s21
	s_wait_dscnt 0x3
	v_fma_f64 v[22:23], v[34:35], v[24:25], v[22:23]
	v_fma_f64 v[20:21], v[36:37], v[24:25], v[20:21]
	s_wait_dscnt 0x2
	v_fma_f64 v[24:25], v[34:35], v[38:39], v[14:15]
	v_fma_f64 v[34:35], v[36:37], v[38:39], v[12:13]
	ds_load_2addr_b64 v[12:15], v32 offset0:32 offset1:48
	s_wait_dscnt 0x0
	v_fma_f64 v[22:23], v[12:13], v[26:27], v[22:23]
	v_fma_f64 v[20:21], v[14:15], v[26:27], v[20:21]
	v_fma_f64 v[24:25], v[12:13], v[40:41], v[24:25]
	v_fma_f64 v[26:27], v[14:15], v[40:41], v[34:35]
	ds_load_2addr_b64 v[12:15], v32 offset0:64 offset1:80
	s_wait_dscnt 0x0
	v_fma_f64 v[22:23], v[12:13], v[42:43], v[22:23]
	v_fma_f64 v[20:21], v[14:15], v[42:43], v[20:21]
	v_fma_f64 v[24:25], v[12:13], v[46:47], v[24:25]
	v_fma_f64 v[26:27], v[14:15], v[46:47], v[26:27]
	ds_load_2addr_b64 v[12:15], v32 offset0:96 offset1:112
	s_wait_dscnt 0x0
	v_fma_f64 v[42:43], v[12:13], v[44:45], v[22:23]
	v_fma_f64 v[44:45], v[14:15], v[44:45], v[20:21]
	v_fma_f64 v[46:47], v[12:13], v[48:49], v[24:25]
	v_fma_f64 v[48:49], v[14:15], v[48:49], v[26:27]
	ds_load_b128 v[12:15], v33 offset:32
	ds_load_2addr_b64 v[20:23], v32 offset0:128 offset1:144
	ds_load_b128 v[24:27], v33 offset:1056
	ds_load_b128 v[34:37], v33 offset:48
	;; [unrolled: 1-line block ×3, first 2 shown]
	s_wait_dscnt 0x3
	v_fma_f64 v[42:43], v[20:21], v[12:13], v[42:43]
	v_fma_f64 v[12:13], v[22:23], v[12:13], v[44:45]
	s_wait_dscnt 0x2
	v_fma_f64 v[44:45], v[20:21], v[24:25], v[46:47]
	v_fma_f64 v[24:25], v[22:23], v[24:25], v[48:49]
	ds_load_2addr_b64 v[20:23], v32 offset0:160 offset1:176
	s_wait_dscnt 0x0
	v_fma_f64 v[42:43], v[20:21], v[14:15], v[42:43]
	v_fma_f64 v[46:47], v[22:23], v[14:15], v[12:13]
	;; [unrolled: 1-line block ×4, first 2 shown]
	ds_load_2addr_b64 v[12:15], v32 offset0:192 offset1:208
	ds_load_2addr_b64 v[24:27], v32 offset0:224 offset1:240
	s_wait_loadcnt_dscnt 0x0
	s_barrier_signal -1
	s_barrier_wait -1
	global_inv scope:SCOPE_SE
	v_fma_f64 v[42:43], v[12:13], v[34:35], v[42:43]
	v_fma_f64 v[34:35], v[14:15], v[34:35], v[46:47]
	;; [unrolled: 1-line block ×4, first 2 shown]
	s_delay_alu instid0(VALU_DEP_4) | instskip(NEXT) | instid1(VALU_DEP_4)
	v_fma_f64 v[22:23], v[24:25], v[36:37], v[42:43]
	v_fma_f64 v[20:21], v[26:27], v[36:37], v[34:35]
	s_delay_alu instid0(VALU_DEP_4) | instskip(NEXT) | instid1(VALU_DEP_4)
	v_fma_f64 v[14:15], v[24:25], v[40:41], v[12:13]
	v_fma_f64 v[12:13], v[26:27], v[40:41], v[38:39]
	s_cbranch_scc0 .LBB51_13
.LBB51_9:                               ;   Parent Loop BB51_6 Depth=1
                                        ; =>  This Inner Loop Header: Depth=2
	s_wait_alu 0xfffe
	v_add_nc_u32_e32 v24, s10, v29
	s_delay_alu instid0(VALU_DEP_1) | instskip(SKIP_3) | instid1(SALU_CYCLE_1)
	v_cmp_gt_i32_e32 vcc_lo, s21, v24
	v_mov_b32_e32 v24, 0
	v_mov_b32_e32 v25, 0
	s_and_b32 s12, s0, vcc_lo
	s_and_saveexec_b32 s11, s12
	s_cbranch_execz .LBB51_11
; %bb.10:                               ;   in Loop: Header=BB51_9 Depth=2
	global_load_b64 v[24:25], v[16:17], off
.LBB51_11:                              ;   in Loop: Header=BB51_9 Depth=2
	s_wait_alu 0xfffe
	s_or_b32 exec_lo, exec_lo, s11
	v_add_nc_u32_e32 v26, s10, v28
	s_wait_loadcnt 0x0
	ds_store_b64 v30, v[24:25]
	v_cmp_gt_i32_e32 vcc_lo, s21, v26
	v_mov_b32_e32 v26, 0
	v_mov_b32_e32 v27, 0
	s_and_b32 s12, vcc_lo, s1
	s_delay_alu instid0(SALU_CYCLE_1)
	s_and_saveexec_b32 s11, s12
	s_cbranch_execz .LBB51_8
; %bb.12:                               ;   in Loop: Header=BB51_9 Depth=2
	global_load_b64 v[26:27], v[18:19], off
	s_branch .LBB51_8
.LBB51_13:                              ;   in Loop: Header=BB51_6 Depth=1
	s_mul_u64 s[10:11], s[24:25], s[22:23]
	s_wait_alu 0xfffe
	s_lshl_b64 s[10:11], s[10:11], 3
	s_wait_alu 0xfffe
	s_add_nc_u64 s[10:11], s[16:17], s[10:11]
	s_wait_alu 0xfffe
	v_add_co_u32 v18, vcc_lo, s10, v6
	s_wait_alu 0xfffd
	v_add_co_ci_u32_e64 v19, null, s11, v7, vcc_lo
	s_and_saveexec_b32 s12, s27
	s_cbranch_execz .LBB51_17
; %bb.14:                               ;   in Loop: Header=BB51_6 Depth=1
	v_mul_f64_e32 v[16:17], s[8:9], v[22:23]
	s_and_b32 vcc_lo, exec_lo, s26
	s_wait_alu 0xfffe
	s_cbranch_vccz .LBB51_28
; %bb.15:                               ;   in Loop: Header=BB51_6 Depth=1
	v_add_co_u32 v22, vcc_lo, v18, v10
	s_wait_alu 0xfffd
	v_add_co_ci_u32_e64 v23, null, v19, v11, vcc_lo
	global_load_b64 v[24:25], v[22:23], off
	s_wait_loadcnt 0x0
	v_fma_f64 v[24:25], s[6:7], v[24:25], v[16:17]
	global_store_b64 v[22:23], v[24:25], off
	s_cbranch_execnz .LBB51_17
.LBB51_16:                              ;   in Loop: Header=BB51_6 Depth=1
	v_add_co_u32 v22, vcc_lo, v18, v10
	s_wait_alu 0xfffd
	v_add_co_ci_u32_e64 v23, null, v19, v11, vcc_lo
	global_store_b64 v[22:23], v[16:17], off
.LBB51_17:                              ;   in Loop: Header=BB51_6 Depth=1
	s_or_b32 exec_lo, exec_lo, s12
	s_and_saveexec_b32 s12, s20
	s_cbranch_execz .LBB51_21
; %bb.18:                               ;   in Loop: Header=BB51_6 Depth=1
	v_mul_f64_e32 v[16:17], s[8:9], v[20:21]
	s_and_not1_b32 vcc_lo, exec_lo, s26
	s_wait_alu 0xfffe
	s_cbranch_vccnz .LBB51_29
; %bb.19:                               ;   in Loop: Header=BB51_6 Depth=1
	v_lshlrev_b64_e32 v[20:21], 3, v[0:1]
	s_delay_alu instid0(VALU_DEP_1) | instskip(SKIP_1) | instid1(VALU_DEP_2)
	v_add_co_u32 v20, vcc_lo, v18, v20
	s_wait_alu 0xfffd
	v_add_co_ci_u32_e64 v21, null, v19, v21, vcc_lo
	global_load_b64 v[22:23], v[20:21], off
	s_wait_loadcnt 0x0
	v_fma_f64 v[22:23], s[6:7], v[22:23], v[16:17]
	global_store_b64 v[20:21], v[22:23], off
	s_cbranch_execnz .LBB51_21
.LBB51_20:                              ;   in Loop: Header=BB51_6 Depth=1
	v_lshlrev_b64_e32 v[20:21], 3, v[0:1]
	s_delay_alu instid0(VALU_DEP_1) | instskip(SKIP_1) | instid1(VALU_DEP_2)
	v_add_co_u32 v18, vcc_lo, v18, v20
	s_wait_alu 0xfffd
	v_add_co_ci_u32_e64 v19, null, v19, v21, vcc_lo
	global_store_b64 v[18:19], v[16:17], off
.LBB51_21:                              ;   in Loop: Header=BB51_6 Depth=1
	s_or_b32 exec_lo, exec_lo, s12
	v_add_co_u32 v16, vcc_lo, s10, v8
	s_wait_alu 0xfffd
	v_add_co_ci_u32_e64 v17, null, s11, v9, vcc_lo
	s_and_saveexec_b32 s10, s18
	s_cbranch_execz .LBB51_25
; %bb.22:                               ;   in Loop: Header=BB51_6 Depth=1
	v_mul_f64_e32 v[14:15], s[8:9], v[14:15]
	s_and_not1_b32 vcc_lo, exec_lo, s26
	s_wait_alu 0xfffe
	s_cbranch_vccnz .LBB51_30
; %bb.23:                               ;   in Loop: Header=BB51_6 Depth=1
	v_add_co_u32 v18, vcc_lo, v16, v10
	s_wait_alu 0xfffd
	v_add_co_ci_u32_e64 v19, null, v17, v11, vcc_lo
	global_load_b64 v[20:21], v[18:19], off
	s_wait_loadcnt 0x0
	v_fma_f64 v[20:21], s[6:7], v[20:21], v[14:15]
	global_store_b64 v[18:19], v[20:21], off
	s_cbranch_execnz .LBB51_25
.LBB51_24:                              ;   in Loop: Header=BB51_6 Depth=1
	v_add_co_u32 v18, vcc_lo, v16, v10
	s_wait_alu 0xfffd
	v_add_co_ci_u32_e64 v19, null, v17, v11, vcc_lo
	global_store_b64 v[18:19], v[14:15], off
.LBB51_25:                              ;   in Loop: Header=BB51_6 Depth=1
	s_wait_alu 0xfffe
	s_or_b32 exec_lo, exec_lo, s10
	s_and_saveexec_b32 s10, s15
	s_cbranch_execz .LBB51_5
; %bb.26:                               ;   in Loop: Header=BB51_6 Depth=1
	v_mul_f64_e32 v[12:13], s[8:9], v[12:13]
	v_lshlrev_b64_e32 v[14:15], 3, v[0:1]
	s_and_not1_b32 vcc_lo, exec_lo, s26
	s_wait_alu 0xfffe
	s_cbranch_vccnz .LBB51_31
; %bb.27:                               ;   in Loop: Header=BB51_6 Depth=1
	s_delay_alu instid0(VALU_DEP_1)
	v_add_co_u32 v18, vcc_lo, v16, v14
	s_wait_alu 0xfffd
	v_add_co_ci_u32_e64 v19, null, v17, v15, vcc_lo
	global_load_b64 v[20:21], v[18:19], off
	s_wait_loadcnt 0x0
	v_fma_f64 v[20:21], s[6:7], v[20:21], v[12:13]
	global_store_b64 v[18:19], v[20:21], off
	s_cbranch_execnz .LBB51_5
	s_branch .LBB51_32
.LBB51_28:                              ;   in Loop: Header=BB51_6 Depth=1
	s_branch .LBB51_16
.LBB51_29:                              ;   in Loop: Header=BB51_6 Depth=1
	s_branch .LBB51_20
.LBB51_30:                              ;   in Loop: Header=BB51_6 Depth=1
	s_branch .LBB51_24
.LBB51_31:                              ;   in Loop: Header=BB51_6 Depth=1
.LBB51_32:                              ;   in Loop: Header=BB51_6 Depth=1
	s_delay_alu instid0(VALU_DEP_1)
	v_add_co_u32 v14, vcc_lo, v16, v14
	s_wait_alu 0xfffd
	v_add_co_ci_u32_e64 v15, null, v17, v15, vcc_lo
	global_store_b64 v[14:15], v[12:13], off
	s_branch .LBB51_5
.LBB51_33:
	s_endpgm
	.section	.rodata,"a",@progbits
	.p2align	6, 0x0
	.amdhsa_kernel _ZL29rocblas_internal_gemmt_kernelIiLi16ELi32ELi8ELc67ELc78ELc76ELb0ELb0EdPKdS1_PdEviT_T9_T10_S3_lS5_S3_lS4_T11_S3_li
		.amdhsa_group_segment_fixed_size 4096
		.amdhsa_private_segment_fixed_size 0
		.amdhsa_kernarg_size 100
		.amdhsa_user_sgpr_count 2
		.amdhsa_user_sgpr_dispatch_ptr 0
		.amdhsa_user_sgpr_queue_ptr 0
		.amdhsa_user_sgpr_kernarg_segment_ptr 1
		.amdhsa_user_sgpr_dispatch_id 0
		.amdhsa_user_sgpr_private_segment_size 0
		.amdhsa_wavefront_size32 1
		.amdhsa_uses_dynamic_stack 0
		.amdhsa_enable_private_segment 0
		.amdhsa_system_sgpr_workgroup_id_x 1
		.amdhsa_system_sgpr_workgroup_id_y 1
		.amdhsa_system_sgpr_workgroup_id_z 1
		.amdhsa_system_sgpr_workgroup_info 0
		.amdhsa_system_vgpr_workitem_id 1
		.amdhsa_next_free_vgpr 50
		.amdhsa_next_free_sgpr 32
		.amdhsa_reserve_vcc 1
		.amdhsa_float_round_mode_32 0
		.amdhsa_float_round_mode_16_64 0
		.amdhsa_float_denorm_mode_32 3
		.amdhsa_float_denorm_mode_16_64 3
		.amdhsa_fp16_overflow 0
		.amdhsa_workgroup_processor_mode 1
		.amdhsa_memory_ordered 1
		.amdhsa_forward_progress 1
		.amdhsa_inst_pref_size 16
		.amdhsa_round_robin_scheduling 0
		.amdhsa_exception_fp_ieee_invalid_op 0
		.amdhsa_exception_fp_denorm_src 0
		.amdhsa_exception_fp_ieee_div_zero 0
		.amdhsa_exception_fp_ieee_overflow 0
		.amdhsa_exception_fp_ieee_underflow 0
		.amdhsa_exception_fp_ieee_inexact 0
		.amdhsa_exception_int_div_zero 0
	.end_amdhsa_kernel
	.section	.text._ZL29rocblas_internal_gemmt_kernelIiLi16ELi32ELi8ELc67ELc78ELc76ELb0ELb0EdPKdS1_PdEviT_T9_T10_S3_lS5_S3_lS4_T11_S3_li,"axG",@progbits,_ZL29rocblas_internal_gemmt_kernelIiLi16ELi32ELi8ELc67ELc78ELc76ELb0ELb0EdPKdS1_PdEviT_T9_T10_S3_lS5_S3_lS4_T11_S3_li,comdat
.Lfunc_end51:
	.size	_ZL29rocblas_internal_gemmt_kernelIiLi16ELi32ELi8ELc67ELc78ELc76ELb0ELb0EdPKdS1_PdEviT_T9_T10_S3_lS5_S3_lS4_T11_S3_li, .Lfunc_end51-_ZL29rocblas_internal_gemmt_kernelIiLi16ELi32ELi8ELc67ELc78ELc76ELb0ELb0EdPKdS1_PdEviT_T9_T10_S3_lS5_S3_lS4_T11_S3_li
                                        ; -- End function
	.set _ZL29rocblas_internal_gemmt_kernelIiLi16ELi32ELi8ELc67ELc78ELc76ELb0ELb0EdPKdS1_PdEviT_T9_T10_S3_lS5_S3_lS4_T11_S3_li.num_vgpr, 50
	.set _ZL29rocblas_internal_gemmt_kernelIiLi16ELi32ELi8ELc67ELc78ELc76ELb0ELb0EdPKdS1_PdEviT_T9_T10_S3_lS5_S3_lS4_T11_S3_li.num_agpr, 0
	.set _ZL29rocblas_internal_gemmt_kernelIiLi16ELi32ELi8ELc67ELc78ELc76ELb0ELb0EdPKdS1_PdEviT_T9_T10_S3_lS5_S3_lS4_T11_S3_li.numbered_sgpr, 32
	.set _ZL29rocblas_internal_gemmt_kernelIiLi16ELi32ELi8ELc67ELc78ELc76ELb0ELb0EdPKdS1_PdEviT_T9_T10_S3_lS5_S3_lS4_T11_S3_li.num_named_barrier, 0
	.set _ZL29rocblas_internal_gemmt_kernelIiLi16ELi32ELi8ELc67ELc78ELc76ELb0ELb0EdPKdS1_PdEviT_T9_T10_S3_lS5_S3_lS4_T11_S3_li.private_seg_size, 0
	.set _ZL29rocblas_internal_gemmt_kernelIiLi16ELi32ELi8ELc67ELc78ELc76ELb0ELb0EdPKdS1_PdEviT_T9_T10_S3_lS5_S3_lS4_T11_S3_li.uses_vcc, 1
	.set _ZL29rocblas_internal_gemmt_kernelIiLi16ELi32ELi8ELc67ELc78ELc76ELb0ELb0EdPKdS1_PdEviT_T9_T10_S3_lS5_S3_lS4_T11_S3_li.uses_flat_scratch, 0
	.set _ZL29rocblas_internal_gemmt_kernelIiLi16ELi32ELi8ELc67ELc78ELc76ELb0ELb0EdPKdS1_PdEviT_T9_T10_S3_lS5_S3_lS4_T11_S3_li.has_dyn_sized_stack, 0
	.set _ZL29rocblas_internal_gemmt_kernelIiLi16ELi32ELi8ELc67ELc78ELc76ELb0ELb0EdPKdS1_PdEviT_T9_T10_S3_lS5_S3_lS4_T11_S3_li.has_recursion, 0
	.set _ZL29rocblas_internal_gemmt_kernelIiLi16ELi32ELi8ELc67ELc78ELc76ELb0ELb0EdPKdS1_PdEviT_T9_T10_S3_lS5_S3_lS4_T11_S3_li.has_indirect_call, 0
	.section	.AMDGPU.csdata,"",@progbits
; Kernel info:
; codeLenInByte = 1988
; TotalNumSgprs: 34
; NumVgprs: 50
; ScratchSize: 0
; MemoryBound: 0
; FloatMode: 240
; IeeeMode: 1
; LDSByteSize: 4096 bytes/workgroup (compile time only)
; SGPRBlocks: 0
; VGPRBlocks: 6
; NumSGPRsForWavesPerEU: 34
; NumVGPRsForWavesPerEU: 50
; Occupancy: 16
; WaveLimiterHint : 0
; COMPUTE_PGM_RSRC2:SCRATCH_EN: 0
; COMPUTE_PGM_RSRC2:USER_SGPR: 2
; COMPUTE_PGM_RSRC2:TRAP_HANDLER: 0
; COMPUTE_PGM_RSRC2:TGID_X_EN: 1
; COMPUTE_PGM_RSRC2:TGID_Y_EN: 1
; COMPUTE_PGM_RSRC2:TGID_Z_EN: 1
; COMPUTE_PGM_RSRC2:TIDIG_COMP_CNT: 1
	.section	.text._ZL29rocblas_internal_gemmt_kernelIiLi16ELi32ELi8ELc67ELc84ELc76ELb0ELb0EdPKdS1_PdEviT_T9_T10_S3_lS5_S3_lS4_T11_S3_li,"axG",@progbits,_ZL29rocblas_internal_gemmt_kernelIiLi16ELi32ELi8ELc67ELc84ELc76ELb0ELb0EdPKdS1_PdEviT_T9_T10_S3_lS5_S3_lS4_T11_S3_li,comdat
	.globl	_ZL29rocblas_internal_gemmt_kernelIiLi16ELi32ELi8ELc67ELc84ELc76ELb0ELb0EdPKdS1_PdEviT_T9_T10_S3_lS5_S3_lS4_T11_S3_li ; -- Begin function _ZL29rocblas_internal_gemmt_kernelIiLi16ELi32ELi8ELc67ELc84ELc76ELb0ELb0EdPKdS1_PdEviT_T9_T10_S3_lS5_S3_lS4_T11_S3_li
	.p2align	8
	.type	_ZL29rocblas_internal_gemmt_kernelIiLi16ELi32ELi8ELc67ELc84ELc76ELb0ELb0EdPKdS1_PdEviT_T9_T10_S3_lS5_S3_lS4_T11_S3_li,@function
_ZL29rocblas_internal_gemmt_kernelIiLi16ELi32ELi8ELc67ELc84ELc76ELb0ELb0EdPKdS1_PdEviT_T9_T10_S3_lS5_S3_lS4_T11_S3_li: ; @_ZL29rocblas_internal_gemmt_kernelIiLi16ELi32ELi8ELc67ELc84ELc76ELb0ELb0EdPKdS1_PdEviT_T9_T10_S3_lS5_S3_lS4_T11_S3_li
; %bb.0:
	s_load_b128 s[8:11], s[0:1], 0x38
	s_wait_kmcnt 0x0
	s_load_b64 s[10:11], s[10:11], 0x0
	s_clause 0x1
	s_load_b128 s[4:7], s[0:1], 0x8
	s_load_b64 s[20:21], s[0:1], 0x0
	s_wait_kmcnt 0x0
	s_load_b64 s[22:23], s[4:5], 0x0
	v_cmp_neq_f64_e64 s2, s[10:11], 1.0
	s_and_b32 vcc_lo, exec_lo, s2
	s_cbranch_vccnz .LBB52_2
; %bb.1:
	s_wait_kmcnt 0x0
	v_cmp_neq_f64_e64 s2, s[22:23], 0
	s_cmp_lg_u32 s21, 0
	s_cselect_b32 s3, -1, 0
	s_delay_alu instid0(SALU_CYCLE_1)
	s_and_b32 s2, s3, s2
.LBB52_2:
	s_delay_alu instid0(SALU_CYCLE_1)
	s_and_not1_b32 vcc_lo, exec_lo, s2
	s_cbranch_vccnz .LBB52_33
; %bb.3:
	s_load_b32 s19, s[0:1], 0x60
	s_lshr_b32 s24, ttmp7, 16
	s_wait_kmcnt 0x0
	s_cmp_ge_u32 s24, s19
	s_cbranch_scc1 .LBB52_33
; %bb.4:
	v_and_b32_e32 v1, 0x3ff, v0
	v_bfe_u32 v2, v0, 10, 10
	v_and_b32_e32 v28, 7, v0
	s_clause 0x4
	s_load_b32 s5, s[0:1], 0x18
	s_load_b128 s[12:15], s[0:1], 0x20
	s_load_b96 s[16:18], s[0:1], 0x48
	s_load_b64 s[26:27], s[0:1], 0x58
	s_load_b32 s28, s[0:1], 0x30
	v_lshl_add_u32 v0, v2, 4, v1
	v_lshlrev_b32_e32 v4, 3, v28
	s_lshl_b32 s0, ttmp7, 5
	s_lshl_b32 s1, ttmp9, 5
	v_cmp_neq_f64_e64 s34, s[22:23], 0
	v_and_b32_e32 v3, 31, v0
	v_lshrrev_b32_e32 v29, 5, v0
	v_lshrrev_b32_e32 v0, 3, v0
	s_and_b32 s2, s0, 0x1fffe0
	v_add_nc_u32_e32 v10, s1, v1
	v_or_b32_e32 v5, s1, v3
	v_lshlrev_b32_e32 v3, 3, v3
	v_add_nc_u32_e32 v12, s2, v0
	v_lshl_or_b32 v0, v0, 6, v4
	v_cmp_neq_f64_e64 s30, s[10:11], 0
	v_lshl_add_u32 v33, v2, 6, 0x800
	v_lshl_or_b32 v30, v29, 8, v3
	v_add_nc_u32_e32 v3, s2, v2
	v_add_nc_u32_e32 v31, 0x800, v0
	;; [unrolled: 1-line block ×3, first 2 shown]
	v_cmp_gt_i32_e64 s0, s20, v5
	v_cmp_gt_i32_e64 s2, s20, v10
	v_cmp_le_i32_e32 vcc_lo, v3, v10
	s_wait_kmcnt 0x0
	v_mad_co_i64_i32 v[6:7], null, v3, s18, 0
	v_cmp_le_i32_e64 s3, v3, v0
	v_add_nc_u32_e32 v8, 16, v3
	v_mad_co_i64_i32 v[2:3], null, s5, v5, 0
	v_mad_co_i64_i32 v[4:5], null, s28, v28, 0
	s_ashr_i32 s29, s28, 31
	s_cmp_gt_i32 s21, 0
	v_cmp_gt_i32_e64 s1, s20, v12
	s_cselect_b32 s35, -1, 0
	v_lshlrev_b64_e32 v[2:3], 3, v[2:3]
	v_cmp_gt_i32_e64 s4, s20, v0
	s_and_b32 s20, vcc_lo, s2
	v_cmp_le_i32_e32 vcc_lo, v8, v10
	v_lshlrev_b32_e32 v13, 3, v29
	v_lshlrev_b64_e32 v[4:5], 3, v[4:5]
	v_lshlrev_b32_e32 v12, 3, v12
	s_and_b32 s31, s3, s4
	v_cmp_le_i32_e64 s3, v8, v0
	v_mad_co_i64_i32 v[8:9], null, v8, s18, 0
	s_and_b32 s18, vcc_lo, s2
	v_add_co_u32 v2, vcc_lo, v2, v13
	s_delay_alu instid0(VALU_DEP_1)
	v_add_co_ci_u32_e64 v3, null, 0, v3, vcc_lo
	v_add_co_u32 v4, vcc_lo, v4, v12
	v_ashrrev_i32_e32 v11, 31, v10
	s_wait_alu 0xfffd
	v_add_co_ci_u32_e64 v5, null, 0, v5, vcc_lo
	v_add_co_u32 v2, vcc_lo, s6, v2
	s_wait_alu 0xfffd
	v_add_co_ci_u32_e64 v3, null, s7, v3, vcc_lo
	v_add_co_u32 v4, vcc_lo, s14, v4
	v_lshlrev_b64_e32 v[6:7], 3, v[6:7]
	v_lshlrev_b64_e32 v[8:9], 3, v[8:9]
	;; [unrolled: 1-line block ×3, first 2 shown]
	v_lshlrev_b32_e32 v32, 3, v1
	v_ashrrev_i32_e32 v1, 31, v0
	s_wait_alu 0xfffd
	v_add_co_ci_u32_e64 v5, null, s15, v5, vcc_lo
	s_mov_b32 s25, 0
	s_and_b32 s33, s3, s4
	s_and_b32 s14, s34, s35
	s_lshl_b64 s[2:3], s[12:13], 3
	s_lshl_b64 s[4:5], s[8:9], 3
	s_wait_alu 0xfffe
	s_lshl_b64 s[6:7], s[28:29], 6
	s_branch .LBB52_6
.LBB52_5:                               ;   in Loop: Header=BB52_6 Depth=1
	s_wait_alu 0xfffe
	s_or_b32 exec_lo, exec_lo, s8
	s_add_co_i32 s24, s24, 0x10000
	s_wait_alu 0xfffe
	s_cmp_lt_u32 s24, s19
	s_cbranch_scc0 .LBB52_33
.LBB52_6:                               ; =>This Loop Header: Depth=1
                                        ;     Child Loop BB52_9 Depth 2
	v_mov_b32_e32 v22, 0
	v_dual_mov_b32 v14, 0 :: v_dual_mov_b32 v23, 0
	v_dual_mov_b32 v20, 0 :: v_dual_mov_b32 v15, 0
	;; [unrolled: 1-line block ×3, first 2 shown]
	v_mov_b32_e32 v13, 0
	s_and_not1_b32 vcc_lo, exec_lo, s14
	s_wait_alu 0xfffe
	s_cbranch_vccnz .LBB52_13
; %bb.7:                                ;   in Loop: Header=BB52_6 Depth=1
	v_mad_co_u64_u32 v[16:17], null, s2, s24, v[2:3]
	v_mad_co_u64_u32 v[18:19], null, s4, s24, v[4:5]
	s_mov_b32 s8, 0
	v_mov_b32_e32 v22, 0
	v_dual_mov_b32 v23, 0 :: v_dual_mov_b32 v12, v17
	v_mov_b32_e32 v13, v19
	s_delay_alu instid0(VALU_DEP_1)
	v_mad_co_u64_u32 v[19:20], null, s3, s24, v[12:13]
	v_mad_co_u64_u32 v[24:25], null, s5, s24, v[13:14]
	v_mov_b32_e32 v12, 0
	v_dual_mov_b32 v20, 0 :: v_dual_mov_b32 v13, 0
	v_dual_mov_b32 v14, 0 :: v_dual_mov_b32 v21, 0
	v_mov_b32_e32 v15, 0
	v_mov_b32_e32 v17, v19
	;; [unrolled: 1-line block ×3, first 2 shown]
	s_branch .LBB52_9
.LBB52_8:                               ;   in Loop: Header=BB52_9 Depth=2
	s_wait_alu 0xfffe
	s_or_b32 exec_lo, exec_lo, s9
	s_wait_loadcnt 0x0
	ds_store_b64 v31, v[26:27]
	s_wait_dscnt 0x0
	s_barrier_signal -1
	s_barrier_wait -1
	global_inv scope:SCOPE_SE
	ds_load_b128 v[24:27], v33
	ds_load_2addr_b64 v[34:37], v32 offset1:16
	ds_load_b128 v[38:41], v33 offset:1024
	ds_load_b128 v[42:45], v33 offset:16
	ds_load_b128 v[46:49], v33 offset:1040
	v_add_co_u32 v16, vcc_lo, v16, 64
	s_wait_alu 0xfffd
	v_add_co_ci_u32_e64 v17, null, 0, v17, vcc_lo
	v_add_co_u32 v18, vcc_lo, v18, s6
	s_wait_alu 0xfffd
	v_add_co_ci_u32_e64 v19, null, s7, v19, vcc_lo
	s_add_co_i32 s8, s8, 8
	s_wait_alu 0xfffe
	s_cmp_lt_i32 s8, s21
	s_wait_dscnt 0x3
	v_fma_f64 v[22:23], v[34:35], v[24:25], v[22:23]
	v_fma_f64 v[20:21], v[36:37], v[24:25], v[20:21]
	s_wait_dscnt 0x2
	v_fma_f64 v[24:25], v[34:35], v[38:39], v[14:15]
	v_fma_f64 v[34:35], v[36:37], v[38:39], v[12:13]
	ds_load_2addr_b64 v[12:15], v32 offset0:32 offset1:48
	s_wait_dscnt 0x0
	v_fma_f64 v[22:23], v[12:13], v[26:27], v[22:23]
	v_fma_f64 v[20:21], v[14:15], v[26:27], v[20:21]
	v_fma_f64 v[24:25], v[12:13], v[40:41], v[24:25]
	v_fma_f64 v[26:27], v[14:15], v[40:41], v[34:35]
	ds_load_2addr_b64 v[12:15], v32 offset0:64 offset1:80
	s_wait_dscnt 0x0
	v_fma_f64 v[22:23], v[12:13], v[42:43], v[22:23]
	v_fma_f64 v[20:21], v[14:15], v[42:43], v[20:21]
	;; [unrolled: 6-line block ×3, first 2 shown]
	v_fma_f64 v[46:47], v[12:13], v[48:49], v[24:25]
	v_fma_f64 v[48:49], v[14:15], v[48:49], v[26:27]
	ds_load_b128 v[12:15], v33 offset:32
	ds_load_2addr_b64 v[20:23], v32 offset0:128 offset1:144
	ds_load_b128 v[24:27], v33 offset:1056
	ds_load_b128 v[34:37], v33 offset:48
	;; [unrolled: 1-line block ×3, first 2 shown]
	s_wait_dscnt 0x3
	v_fma_f64 v[42:43], v[20:21], v[12:13], v[42:43]
	v_fma_f64 v[12:13], v[22:23], v[12:13], v[44:45]
	s_wait_dscnt 0x2
	v_fma_f64 v[44:45], v[20:21], v[24:25], v[46:47]
	v_fma_f64 v[24:25], v[22:23], v[24:25], v[48:49]
	ds_load_2addr_b64 v[20:23], v32 offset0:160 offset1:176
	s_wait_dscnt 0x0
	v_fma_f64 v[42:43], v[20:21], v[14:15], v[42:43]
	v_fma_f64 v[46:47], v[22:23], v[14:15], v[12:13]
	v_fma_f64 v[20:21], v[20:21], v[26:27], v[44:45]
	v_fma_f64 v[22:23], v[22:23], v[26:27], v[24:25]
	ds_load_2addr_b64 v[12:15], v32 offset0:192 offset1:208
	ds_load_2addr_b64 v[24:27], v32 offset0:224 offset1:240
	s_wait_loadcnt_dscnt 0x0
	s_barrier_signal -1
	s_barrier_wait -1
	global_inv scope:SCOPE_SE
	v_fma_f64 v[42:43], v[12:13], v[34:35], v[42:43]
	v_fma_f64 v[34:35], v[14:15], v[34:35], v[46:47]
	;; [unrolled: 1-line block ×4, first 2 shown]
	s_delay_alu instid0(VALU_DEP_4) | instskip(NEXT) | instid1(VALU_DEP_4)
	v_fma_f64 v[22:23], v[24:25], v[36:37], v[42:43]
	v_fma_f64 v[20:21], v[26:27], v[36:37], v[34:35]
	s_delay_alu instid0(VALU_DEP_4) | instskip(NEXT) | instid1(VALU_DEP_4)
	v_fma_f64 v[14:15], v[24:25], v[40:41], v[12:13]
	v_fma_f64 v[12:13], v[26:27], v[40:41], v[38:39]
	s_cbranch_scc0 .LBB52_13
.LBB52_9:                               ;   Parent Loop BB52_6 Depth=1
                                        ; =>  This Inner Loop Header: Depth=2
	s_wait_alu 0xfffe
	v_add_nc_u32_e32 v24, s8, v29
	s_delay_alu instid0(VALU_DEP_1) | instskip(SKIP_3) | instid1(SALU_CYCLE_1)
	v_cmp_gt_i32_e32 vcc_lo, s21, v24
	v_mov_b32_e32 v24, 0
	v_mov_b32_e32 v25, 0
	s_and_b32 s12, s0, vcc_lo
	s_and_saveexec_b32 s9, s12
	s_cbranch_execz .LBB52_11
; %bb.10:                               ;   in Loop: Header=BB52_9 Depth=2
	global_load_b64 v[24:25], v[16:17], off
.LBB52_11:                              ;   in Loop: Header=BB52_9 Depth=2
	s_wait_alu 0xfffe
	s_or_b32 exec_lo, exec_lo, s9
	v_add_nc_u32_e32 v26, s8, v28
	s_wait_loadcnt 0x0
	ds_store_b64 v30, v[24:25]
	v_cmp_gt_i32_e32 vcc_lo, s21, v26
	v_mov_b32_e32 v26, 0
	v_mov_b32_e32 v27, 0
	s_and_b32 s12, vcc_lo, s1
	s_delay_alu instid0(SALU_CYCLE_1)
	s_and_saveexec_b32 s9, s12
	s_cbranch_execz .LBB52_8
; %bb.12:                               ;   in Loop: Header=BB52_9 Depth=2
	global_load_b64 v[26:27], v[18:19], off
	s_branch .LBB52_8
.LBB52_13:                              ;   in Loop: Header=BB52_6 Depth=1
	s_mul_u64 s[8:9], s[26:27], s[24:25]
	s_wait_alu 0xfffe
	s_lshl_b64 s[8:9], s[8:9], 3
	s_wait_alu 0xfffe
	s_add_nc_u64 s[8:9], s[16:17], s[8:9]
	s_wait_alu 0xfffe
	v_add_co_u32 v18, vcc_lo, s8, v6
	s_wait_alu 0xfffd
	v_add_co_ci_u32_e64 v19, null, s9, v7, vcc_lo
	s_and_saveexec_b32 s12, s20
	s_cbranch_execz .LBB52_17
; %bb.14:                               ;   in Loop: Header=BB52_6 Depth=1
	v_mul_f64_e32 v[16:17], s[22:23], v[22:23]
	s_and_b32 vcc_lo, exec_lo, s30
	s_wait_alu 0xfffe
	s_cbranch_vccz .LBB52_28
; %bb.15:                               ;   in Loop: Header=BB52_6 Depth=1
	v_add_co_u32 v22, vcc_lo, v18, v10
	s_wait_alu 0xfffd
	v_add_co_ci_u32_e64 v23, null, v19, v11, vcc_lo
	global_load_b64 v[24:25], v[22:23], off
	s_wait_loadcnt 0x0
	v_fma_f64 v[24:25], s[10:11], v[24:25], v[16:17]
	global_store_b64 v[22:23], v[24:25], off
	s_cbranch_execnz .LBB52_17
.LBB52_16:                              ;   in Loop: Header=BB52_6 Depth=1
	v_add_co_u32 v22, vcc_lo, v18, v10
	s_wait_alu 0xfffd
	v_add_co_ci_u32_e64 v23, null, v19, v11, vcc_lo
	global_store_b64 v[22:23], v[16:17], off
.LBB52_17:                              ;   in Loop: Header=BB52_6 Depth=1
	s_or_b32 exec_lo, exec_lo, s12
	s_and_saveexec_b32 s12, s31
	s_cbranch_execz .LBB52_21
; %bb.18:                               ;   in Loop: Header=BB52_6 Depth=1
	v_mul_f64_e32 v[16:17], s[22:23], v[20:21]
	s_and_not1_b32 vcc_lo, exec_lo, s30
	s_wait_alu 0xfffe
	s_cbranch_vccnz .LBB52_29
; %bb.19:                               ;   in Loop: Header=BB52_6 Depth=1
	v_lshlrev_b64_e32 v[20:21], 3, v[0:1]
	s_delay_alu instid0(VALU_DEP_1) | instskip(SKIP_1) | instid1(VALU_DEP_2)
	v_add_co_u32 v20, vcc_lo, v18, v20
	s_wait_alu 0xfffd
	v_add_co_ci_u32_e64 v21, null, v19, v21, vcc_lo
	global_load_b64 v[22:23], v[20:21], off
	s_wait_loadcnt 0x0
	v_fma_f64 v[22:23], s[10:11], v[22:23], v[16:17]
	global_store_b64 v[20:21], v[22:23], off
	s_cbranch_execnz .LBB52_21
.LBB52_20:                              ;   in Loop: Header=BB52_6 Depth=1
	v_lshlrev_b64_e32 v[20:21], 3, v[0:1]
	s_delay_alu instid0(VALU_DEP_1) | instskip(SKIP_1) | instid1(VALU_DEP_2)
	v_add_co_u32 v18, vcc_lo, v18, v20
	s_wait_alu 0xfffd
	v_add_co_ci_u32_e64 v19, null, v19, v21, vcc_lo
	global_store_b64 v[18:19], v[16:17], off
.LBB52_21:                              ;   in Loop: Header=BB52_6 Depth=1
	s_or_b32 exec_lo, exec_lo, s12
	v_add_co_u32 v16, vcc_lo, s8, v8
	s_wait_alu 0xfffd
	v_add_co_ci_u32_e64 v17, null, s9, v9, vcc_lo
	s_and_saveexec_b32 s8, s18
	s_cbranch_execz .LBB52_25
; %bb.22:                               ;   in Loop: Header=BB52_6 Depth=1
	v_mul_f64_e32 v[14:15], s[22:23], v[14:15]
	s_and_not1_b32 vcc_lo, exec_lo, s30
	s_wait_alu 0xfffe
	s_cbranch_vccnz .LBB52_30
; %bb.23:                               ;   in Loop: Header=BB52_6 Depth=1
	v_add_co_u32 v18, vcc_lo, v16, v10
	s_wait_alu 0xfffd
	v_add_co_ci_u32_e64 v19, null, v17, v11, vcc_lo
	global_load_b64 v[20:21], v[18:19], off
	s_wait_loadcnt 0x0
	v_fma_f64 v[20:21], s[10:11], v[20:21], v[14:15]
	global_store_b64 v[18:19], v[20:21], off
	s_cbranch_execnz .LBB52_25
.LBB52_24:                              ;   in Loop: Header=BB52_6 Depth=1
	v_add_co_u32 v18, vcc_lo, v16, v10
	s_wait_alu 0xfffd
	v_add_co_ci_u32_e64 v19, null, v17, v11, vcc_lo
	global_store_b64 v[18:19], v[14:15], off
.LBB52_25:                              ;   in Loop: Header=BB52_6 Depth=1
	s_wait_alu 0xfffe
	s_or_b32 exec_lo, exec_lo, s8
	s_and_saveexec_b32 s8, s33
	s_cbranch_execz .LBB52_5
; %bb.26:                               ;   in Loop: Header=BB52_6 Depth=1
	v_mul_f64_e32 v[12:13], s[22:23], v[12:13]
	v_lshlrev_b64_e32 v[14:15], 3, v[0:1]
	s_and_not1_b32 vcc_lo, exec_lo, s30
	s_wait_alu 0xfffe
	s_cbranch_vccnz .LBB52_31
; %bb.27:                               ;   in Loop: Header=BB52_6 Depth=1
	s_delay_alu instid0(VALU_DEP_1)
	v_add_co_u32 v18, vcc_lo, v16, v14
	s_wait_alu 0xfffd
	v_add_co_ci_u32_e64 v19, null, v17, v15, vcc_lo
	global_load_b64 v[20:21], v[18:19], off
	s_wait_loadcnt 0x0
	v_fma_f64 v[20:21], s[10:11], v[20:21], v[12:13]
	global_store_b64 v[18:19], v[20:21], off
	s_cbranch_execnz .LBB52_5
	s_branch .LBB52_32
.LBB52_28:                              ;   in Loop: Header=BB52_6 Depth=1
	s_branch .LBB52_16
.LBB52_29:                              ;   in Loop: Header=BB52_6 Depth=1
	s_branch .LBB52_20
.LBB52_30:                              ;   in Loop: Header=BB52_6 Depth=1
	s_branch .LBB52_24
.LBB52_31:                              ;   in Loop: Header=BB52_6 Depth=1
.LBB52_32:                              ;   in Loop: Header=BB52_6 Depth=1
	s_delay_alu instid0(VALU_DEP_1)
	v_add_co_u32 v14, vcc_lo, v16, v14
	s_wait_alu 0xfffd
	v_add_co_ci_u32_e64 v15, null, v17, v15, vcc_lo
	global_store_b64 v[14:15], v[12:13], off
	s_branch .LBB52_5
.LBB52_33:
	s_endpgm
	.section	.rodata,"a",@progbits
	.p2align	6, 0x0
	.amdhsa_kernel _ZL29rocblas_internal_gemmt_kernelIiLi16ELi32ELi8ELc67ELc84ELc76ELb0ELb0EdPKdS1_PdEviT_T9_T10_S3_lS5_S3_lS4_T11_S3_li
		.amdhsa_group_segment_fixed_size 4096
		.amdhsa_private_segment_fixed_size 0
		.amdhsa_kernarg_size 100
		.amdhsa_user_sgpr_count 2
		.amdhsa_user_sgpr_dispatch_ptr 0
		.amdhsa_user_sgpr_queue_ptr 0
		.amdhsa_user_sgpr_kernarg_segment_ptr 1
		.amdhsa_user_sgpr_dispatch_id 0
		.amdhsa_user_sgpr_private_segment_size 0
		.amdhsa_wavefront_size32 1
		.amdhsa_uses_dynamic_stack 0
		.amdhsa_enable_private_segment 0
		.amdhsa_system_sgpr_workgroup_id_x 1
		.amdhsa_system_sgpr_workgroup_id_y 1
		.amdhsa_system_sgpr_workgroup_id_z 1
		.amdhsa_system_sgpr_workgroup_info 0
		.amdhsa_system_vgpr_workitem_id 1
		.amdhsa_next_free_vgpr 50
		.amdhsa_next_free_sgpr 36
		.amdhsa_reserve_vcc 1
		.amdhsa_float_round_mode_32 0
		.amdhsa_float_round_mode_16_64 0
		.amdhsa_float_denorm_mode_32 3
		.amdhsa_float_denorm_mode_16_64 3
		.amdhsa_fp16_overflow 0
		.amdhsa_workgroup_processor_mode 1
		.amdhsa_memory_ordered 1
		.amdhsa_forward_progress 1
		.amdhsa_inst_pref_size 16
		.amdhsa_round_robin_scheduling 0
		.amdhsa_exception_fp_ieee_invalid_op 0
		.amdhsa_exception_fp_denorm_src 0
		.amdhsa_exception_fp_ieee_div_zero 0
		.amdhsa_exception_fp_ieee_overflow 0
		.amdhsa_exception_fp_ieee_underflow 0
		.amdhsa_exception_fp_ieee_inexact 0
		.amdhsa_exception_int_div_zero 0
	.end_amdhsa_kernel
	.section	.text._ZL29rocblas_internal_gemmt_kernelIiLi16ELi32ELi8ELc67ELc84ELc76ELb0ELb0EdPKdS1_PdEviT_T9_T10_S3_lS5_S3_lS4_T11_S3_li,"axG",@progbits,_ZL29rocblas_internal_gemmt_kernelIiLi16ELi32ELi8ELc67ELc84ELc76ELb0ELb0EdPKdS1_PdEviT_T9_T10_S3_lS5_S3_lS4_T11_S3_li,comdat
.Lfunc_end52:
	.size	_ZL29rocblas_internal_gemmt_kernelIiLi16ELi32ELi8ELc67ELc84ELc76ELb0ELb0EdPKdS1_PdEviT_T9_T10_S3_lS5_S3_lS4_T11_S3_li, .Lfunc_end52-_ZL29rocblas_internal_gemmt_kernelIiLi16ELi32ELi8ELc67ELc84ELc76ELb0ELb0EdPKdS1_PdEviT_T9_T10_S3_lS5_S3_lS4_T11_S3_li
                                        ; -- End function
	.set _ZL29rocblas_internal_gemmt_kernelIiLi16ELi32ELi8ELc67ELc84ELc76ELb0ELb0EdPKdS1_PdEviT_T9_T10_S3_lS5_S3_lS4_T11_S3_li.num_vgpr, 50
	.set _ZL29rocblas_internal_gemmt_kernelIiLi16ELi32ELi8ELc67ELc84ELc76ELb0ELb0EdPKdS1_PdEviT_T9_T10_S3_lS5_S3_lS4_T11_S3_li.num_agpr, 0
	.set _ZL29rocblas_internal_gemmt_kernelIiLi16ELi32ELi8ELc67ELc84ELc76ELb0ELb0EdPKdS1_PdEviT_T9_T10_S3_lS5_S3_lS4_T11_S3_li.numbered_sgpr, 36
	.set _ZL29rocblas_internal_gemmt_kernelIiLi16ELi32ELi8ELc67ELc84ELc76ELb0ELb0EdPKdS1_PdEviT_T9_T10_S3_lS5_S3_lS4_T11_S3_li.num_named_barrier, 0
	.set _ZL29rocblas_internal_gemmt_kernelIiLi16ELi32ELi8ELc67ELc84ELc76ELb0ELb0EdPKdS1_PdEviT_T9_T10_S3_lS5_S3_lS4_T11_S3_li.private_seg_size, 0
	.set _ZL29rocblas_internal_gemmt_kernelIiLi16ELi32ELi8ELc67ELc84ELc76ELb0ELb0EdPKdS1_PdEviT_T9_T10_S3_lS5_S3_lS4_T11_S3_li.uses_vcc, 1
	.set _ZL29rocblas_internal_gemmt_kernelIiLi16ELi32ELi8ELc67ELc84ELc76ELb0ELb0EdPKdS1_PdEviT_T9_T10_S3_lS5_S3_lS4_T11_S3_li.uses_flat_scratch, 0
	.set _ZL29rocblas_internal_gemmt_kernelIiLi16ELi32ELi8ELc67ELc84ELc76ELb0ELb0EdPKdS1_PdEviT_T9_T10_S3_lS5_S3_lS4_T11_S3_li.has_dyn_sized_stack, 0
	.set _ZL29rocblas_internal_gemmt_kernelIiLi16ELi32ELi8ELc67ELc84ELc76ELb0ELb0EdPKdS1_PdEviT_T9_T10_S3_lS5_S3_lS4_T11_S3_li.has_recursion, 0
	.set _ZL29rocblas_internal_gemmt_kernelIiLi16ELi32ELi8ELc67ELc84ELc76ELb0ELb0EdPKdS1_PdEviT_T9_T10_S3_lS5_S3_lS4_T11_S3_li.has_indirect_call, 0
	.section	.AMDGPU.csdata,"",@progbits
; Kernel info:
; codeLenInByte = 2008
; TotalNumSgprs: 38
; NumVgprs: 50
; ScratchSize: 0
; MemoryBound: 0
; FloatMode: 240
; IeeeMode: 1
; LDSByteSize: 4096 bytes/workgroup (compile time only)
; SGPRBlocks: 0
; VGPRBlocks: 6
; NumSGPRsForWavesPerEU: 38
; NumVGPRsForWavesPerEU: 50
; Occupancy: 16
; WaveLimiterHint : 0
; COMPUTE_PGM_RSRC2:SCRATCH_EN: 0
; COMPUTE_PGM_RSRC2:USER_SGPR: 2
; COMPUTE_PGM_RSRC2:TRAP_HANDLER: 0
; COMPUTE_PGM_RSRC2:TGID_X_EN: 1
; COMPUTE_PGM_RSRC2:TGID_Y_EN: 1
; COMPUTE_PGM_RSRC2:TGID_Z_EN: 1
; COMPUTE_PGM_RSRC2:TIDIG_COMP_CNT: 1
	.section	.text._ZL29rocblas_internal_gemmt_kernelIiLi16ELi32ELi8ELc67ELc67ELc76ELb0ELb0EdPKdS1_PdEviT_T9_T10_S3_lS5_S3_lS4_T11_S3_li,"axG",@progbits,_ZL29rocblas_internal_gemmt_kernelIiLi16ELi32ELi8ELc67ELc67ELc76ELb0ELb0EdPKdS1_PdEviT_T9_T10_S3_lS5_S3_lS4_T11_S3_li,comdat
	.globl	_ZL29rocblas_internal_gemmt_kernelIiLi16ELi32ELi8ELc67ELc67ELc76ELb0ELb0EdPKdS1_PdEviT_T9_T10_S3_lS5_S3_lS4_T11_S3_li ; -- Begin function _ZL29rocblas_internal_gemmt_kernelIiLi16ELi32ELi8ELc67ELc67ELc76ELb0ELb0EdPKdS1_PdEviT_T9_T10_S3_lS5_S3_lS4_T11_S3_li
	.p2align	8
	.type	_ZL29rocblas_internal_gemmt_kernelIiLi16ELi32ELi8ELc67ELc67ELc76ELb0ELb0EdPKdS1_PdEviT_T9_T10_S3_lS5_S3_lS4_T11_S3_li,@function
_ZL29rocblas_internal_gemmt_kernelIiLi16ELi32ELi8ELc67ELc67ELc76ELb0ELb0EdPKdS1_PdEviT_T9_T10_S3_lS5_S3_lS4_T11_S3_li: ; @_ZL29rocblas_internal_gemmt_kernelIiLi16ELi32ELi8ELc67ELc67ELc76ELb0ELb0EdPKdS1_PdEviT_T9_T10_S3_lS5_S3_lS4_T11_S3_li
; %bb.0:
	s_load_b128 s[8:11], s[0:1], 0x38
	s_wait_kmcnt 0x0
	s_load_b64 s[10:11], s[10:11], 0x0
	s_clause 0x1
	s_load_b128 s[4:7], s[0:1], 0x8
	s_load_b64 s[20:21], s[0:1], 0x0
	s_wait_kmcnt 0x0
	s_load_b64 s[22:23], s[4:5], 0x0
	v_cmp_neq_f64_e64 s2, s[10:11], 1.0
	s_and_b32 vcc_lo, exec_lo, s2
	s_cbranch_vccnz .LBB53_2
; %bb.1:
	s_wait_kmcnt 0x0
	v_cmp_neq_f64_e64 s2, s[22:23], 0
	s_cmp_lg_u32 s21, 0
	s_cselect_b32 s3, -1, 0
	s_delay_alu instid0(SALU_CYCLE_1)
	s_and_b32 s2, s3, s2
.LBB53_2:
	s_delay_alu instid0(SALU_CYCLE_1)
	s_and_not1_b32 vcc_lo, exec_lo, s2
	s_cbranch_vccnz .LBB53_33
; %bb.3:
	s_load_b32 s19, s[0:1], 0x60
	s_lshr_b32 s24, ttmp7, 16
	s_wait_kmcnt 0x0
	s_cmp_ge_u32 s24, s19
	s_cbranch_scc1 .LBB53_33
; %bb.4:
	v_and_b32_e32 v1, 0x3ff, v0
	v_bfe_u32 v2, v0, 10, 10
	v_and_b32_e32 v28, 7, v0
	s_clause 0x4
	s_load_b32 s5, s[0:1], 0x18
	s_load_b128 s[12:15], s[0:1], 0x20
	s_load_b96 s[16:18], s[0:1], 0x48
	s_load_b64 s[26:27], s[0:1], 0x58
	s_load_b32 s28, s[0:1], 0x30
	v_lshl_add_u32 v0, v2, 4, v1
	v_lshlrev_b32_e32 v4, 3, v28
	s_lshl_b32 s0, ttmp7, 5
	s_lshl_b32 s1, ttmp9, 5
	v_cmp_neq_f64_e64 s34, s[22:23], 0
	v_and_b32_e32 v3, 31, v0
	v_lshrrev_b32_e32 v29, 5, v0
	v_lshrrev_b32_e32 v0, 3, v0
	s_and_b32 s2, s0, 0x1fffe0
	v_add_nc_u32_e32 v10, s1, v1
	v_or_b32_e32 v5, s1, v3
	v_lshlrev_b32_e32 v3, 3, v3
	v_add_nc_u32_e32 v12, s2, v0
	v_lshl_or_b32 v0, v0, 6, v4
	v_cmp_neq_f64_e64 s30, s[10:11], 0
	v_lshl_add_u32 v33, v2, 6, 0x800
	v_lshl_or_b32 v30, v29, 8, v3
	v_add_nc_u32_e32 v3, s2, v2
	v_add_nc_u32_e32 v31, 0x800, v0
	;; [unrolled: 1-line block ×3, first 2 shown]
	v_cmp_gt_i32_e64 s0, s20, v5
	v_cmp_gt_i32_e64 s2, s20, v10
	v_cmp_le_i32_e32 vcc_lo, v3, v10
	s_wait_kmcnt 0x0
	v_mad_co_i64_i32 v[6:7], null, v3, s18, 0
	v_cmp_le_i32_e64 s3, v3, v0
	v_add_nc_u32_e32 v8, 16, v3
	v_mad_co_i64_i32 v[2:3], null, s5, v5, 0
	v_mad_co_i64_i32 v[4:5], null, s28, v28, 0
	s_ashr_i32 s29, s28, 31
	s_cmp_gt_i32 s21, 0
	v_cmp_gt_i32_e64 s1, s20, v12
	s_cselect_b32 s35, -1, 0
	v_lshlrev_b64_e32 v[2:3], 3, v[2:3]
	v_cmp_gt_i32_e64 s4, s20, v0
	s_and_b32 s20, vcc_lo, s2
	v_cmp_le_i32_e32 vcc_lo, v8, v10
	v_lshlrev_b32_e32 v13, 3, v29
	v_lshlrev_b64_e32 v[4:5], 3, v[4:5]
	v_lshlrev_b32_e32 v12, 3, v12
	s_and_b32 s31, s3, s4
	v_cmp_le_i32_e64 s3, v8, v0
	v_mad_co_i64_i32 v[8:9], null, v8, s18, 0
	s_and_b32 s18, vcc_lo, s2
	v_add_co_u32 v2, vcc_lo, v2, v13
	s_delay_alu instid0(VALU_DEP_1)
	v_add_co_ci_u32_e64 v3, null, 0, v3, vcc_lo
	v_add_co_u32 v4, vcc_lo, v4, v12
	v_ashrrev_i32_e32 v11, 31, v10
	s_wait_alu 0xfffd
	v_add_co_ci_u32_e64 v5, null, 0, v5, vcc_lo
	v_add_co_u32 v2, vcc_lo, s6, v2
	s_wait_alu 0xfffd
	v_add_co_ci_u32_e64 v3, null, s7, v3, vcc_lo
	v_add_co_u32 v4, vcc_lo, s14, v4
	v_lshlrev_b64_e32 v[6:7], 3, v[6:7]
	v_lshlrev_b64_e32 v[8:9], 3, v[8:9]
	v_lshlrev_b64_e32 v[10:11], 3, v[10:11]
	v_lshlrev_b32_e32 v32, 3, v1
	v_ashrrev_i32_e32 v1, 31, v0
	s_wait_alu 0xfffd
	v_add_co_ci_u32_e64 v5, null, s15, v5, vcc_lo
	s_mov_b32 s25, 0
	s_and_b32 s33, s3, s4
	s_and_b32 s14, s34, s35
	s_lshl_b64 s[2:3], s[12:13], 3
	s_lshl_b64 s[4:5], s[8:9], 3
	s_wait_alu 0xfffe
	s_lshl_b64 s[6:7], s[28:29], 6
	s_branch .LBB53_6
.LBB53_5:                               ;   in Loop: Header=BB53_6 Depth=1
	s_wait_alu 0xfffe
	s_or_b32 exec_lo, exec_lo, s8
	s_add_co_i32 s24, s24, 0x10000
	s_wait_alu 0xfffe
	s_cmp_lt_u32 s24, s19
	s_cbranch_scc0 .LBB53_33
.LBB53_6:                               ; =>This Loop Header: Depth=1
                                        ;     Child Loop BB53_9 Depth 2
	v_mov_b32_e32 v22, 0
	v_dual_mov_b32 v14, 0 :: v_dual_mov_b32 v23, 0
	v_dual_mov_b32 v20, 0 :: v_dual_mov_b32 v15, 0
	;; [unrolled: 1-line block ×3, first 2 shown]
	v_mov_b32_e32 v13, 0
	s_and_not1_b32 vcc_lo, exec_lo, s14
	s_wait_alu 0xfffe
	s_cbranch_vccnz .LBB53_13
; %bb.7:                                ;   in Loop: Header=BB53_6 Depth=1
	v_mad_co_u64_u32 v[16:17], null, s2, s24, v[2:3]
	v_mad_co_u64_u32 v[18:19], null, s4, s24, v[4:5]
	s_mov_b32 s8, 0
	v_mov_b32_e32 v22, 0
	v_dual_mov_b32 v23, 0 :: v_dual_mov_b32 v12, v17
	v_mov_b32_e32 v13, v19
	s_delay_alu instid0(VALU_DEP_1)
	v_mad_co_u64_u32 v[19:20], null, s3, s24, v[12:13]
	v_mad_co_u64_u32 v[24:25], null, s5, s24, v[13:14]
	v_mov_b32_e32 v12, 0
	v_dual_mov_b32 v20, 0 :: v_dual_mov_b32 v13, 0
	v_dual_mov_b32 v14, 0 :: v_dual_mov_b32 v21, 0
	v_mov_b32_e32 v15, 0
	v_mov_b32_e32 v17, v19
	v_mov_b32_e32 v19, v24
	s_branch .LBB53_9
.LBB53_8:                               ;   in Loop: Header=BB53_9 Depth=2
	s_wait_alu 0xfffe
	s_or_b32 exec_lo, exec_lo, s9
	s_wait_loadcnt 0x0
	ds_store_b64 v31, v[26:27]
	s_wait_dscnt 0x0
	s_barrier_signal -1
	s_barrier_wait -1
	global_inv scope:SCOPE_SE
	ds_load_b128 v[24:27], v33
	ds_load_2addr_b64 v[34:37], v32 offset1:16
	ds_load_b128 v[38:41], v33 offset:1024
	ds_load_b128 v[42:45], v33 offset:16
	;; [unrolled: 1-line block ×3, first 2 shown]
	v_add_co_u32 v16, vcc_lo, v16, 64
	s_wait_alu 0xfffd
	v_add_co_ci_u32_e64 v17, null, 0, v17, vcc_lo
	v_add_co_u32 v18, vcc_lo, v18, s6
	s_wait_alu 0xfffd
	v_add_co_ci_u32_e64 v19, null, s7, v19, vcc_lo
	s_add_co_i32 s8, s8, 8
	s_wait_alu 0xfffe
	s_cmp_lt_i32 s8, s21
	s_wait_dscnt 0x3
	v_fma_f64 v[22:23], v[34:35], v[24:25], v[22:23]
	v_fma_f64 v[20:21], v[36:37], v[24:25], v[20:21]
	s_wait_dscnt 0x2
	v_fma_f64 v[24:25], v[34:35], v[38:39], v[14:15]
	v_fma_f64 v[34:35], v[36:37], v[38:39], v[12:13]
	ds_load_2addr_b64 v[12:15], v32 offset0:32 offset1:48
	s_wait_dscnt 0x0
	v_fma_f64 v[22:23], v[12:13], v[26:27], v[22:23]
	v_fma_f64 v[20:21], v[14:15], v[26:27], v[20:21]
	v_fma_f64 v[24:25], v[12:13], v[40:41], v[24:25]
	v_fma_f64 v[26:27], v[14:15], v[40:41], v[34:35]
	ds_load_2addr_b64 v[12:15], v32 offset0:64 offset1:80
	s_wait_dscnt 0x0
	v_fma_f64 v[22:23], v[12:13], v[42:43], v[22:23]
	v_fma_f64 v[20:21], v[14:15], v[42:43], v[20:21]
	;; [unrolled: 6-line block ×3, first 2 shown]
	v_fma_f64 v[46:47], v[12:13], v[48:49], v[24:25]
	v_fma_f64 v[48:49], v[14:15], v[48:49], v[26:27]
	ds_load_b128 v[12:15], v33 offset:32
	ds_load_2addr_b64 v[20:23], v32 offset0:128 offset1:144
	ds_load_b128 v[24:27], v33 offset:1056
	ds_load_b128 v[34:37], v33 offset:48
	ds_load_b128 v[38:41], v33 offset:1072
	s_wait_dscnt 0x3
	v_fma_f64 v[42:43], v[20:21], v[12:13], v[42:43]
	v_fma_f64 v[12:13], v[22:23], v[12:13], v[44:45]
	s_wait_dscnt 0x2
	v_fma_f64 v[44:45], v[20:21], v[24:25], v[46:47]
	v_fma_f64 v[24:25], v[22:23], v[24:25], v[48:49]
	ds_load_2addr_b64 v[20:23], v32 offset0:160 offset1:176
	s_wait_dscnt 0x0
	v_fma_f64 v[42:43], v[20:21], v[14:15], v[42:43]
	v_fma_f64 v[46:47], v[22:23], v[14:15], v[12:13]
	;; [unrolled: 1-line block ×4, first 2 shown]
	ds_load_2addr_b64 v[12:15], v32 offset0:192 offset1:208
	ds_load_2addr_b64 v[24:27], v32 offset0:224 offset1:240
	s_wait_loadcnt_dscnt 0x0
	s_barrier_signal -1
	s_barrier_wait -1
	global_inv scope:SCOPE_SE
	v_fma_f64 v[42:43], v[12:13], v[34:35], v[42:43]
	v_fma_f64 v[34:35], v[14:15], v[34:35], v[46:47]
	;; [unrolled: 1-line block ×4, first 2 shown]
	s_delay_alu instid0(VALU_DEP_4) | instskip(NEXT) | instid1(VALU_DEP_4)
	v_fma_f64 v[22:23], v[24:25], v[36:37], v[42:43]
	v_fma_f64 v[20:21], v[26:27], v[36:37], v[34:35]
	s_delay_alu instid0(VALU_DEP_4) | instskip(NEXT) | instid1(VALU_DEP_4)
	v_fma_f64 v[14:15], v[24:25], v[40:41], v[12:13]
	v_fma_f64 v[12:13], v[26:27], v[40:41], v[38:39]
	s_cbranch_scc0 .LBB53_13
.LBB53_9:                               ;   Parent Loop BB53_6 Depth=1
                                        ; =>  This Inner Loop Header: Depth=2
	s_wait_alu 0xfffe
	v_add_nc_u32_e32 v24, s8, v29
	s_delay_alu instid0(VALU_DEP_1) | instskip(SKIP_3) | instid1(SALU_CYCLE_1)
	v_cmp_gt_i32_e32 vcc_lo, s21, v24
	v_mov_b32_e32 v24, 0
	v_mov_b32_e32 v25, 0
	s_and_b32 s12, s0, vcc_lo
	s_and_saveexec_b32 s9, s12
	s_cbranch_execz .LBB53_11
; %bb.10:                               ;   in Loop: Header=BB53_9 Depth=2
	global_load_b64 v[24:25], v[16:17], off
.LBB53_11:                              ;   in Loop: Header=BB53_9 Depth=2
	s_wait_alu 0xfffe
	s_or_b32 exec_lo, exec_lo, s9
	v_add_nc_u32_e32 v26, s8, v28
	s_wait_loadcnt 0x0
	ds_store_b64 v30, v[24:25]
	v_cmp_gt_i32_e32 vcc_lo, s21, v26
	v_mov_b32_e32 v26, 0
	v_mov_b32_e32 v27, 0
	s_and_b32 s12, vcc_lo, s1
	s_delay_alu instid0(SALU_CYCLE_1)
	s_and_saveexec_b32 s9, s12
	s_cbranch_execz .LBB53_8
; %bb.12:                               ;   in Loop: Header=BB53_9 Depth=2
	global_load_b64 v[26:27], v[18:19], off
	s_branch .LBB53_8
.LBB53_13:                              ;   in Loop: Header=BB53_6 Depth=1
	s_mul_u64 s[8:9], s[26:27], s[24:25]
	s_wait_alu 0xfffe
	s_lshl_b64 s[8:9], s[8:9], 3
	s_wait_alu 0xfffe
	s_add_nc_u64 s[8:9], s[16:17], s[8:9]
	s_wait_alu 0xfffe
	v_add_co_u32 v18, vcc_lo, s8, v6
	s_wait_alu 0xfffd
	v_add_co_ci_u32_e64 v19, null, s9, v7, vcc_lo
	s_and_saveexec_b32 s12, s20
	s_cbranch_execz .LBB53_17
; %bb.14:                               ;   in Loop: Header=BB53_6 Depth=1
	v_mul_f64_e32 v[16:17], s[22:23], v[22:23]
	s_and_b32 vcc_lo, exec_lo, s30
	s_wait_alu 0xfffe
	s_cbranch_vccz .LBB53_28
; %bb.15:                               ;   in Loop: Header=BB53_6 Depth=1
	v_add_co_u32 v22, vcc_lo, v18, v10
	s_wait_alu 0xfffd
	v_add_co_ci_u32_e64 v23, null, v19, v11, vcc_lo
	global_load_b64 v[24:25], v[22:23], off
	s_wait_loadcnt 0x0
	v_fma_f64 v[24:25], s[10:11], v[24:25], v[16:17]
	global_store_b64 v[22:23], v[24:25], off
	s_cbranch_execnz .LBB53_17
.LBB53_16:                              ;   in Loop: Header=BB53_6 Depth=1
	v_add_co_u32 v22, vcc_lo, v18, v10
	s_wait_alu 0xfffd
	v_add_co_ci_u32_e64 v23, null, v19, v11, vcc_lo
	global_store_b64 v[22:23], v[16:17], off
.LBB53_17:                              ;   in Loop: Header=BB53_6 Depth=1
	s_or_b32 exec_lo, exec_lo, s12
	s_and_saveexec_b32 s12, s31
	s_cbranch_execz .LBB53_21
; %bb.18:                               ;   in Loop: Header=BB53_6 Depth=1
	v_mul_f64_e32 v[16:17], s[22:23], v[20:21]
	s_and_not1_b32 vcc_lo, exec_lo, s30
	s_wait_alu 0xfffe
	s_cbranch_vccnz .LBB53_29
; %bb.19:                               ;   in Loop: Header=BB53_6 Depth=1
	v_lshlrev_b64_e32 v[20:21], 3, v[0:1]
	s_delay_alu instid0(VALU_DEP_1) | instskip(SKIP_1) | instid1(VALU_DEP_2)
	v_add_co_u32 v20, vcc_lo, v18, v20
	s_wait_alu 0xfffd
	v_add_co_ci_u32_e64 v21, null, v19, v21, vcc_lo
	global_load_b64 v[22:23], v[20:21], off
	s_wait_loadcnt 0x0
	v_fma_f64 v[22:23], s[10:11], v[22:23], v[16:17]
	global_store_b64 v[20:21], v[22:23], off
	s_cbranch_execnz .LBB53_21
.LBB53_20:                              ;   in Loop: Header=BB53_6 Depth=1
	v_lshlrev_b64_e32 v[20:21], 3, v[0:1]
	s_delay_alu instid0(VALU_DEP_1) | instskip(SKIP_1) | instid1(VALU_DEP_2)
	v_add_co_u32 v18, vcc_lo, v18, v20
	s_wait_alu 0xfffd
	v_add_co_ci_u32_e64 v19, null, v19, v21, vcc_lo
	global_store_b64 v[18:19], v[16:17], off
.LBB53_21:                              ;   in Loop: Header=BB53_6 Depth=1
	s_or_b32 exec_lo, exec_lo, s12
	v_add_co_u32 v16, vcc_lo, s8, v8
	s_wait_alu 0xfffd
	v_add_co_ci_u32_e64 v17, null, s9, v9, vcc_lo
	s_and_saveexec_b32 s8, s18
	s_cbranch_execz .LBB53_25
; %bb.22:                               ;   in Loop: Header=BB53_6 Depth=1
	v_mul_f64_e32 v[14:15], s[22:23], v[14:15]
	s_and_not1_b32 vcc_lo, exec_lo, s30
	s_wait_alu 0xfffe
	s_cbranch_vccnz .LBB53_30
; %bb.23:                               ;   in Loop: Header=BB53_6 Depth=1
	v_add_co_u32 v18, vcc_lo, v16, v10
	s_wait_alu 0xfffd
	v_add_co_ci_u32_e64 v19, null, v17, v11, vcc_lo
	global_load_b64 v[20:21], v[18:19], off
	s_wait_loadcnt 0x0
	v_fma_f64 v[20:21], s[10:11], v[20:21], v[14:15]
	global_store_b64 v[18:19], v[20:21], off
	s_cbranch_execnz .LBB53_25
.LBB53_24:                              ;   in Loop: Header=BB53_6 Depth=1
	v_add_co_u32 v18, vcc_lo, v16, v10
	s_wait_alu 0xfffd
	v_add_co_ci_u32_e64 v19, null, v17, v11, vcc_lo
	global_store_b64 v[18:19], v[14:15], off
.LBB53_25:                              ;   in Loop: Header=BB53_6 Depth=1
	s_wait_alu 0xfffe
	s_or_b32 exec_lo, exec_lo, s8
	s_and_saveexec_b32 s8, s33
	s_cbranch_execz .LBB53_5
; %bb.26:                               ;   in Loop: Header=BB53_6 Depth=1
	v_mul_f64_e32 v[12:13], s[22:23], v[12:13]
	v_lshlrev_b64_e32 v[14:15], 3, v[0:1]
	s_and_not1_b32 vcc_lo, exec_lo, s30
	s_wait_alu 0xfffe
	s_cbranch_vccnz .LBB53_31
; %bb.27:                               ;   in Loop: Header=BB53_6 Depth=1
	s_delay_alu instid0(VALU_DEP_1)
	v_add_co_u32 v18, vcc_lo, v16, v14
	s_wait_alu 0xfffd
	v_add_co_ci_u32_e64 v19, null, v17, v15, vcc_lo
	global_load_b64 v[20:21], v[18:19], off
	s_wait_loadcnt 0x0
	v_fma_f64 v[20:21], s[10:11], v[20:21], v[12:13]
	global_store_b64 v[18:19], v[20:21], off
	s_cbranch_execnz .LBB53_5
	s_branch .LBB53_32
.LBB53_28:                              ;   in Loop: Header=BB53_6 Depth=1
	s_branch .LBB53_16
.LBB53_29:                              ;   in Loop: Header=BB53_6 Depth=1
	s_branch .LBB53_20
.LBB53_30:                              ;   in Loop: Header=BB53_6 Depth=1
	s_branch .LBB53_24
.LBB53_31:                              ;   in Loop: Header=BB53_6 Depth=1
.LBB53_32:                              ;   in Loop: Header=BB53_6 Depth=1
	s_delay_alu instid0(VALU_DEP_1)
	v_add_co_u32 v14, vcc_lo, v16, v14
	s_wait_alu 0xfffd
	v_add_co_ci_u32_e64 v15, null, v17, v15, vcc_lo
	global_store_b64 v[14:15], v[12:13], off
	s_branch .LBB53_5
.LBB53_33:
	s_endpgm
	.section	.rodata,"a",@progbits
	.p2align	6, 0x0
	.amdhsa_kernel _ZL29rocblas_internal_gemmt_kernelIiLi16ELi32ELi8ELc67ELc67ELc76ELb0ELb0EdPKdS1_PdEviT_T9_T10_S3_lS5_S3_lS4_T11_S3_li
		.amdhsa_group_segment_fixed_size 4096
		.amdhsa_private_segment_fixed_size 0
		.amdhsa_kernarg_size 100
		.amdhsa_user_sgpr_count 2
		.amdhsa_user_sgpr_dispatch_ptr 0
		.amdhsa_user_sgpr_queue_ptr 0
		.amdhsa_user_sgpr_kernarg_segment_ptr 1
		.amdhsa_user_sgpr_dispatch_id 0
		.amdhsa_user_sgpr_private_segment_size 0
		.amdhsa_wavefront_size32 1
		.amdhsa_uses_dynamic_stack 0
		.amdhsa_enable_private_segment 0
		.amdhsa_system_sgpr_workgroup_id_x 1
		.amdhsa_system_sgpr_workgroup_id_y 1
		.amdhsa_system_sgpr_workgroup_id_z 1
		.amdhsa_system_sgpr_workgroup_info 0
		.amdhsa_system_vgpr_workitem_id 1
		.amdhsa_next_free_vgpr 50
		.amdhsa_next_free_sgpr 36
		.amdhsa_reserve_vcc 1
		.amdhsa_float_round_mode_32 0
		.amdhsa_float_round_mode_16_64 0
		.amdhsa_float_denorm_mode_32 3
		.amdhsa_float_denorm_mode_16_64 3
		.amdhsa_fp16_overflow 0
		.amdhsa_workgroup_processor_mode 1
		.amdhsa_memory_ordered 1
		.amdhsa_forward_progress 1
		.amdhsa_inst_pref_size 16
		.amdhsa_round_robin_scheduling 0
		.amdhsa_exception_fp_ieee_invalid_op 0
		.amdhsa_exception_fp_denorm_src 0
		.amdhsa_exception_fp_ieee_div_zero 0
		.amdhsa_exception_fp_ieee_overflow 0
		.amdhsa_exception_fp_ieee_underflow 0
		.amdhsa_exception_fp_ieee_inexact 0
		.amdhsa_exception_int_div_zero 0
	.end_amdhsa_kernel
	.section	.text._ZL29rocblas_internal_gemmt_kernelIiLi16ELi32ELi8ELc67ELc67ELc76ELb0ELb0EdPKdS1_PdEviT_T9_T10_S3_lS5_S3_lS4_T11_S3_li,"axG",@progbits,_ZL29rocblas_internal_gemmt_kernelIiLi16ELi32ELi8ELc67ELc67ELc76ELb0ELb0EdPKdS1_PdEviT_T9_T10_S3_lS5_S3_lS4_T11_S3_li,comdat
.Lfunc_end53:
	.size	_ZL29rocblas_internal_gemmt_kernelIiLi16ELi32ELi8ELc67ELc67ELc76ELb0ELb0EdPKdS1_PdEviT_T9_T10_S3_lS5_S3_lS4_T11_S3_li, .Lfunc_end53-_ZL29rocblas_internal_gemmt_kernelIiLi16ELi32ELi8ELc67ELc67ELc76ELb0ELb0EdPKdS1_PdEviT_T9_T10_S3_lS5_S3_lS4_T11_S3_li
                                        ; -- End function
	.set _ZL29rocblas_internal_gemmt_kernelIiLi16ELi32ELi8ELc67ELc67ELc76ELb0ELb0EdPKdS1_PdEviT_T9_T10_S3_lS5_S3_lS4_T11_S3_li.num_vgpr, 50
	.set _ZL29rocblas_internal_gemmt_kernelIiLi16ELi32ELi8ELc67ELc67ELc76ELb0ELb0EdPKdS1_PdEviT_T9_T10_S3_lS5_S3_lS4_T11_S3_li.num_agpr, 0
	.set _ZL29rocblas_internal_gemmt_kernelIiLi16ELi32ELi8ELc67ELc67ELc76ELb0ELb0EdPKdS1_PdEviT_T9_T10_S3_lS5_S3_lS4_T11_S3_li.numbered_sgpr, 36
	.set _ZL29rocblas_internal_gemmt_kernelIiLi16ELi32ELi8ELc67ELc67ELc76ELb0ELb0EdPKdS1_PdEviT_T9_T10_S3_lS5_S3_lS4_T11_S3_li.num_named_barrier, 0
	.set _ZL29rocblas_internal_gemmt_kernelIiLi16ELi32ELi8ELc67ELc67ELc76ELb0ELb0EdPKdS1_PdEviT_T9_T10_S3_lS5_S3_lS4_T11_S3_li.private_seg_size, 0
	.set _ZL29rocblas_internal_gemmt_kernelIiLi16ELi32ELi8ELc67ELc67ELc76ELb0ELb0EdPKdS1_PdEviT_T9_T10_S3_lS5_S3_lS4_T11_S3_li.uses_vcc, 1
	.set _ZL29rocblas_internal_gemmt_kernelIiLi16ELi32ELi8ELc67ELc67ELc76ELb0ELb0EdPKdS1_PdEviT_T9_T10_S3_lS5_S3_lS4_T11_S3_li.uses_flat_scratch, 0
	.set _ZL29rocblas_internal_gemmt_kernelIiLi16ELi32ELi8ELc67ELc67ELc76ELb0ELb0EdPKdS1_PdEviT_T9_T10_S3_lS5_S3_lS4_T11_S3_li.has_dyn_sized_stack, 0
	.set _ZL29rocblas_internal_gemmt_kernelIiLi16ELi32ELi8ELc67ELc67ELc76ELb0ELb0EdPKdS1_PdEviT_T9_T10_S3_lS5_S3_lS4_T11_S3_li.has_recursion, 0
	.set _ZL29rocblas_internal_gemmt_kernelIiLi16ELi32ELi8ELc67ELc67ELc76ELb0ELb0EdPKdS1_PdEviT_T9_T10_S3_lS5_S3_lS4_T11_S3_li.has_indirect_call, 0
	.section	.AMDGPU.csdata,"",@progbits
; Kernel info:
; codeLenInByte = 2008
; TotalNumSgprs: 38
; NumVgprs: 50
; ScratchSize: 0
; MemoryBound: 0
; FloatMode: 240
; IeeeMode: 1
; LDSByteSize: 4096 bytes/workgroup (compile time only)
; SGPRBlocks: 0
; VGPRBlocks: 6
; NumSGPRsForWavesPerEU: 38
; NumVGPRsForWavesPerEU: 50
; Occupancy: 16
; WaveLimiterHint : 0
; COMPUTE_PGM_RSRC2:SCRATCH_EN: 0
; COMPUTE_PGM_RSRC2:USER_SGPR: 2
; COMPUTE_PGM_RSRC2:TRAP_HANDLER: 0
; COMPUTE_PGM_RSRC2:TGID_X_EN: 1
; COMPUTE_PGM_RSRC2:TGID_Y_EN: 1
; COMPUTE_PGM_RSRC2:TGID_Z_EN: 1
; COMPUTE_PGM_RSRC2:TIDIG_COMP_CNT: 1
	.section	.text._ZL29rocblas_internal_gemmt_kernelIiLi16ELi32ELi8ELc78ELc78ELc85ELb0ELb0EddPKdPdEviT_T9_T10_S3_lS5_S3_lS4_T11_S3_li,"axG",@progbits,_ZL29rocblas_internal_gemmt_kernelIiLi16ELi32ELi8ELc78ELc78ELc85ELb0ELb0EddPKdPdEviT_T9_T10_S3_lS5_S3_lS4_T11_S3_li,comdat
	.globl	_ZL29rocblas_internal_gemmt_kernelIiLi16ELi32ELi8ELc78ELc78ELc85ELb0ELb0EddPKdPdEviT_T9_T10_S3_lS5_S3_lS4_T11_S3_li ; -- Begin function _ZL29rocblas_internal_gemmt_kernelIiLi16ELi32ELi8ELc78ELc78ELc85ELb0ELb0EddPKdPdEviT_T9_T10_S3_lS5_S3_lS4_T11_S3_li
	.p2align	8
	.type	_ZL29rocblas_internal_gemmt_kernelIiLi16ELi32ELi8ELc78ELc78ELc85ELb0ELb0EddPKdPdEviT_T9_T10_S3_lS5_S3_lS4_T11_S3_li,@function
_ZL29rocblas_internal_gemmt_kernelIiLi16ELi32ELi8ELc78ELc78ELc85ELb0ELb0EddPKdPdEviT_T9_T10_S3_lS5_S3_lS4_T11_S3_li: ; @_ZL29rocblas_internal_gemmt_kernelIiLi16ELi32ELi8ELc78ELc78ELc85ELb0ELb0EddPKdPdEviT_T9_T10_S3_lS5_S3_lS4_T11_S3_li
; %bb.0:
	s_clause 0x2
	s_load_b128 s[4:7], s[0:1], 0x38
	s_load_b64 s[20:21], s[0:1], 0x0
	s_load_b128 s[8:11], s[0:1], 0x8
	s_wait_kmcnt 0x0
	v_cmp_neq_f64_e64 s2, s[6:7], 1.0
	s_and_b32 vcc_lo, exec_lo, s2
	s_cbranch_vccnz .LBB54_2
; %bb.1:
	v_cmp_neq_f64_e64 s2, s[8:9], 0
	s_cmp_lg_u32 s21, 0
	s_cselect_b32 s3, -1, 0
	s_delay_alu instid0(SALU_CYCLE_1)
	s_and_b32 s2, s3, s2
.LBB54_2:
	s_delay_alu instid0(SALU_CYCLE_1)
	s_and_not1_b32 vcc_lo, exec_lo, s2
	s_cbranch_vccnz .LBB54_33
; %bb.3:
	s_load_b32 s19, s[0:1], 0x60
	s_lshr_b32 s22, ttmp7, 16
	s_wait_kmcnt 0x0
	s_cmp_ge_u32 s22, s19
	s_cbranch_scc1 .LBB54_33
; %bb.4:
	v_and_b32_e32 v1, 0x3ff, v0
	v_bfe_u32 v3, v0, 10, 10
	s_load_b32 s26, s[0:1], 0x18
	v_and_b32_e32 v28, 7, v0
	s_clause 0x3
	s_load_b128 s[12:15], s[0:1], 0x20
	s_load_b32 s31, s[0:1], 0x30
	s_load_b96 s[16:18], s[0:1], 0x48
	s_load_b64 s[24:25], s[0:1], 0x58
	s_lshl_b32 s0, ttmp7, 5
	v_lshl_add_u32 v0, v3, 4, v1
	s_lshl_b32 s1, ttmp9, 5
	v_lshlrev_b32_e32 v14, 3, v28
	v_cmp_neq_f64_e64 s33, s[8:9], 0
	s_and_b32 s2, s0, 0x1fffe0
	v_and_b32_e32 v2, 31, v0
	v_lshrrev_b32_e32 v29, 5, v0
	v_lshrrev_b32_e32 v0, 3, v0
	v_cmp_neq_f64_e64 s28, s[6:7], 0
	v_add_nc_u32_e32 v6, s2, v3
	v_or_b32_e32 v4, s1, v2
	v_lshlrev_b32_e32 v2, 3, v2
	v_add_nc_u32_e32 v10, s2, v0
	v_lshl_or_b32 v5, v0, 6, v14
	v_add_nc_u32_e32 v0, s1, v1
	v_cmp_gt_i32_e32 vcc_lo, s20, v6
	v_lshl_or_b32 v30, v29, 8, v2
	s_wait_kmcnt 0x0
	v_mad_co_i64_i32 v[8:9], null, v6, s18, 0
	v_add_nc_u32_e32 v2, 16, v0
	v_cmp_le_i32_e64 s2, v0, v6
	v_add_nc_u32_e32 v12, 16, v6
	v_cmp_gt_i32_e64 s1, s20, v10
	v_mad_co_i64_i32 v[10:11], null, s31, v10, 0
	v_cmp_le_i32_e64 s3, v2, v6
	v_mad_co_i64_i32 v[6:7], null, v29, s26, 0
	v_add_nc_u32_e32 v31, 0x800, v5
	v_ashrrev_i32_e32 v5, 31, v4
	s_ashr_i32 s27, s26, 31
	s_cmp_gt_i32 s21, 0
	v_cmp_gt_i32_e64 s0, s20, v4
	s_cselect_b32 s34, -1, 0
	v_lshlrev_b64_e32 v[6:7], 3, v[6:7]
	v_lshlrev_b64_e32 v[4:5], 3, v[4:5]
	s_and_b32 s29, vcc_lo, s2
	s_and_b32 s30, vcc_lo, s3
	v_cmp_gt_i32_e32 vcc_lo, s20, v12
	v_cmp_le_i32_e64 s2, v0, v12
	v_cmp_le_i32_e64 s3, v2, v12
	v_lshlrev_b64_e32 v[10:11], 3, v[10:11]
	v_mad_co_i64_i32 v[12:13], null, v12, s18, 0
	s_and_b32 s18, vcc_lo, s2
	s_and_b32 s20, vcc_lo, s3
	v_add_co_u32 v4, vcc_lo, v6, v4
	s_delay_alu instid0(VALU_DEP_1)
	v_add_co_ci_u32_e64 v5, null, v7, v5, vcc_lo
	v_add_co_u32 v6, vcc_lo, v10, v14
	s_wait_alu 0xfffd
	v_add_co_ci_u32_e64 v7, null, 0, v11, vcc_lo
	v_add_co_u32 v4, vcc_lo, s10, v4
	s_wait_alu 0xfffd
	v_add_co_ci_u32_e64 v5, null, s11, v5, vcc_lo
	v_add_co_u32 v6, vcc_lo, s14, v6
	v_lshlrev_b64_e32 v[8:9], 3, v[8:9]
	v_lshlrev_b64_e32 v[10:11], 3, v[12:13]
	v_lshlrev_b32_e32 v32, 3, v1
	v_lshl_add_u32 v33, v3, 6, 0x800
	v_ashrrev_i32_e32 v1, 31, v0
	v_ashrrev_i32_e32 v3, 31, v2
	s_wait_alu 0xfffd
	v_add_co_ci_u32_e64 v7, null, s15, v7, vcc_lo
	s_mov_b32 s23, 0
	s_and_b32 s14, s33, s34
	s_lshl_b64 s[2:3], s[12:13], 3
	s_wait_alu 0xfffe
	s_lshl_b64 s[10:11], s[26:27], 6
	s_lshl_b64 s[4:5], s[4:5], 3
	s_branch .LBB54_6
.LBB54_5:                               ;   in Loop: Header=BB54_6 Depth=1
	s_wait_alu 0xfffe
	s_or_b32 exec_lo, exec_lo, s12
	s_add_co_i32 s22, s22, 0x10000
	s_wait_alu 0xfffe
	s_cmp_lt_u32 s22, s19
	s_cbranch_scc0 .LBB54_33
.LBB54_6:                               ; =>This Loop Header: Depth=1
                                        ;     Child Loop BB54_9 Depth 2
	v_mov_b32_e32 v22, 0
	v_dual_mov_b32 v14, 0 :: v_dual_mov_b32 v23, 0
	v_dual_mov_b32 v20, 0 :: v_dual_mov_b32 v15, 0
	;; [unrolled: 1-line block ×3, first 2 shown]
	v_mov_b32_e32 v13, 0
	s_and_not1_b32 vcc_lo, exec_lo, s14
	s_wait_alu 0xfffe
	s_cbranch_vccnz .LBB54_13
; %bb.7:                                ;   in Loop: Header=BB54_6 Depth=1
	v_mad_co_u64_u32 v[16:17], null, s2, s22, v[4:5]
	v_mad_co_u64_u32 v[18:19], null, s4, s22, v[6:7]
	s_mov_b32 s12, 0
	v_mov_b32_e32 v22, 0
	v_dual_mov_b32 v23, 0 :: v_dual_mov_b32 v12, v17
	v_mov_b32_e32 v13, v19
	s_delay_alu instid0(VALU_DEP_1)
	v_mad_co_u64_u32 v[19:20], null, s3, s22, v[12:13]
	v_mad_co_u64_u32 v[24:25], null, s5, s22, v[13:14]
	v_mov_b32_e32 v12, 0
	v_dual_mov_b32 v20, 0 :: v_dual_mov_b32 v13, 0
	v_dual_mov_b32 v14, 0 :: v_dual_mov_b32 v21, 0
	v_mov_b32_e32 v15, 0
	v_mov_b32_e32 v17, v19
	;; [unrolled: 1-line block ×3, first 2 shown]
	s_branch .LBB54_9
.LBB54_8:                               ;   in Loop: Header=BB54_9 Depth=2
	s_wait_alu 0xfffe
	s_or_b32 exec_lo, exec_lo, s13
	s_wait_loadcnt 0x0
	ds_store_b64 v31, v[26:27]
	s_wait_dscnt 0x0
	s_barrier_signal -1
	s_barrier_wait -1
	global_inv scope:SCOPE_SE
	ds_load_b128 v[24:27], v33
	ds_load_2addr_b64 v[34:37], v32 offset1:16
	ds_load_b128 v[38:41], v33 offset:1024
	ds_load_b128 v[42:45], v33 offset:16
	;; [unrolled: 1-line block ×3, first 2 shown]
	v_add_co_u32 v16, vcc_lo, v16, s10
	s_wait_alu 0xfffd
	v_add_co_ci_u32_e64 v17, null, s11, v17, vcc_lo
	v_add_co_u32 v18, vcc_lo, v18, 64
	s_wait_alu 0xfffd
	v_add_co_ci_u32_e64 v19, null, 0, v19, vcc_lo
	s_add_co_i32 s12, s12, 8
	s_wait_alu 0xfffe
	s_cmp_lt_i32 s12, s21
	s_wait_dscnt 0x3
	v_fma_f64 v[22:23], v[34:35], v[24:25], v[22:23]
	v_fma_f64 v[20:21], v[36:37], v[24:25], v[20:21]
	s_wait_dscnt 0x2
	v_fma_f64 v[24:25], v[34:35], v[38:39], v[14:15]
	v_fma_f64 v[34:35], v[36:37], v[38:39], v[12:13]
	ds_load_2addr_b64 v[12:15], v32 offset0:32 offset1:48
	s_wait_dscnt 0x0
	v_fma_f64 v[22:23], v[12:13], v[26:27], v[22:23]
	v_fma_f64 v[20:21], v[14:15], v[26:27], v[20:21]
	v_fma_f64 v[24:25], v[12:13], v[40:41], v[24:25]
	v_fma_f64 v[26:27], v[14:15], v[40:41], v[34:35]
	ds_load_2addr_b64 v[12:15], v32 offset0:64 offset1:80
	s_wait_dscnt 0x0
	v_fma_f64 v[22:23], v[12:13], v[42:43], v[22:23]
	v_fma_f64 v[20:21], v[14:15], v[42:43], v[20:21]
	;; [unrolled: 6-line block ×3, first 2 shown]
	v_fma_f64 v[46:47], v[12:13], v[48:49], v[24:25]
	v_fma_f64 v[48:49], v[14:15], v[48:49], v[26:27]
	ds_load_b128 v[12:15], v33 offset:32
	ds_load_2addr_b64 v[20:23], v32 offset0:128 offset1:144
	ds_load_b128 v[24:27], v33 offset:1056
	ds_load_b128 v[34:37], v33 offset:48
	;; [unrolled: 1-line block ×3, first 2 shown]
	s_wait_dscnt 0x3
	v_fma_f64 v[42:43], v[20:21], v[12:13], v[42:43]
	v_fma_f64 v[12:13], v[22:23], v[12:13], v[44:45]
	s_wait_dscnt 0x2
	v_fma_f64 v[44:45], v[20:21], v[24:25], v[46:47]
	v_fma_f64 v[24:25], v[22:23], v[24:25], v[48:49]
	ds_load_2addr_b64 v[20:23], v32 offset0:160 offset1:176
	s_wait_dscnt 0x0
	v_fma_f64 v[42:43], v[20:21], v[14:15], v[42:43]
	v_fma_f64 v[46:47], v[22:23], v[14:15], v[12:13]
	v_fma_f64 v[20:21], v[20:21], v[26:27], v[44:45]
	v_fma_f64 v[22:23], v[22:23], v[26:27], v[24:25]
	ds_load_2addr_b64 v[12:15], v32 offset0:192 offset1:208
	ds_load_2addr_b64 v[24:27], v32 offset0:224 offset1:240
	s_wait_loadcnt_dscnt 0x0
	s_barrier_signal -1
	s_barrier_wait -1
	global_inv scope:SCOPE_SE
	v_fma_f64 v[42:43], v[12:13], v[34:35], v[42:43]
	v_fma_f64 v[34:35], v[14:15], v[34:35], v[46:47]
	;; [unrolled: 1-line block ×4, first 2 shown]
	s_delay_alu instid0(VALU_DEP_4) | instskip(NEXT) | instid1(VALU_DEP_4)
	v_fma_f64 v[22:23], v[24:25], v[36:37], v[42:43]
	v_fma_f64 v[20:21], v[26:27], v[36:37], v[34:35]
	s_delay_alu instid0(VALU_DEP_4) | instskip(NEXT) | instid1(VALU_DEP_4)
	v_fma_f64 v[14:15], v[24:25], v[40:41], v[12:13]
	v_fma_f64 v[12:13], v[26:27], v[40:41], v[38:39]
	s_cbranch_scc0 .LBB54_13
.LBB54_9:                               ;   Parent Loop BB54_6 Depth=1
                                        ; =>  This Inner Loop Header: Depth=2
	s_wait_alu 0xfffe
	v_add_nc_u32_e32 v24, s12, v29
	s_delay_alu instid0(VALU_DEP_1)
	v_cmp_gt_i32_e32 vcc_lo, s21, v24
	v_mov_b32_e32 v24, 0
	v_mov_b32_e32 v25, 0
	s_and_b32 s15, s0, vcc_lo
	s_wait_alu 0xfffe
	s_and_saveexec_b32 s13, s15
	s_cbranch_execz .LBB54_11
; %bb.10:                               ;   in Loop: Header=BB54_9 Depth=2
	global_load_b64 v[24:25], v[16:17], off
.LBB54_11:                              ;   in Loop: Header=BB54_9 Depth=2
	s_wait_alu 0xfffe
	s_or_b32 exec_lo, exec_lo, s13
	v_add_nc_u32_e32 v26, s12, v28
	s_wait_loadcnt 0x0
	ds_store_b64 v30, v[24:25]
	v_cmp_gt_i32_e32 vcc_lo, s21, v26
	v_mov_b32_e32 v26, 0
	v_mov_b32_e32 v27, 0
	s_and_b32 s15, vcc_lo, s1
	s_wait_alu 0xfffe
	s_and_saveexec_b32 s13, s15
	s_cbranch_execz .LBB54_8
; %bb.12:                               ;   in Loop: Header=BB54_9 Depth=2
	global_load_b64 v[26:27], v[18:19], off
	s_branch .LBB54_8
.LBB54_13:                              ;   in Loop: Header=BB54_6 Depth=1
	s_mul_u64 s[12:13], s[24:25], s[22:23]
	s_wait_alu 0xfffe
	s_lshl_b64 s[12:13], s[12:13], 3
	s_wait_alu 0xfffe
	s_add_nc_u64 s[12:13], s[16:17], s[12:13]
	s_wait_alu 0xfffe
	v_add_co_u32 v18, vcc_lo, s12, v8
	s_wait_alu 0xfffd
	v_add_co_ci_u32_e64 v19, null, s13, v9, vcc_lo
	s_and_saveexec_b32 s15, s29
	s_cbranch_execz .LBB54_17
; %bb.14:                               ;   in Loop: Header=BB54_6 Depth=1
	v_mul_f64_e32 v[16:17], s[8:9], v[22:23]
	s_and_b32 vcc_lo, exec_lo, s28
	s_wait_alu 0xfffe
	s_cbranch_vccz .LBB54_28
; %bb.15:                               ;   in Loop: Header=BB54_6 Depth=1
	v_lshlrev_b64_e32 v[22:23], 3, v[0:1]
	s_delay_alu instid0(VALU_DEP_1) | instskip(SKIP_1) | instid1(VALU_DEP_2)
	v_add_co_u32 v22, vcc_lo, v18, v22
	s_wait_alu 0xfffd
	v_add_co_ci_u32_e64 v23, null, v19, v23, vcc_lo
	global_load_b64 v[24:25], v[22:23], off
	s_wait_loadcnt 0x0
	v_fma_f64 v[24:25], s[6:7], v[24:25], v[16:17]
	global_store_b64 v[22:23], v[24:25], off
	s_cbranch_execnz .LBB54_17
.LBB54_16:                              ;   in Loop: Header=BB54_6 Depth=1
	v_lshlrev_b64_e32 v[22:23], 3, v[0:1]
	s_delay_alu instid0(VALU_DEP_1) | instskip(SKIP_1) | instid1(VALU_DEP_2)
	v_add_co_u32 v22, vcc_lo, v18, v22
	s_wait_alu 0xfffd
	v_add_co_ci_u32_e64 v23, null, v19, v23, vcc_lo
	global_store_b64 v[22:23], v[16:17], off
.LBB54_17:                              ;   in Loop: Header=BB54_6 Depth=1
	s_wait_alu 0xfffe
	s_or_b32 exec_lo, exec_lo, s15
	s_and_saveexec_b32 s15, s30
	s_cbranch_execz .LBB54_21
; %bb.18:                               ;   in Loop: Header=BB54_6 Depth=1
	v_mul_f64_e32 v[16:17], s[8:9], v[20:21]
	s_and_not1_b32 vcc_lo, exec_lo, s28
	s_wait_alu 0xfffe
	s_cbranch_vccnz .LBB54_29
; %bb.19:                               ;   in Loop: Header=BB54_6 Depth=1
	v_lshlrev_b64_e32 v[20:21], 3, v[2:3]
	s_delay_alu instid0(VALU_DEP_1) | instskip(SKIP_1) | instid1(VALU_DEP_2)
	v_add_co_u32 v20, vcc_lo, v18, v20
	s_wait_alu 0xfffd
	v_add_co_ci_u32_e64 v21, null, v19, v21, vcc_lo
	global_load_b64 v[22:23], v[20:21], off
	s_wait_loadcnt 0x0
	v_fma_f64 v[22:23], s[6:7], v[22:23], v[16:17]
	global_store_b64 v[20:21], v[22:23], off
	s_cbranch_execnz .LBB54_21
.LBB54_20:                              ;   in Loop: Header=BB54_6 Depth=1
	v_lshlrev_b64_e32 v[20:21], 3, v[2:3]
	s_delay_alu instid0(VALU_DEP_1) | instskip(SKIP_1) | instid1(VALU_DEP_2)
	v_add_co_u32 v18, vcc_lo, v18, v20
	s_wait_alu 0xfffd
	v_add_co_ci_u32_e64 v19, null, v19, v21, vcc_lo
	global_store_b64 v[18:19], v[16:17], off
.LBB54_21:                              ;   in Loop: Header=BB54_6 Depth=1
	s_wait_alu 0xfffe
	s_or_b32 exec_lo, exec_lo, s15
	v_add_co_u32 v18, vcc_lo, s12, v10
	s_wait_alu 0xfffd
	v_add_co_ci_u32_e64 v19, null, s13, v11, vcc_lo
	s_and_saveexec_b32 s12, s18
	s_cbranch_execz .LBB54_25
; %bb.22:                               ;   in Loop: Header=BB54_6 Depth=1
	v_mul_f64_e32 v[14:15], s[8:9], v[14:15]
	v_lshlrev_b64_e32 v[16:17], 3, v[0:1]
	s_and_not1_b32 vcc_lo, exec_lo, s28
	s_wait_alu 0xfffe
	s_cbranch_vccnz .LBB54_30
; %bb.23:                               ;   in Loop: Header=BB54_6 Depth=1
	s_delay_alu instid0(VALU_DEP_1)
	v_add_co_u32 v20, vcc_lo, v18, v16
	s_wait_alu 0xfffd
	v_add_co_ci_u32_e64 v21, null, v19, v17, vcc_lo
	global_load_b64 v[22:23], v[20:21], off
	s_wait_loadcnt 0x0
	v_fma_f64 v[22:23], s[6:7], v[22:23], v[14:15]
	global_store_b64 v[20:21], v[22:23], off
	s_cbranch_execnz .LBB54_25
.LBB54_24:                              ;   in Loop: Header=BB54_6 Depth=1
	s_delay_alu instid0(VALU_DEP_1)
	v_add_co_u32 v16, vcc_lo, v18, v16
	s_wait_alu 0xfffd
	v_add_co_ci_u32_e64 v17, null, v19, v17, vcc_lo
	global_store_b64 v[16:17], v[14:15], off
.LBB54_25:                              ;   in Loop: Header=BB54_6 Depth=1
	s_wait_alu 0xfffe
	s_or_b32 exec_lo, exec_lo, s12
	s_and_saveexec_b32 s12, s20
	s_cbranch_execz .LBB54_5
; %bb.26:                               ;   in Loop: Header=BB54_6 Depth=1
	v_mul_f64_e32 v[12:13], s[8:9], v[12:13]
	v_lshlrev_b64_e32 v[14:15], 3, v[2:3]
	s_and_not1_b32 vcc_lo, exec_lo, s28
	s_wait_alu 0xfffe
	s_cbranch_vccnz .LBB54_31
; %bb.27:                               ;   in Loop: Header=BB54_6 Depth=1
	s_delay_alu instid0(VALU_DEP_1)
	v_add_co_u32 v16, vcc_lo, v18, v14
	s_wait_alu 0xfffd
	v_add_co_ci_u32_e64 v17, null, v19, v15, vcc_lo
	global_load_b64 v[20:21], v[16:17], off
	s_wait_loadcnt 0x0
	v_fma_f64 v[20:21], s[6:7], v[20:21], v[12:13]
	global_store_b64 v[16:17], v[20:21], off
	s_cbranch_execnz .LBB54_5
	s_branch .LBB54_32
.LBB54_28:                              ;   in Loop: Header=BB54_6 Depth=1
	s_branch .LBB54_16
.LBB54_29:                              ;   in Loop: Header=BB54_6 Depth=1
	s_branch .LBB54_20
.LBB54_30:                              ;   in Loop: Header=BB54_6 Depth=1
	s_branch .LBB54_24
.LBB54_31:                              ;   in Loop: Header=BB54_6 Depth=1
.LBB54_32:                              ;   in Loop: Header=BB54_6 Depth=1
	s_delay_alu instid0(VALU_DEP_1)
	v_add_co_u32 v14, vcc_lo, v18, v14
	s_wait_alu 0xfffd
	v_add_co_ci_u32_e64 v15, null, v19, v15, vcc_lo
	global_store_b64 v[14:15], v[12:13], off
	s_branch .LBB54_5
.LBB54_33:
	s_endpgm
	.section	.rodata,"a",@progbits
	.p2align	6, 0x0
	.amdhsa_kernel _ZL29rocblas_internal_gemmt_kernelIiLi16ELi32ELi8ELc78ELc78ELc85ELb0ELb0EddPKdPdEviT_T9_T10_S3_lS5_S3_lS4_T11_S3_li
		.amdhsa_group_segment_fixed_size 4096
		.amdhsa_private_segment_fixed_size 0
		.amdhsa_kernarg_size 100
		.amdhsa_user_sgpr_count 2
		.amdhsa_user_sgpr_dispatch_ptr 0
		.amdhsa_user_sgpr_queue_ptr 0
		.amdhsa_user_sgpr_kernarg_segment_ptr 1
		.amdhsa_user_sgpr_dispatch_id 0
		.amdhsa_user_sgpr_private_segment_size 0
		.amdhsa_wavefront_size32 1
		.amdhsa_uses_dynamic_stack 0
		.amdhsa_enable_private_segment 0
		.amdhsa_system_sgpr_workgroup_id_x 1
		.amdhsa_system_sgpr_workgroup_id_y 1
		.amdhsa_system_sgpr_workgroup_id_z 1
		.amdhsa_system_sgpr_workgroup_info 0
		.amdhsa_system_vgpr_workitem_id 1
		.amdhsa_next_free_vgpr 50
		.amdhsa_next_free_sgpr 35
		.amdhsa_reserve_vcc 1
		.amdhsa_float_round_mode_32 0
		.amdhsa_float_round_mode_16_64 0
		.amdhsa_float_denorm_mode_32 3
		.amdhsa_float_denorm_mode_16_64 3
		.amdhsa_fp16_overflow 0
		.amdhsa_workgroup_processor_mode 1
		.amdhsa_memory_ordered 1
		.amdhsa_forward_progress 1
		.amdhsa_inst_pref_size 16
		.amdhsa_round_robin_scheduling 0
		.amdhsa_exception_fp_ieee_invalid_op 0
		.amdhsa_exception_fp_denorm_src 0
		.amdhsa_exception_fp_ieee_div_zero 0
		.amdhsa_exception_fp_ieee_overflow 0
		.amdhsa_exception_fp_ieee_underflow 0
		.amdhsa_exception_fp_ieee_inexact 0
		.amdhsa_exception_int_div_zero 0
	.end_amdhsa_kernel
	.section	.text._ZL29rocblas_internal_gemmt_kernelIiLi16ELi32ELi8ELc78ELc78ELc85ELb0ELb0EddPKdPdEviT_T9_T10_S3_lS5_S3_lS4_T11_S3_li,"axG",@progbits,_ZL29rocblas_internal_gemmt_kernelIiLi16ELi32ELi8ELc78ELc78ELc85ELb0ELb0EddPKdPdEviT_T9_T10_S3_lS5_S3_lS4_T11_S3_li,comdat
.Lfunc_end54:
	.size	_ZL29rocblas_internal_gemmt_kernelIiLi16ELi32ELi8ELc78ELc78ELc85ELb0ELb0EddPKdPdEviT_T9_T10_S3_lS5_S3_lS4_T11_S3_li, .Lfunc_end54-_ZL29rocblas_internal_gemmt_kernelIiLi16ELi32ELi8ELc78ELc78ELc85ELb0ELb0EddPKdPdEviT_T9_T10_S3_lS5_S3_lS4_T11_S3_li
                                        ; -- End function
	.set _ZL29rocblas_internal_gemmt_kernelIiLi16ELi32ELi8ELc78ELc78ELc85ELb0ELb0EddPKdPdEviT_T9_T10_S3_lS5_S3_lS4_T11_S3_li.num_vgpr, 50
	.set _ZL29rocblas_internal_gemmt_kernelIiLi16ELi32ELi8ELc78ELc78ELc85ELb0ELb0EddPKdPdEviT_T9_T10_S3_lS5_S3_lS4_T11_S3_li.num_agpr, 0
	.set _ZL29rocblas_internal_gemmt_kernelIiLi16ELi32ELi8ELc78ELc78ELc85ELb0ELb0EddPKdPdEviT_T9_T10_S3_lS5_S3_lS4_T11_S3_li.numbered_sgpr, 35
	.set _ZL29rocblas_internal_gemmt_kernelIiLi16ELi32ELi8ELc78ELc78ELc85ELb0ELb0EddPKdPdEviT_T9_T10_S3_lS5_S3_lS4_T11_S3_li.num_named_barrier, 0
	.set _ZL29rocblas_internal_gemmt_kernelIiLi16ELi32ELi8ELc78ELc78ELc85ELb0ELb0EddPKdPdEviT_T9_T10_S3_lS5_S3_lS4_T11_S3_li.private_seg_size, 0
	.set _ZL29rocblas_internal_gemmt_kernelIiLi16ELi32ELi8ELc78ELc78ELc85ELb0ELb0EddPKdPdEviT_T9_T10_S3_lS5_S3_lS4_T11_S3_li.uses_vcc, 1
	.set _ZL29rocblas_internal_gemmt_kernelIiLi16ELi32ELi8ELc78ELc78ELc85ELb0ELb0EddPKdPdEviT_T9_T10_S3_lS5_S3_lS4_T11_S3_li.uses_flat_scratch, 0
	.set _ZL29rocblas_internal_gemmt_kernelIiLi16ELi32ELi8ELc78ELc78ELc85ELb0ELb0EddPKdPdEviT_T9_T10_S3_lS5_S3_lS4_T11_S3_li.has_dyn_sized_stack, 0
	.set _ZL29rocblas_internal_gemmt_kernelIiLi16ELi32ELi8ELc78ELc78ELc85ELb0ELb0EddPKdPdEviT_T9_T10_S3_lS5_S3_lS4_T11_S3_li.has_recursion, 0
	.set _ZL29rocblas_internal_gemmt_kernelIiLi16ELi32ELi8ELc78ELc78ELc85ELb0ELb0EddPKdPdEviT_T9_T10_S3_lS5_S3_lS4_T11_S3_li.has_indirect_call, 0
	.section	.AMDGPU.csdata,"",@progbits
; Kernel info:
; codeLenInByte = 2020
; TotalNumSgprs: 37
; NumVgprs: 50
; ScratchSize: 0
; MemoryBound: 0
; FloatMode: 240
; IeeeMode: 1
; LDSByteSize: 4096 bytes/workgroup (compile time only)
; SGPRBlocks: 0
; VGPRBlocks: 6
; NumSGPRsForWavesPerEU: 37
; NumVGPRsForWavesPerEU: 50
; Occupancy: 16
; WaveLimiterHint : 0
; COMPUTE_PGM_RSRC2:SCRATCH_EN: 0
; COMPUTE_PGM_RSRC2:USER_SGPR: 2
; COMPUTE_PGM_RSRC2:TRAP_HANDLER: 0
; COMPUTE_PGM_RSRC2:TGID_X_EN: 1
; COMPUTE_PGM_RSRC2:TGID_Y_EN: 1
; COMPUTE_PGM_RSRC2:TGID_Z_EN: 1
; COMPUTE_PGM_RSRC2:TIDIG_COMP_CNT: 1
	.section	.text._ZL29rocblas_internal_gemmt_kernelIiLi16ELi32ELi8ELc78ELc84ELc85ELb0ELb0EddPKdPdEviT_T9_T10_S3_lS5_S3_lS4_T11_S3_li,"axG",@progbits,_ZL29rocblas_internal_gemmt_kernelIiLi16ELi32ELi8ELc78ELc84ELc85ELb0ELb0EddPKdPdEviT_T9_T10_S3_lS5_S3_lS4_T11_S3_li,comdat
	.globl	_ZL29rocblas_internal_gemmt_kernelIiLi16ELi32ELi8ELc78ELc84ELc85ELb0ELb0EddPKdPdEviT_T9_T10_S3_lS5_S3_lS4_T11_S3_li ; -- Begin function _ZL29rocblas_internal_gemmt_kernelIiLi16ELi32ELi8ELc78ELc84ELc85ELb0ELb0EddPKdPdEviT_T9_T10_S3_lS5_S3_lS4_T11_S3_li
	.p2align	8
	.type	_ZL29rocblas_internal_gemmt_kernelIiLi16ELi32ELi8ELc78ELc84ELc85ELb0ELb0EddPKdPdEviT_T9_T10_S3_lS5_S3_lS4_T11_S3_li,@function
_ZL29rocblas_internal_gemmt_kernelIiLi16ELi32ELi8ELc78ELc84ELc85ELb0ELb0EddPKdPdEviT_T9_T10_S3_lS5_S3_lS4_T11_S3_li: ; @_ZL29rocblas_internal_gemmt_kernelIiLi16ELi32ELi8ELc78ELc84ELc85ELb0ELb0EddPKdPdEviT_T9_T10_S3_lS5_S3_lS4_T11_S3_li
; %bb.0:
	s_clause 0x2
	s_load_b128 s[4:7], s[0:1], 0x38
	s_load_b64 s[20:21], s[0:1], 0x0
	s_load_b128 s[8:11], s[0:1], 0x8
	s_wait_kmcnt 0x0
	v_cmp_neq_f64_e64 s2, s[6:7], 1.0
	s_and_b32 vcc_lo, exec_lo, s2
	s_cbranch_vccnz .LBB55_2
; %bb.1:
	v_cmp_neq_f64_e64 s2, s[8:9], 0
	s_cmp_lg_u32 s21, 0
	s_cselect_b32 s3, -1, 0
	s_delay_alu instid0(SALU_CYCLE_1)
	s_and_b32 s2, s3, s2
.LBB55_2:
	s_delay_alu instid0(SALU_CYCLE_1)
	s_and_not1_b32 vcc_lo, exec_lo, s2
	s_cbranch_vccnz .LBB55_33
; %bb.3:
	s_load_b32 s19, s[0:1], 0x60
	s_lshr_b32 s22, ttmp7, 16
	s_wait_kmcnt 0x0
	s_cmp_ge_u32 s22, s19
	s_cbranch_scc1 .LBB55_33
; %bb.4:
	v_and_b32_e32 v1, 0x3ff, v0
	v_bfe_u32 v2, v0, 10, 10
	v_and_b32_e32 v28, 7, v0
	s_clause 0x4
	s_load_b32 s26, s[0:1], 0x18
	s_load_b32 s28, s[0:1], 0x30
	s_load_b96 s[16:18], s[0:1], 0x48
	s_load_b64 s[24:25], s[0:1], 0x58
	s_load_b128 s[12:15], s[0:1], 0x20
	v_lshl_add_u32 v0, v2, 4, v1
	v_lshlrev_b32_e32 v6, 3, v28
	s_lshl_b32 s0, ttmp7, 5
	s_lshl_b32 s2, ttmp9, 5
	s_and_b32 s3, s0, 0x1fffe0
	v_and_b32_e32 v3, 31, v0
	v_lshrrev_b32_e32 v5, 3, v0
	v_lshrrev_b32_e32 v29, 5, v0
	v_cmp_neq_f64_e64 s34, s[8:9], 0
	v_cmp_neq_f64_e64 s30, s[6:7], 0
	v_lshlrev_b32_e32 v0, 3, v3
	v_or_b32_e32 v4, s2, v3
	v_add_nc_u32_e32 v14, s3, v5
	v_lshl_or_b32 v3, v5, 6, v6
	v_add_nc_u32_e32 v5, s3, v2
	v_lshl_or_b32 v30, v29, 8, v0
	v_add_nc_u32_e32 v0, s2, v1
	v_lshl_add_u32 v33, v2, 6, 0x800
	s_wait_kmcnt 0x0
	s_ashr_i32 s27, s26, 31
	v_cmp_gt_i32_e32 vcc_lo, s20, v5
	s_ashr_i32 s29, s28, 31
	v_cmp_le_i32_e64 s2, v0, v5
	v_add_nc_u32_e32 v2, 16, v0
	v_mad_co_i64_i32 v[6:7], null, v29, s26, 0
	s_cmp_gt_i32 s21, 0
	v_mad_co_i64_i32 v[8:9], null, v5, s18, 0
	s_cselect_b32 s35, -1, 0
	s_and_b32 s31, vcc_lo, s2
	v_cmp_le_i32_e64 s2, v2, v5
	v_add_nc_u32_e32 v12, 16, v5
	v_ashrrev_i32_e32 v5, 31, v4
	v_cmp_gt_i32_e64 s0, s20, v4
	v_lshlrev_b64_e32 v[6:7], 3, v[6:7]
	v_mad_co_i64_i32 v[10:11], null, s28, v28, 0
	s_delay_alu instid0(VALU_DEP_4)
	v_lshlrev_b64_e32 v[4:5], 3, v[4:5]
	s_and_b32 s33, vcc_lo, s2
	v_cmp_gt_i32_e32 vcc_lo, s20, v12
	v_cmp_le_i32_e64 s2, v0, v12
	v_cmp_le_i32_e64 s3, v2, v12
	v_cmp_gt_i32_e64 s1, s20, v14
	v_mad_co_i64_i32 v[12:13], null, v12, s18, 0
	s_and_b32 s18, vcc_lo, s2
	s_and_b32 s20, vcc_lo, s3
	v_add_co_u32 v4, vcc_lo, v6, v4
	s_delay_alu instid0(VALU_DEP_1) | instskip(SKIP_2) | instid1(VALU_DEP_4)
	v_add_co_ci_u32_e64 v5, null, v7, v5, vcc_lo
	v_lshlrev_b64_e32 v[6:7], 3, v[10:11]
	v_lshlrev_b32_e32 v10, 3, v14
	v_add_co_u32 v4, vcc_lo, s10, v4
	s_wait_alu 0xfffd
	v_add_co_ci_u32_e64 v5, null, s11, v5, vcc_lo
	s_delay_alu instid0(VALU_DEP_3) | instskip(SKIP_3) | instid1(VALU_DEP_3)
	v_add_co_u32 v6, vcc_lo, v6, v10
	s_wait_alu 0xfffd
	v_add_co_ci_u32_e64 v7, null, 0, v7, vcc_lo
	v_lshlrev_b64_e32 v[8:9], 3, v[8:9]
	v_add_co_u32 v6, vcc_lo, s14, v6
	v_lshlrev_b64_e32 v[10:11], 3, v[12:13]
	v_add_nc_u32_e32 v31, 0x800, v3
	v_lshlrev_b32_e32 v32, 3, v1
	v_ashrrev_i32_e32 v1, 31, v0
	v_ashrrev_i32_e32 v3, 31, v2
	s_wait_alu 0xfffd
	v_add_co_ci_u32_e64 v7, null, s15, v7, vcc_lo
	s_mov_b32 s23, 0
	s_lshl_b64 s[2:3], s[12:13], 3
	s_and_b32 s34, s34, s35
	s_lshl_b64 s[10:11], s[26:27], 6
	s_lshl_b64 s[4:5], s[4:5], 3
	;; [unrolled: 1-line block ×3, first 2 shown]
	s_branch .LBB55_6
.LBB55_5:                               ;   in Loop: Header=BB55_6 Depth=1
	s_wait_alu 0xfffe
	s_or_b32 exec_lo, exec_lo, s14
	s_add_co_i32 s22, s22, 0x10000
	s_wait_alu 0xfffe
	s_cmp_lt_u32 s22, s19
	s_cbranch_scc0 .LBB55_33
.LBB55_6:                               ; =>This Loop Header: Depth=1
                                        ;     Child Loop BB55_9 Depth 2
	v_mov_b32_e32 v22, 0
	v_dual_mov_b32 v14, 0 :: v_dual_mov_b32 v23, 0
	v_dual_mov_b32 v20, 0 :: v_dual_mov_b32 v15, 0
	;; [unrolled: 1-line block ×3, first 2 shown]
	v_mov_b32_e32 v13, 0
	s_and_not1_b32 vcc_lo, exec_lo, s34
	s_wait_alu 0xfffe
	s_cbranch_vccnz .LBB55_13
; %bb.7:                                ;   in Loop: Header=BB55_6 Depth=1
	v_mad_co_u64_u32 v[16:17], null, s2, s22, v[4:5]
	v_mad_co_u64_u32 v[18:19], null, s4, s22, v[6:7]
	s_mov_b32 s14, 0
	v_mov_b32_e32 v22, 0
	v_dual_mov_b32 v23, 0 :: v_dual_mov_b32 v12, v17
	v_mov_b32_e32 v13, v19
	s_delay_alu instid0(VALU_DEP_1)
	v_mad_co_u64_u32 v[19:20], null, s3, s22, v[12:13]
	v_mad_co_u64_u32 v[24:25], null, s5, s22, v[13:14]
	v_mov_b32_e32 v12, 0
	v_dual_mov_b32 v20, 0 :: v_dual_mov_b32 v13, 0
	v_dual_mov_b32 v14, 0 :: v_dual_mov_b32 v21, 0
	v_mov_b32_e32 v15, 0
	v_mov_b32_e32 v17, v19
	;; [unrolled: 1-line block ×3, first 2 shown]
	s_branch .LBB55_9
.LBB55_8:                               ;   in Loop: Header=BB55_9 Depth=2
	s_wait_alu 0xfffe
	s_or_b32 exec_lo, exec_lo, s15
	s_wait_loadcnt 0x0
	ds_store_b64 v31, v[26:27]
	s_wait_dscnt 0x0
	s_barrier_signal -1
	s_barrier_wait -1
	global_inv scope:SCOPE_SE
	ds_load_b128 v[24:27], v33
	ds_load_2addr_b64 v[34:37], v32 offset1:16
	ds_load_b128 v[38:41], v33 offset:1024
	ds_load_b128 v[42:45], v33 offset:16
	ds_load_b128 v[46:49], v33 offset:1040
	v_add_co_u32 v16, vcc_lo, v16, s10
	s_wait_alu 0xfffd
	v_add_co_ci_u32_e64 v17, null, s11, v17, vcc_lo
	v_add_co_u32 v18, vcc_lo, v18, s12
	s_wait_alu 0xfffd
	v_add_co_ci_u32_e64 v19, null, s13, v19, vcc_lo
	s_add_co_i32 s14, s14, 8
	s_wait_alu 0xfffe
	s_cmp_lt_i32 s14, s21
	s_wait_dscnt 0x3
	v_fma_f64 v[22:23], v[34:35], v[24:25], v[22:23]
	v_fma_f64 v[20:21], v[36:37], v[24:25], v[20:21]
	s_wait_dscnt 0x2
	v_fma_f64 v[24:25], v[34:35], v[38:39], v[14:15]
	v_fma_f64 v[34:35], v[36:37], v[38:39], v[12:13]
	ds_load_2addr_b64 v[12:15], v32 offset0:32 offset1:48
	s_wait_dscnt 0x0
	v_fma_f64 v[22:23], v[12:13], v[26:27], v[22:23]
	v_fma_f64 v[20:21], v[14:15], v[26:27], v[20:21]
	v_fma_f64 v[24:25], v[12:13], v[40:41], v[24:25]
	v_fma_f64 v[26:27], v[14:15], v[40:41], v[34:35]
	ds_load_2addr_b64 v[12:15], v32 offset0:64 offset1:80
	s_wait_dscnt 0x0
	v_fma_f64 v[22:23], v[12:13], v[42:43], v[22:23]
	v_fma_f64 v[20:21], v[14:15], v[42:43], v[20:21]
	;; [unrolled: 6-line block ×3, first 2 shown]
	v_fma_f64 v[46:47], v[12:13], v[48:49], v[24:25]
	v_fma_f64 v[48:49], v[14:15], v[48:49], v[26:27]
	ds_load_b128 v[12:15], v33 offset:32
	ds_load_2addr_b64 v[20:23], v32 offset0:128 offset1:144
	ds_load_b128 v[24:27], v33 offset:1056
	ds_load_b128 v[34:37], v33 offset:48
	;; [unrolled: 1-line block ×3, first 2 shown]
	s_wait_dscnt 0x3
	v_fma_f64 v[42:43], v[20:21], v[12:13], v[42:43]
	v_fma_f64 v[12:13], v[22:23], v[12:13], v[44:45]
	s_wait_dscnt 0x2
	v_fma_f64 v[44:45], v[20:21], v[24:25], v[46:47]
	v_fma_f64 v[24:25], v[22:23], v[24:25], v[48:49]
	ds_load_2addr_b64 v[20:23], v32 offset0:160 offset1:176
	s_wait_dscnt 0x0
	v_fma_f64 v[42:43], v[20:21], v[14:15], v[42:43]
	v_fma_f64 v[46:47], v[22:23], v[14:15], v[12:13]
	;; [unrolled: 1-line block ×4, first 2 shown]
	ds_load_2addr_b64 v[12:15], v32 offset0:192 offset1:208
	ds_load_2addr_b64 v[24:27], v32 offset0:224 offset1:240
	s_wait_loadcnt_dscnt 0x0
	s_barrier_signal -1
	s_barrier_wait -1
	global_inv scope:SCOPE_SE
	v_fma_f64 v[42:43], v[12:13], v[34:35], v[42:43]
	v_fma_f64 v[34:35], v[14:15], v[34:35], v[46:47]
	;; [unrolled: 1-line block ×4, first 2 shown]
	s_delay_alu instid0(VALU_DEP_4) | instskip(NEXT) | instid1(VALU_DEP_4)
	v_fma_f64 v[22:23], v[24:25], v[36:37], v[42:43]
	v_fma_f64 v[20:21], v[26:27], v[36:37], v[34:35]
	s_delay_alu instid0(VALU_DEP_4) | instskip(NEXT) | instid1(VALU_DEP_4)
	v_fma_f64 v[14:15], v[24:25], v[40:41], v[12:13]
	v_fma_f64 v[12:13], v[26:27], v[40:41], v[38:39]
	s_cbranch_scc0 .LBB55_13
.LBB55_9:                               ;   Parent Loop BB55_6 Depth=1
                                        ; =>  This Inner Loop Header: Depth=2
	s_wait_alu 0xfffe
	v_add_nc_u32_e32 v24, s14, v29
	s_delay_alu instid0(VALU_DEP_1)
	v_cmp_gt_i32_e32 vcc_lo, s21, v24
	v_mov_b32_e32 v24, 0
	v_mov_b32_e32 v25, 0
	s_and_b32 s26, s0, vcc_lo
	s_wait_alu 0xfffe
	s_and_saveexec_b32 s15, s26
	s_cbranch_execz .LBB55_11
; %bb.10:                               ;   in Loop: Header=BB55_9 Depth=2
	global_load_b64 v[24:25], v[16:17], off
.LBB55_11:                              ;   in Loop: Header=BB55_9 Depth=2
	s_wait_alu 0xfffe
	s_or_b32 exec_lo, exec_lo, s15
	v_add_nc_u32_e32 v26, s14, v28
	s_wait_loadcnt 0x0
	ds_store_b64 v30, v[24:25]
	v_cmp_gt_i32_e32 vcc_lo, s21, v26
	v_mov_b32_e32 v26, 0
	v_mov_b32_e32 v27, 0
	s_and_b32 s26, vcc_lo, s1
	s_wait_alu 0xfffe
	s_and_saveexec_b32 s15, s26
	s_cbranch_execz .LBB55_8
; %bb.12:                               ;   in Loop: Header=BB55_9 Depth=2
	global_load_b64 v[26:27], v[18:19], off
	s_branch .LBB55_8
.LBB55_13:                              ;   in Loop: Header=BB55_6 Depth=1
	s_mul_u64 s[14:15], s[24:25], s[22:23]
	s_wait_alu 0xfffe
	s_lshl_b64 s[14:15], s[14:15], 3
	s_wait_alu 0xfffe
	s_add_nc_u64 s[14:15], s[16:17], s[14:15]
	s_wait_alu 0xfffe
	v_add_co_u32 v18, vcc_lo, s14, v8
	s_wait_alu 0xfffd
	v_add_co_ci_u32_e64 v19, null, s15, v9, vcc_lo
	s_and_saveexec_b32 s26, s31
	s_cbranch_execz .LBB55_17
; %bb.14:                               ;   in Loop: Header=BB55_6 Depth=1
	v_mul_f64_e32 v[16:17], s[8:9], v[22:23]
	s_and_b32 vcc_lo, exec_lo, s30
	s_wait_alu 0xfffe
	s_cbranch_vccz .LBB55_28
; %bb.15:                               ;   in Loop: Header=BB55_6 Depth=1
	v_lshlrev_b64_e32 v[22:23], 3, v[0:1]
	s_delay_alu instid0(VALU_DEP_1) | instskip(SKIP_1) | instid1(VALU_DEP_2)
	v_add_co_u32 v22, vcc_lo, v18, v22
	s_wait_alu 0xfffd
	v_add_co_ci_u32_e64 v23, null, v19, v23, vcc_lo
	global_load_b64 v[24:25], v[22:23], off
	s_wait_loadcnt 0x0
	v_fma_f64 v[24:25], s[6:7], v[24:25], v[16:17]
	global_store_b64 v[22:23], v[24:25], off
	s_cbranch_execnz .LBB55_17
.LBB55_16:                              ;   in Loop: Header=BB55_6 Depth=1
	v_lshlrev_b64_e32 v[22:23], 3, v[0:1]
	s_delay_alu instid0(VALU_DEP_1) | instskip(SKIP_1) | instid1(VALU_DEP_2)
	v_add_co_u32 v22, vcc_lo, v18, v22
	s_wait_alu 0xfffd
	v_add_co_ci_u32_e64 v23, null, v19, v23, vcc_lo
	global_store_b64 v[22:23], v[16:17], off
.LBB55_17:                              ;   in Loop: Header=BB55_6 Depth=1
	s_wait_alu 0xfffe
	s_or_b32 exec_lo, exec_lo, s26
	s_and_saveexec_b32 s26, s33
	s_cbranch_execz .LBB55_21
; %bb.18:                               ;   in Loop: Header=BB55_6 Depth=1
	v_mul_f64_e32 v[16:17], s[8:9], v[20:21]
	s_and_not1_b32 vcc_lo, exec_lo, s30
	s_wait_alu 0xfffe
	s_cbranch_vccnz .LBB55_29
; %bb.19:                               ;   in Loop: Header=BB55_6 Depth=1
	v_lshlrev_b64_e32 v[20:21], 3, v[2:3]
	s_delay_alu instid0(VALU_DEP_1) | instskip(SKIP_1) | instid1(VALU_DEP_2)
	v_add_co_u32 v20, vcc_lo, v18, v20
	s_wait_alu 0xfffd
	v_add_co_ci_u32_e64 v21, null, v19, v21, vcc_lo
	global_load_b64 v[22:23], v[20:21], off
	s_wait_loadcnt 0x0
	v_fma_f64 v[22:23], s[6:7], v[22:23], v[16:17]
	global_store_b64 v[20:21], v[22:23], off
	s_cbranch_execnz .LBB55_21
.LBB55_20:                              ;   in Loop: Header=BB55_6 Depth=1
	v_lshlrev_b64_e32 v[20:21], 3, v[2:3]
	s_delay_alu instid0(VALU_DEP_1) | instskip(SKIP_1) | instid1(VALU_DEP_2)
	v_add_co_u32 v18, vcc_lo, v18, v20
	s_wait_alu 0xfffd
	v_add_co_ci_u32_e64 v19, null, v19, v21, vcc_lo
	global_store_b64 v[18:19], v[16:17], off
.LBB55_21:                              ;   in Loop: Header=BB55_6 Depth=1
	s_wait_alu 0xfffe
	s_or_b32 exec_lo, exec_lo, s26
	v_add_co_u32 v18, vcc_lo, s14, v10
	s_wait_alu 0xfffd
	v_add_co_ci_u32_e64 v19, null, s15, v11, vcc_lo
	s_and_saveexec_b32 s14, s18
	s_cbranch_execz .LBB55_25
; %bb.22:                               ;   in Loop: Header=BB55_6 Depth=1
	v_mul_f64_e32 v[14:15], s[8:9], v[14:15]
	v_lshlrev_b64_e32 v[16:17], 3, v[0:1]
	s_and_not1_b32 vcc_lo, exec_lo, s30
	s_wait_alu 0xfffe
	s_cbranch_vccnz .LBB55_30
; %bb.23:                               ;   in Loop: Header=BB55_6 Depth=1
	s_delay_alu instid0(VALU_DEP_1)
	v_add_co_u32 v20, vcc_lo, v18, v16
	s_wait_alu 0xfffd
	v_add_co_ci_u32_e64 v21, null, v19, v17, vcc_lo
	global_load_b64 v[22:23], v[20:21], off
	s_wait_loadcnt 0x0
	v_fma_f64 v[22:23], s[6:7], v[22:23], v[14:15]
	global_store_b64 v[20:21], v[22:23], off
	s_cbranch_execnz .LBB55_25
.LBB55_24:                              ;   in Loop: Header=BB55_6 Depth=1
	s_delay_alu instid0(VALU_DEP_1)
	v_add_co_u32 v16, vcc_lo, v18, v16
	s_wait_alu 0xfffd
	v_add_co_ci_u32_e64 v17, null, v19, v17, vcc_lo
	global_store_b64 v[16:17], v[14:15], off
.LBB55_25:                              ;   in Loop: Header=BB55_6 Depth=1
	s_wait_alu 0xfffe
	s_or_b32 exec_lo, exec_lo, s14
	s_and_saveexec_b32 s14, s20
	s_cbranch_execz .LBB55_5
; %bb.26:                               ;   in Loop: Header=BB55_6 Depth=1
	v_mul_f64_e32 v[12:13], s[8:9], v[12:13]
	v_lshlrev_b64_e32 v[14:15], 3, v[2:3]
	s_and_not1_b32 vcc_lo, exec_lo, s30
	s_wait_alu 0xfffe
	s_cbranch_vccnz .LBB55_31
; %bb.27:                               ;   in Loop: Header=BB55_6 Depth=1
	s_delay_alu instid0(VALU_DEP_1)
	v_add_co_u32 v16, vcc_lo, v18, v14
	s_wait_alu 0xfffd
	v_add_co_ci_u32_e64 v17, null, v19, v15, vcc_lo
	global_load_b64 v[20:21], v[16:17], off
	s_wait_loadcnt 0x0
	v_fma_f64 v[20:21], s[6:7], v[20:21], v[12:13]
	global_store_b64 v[16:17], v[20:21], off
	s_cbranch_execnz .LBB55_5
	s_branch .LBB55_32
.LBB55_28:                              ;   in Loop: Header=BB55_6 Depth=1
	s_branch .LBB55_16
.LBB55_29:                              ;   in Loop: Header=BB55_6 Depth=1
	s_branch .LBB55_20
.LBB55_30:                              ;   in Loop: Header=BB55_6 Depth=1
	s_branch .LBB55_24
.LBB55_31:                              ;   in Loop: Header=BB55_6 Depth=1
.LBB55_32:                              ;   in Loop: Header=BB55_6 Depth=1
	s_delay_alu instid0(VALU_DEP_1)
	v_add_co_u32 v14, vcc_lo, v18, v14
	s_wait_alu 0xfffd
	v_add_co_ci_u32_e64 v15, null, v19, v15, vcc_lo
	global_store_b64 v[14:15], v[12:13], off
	s_branch .LBB55_5
.LBB55_33:
	s_endpgm
	.section	.rodata,"a",@progbits
	.p2align	6, 0x0
	.amdhsa_kernel _ZL29rocblas_internal_gemmt_kernelIiLi16ELi32ELi8ELc78ELc84ELc85ELb0ELb0EddPKdPdEviT_T9_T10_S3_lS5_S3_lS4_T11_S3_li
		.amdhsa_group_segment_fixed_size 4096
		.amdhsa_private_segment_fixed_size 0
		.amdhsa_kernarg_size 100
		.amdhsa_user_sgpr_count 2
		.amdhsa_user_sgpr_dispatch_ptr 0
		.amdhsa_user_sgpr_queue_ptr 0
		.amdhsa_user_sgpr_kernarg_segment_ptr 1
		.amdhsa_user_sgpr_dispatch_id 0
		.amdhsa_user_sgpr_private_segment_size 0
		.amdhsa_wavefront_size32 1
		.amdhsa_uses_dynamic_stack 0
		.amdhsa_enable_private_segment 0
		.amdhsa_system_sgpr_workgroup_id_x 1
		.amdhsa_system_sgpr_workgroup_id_y 1
		.amdhsa_system_sgpr_workgroup_id_z 1
		.amdhsa_system_sgpr_workgroup_info 0
		.amdhsa_system_vgpr_workitem_id 1
		.amdhsa_next_free_vgpr 50
		.amdhsa_next_free_sgpr 36
		.amdhsa_reserve_vcc 1
		.amdhsa_float_round_mode_32 0
		.amdhsa_float_round_mode_16_64 0
		.amdhsa_float_denorm_mode_32 3
		.amdhsa_float_denorm_mode_16_64 3
		.amdhsa_fp16_overflow 0
		.amdhsa_workgroup_processor_mode 1
		.amdhsa_memory_ordered 1
		.amdhsa_forward_progress 1
		.amdhsa_inst_pref_size 16
		.amdhsa_round_robin_scheduling 0
		.amdhsa_exception_fp_ieee_invalid_op 0
		.amdhsa_exception_fp_denorm_src 0
		.amdhsa_exception_fp_ieee_div_zero 0
		.amdhsa_exception_fp_ieee_overflow 0
		.amdhsa_exception_fp_ieee_underflow 0
		.amdhsa_exception_fp_ieee_inexact 0
		.amdhsa_exception_int_div_zero 0
	.end_amdhsa_kernel
	.section	.text._ZL29rocblas_internal_gemmt_kernelIiLi16ELi32ELi8ELc78ELc84ELc85ELb0ELb0EddPKdPdEviT_T9_T10_S3_lS5_S3_lS4_T11_S3_li,"axG",@progbits,_ZL29rocblas_internal_gemmt_kernelIiLi16ELi32ELi8ELc78ELc84ELc85ELb0ELb0EddPKdPdEviT_T9_T10_S3_lS5_S3_lS4_T11_S3_li,comdat
.Lfunc_end55:
	.size	_ZL29rocblas_internal_gemmt_kernelIiLi16ELi32ELi8ELc78ELc84ELc85ELb0ELb0EddPKdPdEviT_T9_T10_S3_lS5_S3_lS4_T11_S3_li, .Lfunc_end55-_ZL29rocblas_internal_gemmt_kernelIiLi16ELi32ELi8ELc78ELc84ELc85ELb0ELb0EddPKdPdEviT_T9_T10_S3_lS5_S3_lS4_T11_S3_li
                                        ; -- End function
	.set _ZL29rocblas_internal_gemmt_kernelIiLi16ELi32ELi8ELc78ELc84ELc85ELb0ELb0EddPKdPdEviT_T9_T10_S3_lS5_S3_lS4_T11_S3_li.num_vgpr, 50
	.set _ZL29rocblas_internal_gemmt_kernelIiLi16ELi32ELi8ELc78ELc84ELc85ELb0ELb0EddPKdPdEviT_T9_T10_S3_lS5_S3_lS4_T11_S3_li.num_agpr, 0
	.set _ZL29rocblas_internal_gemmt_kernelIiLi16ELi32ELi8ELc78ELc84ELc85ELb0ELb0EddPKdPdEviT_T9_T10_S3_lS5_S3_lS4_T11_S3_li.numbered_sgpr, 36
	.set _ZL29rocblas_internal_gemmt_kernelIiLi16ELi32ELi8ELc78ELc84ELc85ELb0ELb0EddPKdPdEviT_T9_T10_S3_lS5_S3_lS4_T11_S3_li.num_named_barrier, 0
	.set _ZL29rocblas_internal_gemmt_kernelIiLi16ELi32ELi8ELc78ELc84ELc85ELb0ELb0EddPKdPdEviT_T9_T10_S3_lS5_S3_lS4_T11_S3_li.private_seg_size, 0
	.set _ZL29rocblas_internal_gemmt_kernelIiLi16ELi32ELi8ELc78ELc84ELc85ELb0ELb0EddPKdPdEviT_T9_T10_S3_lS5_S3_lS4_T11_S3_li.uses_vcc, 1
	.set _ZL29rocblas_internal_gemmt_kernelIiLi16ELi32ELi8ELc78ELc84ELc85ELb0ELb0EddPKdPdEviT_T9_T10_S3_lS5_S3_lS4_T11_S3_li.uses_flat_scratch, 0
	.set _ZL29rocblas_internal_gemmt_kernelIiLi16ELi32ELi8ELc78ELc84ELc85ELb0ELb0EddPKdPdEviT_T9_T10_S3_lS5_S3_lS4_T11_S3_li.has_dyn_sized_stack, 0
	.set _ZL29rocblas_internal_gemmt_kernelIiLi16ELi32ELi8ELc78ELc84ELc85ELb0ELb0EddPKdPdEviT_T9_T10_S3_lS5_S3_lS4_T11_S3_li.has_recursion, 0
	.set _ZL29rocblas_internal_gemmt_kernelIiLi16ELi32ELi8ELc78ELc84ELc85ELb0ELb0EddPKdPdEviT_T9_T10_S3_lS5_S3_lS4_T11_S3_li.has_indirect_call, 0
	.section	.AMDGPU.csdata,"",@progbits
; Kernel info:
; codeLenInByte = 2036
; TotalNumSgprs: 38
; NumVgprs: 50
; ScratchSize: 0
; MemoryBound: 0
; FloatMode: 240
; IeeeMode: 1
; LDSByteSize: 4096 bytes/workgroup (compile time only)
; SGPRBlocks: 0
; VGPRBlocks: 6
; NumSGPRsForWavesPerEU: 38
; NumVGPRsForWavesPerEU: 50
; Occupancy: 16
; WaveLimiterHint : 0
; COMPUTE_PGM_RSRC2:SCRATCH_EN: 0
; COMPUTE_PGM_RSRC2:USER_SGPR: 2
; COMPUTE_PGM_RSRC2:TRAP_HANDLER: 0
; COMPUTE_PGM_RSRC2:TGID_X_EN: 1
; COMPUTE_PGM_RSRC2:TGID_Y_EN: 1
; COMPUTE_PGM_RSRC2:TGID_Z_EN: 1
; COMPUTE_PGM_RSRC2:TIDIG_COMP_CNT: 1
	.section	.text._ZL29rocblas_internal_gemmt_kernelIiLi16ELi32ELi8ELc78ELc67ELc85ELb0ELb0EddPKdPdEviT_T9_T10_S3_lS5_S3_lS4_T11_S3_li,"axG",@progbits,_ZL29rocblas_internal_gemmt_kernelIiLi16ELi32ELi8ELc78ELc67ELc85ELb0ELb0EddPKdPdEviT_T9_T10_S3_lS5_S3_lS4_T11_S3_li,comdat
	.globl	_ZL29rocblas_internal_gemmt_kernelIiLi16ELi32ELi8ELc78ELc67ELc85ELb0ELb0EddPKdPdEviT_T9_T10_S3_lS5_S3_lS4_T11_S3_li ; -- Begin function _ZL29rocblas_internal_gemmt_kernelIiLi16ELi32ELi8ELc78ELc67ELc85ELb0ELb0EddPKdPdEviT_T9_T10_S3_lS5_S3_lS4_T11_S3_li
	.p2align	8
	.type	_ZL29rocblas_internal_gemmt_kernelIiLi16ELi32ELi8ELc78ELc67ELc85ELb0ELb0EddPKdPdEviT_T9_T10_S3_lS5_S3_lS4_T11_S3_li,@function
_ZL29rocblas_internal_gemmt_kernelIiLi16ELi32ELi8ELc78ELc67ELc85ELb0ELb0EddPKdPdEviT_T9_T10_S3_lS5_S3_lS4_T11_S3_li: ; @_ZL29rocblas_internal_gemmt_kernelIiLi16ELi32ELi8ELc78ELc67ELc85ELb0ELb0EddPKdPdEviT_T9_T10_S3_lS5_S3_lS4_T11_S3_li
; %bb.0:
	s_clause 0x2
	s_load_b128 s[4:7], s[0:1], 0x38
	s_load_b64 s[20:21], s[0:1], 0x0
	s_load_b128 s[8:11], s[0:1], 0x8
	s_wait_kmcnt 0x0
	v_cmp_neq_f64_e64 s2, s[6:7], 1.0
	s_and_b32 vcc_lo, exec_lo, s2
	s_cbranch_vccnz .LBB56_2
; %bb.1:
	v_cmp_neq_f64_e64 s2, s[8:9], 0
	s_cmp_lg_u32 s21, 0
	s_cselect_b32 s3, -1, 0
	s_delay_alu instid0(SALU_CYCLE_1)
	s_and_b32 s2, s3, s2
.LBB56_2:
	s_delay_alu instid0(SALU_CYCLE_1)
	s_and_not1_b32 vcc_lo, exec_lo, s2
	s_cbranch_vccnz .LBB56_33
; %bb.3:
	s_load_b32 s19, s[0:1], 0x60
	s_lshr_b32 s22, ttmp7, 16
	s_wait_kmcnt 0x0
	s_cmp_ge_u32 s22, s19
	s_cbranch_scc1 .LBB56_33
; %bb.4:
	v_and_b32_e32 v1, 0x3ff, v0
	v_bfe_u32 v2, v0, 10, 10
	v_and_b32_e32 v28, 7, v0
	s_clause 0x4
	s_load_b32 s26, s[0:1], 0x18
	s_load_b32 s28, s[0:1], 0x30
	s_load_b96 s[16:18], s[0:1], 0x48
	s_load_b64 s[24:25], s[0:1], 0x58
	s_load_b128 s[12:15], s[0:1], 0x20
	v_lshl_add_u32 v0, v2, 4, v1
	v_lshlrev_b32_e32 v6, 3, v28
	s_lshl_b32 s0, ttmp7, 5
	s_lshl_b32 s2, ttmp9, 5
	s_and_b32 s3, s0, 0x1fffe0
	v_and_b32_e32 v3, 31, v0
	v_lshrrev_b32_e32 v5, 3, v0
	v_lshrrev_b32_e32 v29, 5, v0
	v_cmp_neq_f64_e64 s34, s[8:9], 0
	v_cmp_neq_f64_e64 s30, s[6:7], 0
	v_lshlrev_b32_e32 v0, 3, v3
	v_or_b32_e32 v4, s2, v3
	v_add_nc_u32_e32 v14, s3, v5
	v_lshl_or_b32 v3, v5, 6, v6
	v_add_nc_u32_e32 v5, s3, v2
	v_lshl_or_b32 v30, v29, 8, v0
	v_add_nc_u32_e32 v0, s2, v1
	v_lshl_add_u32 v33, v2, 6, 0x800
	s_wait_kmcnt 0x0
	s_ashr_i32 s27, s26, 31
	v_cmp_gt_i32_e32 vcc_lo, s20, v5
	s_ashr_i32 s29, s28, 31
	v_cmp_le_i32_e64 s2, v0, v5
	v_add_nc_u32_e32 v2, 16, v0
	v_mad_co_i64_i32 v[6:7], null, v29, s26, 0
	s_cmp_gt_i32 s21, 0
	v_mad_co_i64_i32 v[8:9], null, v5, s18, 0
	s_cselect_b32 s35, -1, 0
	s_and_b32 s31, vcc_lo, s2
	v_cmp_le_i32_e64 s2, v2, v5
	v_add_nc_u32_e32 v12, 16, v5
	v_ashrrev_i32_e32 v5, 31, v4
	v_cmp_gt_i32_e64 s0, s20, v4
	v_lshlrev_b64_e32 v[6:7], 3, v[6:7]
	v_mad_co_i64_i32 v[10:11], null, s28, v28, 0
	s_delay_alu instid0(VALU_DEP_4)
	v_lshlrev_b64_e32 v[4:5], 3, v[4:5]
	s_and_b32 s33, vcc_lo, s2
	v_cmp_gt_i32_e32 vcc_lo, s20, v12
	v_cmp_le_i32_e64 s2, v0, v12
	v_cmp_le_i32_e64 s3, v2, v12
	v_cmp_gt_i32_e64 s1, s20, v14
	v_mad_co_i64_i32 v[12:13], null, v12, s18, 0
	s_and_b32 s18, vcc_lo, s2
	s_and_b32 s20, vcc_lo, s3
	v_add_co_u32 v4, vcc_lo, v6, v4
	s_delay_alu instid0(VALU_DEP_1) | instskip(SKIP_2) | instid1(VALU_DEP_4)
	v_add_co_ci_u32_e64 v5, null, v7, v5, vcc_lo
	v_lshlrev_b64_e32 v[6:7], 3, v[10:11]
	v_lshlrev_b32_e32 v10, 3, v14
	v_add_co_u32 v4, vcc_lo, s10, v4
	s_wait_alu 0xfffd
	v_add_co_ci_u32_e64 v5, null, s11, v5, vcc_lo
	s_delay_alu instid0(VALU_DEP_3) | instskip(SKIP_3) | instid1(VALU_DEP_3)
	v_add_co_u32 v6, vcc_lo, v6, v10
	s_wait_alu 0xfffd
	v_add_co_ci_u32_e64 v7, null, 0, v7, vcc_lo
	v_lshlrev_b64_e32 v[8:9], 3, v[8:9]
	v_add_co_u32 v6, vcc_lo, s14, v6
	v_lshlrev_b64_e32 v[10:11], 3, v[12:13]
	v_add_nc_u32_e32 v31, 0x800, v3
	v_lshlrev_b32_e32 v32, 3, v1
	v_ashrrev_i32_e32 v1, 31, v0
	v_ashrrev_i32_e32 v3, 31, v2
	s_wait_alu 0xfffd
	v_add_co_ci_u32_e64 v7, null, s15, v7, vcc_lo
	s_mov_b32 s23, 0
	s_lshl_b64 s[2:3], s[12:13], 3
	s_and_b32 s34, s34, s35
	s_lshl_b64 s[10:11], s[26:27], 6
	s_lshl_b64 s[4:5], s[4:5], 3
	;; [unrolled: 1-line block ×3, first 2 shown]
	s_branch .LBB56_6
.LBB56_5:                               ;   in Loop: Header=BB56_6 Depth=1
	s_wait_alu 0xfffe
	s_or_b32 exec_lo, exec_lo, s14
	s_add_co_i32 s22, s22, 0x10000
	s_wait_alu 0xfffe
	s_cmp_lt_u32 s22, s19
	s_cbranch_scc0 .LBB56_33
.LBB56_6:                               ; =>This Loop Header: Depth=1
                                        ;     Child Loop BB56_9 Depth 2
	v_mov_b32_e32 v22, 0
	v_dual_mov_b32 v14, 0 :: v_dual_mov_b32 v23, 0
	v_dual_mov_b32 v20, 0 :: v_dual_mov_b32 v15, 0
	;; [unrolled: 1-line block ×3, first 2 shown]
	v_mov_b32_e32 v13, 0
	s_and_not1_b32 vcc_lo, exec_lo, s34
	s_wait_alu 0xfffe
	s_cbranch_vccnz .LBB56_13
; %bb.7:                                ;   in Loop: Header=BB56_6 Depth=1
	v_mad_co_u64_u32 v[16:17], null, s2, s22, v[4:5]
	v_mad_co_u64_u32 v[18:19], null, s4, s22, v[6:7]
	s_mov_b32 s14, 0
	v_mov_b32_e32 v22, 0
	v_dual_mov_b32 v23, 0 :: v_dual_mov_b32 v12, v17
	v_mov_b32_e32 v13, v19
	s_delay_alu instid0(VALU_DEP_1)
	v_mad_co_u64_u32 v[19:20], null, s3, s22, v[12:13]
	v_mad_co_u64_u32 v[24:25], null, s5, s22, v[13:14]
	v_mov_b32_e32 v12, 0
	v_dual_mov_b32 v20, 0 :: v_dual_mov_b32 v13, 0
	v_dual_mov_b32 v14, 0 :: v_dual_mov_b32 v21, 0
	v_mov_b32_e32 v15, 0
	v_mov_b32_e32 v17, v19
	;; [unrolled: 1-line block ×3, first 2 shown]
	s_branch .LBB56_9
.LBB56_8:                               ;   in Loop: Header=BB56_9 Depth=2
	s_wait_alu 0xfffe
	s_or_b32 exec_lo, exec_lo, s15
	s_wait_loadcnt 0x0
	ds_store_b64 v31, v[26:27]
	s_wait_dscnt 0x0
	s_barrier_signal -1
	s_barrier_wait -1
	global_inv scope:SCOPE_SE
	ds_load_b128 v[24:27], v33
	ds_load_2addr_b64 v[34:37], v32 offset1:16
	ds_load_b128 v[38:41], v33 offset:1024
	ds_load_b128 v[42:45], v33 offset:16
	ds_load_b128 v[46:49], v33 offset:1040
	v_add_co_u32 v16, vcc_lo, v16, s10
	s_wait_alu 0xfffd
	v_add_co_ci_u32_e64 v17, null, s11, v17, vcc_lo
	v_add_co_u32 v18, vcc_lo, v18, s12
	s_wait_alu 0xfffd
	v_add_co_ci_u32_e64 v19, null, s13, v19, vcc_lo
	s_add_co_i32 s14, s14, 8
	s_wait_alu 0xfffe
	s_cmp_lt_i32 s14, s21
	s_wait_dscnt 0x3
	v_fma_f64 v[22:23], v[34:35], v[24:25], v[22:23]
	v_fma_f64 v[20:21], v[36:37], v[24:25], v[20:21]
	s_wait_dscnt 0x2
	v_fma_f64 v[24:25], v[34:35], v[38:39], v[14:15]
	v_fma_f64 v[34:35], v[36:37], v[38:39], v[12:13]
	ds_load_2addr_b64 v[12:15], v32 offset0:32 offset1:48
	s_wait_dscnt 0x0
	v_fma_f64 v[22:23], v[12:13], v[26:27], v[22:23]
	v_fma_f64 v[20:21], v[14:15], v[26:27], v[20:21]
	v_fma_f64 v[24:25], v[12:13], v[40:41], v[24:25]
	v_fma_f64 v[26:27], v[14:15], v[40:41], v[34:35]
	ds_load_2addr_b64 v[12:15], v32 offset0:64 offset1:80
	s_wait_dscnt 0x0
	v_fma_f64 v[22:23], v[12:13], v[42:43], v[22:23]
	v_fma_f64 v[20:21], v[14:15], v[42:43], v[20:21]
	;; [unrolled: 6-line block ×3, first 2 shown]
	v_fma_f64 v[46:47], v[12:13], v[48:49], v[24:25]
	v_fma_f64 v[48:49], v[14:15], v[48:49], v[26:27]
	ds_load_b128 v[12:15], v33 offset:32
	ds_load_2addr_b64 v[20:23], v32 offset0:128 offset1:144
	ds_load_b128 v[24:27], v33 offset:1056
	ds_load_b128 v[34:37], v33 offset:48
	;; [unrolled: 1-line block ×3, first 2 shown]
	s_wait_dscnt 0x3
	v_fma_f64 v[42:43], v[20:21], v[12:13], v[42:43]
	v_fma_f64 v[12:13], v[22:23], v[12:13], v[44:45]
	s_wait_dscnt 0x2
	v_fma_f64 v[44:45], v[20:21], v[24:25], v[46:47]
	v_fma_f64 v[24:25], v[22:23], v[24:25], v[48:49]
	ds_load_2addr_b64 v[20:23], v32 offset0:160 offset1:176
	s_wait_dscnt 0x0
	v_fma_f64 v[42:43], v[20:21], v[14:15], v[42:43]
	v_fma_f64 v[46:47], v[22:23], v[14:15], v[12:13]
	;; [unrolled: 1-line block ×4, first 2 shown]
	ds_load_2addr_b64 v[12:15], v32 offset0:192 offset1:208
	ds_load_2addr_b64 v[24:27], v32 offset0:224 offset1:240
	s_wait_loadcnt_dscnt 0x0
	s_barrier_signal -1
	s_barrier_wait -1
	global_inv scope:SCOPE_SE
	v_fma_f64 v[42:43], v[12:13], v[34:35], v[42:43]
	v_fma_f64 v[34:35], v[14:15], v[34:35], v[46:47]
	;; [unrolled: 1-line block ×4, first 2 shown]
	s_delay_alu instid0(VALU_DEP_4) | instskip(NEXT) | instid1(VALU_DEP_4)
	v_fma_f64 v[22:23], v[24:25], v[36:37], v[42:43]
	v_fma_f64 v[20:21], v[26:27], v[36:37], v[34:35]
	s_delay_alu instid0(VALU_DEP_4) | instskip(NEXT) | instid1(VALU_DEP_4)
	v_fma_f64 v[14:15], v[24:25], v[40:41], v[12:13]
	v_fma_f64 v[12:13], v[26:27], v[40:41], v[38:39]
	s_cbranch_scc0 .LBB56_13
.LBB56_9:                               ;   Parent Loop BB56_6 Depth=1
                                        ; =>  This Inner Loop Header: Depth=2
	s_wait_alu 0xfffe
	v_add_nc_u32_e32 v24, s14, v29
	s_delay_alu instid0(VALU_DEP_1)
	v_cmp_gt_i32_e32 vcc_lo, s21, v24
	v_mov_b32_e32 v24, 0
	v_mov_b32_e32 v25, 0
	s_and_b32 s26, s0, vcc_lo
	s_wait_alu 0xfffe
	s_and_saveexec_b32 s15, s26
	s_cbranch_execz .LBB56_11
; %bb.10:                               ;   in Loop: Header=BB56_9 Depth=2
	global_load_b64 v[24:25], v[16:17], off
.LBB56_11:                              ;   in Loop: Header=BB56_9 Depth=2
	s_wait_alu 0xfffe
	s_or_b32 exec_lo, exec_lo, s15
	v_add_nc_u32_e32 v26, s14, v28
	s_wait_loadcnt 0x0
	ds_store_b64 v30, v[24:25]
	v_cmp_gt_i32_e32 vcc_lo, s21, v26
	v_mov_b32_e32 v26, 0
	v_mov_b32_e32 v27, 0
	s_and_b32 s26, vcc_lo, s1
	s_wait_alu 0xfffe
	s_and_saveexec_b32 s15, s26
	s_cbranch_execz .LBB56_8
; %bb.12:                               ;   in Loop: Header=BB56_9 Depth=2
	global_load_b64 v[26:27], v[18:19], off
	s_branch .LBB56_8
.LBB56_13:                              ;   in Loop: Header=BB56_6 Depth=1
	s_mul_u64 s[14:15], s[24:25], s[22:23]
	s_wait_alu 0xfffe
	s_lshl_b64 s[14:15], s[14:15], 3
	s_wait_alu 0xfffe
	s_add_nc_u64 s[14:15], s[16:17], s[14:15]
	s_wait_alu 0xfffe
	v_add_co_u32 v18, vcc_lo, s14, v8
	s_wait_alu 0xfffd
	v_add_co_ci_u32_e64 v19, null, s15, v9, vcc_lo
	s_and_saveexec_b32 s26, s31
	s_cbranch_execz .LBB56_17
; %bb.14:                               ;   in Loop: Header=BB56_6 Depth=1
	v_mul_f64_e32 v[16:17], s[8:9], v[22:23]
	s_and_b32 vcc_lo, exec_lo, s30
	s_wait_alu 0xfffe
	s_cbranch_vccz .LBB56_28
; %bb.15:                               ;   in Loop: Header=BB56_6 Depth=1
	v_lshlrev_b64_e32 v[22:23], 3, v[0:1]
	s_delay_alu instid0(VALU_DEP_1) | instskip(SKIP_1) | instid1(VALU_DEP_2)
	v_add_co_u32 v22, vcc_lo, v18, v22
	s_wait_alu 0xfffd
	v_add_co_ci_u32_e64 v23, null, v19, v23, vcc_lo
	global_load_b64 v[24:25], v[22:23], off
	s_wait_loadcnt 0x0
	v_fma_f64 v[24:25], s[6:7], v[24:25], v[16:17]
	global_store_b64 v[22:23], v[24:25], off
	s_cbranch_execnz .LBB56_17
.LBB56_16:                              ;   in Loop: Header=BB56_6 Depth=1
	v_lshlrev_b64_e32 v[22:23], 3, v[0:1]
	s_delay_alu instid0(VALU_DEP_1) | instskip(SKIP_1) | instid1(VALU_DEP_2)
	v_add_co_u32 v22, vcc_lo, v18, v22
	s_wait_alu 0xfffd
	v_add_co_ci_u32_e64 v23, null, v19, v23, vcc_lo
	global_store_b64 v[22:23], v[16:17], off
.LBB56_17:                              ;   in Loop: Header=BB56_6 Depth=1
	s_wait_alu 0xfffe
	s_or_b32 exec_lo, exec_lo, s26
	s_and_saveexec_b32 s26, s33
	s_cbranch_execz .LBB56_21
; %bb.18:                               ;   in Loop: Header=BB56_6 Depth=1
	v_mul_f64_e32 v[16:17], s[8:9], v[20:21]
	s_and_not1_b32 vcc_lo, exec_lo, s30
	s_wait_alu 0xfffe
	s_cbranch_vccnz .LBB56_29
; %bb.19:                               ;   in Loop: Header=BB56_6 Depth=1
	v_lshlrev_b64_e32 v[20:21], 3, v[2:3]
	s_delay_alu instid0(VALU_DEP_1) | instskip(SKIP_1) | instid1(VALU_DEP_2)
	v_add_co_u32 v20, vcc_lo, v18, v20
	s_wait_alu 0xfffd
	v_add_co_ci_u32_e64 v21, null, v19, v21, vcc_lo
	global_load_b64 v[22:23], v[20:21], off
	s_wait_loadcnt 0x0
	v_fma_f64 v[22:23], s[6:7], v[22:23], v[16:17]
	global_store_b64 v[20:21], v[22:23], off
	s_cbranch_execnz .LBB56_21
.LBB56_20:                              ;   in Loop: Header=BB56_6 Depth=1
	v_lshlrev_b64_e32 v[20:21], 3, v[2:3]
	s_delay_alu instid0(VALU_DEP_1) | instskip(SKIP_1) | instid1(VALU_DEP_2)
	v_add_co_u32 v18, vcc_lo, v18, v20
	s_wait_alu 0xfffd
	v_add_co_ci_u32_e64 v19, null, v19, v21, vcc_lo
	global_store_b64 v[18:19], v[16:17], off
.LBB56_21:                              ;   in Loop: Header=BB56_6 Depth=1
	s_wait_alu 0xfffe
	s_or_b32 exec_lo, exec_lo, s26
	v_add_co_u32 v18, vcc_lo, s14, v10
	s_wait_alu 0xfffd
	v_add_co_ci_u32_e64 v19, null, s15, v11, vcc_lo
	s_and_saveexec_b32 s14, s18
	s_cbranch_execz .LBB56_25
; %bb.22:                               ;   in Loop: Header=BB56_6 Depth=1
	v_mul_f64_e32 v[14:15], s[8:9], v[14:15]
	v_lshlrev_b64_e32 v[16:17], 3, v[0:1]
	s_and_not1_b32 vcc_lo, exec_lo, s30
	s_wait_alu 0xfffe
	s_cbranch_vccnz .LBB56_30
; %bb.23:                               ;   in Loop: Header=BB56_6 Depth=1
	s_delay_alu instid0(VALU_DEP_1)
	v_add_co_u32 v20, vcc_lo, v18, v16
	s_wait_alu 0xfffd
	v_add_co_ci_u32_e64 v21, null, v19, v17, vcc_lo
	global_load_b64 v[22:23], v[20:21], off
	s_wait_loadcnt 0x0
	v_fma_f64 v[22:23], s[6:7], v[22:23], v[14:15]
	global_store_b64 v[20:21], v[22:23], off
	s_cbranch_execnz .LBB56_25
.LBB56_24:                              ;   in Loop: Header=BB56_6 Depth=1
	s_delay_alu instid0(VALU_DEP_1)
	v_add_co_u32 v16, vcc_lo, v18, v16
	s_wait_alu 0xfffd
	v_add_co_ci_u32_e64 v17, null, v19, v17, vcc_lo
	global_store_b64 v[16:17], v[14:15], off
.LBB56_25:                              ;   in Loop: Header=BB56_6 Depth=1
	s_wait_alu 0xfffe
	s_or_b32 exec_lo, exec_lo, s14
	s_and_saveexec_b32 s14, s20
	s_cbranch_execz .LBB56_5
; %bb.26:                               ;   in Loop: Header=BB56_6 Depth=1
	v_mul_f64_e32 v[12:13], s[8:9], v[12:13]
	v_lshlrev_b64_e32 v[14:15], 3, v[2:3]
	s_and_not1_b32 vcc_lo, exec_lo, s30
	s_wait_alu 0xfffe
	s_cbranch_vccnz .LBB56_31
; %bb.27:                               ;   in Loop: Header=BB56_6 Depth=1
	s_delay_alu instid0(VALU_DEP_1)
	v_add_co_u32 v16, vcc_lo, v18, v14
	s_wait_alu 0xfffd
	v_add_co_ci_u32_e64 v17, null, v19, v15, vcc_lo
	global_load_b64 v[20:21], v[16:17], off
	s_wait_loadcnt 0x0
	v_fma_f64 v[20:21], s[6:7], v[20:21], v[12:13]
	global_store_b64 v[16:17], v[20:21], off
	s_cbranch_execnz .LBB56_5
	s_branch .LBB56_32
.LBB56_28:                              ;   in Loop: Header=BB56_6 Depth=1
	s_branch .LBB56_16
.LBB56_29:                              ;   in Loop: Header=BB56_6 Depth=1
	s_branch .LBB56_20
.LBB56_30:                              ;   in Loop: Header=BB56_6 Depth=1
	s_branch .LBB56_24
.LBB56_31:                              ;   in Loop: Header=BB56_6 Depth=1
.LBB56_32:                              ;   in Loop: Header=BB56_6 Depth=1
	s_delay_alu instid0(VALU_DEP_1)
	v_add_co_u32 v14, vcc_lo, v18, v14
	s_wait_alu 0xfffd
	v_add_co_ci_u32_e64 v15, null, v19, v15, vcc_lo
	global_store_b64 v[14:15], v[12:13], off
	s_branch .LBB56_5
.LBB56_33:
	s_endpgm
	.section	.rodata,"a",@progbits
	.p2align	6, 0x0
	.amdhsa_kernel _ZL29rocblas_internal_gemmt_kernelIiLi16ELi32ELi8ELc78ELc67ELc85ELb0ELb0EddPKdPdEviT_T9_T10_S3_lS5_S3_lS4_T11_S3_li
		.amdhsa_group_segment_fixed_size 4096
		.amdhsa_private_segment_fixed_size 0
		.amdhsa_kernarg_size 100
		.amdhsa_user_sgpr_count 2
		.amdhsa_user_sgpr_dispatch_ptr 0
		.amdhsa_user_sgpr_queue_ptr 0
		.amdhsa_user_sgpr_kernarg_segment_ptr 1
		.amdhsa_user_sgpr_dispatch_id 0
		.amdhsa_user_sgpr_private_segment_size 0
		.amdhsa_wavefront_size32 1
		.amdhsa_uses_dynamic_stack 0
		.amdhsa_enable_private_segment 0
		.amdhsa_system_sgpr_workgroup_id_x 1
		.amdhsa_system_sgpr_workgroup_id_y 1
		.amdhsa_system_sgpr_workgroup_id_z 1
		.amdhsa_system_sgpr_workgroup_info 0
		.amdhsa_system_vgpr_workitem_id 1
		.amdhsa_next_free_vgpr 50
		.amdhsa_next_free_sgpr 36
		.amdhsa_reserve_vcc 1
		.amdhsa_float_round_mode_32 0
		.amdhsa_float_round_mode_16_64 0
		.amdhsa_float_denorm_mode_32 3
		.amdhsa_float_denorm_mode_16_64 3
		.amdhsa_fp16_overflow 0
		.amdhsa_workgroup_processor_mode 1
		.amdhsa_memory_ordered 1
		.amdhsa_forward_progress 1
		.amdhsa_inst_pref_size 16
		.amdhsa_round_robin_scheduling 0
		.amdhsa_exception_fp_ieee_invalid_op 0
		.amdhsa_exception_fp_denorm_src 0
		.amdhsa_exception_fp_ieee_div_zero 0
		.amdhsa_exception_fp_ieee_overflow 0
		.amdhsa_exception_fp_ieee_underflow 0
		.amdhsa_exception_fp_ieee_inexact 0
		.amdhsa_exception_int_div_zero 0
	.end_amdhsa_kernel
	.section	.text._ZL29rocblas_internal_gemmt_kernelIiLi16ELi32ELi8ELc78ELc67ELc85ELb0ELb0EddPKdPdEviT_T9_T10_S3_lS5_S3_lS4_T11_S3_li,"axG",@progbits,_ZL29rocblas_internal_gemmt_kernelIiLi16ELi32ELi8ELc78ELc67ELc85ELb0ELb0EddPKdPdEviT_T9_T10_S3_lS5_S3_lS4_T11_S3_li,comdat
.Lfunc_end56:
	.size	_ZL29rocblas_internal_gemmt_kernelIiLi16ELi32ELi8ELc78ELc67ELc85ELb0ELb0EddPKdPdEviT_T9_T10_S3_lS5_S3_lS4_T11_S3_li, .Lfunc_end56-_ZL29rocblas_internal_gemmt_kernelIiLi16ELi32ELi8ELc78ELc67ELc85ELb0ELb0EddPKdPdEviT_T9_T10_S3_lS5_S3_lS4_T11_S3_li
                                        ; -- End function
	.set _ZL29rocblas_internal_gemmt_kernelIiLi16ELi32ELi8ELc78ELc67ELc85ELb0ELb0EddPKdPdEviT_T9_T10_S3_lS5_S3_lS4_T11_S3_li.num_vgpr, 50
	.set _ZL29rocblas_internal_gemmt_kernelIiLi16ELi32ELi8ELc78ELc67ELc85ELb0ELb0EddPKdPdEviT_T9_T10_S3_lS5_S3_lS4_T11_S3_li.num_agpr, 0
	.set _ZL29rocblas_internal_gemmt_kernelIiLi16ELi32ELi8ELc78ELc67ELc85ELb0ELb0EddPKdPdEviT_T9_T10_S3_lS5_S3_lS4_T11_S3_li.numbered_sgpr, 36
	.set _ZL29rocblas_internal_gemmt_kernelIiLi16ELi32ELi8ELc78ELc67ELc85ELb0ELb0EddPKdPdEviT_T9_T10_S3_lS5_S3_lS4_T11_S3_li.num_named_barrier, 0
	.set _ZL29rocblas_internal_gemmt_kernelIiLi16ELi32ELi8ELc78ELc67ELc85ELb0ELb0EddPKdPdEviT_T9_T10_S3_lS5_S3_lS4_T11_S3_li.private_seg_size, 0
	.set _ZL29rocblas_internal_gemmt_kernelIiLi16ELi32ELi8ELc78ELc67ELc85ELb0ELb0EddPKdPdEviT_T9_T10_S3_lS5_S3_lS4_T11_S3_li.uses_vcc, 1
	.set _ZL29rocblas_internal_gemmt_kernelIiLi16ELi32ELi8ELc78ELc67ELc85ELb0ELb0EddPKdPdEviT_T9_T10_S3_lS5_S3_lS4_T11_S3_li.uses_flat_scratch, 0
	.set _ZL29rocblas_internal_gemmt_kernelIiLi16ELi32ELi8ELc78ELc67ELc85ELb0ELb0EddPKdPdEviT_T9_T10_S3_lS5_S3_lS4_T11_S3_li.has_dyn_sized_stack, 0
	.set _ZL29rocblas_internal_gemmt_kernelIiLi16ELi32ELi8ELc78ELc67ELc85ELb0ELb0EddPKdPdEviT_T9_T10_S3_lS5_S3_lS4_T11_S3_li.has_recursion, 0
	.set _ZL29rocblas_internal_gemmt_kernelIiLi16ELi32ELi8ELc78ELc67ELc85ELb0ELb0EddPKdPdEviT_T9_T10_S3_lS5_S3_lS4_T11_S3_li.has_indirect_call, 0
	.section	.AMDGPU.csdata,"",@progbits
; Kernel info:
; codeLenInByte = 2036
; TotalNumSgprs: 38
; NumVgprs: 50
; ScratchSize: 0
; MemoryBound: 0
; FloatMode: 240
; IeeeMode: 1
; LDSByteSize: 4096 bytes/workgroup (compile time only)
; SGPRBlocks: 0
; VGPRBlocks: 6
; NumSGPRsForWavesPerEU: 38
; NumVGPRsForWavesPerEU: 50
; Occupancy: 16
; WaveLimiterHint : 0
; COMPUTE_PGM_RSRC2:SCRATCH_EN: 0
; COMPUTE_PGM_RSRC2:USER_SGPR: 2
; COMPUTE_PGM_RSRC2:TRAP_HANDLER: 0
; COMPUTE_PGM_RSRC2:TGID_X_EN: 1
; COMPUTE_PGM_RSRC2:TGID_Y_EN: 1
; COMPUTE_PGM_RSRC2:TGID_Z_EN: 1
; COMPUTE_PGM_RSRC2:TIDIG_COMP_CNT: 1
	.section	.text._ZL29rocblas_internal_gemmt_kernelIiLi16ELi32ELi8ELc84ELc78ELc85ELb0ELb0EddPKdPdEviT_T9_T10_S3_lS5_S3_lS4_T11_S3_li,"axG",@progbits,_ZL29rocblas_internal_gemmt_kernelIiLi16ELi32ELi8ELc84ELc78ELc85ELb0ELb0EddPKdPdEviT_T9_T10_S3_lS5_S3_lS4_T11_S3_li,comdat
	.globl	_ZL29rocblas_internal_gemmt_kernelIiLi16ELi32ELi8ELc84ELc78ELc85ELb0ELb0EddPKdPdEviT_T9_T10_S3_lS5_S3_lS4_T11_S3_li ; -- Begin function _ZL29rocblas_internal_gemmt_kernelIiLi16ELi32ELi8ELc84ELc78ELc85ELb0ELb0EddPKdPdEviT_T9_T10_S3_lS5_S3_lS4_T11_S3_li
	.p2align	8
	.type	_ZL29rocblas_internal_gemmt_kernelIiLi16ELi32ELi8ELc84ELc78ELc85ELb0ELb0EddPKdPdEviT_T9_T10_S3_lS5_S3_lS4_T11_S3_li,@function
_ZL29rocblas_internal_gemmt_kernelIiLi16ELi32ELi8ELc84ELc78ELc85ELb0ELb0EddPKdPdEviT_T9_T10_S3_lS5_S3_lS4_T11_S3_li: ; @_ZL29rocblas_internal_gemmt_kernelIiLi16ELi32ELi8ELc84ELc78ELc85ELb0ELb0EddPKdPdEviT_T9_T10_S3_lS5_S3_lS4_T11_S3_li
; %bb.0:
	s_clause 0x2
	s_load_b128 s[4:7], s[0:1], 0x38
	s_load_b64 s[20:21], s[0:1], 0x0
	s_load_b128 s[8:11], s[0:1], 0x8
	s_wait_kmcnt 0x0
	v_cmp_neq_f64_e64 s2, s[6:7], 1.0
	s_and_b32 vcc_lo, exec_lo, s2
	s_cbranch_vccnz .LBB57_2
; %bb.1:
	v_cmp_neq_f64_e64 s2, s[8:9], 0
	s_cmp_lg_u32 s21, 0
	s_cselect_b32 s3, -1, 0
	s_delay_alu instid0(SALU_CYCLE_1)
	s_and_b32 s2, s3, s2
.LBB57_2:
	s_delay_alu instid0(SALU_CYCLE_1)
	s_and_not1_b32 vcc_lo, exec_lo, s2
	s_cbranch_vccnz .LBB57_33
; %bb.3:
	s_load_b32 s19, s[0:1], 0x60
	s_lshr_b32 s22, ttmp7, 16
	s_wait_kmcnt 0x0
	s_cmp_ge_u32 s22, s19
	s_cbranch_scc1 .LBB57_33
; %bb.4:
	v_and_b32_e32 v1, 0x3ff, v0
	v_bfe_u32 v2, v0, 10, 10
	v_and_b32_e32 v28, 7, v0
	s_clause 0x4
	s_load_b32 s29, s[0:1], 0x18
	s_load_b128 s[12:15], s[0:1], 0x20
	s_load_b32 s30, s[0:1], 0x30
	s_load_b96 s[16:18], s[0:1], 0x48
	s_load_b64 s[24:25], s[0:1], 0x58
	v_cmp_neq_f64_e64 s31, s[8:9], 0
	s_lshl_b32 s1, ttmp9, 5
	v_lshl_add_u32 v0, v2, 4, v1
	v_lshlrev_b32_e32 v12, 3, v28
	v_cmp_neq_f64_e64 s26, s[6:7], 0
	v_add_nc_u32_e32 v10, s1, v1
	s_lshl_b32 s0, ttmp7, 5
	v_and_b32_e32 v3, 31, v0
	v_lshrrev_b32_e32 v4, 3, v0
	v_lshrrev_b32_e32 v29, 5, v0
	s_wait_alu 0xfffe
	s_and_b32 s2, s0, 0x1fffe0
	v_lshl_add_u32 v33, v2, 6, 0x800
	v_lshlrev_b32_e32 v0, 3, v3
	v_or_b32_e32 v5, s1, v3
	v_lshl_or_b32 v3, v4, 6, v12
	v_add_nc_u32_e32 v8, s2, v4
	v_add_nc_u32_e32 v4, s2, v2
	v_lshl_or_b32 v30, v29, 8, v0
	v_add_nc_u32_e32 v0, 16, v10
	v_add_nc_u32_e32 v31, 0x800, v3
	s_wait_kmcnt 0x0
	v_mad_co_i64_i32 v[2:3], null, s29, v5, 0
	v_cmp_gt_i32_e64 s0, s20, v5
	v_cmp_gt_i32_e32 vcc_lo, s20, v4
	v_cmp_le_i32_e64 s2, v10, v4
	v_cmp_le_i32_e64 s3, v0, v4
	v_mad_co_i64_i32 v[6:7], null, v4, s18, 0
	v_add_nc_u32_e32 v13, 16, v4
	v_mad_co_i64_i32 v[4:5], null, s30, v8, 0
	v_lshlrev_b64_e32 v[2:3], 3, v[2:3]
	v_lshlrev_b32_e32 v14, 3, v29
	s_cmp_gt_i32 s21, 0
	v_cmp_gt_i32_e64 s1, s20, v8
	s_cselect_b32 s33, -1, 0
	s_and_b32 s28, vcc_lo, s3
	v_lshlrev_b64_e32 v[4:5], 3, v[4:5]
	v_mad_co_i64_i32 v[8:9], null, v13, s18, 0
	v_add_co_u32 v2, s3, v2, v14
	s_and_b32 s27, vcc_lo, s2
	v_cmp_gt_i32_e32 vcc_lo, s20, v13
	v_cmp_le_i32_e64 s2, v10, v13
	v_add_co_ci_u32_e64 v3, null, 0, v3, s3
	v_add_co_u32 v4, s3, v4, v12
	v_ashrrev_i32_e32 v11, 31, v10
	s_wait_alu 0xf1ff
	v_add_co_ci_u32_e64 v5, null, 0, v5, s3
	v_add_co_u32 v2, s3, s10, v2
	s_and_b32 s18, vcc_lo, s2
	v_cmp_le_i32_e64 s2, v0, v13
	v_add_co_ci_u32_e64 v3, null, s11, v3, s3
	v_add_co_u32 v4, s3, s14, v4
	v_lshlrev_b64_e32 v[6:7], 3, v[6:7]
	v_lshlrev_b64_e32 v[8:9], 3, v[8:9]
	;; [unrolled: 1-line block ×3, first 2 shown]
	v_lshlrev_b32_e32 v32, 3, v1
	v_ashrrev_i32_e32 v1, 31, v0
	s_wait_alu 0xf1ff
	v_add_co_ci_u32_e64 v5, null, s15, v5, s3
	s_mov_b32 s23, 0
	s_and_b32 s14, s31, s33
	s_and_b32 s15, vcc_lo, s2
	s_lshl_b64 s[2:3], s[12:13], 3
	s_lshl_b64 s[4:5], s[4:5], 3
	s_branch .LBB57_6
.LBB57_5:                               ;   in Loop: Header=BB57_6 Depth=1
	s_wait_alu 0xfffe
	s_or_b32 exec_lo, exec_lo, s10
	s_add_co_i32 s22, s22, 0x10000
	s_wait_alu 0xfffe
	s_cmp_lt_u32 s22, s19
	s_cbranch_scc0 .LBB57_33
.LBB57_6:                               ; =>This Loop Header: Depth=1
                                        ;     Child Loop BB57_9 Depth 2
	v_mov_b32_e32 v22, 0
	v_dual_mov_b32 v14, 0 :: v_dual_mov_b32 v23, 0
	v_dual_mov_b32 v20, 0 :: v_dual_mov_b32 v15, 0
	;; [unrolled: 1-line block ×3, first 2 shown]
	v_mov_b32_e32 v13, 0
	s_wait_alu 0xfffe
	s_and_not1_b32 vcc_lo, exec_lo, s14
	s_wait_alu 0xfffe
	s_cbranch_vccnz .LBB57_13
; %bb.7:                                ;   in Loop: Header=BB57_6 Depth=1
	v_mad_co_u64_u32 v[16:17], null, s2, s22, v[2:3]
	v_mad_co_u64_u32 v[18:19], null, s4, s22, v[4:5]
	s_mov_b32 s10, 0
	v_mov_b32_e32 v22, 0
	v_dual_mov_b32 v23, 0 :: v_dual_mov_b32 v12, v17
	v_mov_b32_e32 v13, v19
	s_delay_alu instid0(VALU_DEP_1)
	v_mad_co_u64_u32 v[19:20], null, s3, s22, v[12:13]
	v_mad_co_u64_u32 v[24:25], null, s5, s22, v[13:14]
	v_mov_b32_e32 v12, 0
	v_dual_mov_b32 v20, 0 :: v_dual_mov_b32 v13, 0
	v_dual_mov_b32 v14, 0 :: v_dual_mov_b32 v21, 0
	v_mov_b32_e32 v15, 0
	v_mov_b32_e32 v17, v19
	;; [unrolled: 1-line block ×3, first 2 shown]
	s_branch .LBB57_9
.LBB57_8:                               ;   in Loop: Header=BB57_9 Depth=2
	s_wait_alu 0xfffe
	s_or_b32 exec_lo, exec_lo, s11
	s_wait_loadcnt 0x0
	ds_store_b64 v31, v[26:27]
	s_wait_dscnt 0x0
	s_barrier_signal -1
	s_barrier_wait -1
	global_inv scope:SCOPE_SE
	ds_load_b128 v[24:27], v33
	ds_load_2addr_b64 v[34:37], v32 offset1:16
	ds_load_b128 v[38:41], v33 offset:1024
	ds_load_b128 v[42:45], v33 offset:16
	;; [unrolled: 1-line block ×3, first 2 shown]
	v_add_co_u32 v16, vcc_lo, v16, 64
	s_wait_alu 0xfffd
	v_add_co_ci_u32_e64 v17, null, 0, v17, vcc_lo
	v_add_co_u32 v18, vcc_lo, v18, 64
	s_wait_alu 0xfffd
	v_add_co_ci_u32_e64 v19, null, 0, v19, vcc_lo
	s_add_co_i32 s10, s10, 8
	s_wait_alu 0xfffe
	s_cmp_lt_i32 s10, s21
	s_wait_dscnt 0x3
	v_fma_f64 v[22:23], v[34:35], v[24:25], v[22:23]
	v_fma_f64 v[20:21], v[36:37], v[24:25], v[20:21]
	s_wait_dscnt 0x2
	v_fma_f64 v[24:25], v[34:35], v[38:39], v[14:15]
	v_fma_f64 v[34:35], v[36:37], v[38:39], v[12:13]
	ds_load_2addr_b64 v[12:15], v32 offset0:32 offset1:48
	s_wait_dscnt 0x0
	v_fma_f64 v[22:23], v[12:13], v[26:27], v[22:23]
	v_fma_f64 v[20:21], v[14:15], v[26:27], v[20:21]
	v_fma_f64 v[24:25], v[12:13], v[40:41], v[24:25]
	v_fma_f64 v[26:27], v[14:15], v[40:41], v[34:35]
	ds_load_2addr_b64 v[12:15], v32 offset0:64 offset1:80
	s_wait_dscnt 0x0
	v_fma_f64 v[22:23], v[12:13], v[42:43], v[22:23]
	v_fma_f64 v[20:21], v[14:15], v[42:43], v[20:21]
	;; [unrolled: 6-line block ×3, first 2 shown]
	v_fma_f64 v[46:47], v[12:13], v[48:49], v[24:25]
	v_fma_f64 v[48:49], v[14:15], v[48:49], v[26:27]
	ds_load_b128 v[12:15], v33 offset:32
	ds_load_2addr_b64 v[20:23], v32 offset0:128 offset1:144
	ds_load_b128 v[24:27], v33 offset:1056
	ds_load_b128 v[34:37], v33 offset:48
	;; [unrolled: 1-line block ×3, first 2 shown]
	s_wait_dscnt 0x3
	v_fma_f64 v[42:43], v[20:21], v[12:13], v[42:43]
	v_fma_f64 v[12:13], v[22:23], v[12:13], v[44:45]
	s_wait_dscnt 0x2
	v_fma_f64 v[44:45], v[20:21], v[24:25], v[46:47]
	v_fma_f64 v[24:25], v[22:23], v[24:25], v[48:49]
	ds_load_2addr_b64 v[20:23], v32 offset0:160 offset1:176
	s_wait_dscnt 0x0
	v_fma_f64 v[42:43], v[20:21], v[14:15], v[42:43]
	v_fma_f64 v[46:47], v[22:23], v[14:15], v[12:13]
	;; [unrolled: 1-line block ×4, first 2 shown]
	ds_load_2addr_b64 v[12:15], v32 offset0:192 offset1:208
	ds_load_2addr_b64 v[24:27], v32 offset0:224 offset1:240
	s_wait_loadcnt_dscnt 0x0
	s_barrier_signal -1
	s_barrier_wait -1
	global_inv scope:SCOPE_SE
	v_fma_f64 v[42:43], v[12:13], v[34:35], v[42:43]
	v_fma_f64 v[34:35], v[14:15], v[34:35], v[46:47]
	;; [unrolled: 1-line block ×4, first 2 shown]
	s_delay_alu instid0(VALU_DEP_4) | instskip(NEXT) | instid1(VALU_DEP_4)
	v_fma_f64 v[22:23], v[24:25], v[36:37], v[42:43]
	v_fma_f64 v[20:21], v[26:27], v[36:37], v[34:35]
	s_delay_alu instid0(VALU_DEP_4) | instskip(NEXT) | instid1(VALU_DEP_4)
	v_fma_f64 v[14:15], v[24:25], v[40:41], v[12:13]
	v_fma_f64 v[12:13], v[26:27], v[40:41], v[38:39]
	s_cbranch_scc0 .LBB57_13
.LBB57_9:                               ;   Parent Loop BB57_6 Depth=1
                                        ; =>  This Inner Loop Header: Depth=2
	s_wait_alu 0xfffe
	v_add_nc_u32_e32 v24, s10, v29
	s_delay_alu instid0(VALU_DEP_1) | instskip(SKIP_3) | instid1(SALU_CYCLE_1)
	v_cmp_gt_i32_e32 vcc_lo, s21, v24
	v_mov_b32_e32 v24, 0
	v_mov_b32_e32 v25, 0
	s_and_b32 s12, s0, vcc_lo
	s_and_saveexec_b32 s11, s12
	s_cbranch_execz .LBB57_11
; %bb.10:                               ;   in Loop: Header=BB57_9 Depth=2
	global_load_b64 v[24:25], v[16:17], off
.LBB57_11:                              ;   in Loop: Header=BB57_9 Depth=2
	s_wait_alu 0xfffe
	s_or_b32 exec_lo, exec_lo, s11
	v_add_nc_u32_e32 v26, s10, v28
	s_wait_loadcnt 0x0
	ds_store_b64 v30, v[24:25]
	v_cmp_gt_i32_e32 vcc_lo, s21, v26
	v_mov_b32_e32 v26, 0
	v_mov_b32_e32 v27, 0
	s_and_b32 s12, vcc_lo, s1
	s_delay_alu instid0(SALU_CYCLE_1)
	s_and_saveexec_b32 s11, s12
	s_cbranch_execz .LBB57_8
; %bb.12:                               ;   in Loop: Header=BB57_9 Depth=2
	global_load_b64 v[26:27], v[18:19], off
	s_branch .LBB57_8
.LBB57_13:                              ;   in Loop: Header=BB57_6 Depth=1
	s_mul_u64 s[10:11], s[24:25], s[22:23]
	s_wait_alu 0xfffe
	s_lshl_b64 s[10:11], s[10:11], 3
	s_wait_alu 0xfffe
	s_add_nc_u64 s[10:11], s[16:17], s[10:11]
	s_wait_alu 0xfffe
	v_add_co_u32 v18, vcc_lo, s10, v6
	s_wait_alu 0xfffd
	v_add_co_ci_u32_e64 v19, null, s11, v7, vcc_lo
	s_and_saveexec_b32 s12, s27
	s_cbranch_execz .LBB57_17
; %bb.14:                               ;   in Loop: Header=BB57_6 Depth=1
	v_mul_f64_e32 v[16:17], s[8:9], v[22:23]
	s_and_b32 vcc_lo, exec_lo, s26
	s_wait_alu 0xfffe
	s_cbranch_vccz .LBB57_28
; %bb.15:                               ;   in Loop: Header=BB57_6 Depth=1
	v_add_co_u32 v22, vcc_lo, v18, v10
	s_wait_alu 0xfffd
	v_add_co_ci_u32_e64 v23, null, v19, v11, vcc_lo
	global_load_b64 v[24:25], v[22:23], off
	s_wait_loadcnt 0x0
	v_fma_f64 v[24:25], s[6:7], v[24:25], v[16:17]
	global_store_b64 v[22:23], v[24:25], off
	s_cbranch_execnz .LBB57_17
.LBB57_16:                              ;   in Loop: Header=BB57_6 Depth=1
	v_add_co_u32 v22, vcc_lo, v18, v10
	s_wait_alu 0xfffd
	v_add_co_ci_u32_e64 v23, null, v19, v11, vcc_lo
	global_store_b64 v[22:23], v[16:17], off
.LBB57_17:                              ;   in Loop: Header=BB57_6 Depth=1
	s_or_b32 exec_lo, exec_lo, s12
	s_and_saveexec_b32 s12, s28
	s_cbranch_execz .LBB57_21
; %bb.18:                               ;   in Loop: Header=BB57_6 Depth=1
	v_mul_f64_e32 v[16:17], s[8:9], v[20:21]
	s_and_not1_b32 vcc_lo, exec_lo, s26
	s_wait_alu 0xfffe
	s_cbranch_vccnz .LBB57_29
; %bb.19:                               ;   in Loop: Header=BB57_6 Depth=1
	v_lshlrev_b64_e32 v[20:21], 3, v[0:1]
	s_delay_alu instid0(VALU_DEP_1) | instskip(SKIP_1) | instid1(VALU_DEP_2)
	v_add_co_u32 v20, vcc_lo, v18, v20
	s_wait_alu 0xfffd
	v_add_co_ci_u32_e64 v21, null, v19, v21, vcc_lo
	global_load_b64 v[22:23], v[20:21], off
	s_wait_loadcnt 0x0
	v_fma_f64 v[22:23], s[6:7], v[22:23], v[16:17]
	global_store_b64 v[20:21], v[22:23], off
	s_cbranch_execnz .LBB57_21
.LBB57_20:                              ;   in Loop: Header=BB57_6 Depth=1
	v_lshlrev_b64_e32 v[20:21], 3, v[0:1]
	s_delay_alu instid0(VALU_DEP_1) | instskip(SKIP_1) | instid1(VALU_DEP_2)
	v_add_co_u32 v18, vcc_lo, v18, v20
	s_wait_alu 0xfffd
	v_add_co_ci_u32_e64 v19, null, v19, v21, vcc_lo
	global_store_b64 v[18:19], v[16:17], off
.LBB57_21:                              ;   in Loop: Header=BB57_6 Depth=1
	s_or_b32 exec_lo, exec_lo, s12
	v_add_co_u32 v16, vcc_lo, s10, v8
	s_wait_alu 0xfffd
	v_add_co_ci_u32_e64 v17, null, s11, v9, vcc_lo
	s_and_saveexec_b32 s10, s18
	s_cbranch_execz .LBB57_25
; %bb.22:                               ;   in Loop: Header=BB57_6 Depth=1
	v_mul_f64_e32 v[14:15], s[8:9], v[14:15]
	s_and_not1_b32 vcc_lo, exec_lo, s26
	s_wait_alu 0xfffe
	s_cbranch_vccnz .LBB57_30
; %bb.23:                               ;   in Loop: Header=BB57_6 Depth=1
	v_add_co_u32 v18, vcc_lo, v16, v10
	s_wait_alu 0xfffd
	v_add_co_ci_u32_e64 v19, null, v17, v11, vcc_lo
	global_load_b64 v[20:21], v[18:19], off
	s_wait_loadcnt 0x0
	v_fma_f64 v[20:21], s[6:7], v[20:21], v[14:15]
	global_store_b64 v[18:19], v[20:21], off
	s_cbranch_execnz .LBB57_25
.LBB57_24:                              ;   in Loop: Header=BB57_6 Depth=1
	v_add_co_u32 v18, vcc_lo, v16, v10
	s_wait_alu 0xfffd
	v_add_co_ci_u32_e64 v19, null, v17, v11, vcc_lo
	global_store_b64 v[18:19], v[14:15], off
.LBB57_25:                              ;   in Loop: Header=BB57_6 Depth=1
	s_wait_alu 0xfffe
	s_or_b32 exec_lo, exec_lo, s10
	s_and_saveexec_b32 s10, s15
	s_cbranch_execz .LBB57_5
; %bb.26:                               ;   in Loop: Header=BB57_6 Depth=1
	v_mul_f64_e32 v[12:13], s[8:9], v[12:13]
	v_lshlrev_b64_e32 v[14:15], 3, v[0:1]
	s_and_not1_b32 vcc_lo, exec_lo, s26
	s_wait_alu 0xfffe
	s_cbranch_vccnz .LBB57_31
; %bb.27:                               ;   in Loop: Header=BB57_6 Depth=1
	s_delay_alu instid0(VALU_DEP_1)
	v_add_co_u32 v18, vcc_lo, v16, v14
	s_wait_alu 0xfffd
	v_add_co_ci_u32_e64 v19, null, v17, v15, vcc_lo
	global_load_b64 v[20:21], v[18:19], off
	s_wait_loadcnt 0x0
	v_fma_f64 v[20:21], s[6:7], v[20:21], v[12:13]
	global_store_b64 v[18:19], v[20:21], off
	s_cbranch_execnz .LBB57_5
	s_branch .LBB57_32
.LBB57_28:                              ;   in Loop: Header=BB57_6 Depth=1
	s_branch .LBB57_16
.LBB57_29:                              ;   in Loop: Header=BB57_6 Depth=1
	s_branch .LBB57_20
.LBB57_30:                              ;   in Loop: Header=BB57_6 Depth=1
	s_branch .LBB57_24
.LBB57_31:                              ;   in Loop: Header=BB57_6 Depth=1
.LBB57_32:                              ;   in Loop: Header=BB57_6 Depth=1
	s_delay_alu instid0(VALU_DEP_1)
	v_add_co_u32 v14, vcc_lo, v16, v14
	s_wait_alu 0xfffd
	v_add_co_ci_u32_e64 v15, null, v17, v15, vcc_lo
	global_store_b64 v[14:15], v[12:13], off
	s_branch .LBB57_5
.LBB57_33:
	s_endpgm
	.section	.rodata,"a",@progbits
	.p2align	6, 0x0
	.amdhsa_kernel _ZL29rocblas_internal_gemmt_kernelIiLi16ELi32ELi8ELc84ELc78ELc85ELb0ELb0EddPKdPdEviT_T9_T10_S3_lS5_S3_lS4_T11_S3_li
		.amdhsa_group_segment_fixed_size 4096
		.amdhsa_private_segment_fixed_size 0
		.amdhsa_kernarg_size 100
		.amdhsa_user_sgpr_count 2
		.amdhsa_user_sgpr_dispatch_ptr 0
		.amdhsa_user_sgpr_queue_ptr 0
		.amdhsa_user_sgpr_kernarg_segment_ptr 1
		.amdhsa_user_sgpr_dispatch_id 0
		.amdhsa_user_sgpr_private_segment_size 0
		.amdhsa_wavefront_size32 1
		.amdhsa_uses_dynamic_stack 0
		.amdhsa_enable_private_segment 0
		.amdhsa_system_sgpr_workgroup_id_x 1
		.amdhsa_system_sgpr_workgroup_id_y 1
		.amdhsa_system_sgpr_workgroup_id_z 1
		.amdhsa_system_sgpr_workgroup_info 0
		.amdhsa_system_vgpr_workitem_id 1
		.amdhsa_next_free_vgpr 50
		.amdhsa_next_free_sgpr 34
		.amdhsa_reserve_vcc 1
		.amdhsa_float_round_mode_32 0
		.amdhsa_float_round_mode_16_64 0
		.amdhsa_float_denorm_mode_32 3
		.amdhsa_float_denorm_mode_16_64 3
		.amdhsa_fp16_overflow 0
		.amdhsa_workgroup_processor_mode 1
		.amdhsa_memory_ordered 1
		.amdhsa_forward_progress 1
		.amdhsa_inst_pref_size 16
		.amdhsa_round_robin_scheduling 0
		.amdhsa_exception_fp_ieee_invalid_op 0
		.amdhsa_exception_fp_denorm_src 0
		.amdhsa_exception_fp_ieee_div_zero 0
		.amdhsa_exception_fp_ieee_overflow 0
		.amdhsa_exception_fp_ieee_underflow 0
		.amdhsa_exception_fp_ieee_inexact 0
		.amdhsa_exception_int_div_zero 0
	.end_amdhsa_kernel
	.section	.text._ZL29rocblas_internal_gemmt_kernelIiLi16ELi32ELi8ELc84ELc78ELc85ELb0ELb0EddPKdPdEviT_T9_T10_S3_lS5_S3_lS4_T11_S3_li,"axG",@progbits,_ZL29rocblas_internal_gemmt_kernelIiLi16ELi32ELi8ELc84ELc78ELc85ELb0ELb0EddPKdPdEviT_T9_T10_S3_lS5_S3_lS4_T11_S3_li,comdat
.Lfunc_end57:
	.size	_ZL29rocblas_internal_gemmt_kernelIiLi16ELi32ELi8ELc84ELc78ELc85ELb0ELb0EddPKdPdEviT_T9_T10_S3_lS5_S3_lS4_T11_S3_li, .Lfunc_end57-_ZL29rocblas_internal_gemmt_kernelIiLi16ELi32ELi8ELc84ELc78ELc85ELb0ELb0EddPKdPdEviT_T9_T10_S3_lS5_S3_lS4_T11_S3_li
                                        ; -- End function
	.set _ZL29rocblas_internal_gemmt_kernelIiLi16ELi32ELi8ELc84ELc78ELc85ELb0ELb0EddPKdPdEviT_T9_T10_S3_lS5_S3_lS4_T11_S3_li.num_vgpr, 50
	.set _ZL29rocblas_internal_gemmt_kernelIiLi16ELi32ELi8ELc84ELc78ELc85ELb0ELb0EddPKdPdEviT_T9_T10_S3_lS5_S3_lS4_T11_S3_li.num_agpr, 0
	.set _ZL29rocblas_internal_gemmt_kernelIiLi16ELi32ELi8ELc84ELc78ELc85ELb0ELb0EddPKdPdEviT_T9_T10_S3_lS5_S3_lS4_T11_S3_li.numbered_sgpr, 34
	.set _ZL29rocblas_internal_gemmt_kernelIiLi16ELi32ELi8ELc84ELc78ELc85ELb0ELb0EddPKdPdEviT_T9_T10_S3_lS5_S3_lS4_T11_S3_li.num_named_barrier, 0
	.set _ZL29rocblas_internal_gemmt_kernelIiLi16ELi32ELi8ELc84ELc78ELc85ELb0ELb0EddPKdPdEviT_T9_T10_S3_lS5_S3_lS4_T11_S3_li.private_seg_size, 0
	.set _ZL29rocblas_internal_gemmt_kernelIiLi16ELi32ELi8ELc84ELc78ELc85ELb0ELb0EddPKdPdEviT_T9_T10_S3_lS5_S3_lS4_T11_S3_li.uses_vcc, 1
	.set _ZL29rocblas_internal_gemmt_kernelIiLi16ELi32ELi8ELc84ELc78ELc85ELb0ELb0EddPKdPdEviT_T9_T10_S3_lS5_S3_lS4_T11_S3_li.uses_flat_scratch, 0
	.set _ZL29rocblas_internal_gemmt_kernelIiLi16ELi32ELi8ELc84ELc78ELc85ELb0ELb0EddPKdPdEviT_T9_T10_S3_lS5_S3_lS4_T11_S3_li.has_dyn_sized_stack, 0
	.set _ZL29rocblas_internal_gemmt_kernelIiLi16ELi32ELi8ELc84ELc78ELc85ELb0ELb0EddPKdPdEviT_T9_T10_S3_lS5_S3_lS4_T11_S3_li.has_recursion, 0
	.set _ZL29rocblas_internal_gemmt_kernelIiLi16ELi32ELi8ELc84ELc78ELc85ELb0ELb0EddPKdPdEviT_T9_T10_S3_lS5_S3_lS4_T11_S3_li.has_indirect_call, 0
	.section	.AMDGPU.csdata,"",@progbits
; Kernel info:
; codeLenInByte = 1968
; TotalNumSgprs: 36
; NumVgprs: 50
; ScratchSize: 0
; MemoryBound: 0
; FloatMode: 240
; IeeeMode: 1
; LDSByteSize: 4096 bytes/workgroup (compile time only)
; SGPRBlocks: 0
; VGPRBlocks: 6
; NumSGPRsForWavesPerEU: 36
; NumVGPRsForWavesPerEU: 50
; Occupancy: 16
; WaveLimiterHint : 0
; COMPUTE_PGM_RSRC2:SCRATCH_EN: 0
; COMPUTE_PGM_RSRC2:USER_SGPR: 2
; COMPUTE_PGM_RSRC2:TRAP_HANDLER: 0
; COMPUTE_PGM_RSRC2:TGID_X_EN: 1
; COMPUTE_PGM_RSRC2:TGID_Y_EN: 1
; COMPUTE_PGM_RSRC2:TGID_Z_EN: 1
; COMPUTE_PGM_RSRC2:TIDIG_COMP_CNT: 1
	.section	.text._ZL29rocblas_internal_gemmt_kernelIiLi16ELi32ELi8ELc84ELc84ELc85ELb0ELb0EddPKdPdEviT_T9_T10_S3_lS5_S3_lS4_T11_S3_li,"axG",@progbits,_ZL29rocblas_internal_gemmt_kernelIiLi16ELi32ELi8ELc84ELc84ELc85ELb0ELb0EddPKdPdEviT_T9_T10_S3_lS5_S3_lS4_T11_S3_li,comdat
	.globl	_ZL29rocblas_internal_gemmt_kernelIiLi16ELi32ELi8ELc84ELc84ELc85ELb0ELb0EddPKdPdEviT_T9_T10_S3_lS5_S3_lS4_T11_S3_li ; -- Begin function _ZL29rocblas_internal_gemmt_kernelIiLi16ELi32ELi8ELc84ELc84ELc85ELb0ELb0EddPKdPdEviT_T9_T10_S3_lS5_S3_lS4_T11_S3_li
	.p2align	8
	.type	_ZL29rocblas_internal_gemmt_kernelIiLi16ELi32ELi8ELc84ELc84ELc85ELb0ELb0EddPKdPdEviT_T9_T10_S3_lS5_S3_lS4_T11_S3_li,@function
_ZL29rocblas_internal_gemmt_kernelIiLi16ELi32ELi8ELc84ELc84ELc85ELb0ELb0EddPKdPdEviT_T9_T10_S3_lS5_S3_lS4_T11_S3_li: ; @_ZL29rocblas_internal_gemmt_kernelIiLi16ELi32ELi8ELc84ELc84ELc85ELb0ELb0EddPKdPdEviT_T9_T10_S3_lS5_S3_lS4_T11_S3_li
; %bb.0:
	s_clause 0x2
	s_load_b128 s[4:7], s[0:1], 0x38
	s_load_b64 s[20:21], s[0:1], 0x0
	s_load_b128 s[8:11], s[0:1], 0x8
	s_wait_kmcnt 0x0
	v_cmp_neq_f64_e64 s2, s[6:7], 1.0
	s_and_b32 vcc_lo, exec_lo, s2
	s_cbranch_vccnz .LBB58_2
; %bb.1:
	v_cmp_neq_f64_e64 s2, s[8:9], 0
	s_cmp_lg_u32 s21, 0
	s_cselect_b32 s3, -1, 0
	s_delay_alu instid0(SALU_CYCLE_1)
	s_and_b32 s2, s3, s2
.LBB58_2:
	s_delay_alu instid0(SALU_CYCLE_1)
	s_and_not1_b32 vcc_lo, exec_lo, s2
	s_cbranch_vccnz .LBB58_33
; %bb.3:
	s_load_b32 s19, s[0:1], 0x60
	s_lshr_b32 s22, ttmp7, 16
	s_wait_kmcnt 0x0
	s_cmp_ge_u32 s22, s19
	s_cbranch_scc1 .LBB58_33
; %bb.4:
	v_and_b32_e32 v1, 0x3ff, v0
	v_bfe_u32 v2, v0, 10, 10
	v_and_b32_e32 v28, 7, v0
	s_clause 0x4
	s_load_b32 s31, s[0:1], 0x18
	s_load_b128 s[12:15], s[0:1], 0x20
	s_load_b96 s[16:18], s[0:1], 0x48
	s_load_b64 s[24:25], s[0:1], 0x58
	s_load_b32 s26, s[0:1], 0x30
	v_lshl_add_u32 v0, v2, 4, v1
	v_lshlrev_b32_e32 v4, 3, v28
	s_lshl_b32 s0, ttmp7, 5
	s_lshl_b32 s1, ttmp9, 5
	v_cmp_neq_f64_e64 s33, s[8:9], 0
	v_and_b32_e32 v3, 31, v0
	v_lshrrev_b32_e32 v29, 5, v0
	v_lshrrev_b32_e32 v0, 3, v0
	s_and_b32 s2, s0, 0x1fffe0
	v_add_nc_u32_e32 v10, s1, v1
	v_or_b32_e32 v5, s1, v3
	v_lshlrev_b32_e32 v3, 3, v3
	v_add_nc_u32_e32 v12, s2, v0
	v_lshl_or_b32 v0, v0, 6, v4
	v_cmp_neq_f64_e64 s28, s[6:7], 0
	v_lshl_add_u32 v33, v2, 6, 0x800
	v_lshl_or_b32 v30, v29, 8, v3
	v_add_nc_u32_e32 v3, s2, v2
	v_add_nc_u32_e32 v31, 0x800, v0
	;; [unrolled: 1-line block ×3, first 2 shown]
	v_cmp_gt_i32_e64 s0, s20, v5
	s_wait_kmcnt 0x0
	s_ashr_i32 s27, s26, 31
	v_cmp_gt_i32_e32 vcc_lo, s20, v3
	v_cmp_le_i32_e64 s2, v10, v3
	v_cmp_le_i32_e64 s3, v0, v3
	v_mad_co_i64_i32 v[6:7], null, v3, s18, 0
	v_add_nc_u32_e32 v8, 16, v3
	v_mad_co_i64_i32 v[2:3], null, s31, v5, 0
	v_mad_co_i64_i32 v[4:5], null, s26, v28, 0
	s_cmp_gt_i32 s21, 0
	v_lshlrev_b32_e32 v13, 3, v29
	s_cselect_b32 s34, -1, 0
	s_and_b32 s29, vcc_lo, s2
	v_lshlrev_b64_e32 v[2:3], 3, v[2:3]
	s_and_b32 s30, vcc_lo, s3
	v_cmp_gt_i32_e32 vcc_lo, s20, v8
	v_cmp_le_i32_e64 s2, v10, v8
	v_cmp_le_i32_e64 s3, v0, v8
	v_lshlrev_b64_e32 v[4:5], 3, v[4:5]
	v_cmp_gt_i32_e64 s1, s20, v12
	v_lshlrev_b32_e32 v12, 3, v12
	v_mad_co_i64_i32 v[8:9], null, v8, s18, 0
	s_and_b32 s18, vcc_lo, s2
	s_and_b32 s20, vcc_lo, s3
	v_add_co_u32 v2, vcc_lo, v2, v13
	s_delay_alu instid0(VALU_DEP_1)
	v_add_co_ci_u32_e64 v3, null, 0, v3, vcc_lo
	v_add_co_u32 v4, vcc_lo, v4, v12
	v_ashrrev_i32_e32 v11, 31, v10
	s_wait_alu 0xfffd
	v_add_co_ci_u32_e64 v5, null, 0, v5, vcc_lo
	v_add_co_u32 v2, vcc_lo, s10, v2
	s_wait_alu 0xfffd
	v_add_co_ci_u32_e64 v3, null, s11, v3, vcc_lo
	v_add_co_u32 v4, vcc_lo, s14, v4
	v_lshlrev_b64_e32 v[6:7], 3, v[6:7]
	v_lshlrev_b64_e32 v[8:9], 3, v[8:9]
	v_lshlrev_b64_e32 v[10:11], 3, v[10:11]
	v_lshlrev_b32_e32 v32, 3, v1
	v_ashrrev_i32_e32 v1, 31, v0
	s_wait_alu 0xfffd
	v_add_co_ci_u32_e64 v5, null, s15, v5, vcc_lo
	s_mov_b32 s23, 0
	s_and_b32 s14, s33, s34
	s_lshl_b64 s[2:3], s[12:13], 3
	s_lshl_b64 s[4:5], s[4:5], 3
	;; [unrolled: 1-line block ×3, first 2 shown]
	s_branch .LBB58_6
.LBB58_5:                               ;   in Loop: Header=BB58_6 Depth=1
	s_wait_alu 0xfffe
	s_or_b32 exec_lo, exec_lo, s12
	s_add_co_i32 s22, s22, 0x10000
	s_wait_alu 0xfffe
	s_cmp_lt_u32 s22, s19
	s_cbranch_scc0 .LBB58_33
.LBB58_6:                               ; =>This Loop Header: Depth=1
                                        ;     Child Loop BB58_9 Depth 2
	v_mov_b32_e32 v22, 0
	v_dual_mov_b32 v14, 0 :: v_dual_mov_b32 v23, 0
	v_dual_mov_b32 v20, 0 :: v_dual_mov_b32 v15, 0
	;; [unrolled: 1-line block ×3, first 2 shown]
	v_mov_b32_e32 v13, 0
	s_wait_alu 0xfffe
	s_and_not1_b32 vcc_lo, exec_lo, s14
	s_wait_alu 0xfffe
	s_cbranch_vccnz .LBB58_13
; %bb.7:                                ;   in Loop: Header=BB58_6 Depth=1
	v_mad_co_u64_u32 v[16:17], null, s2, s22, v[2:3]
	v_mad_co_u64_u32 v[18:19], null, s4, s22, v[4:5]
	s_mov_b32 s12, 0
	v_mov_b32_e32 v22, 0
	v_dual_mov_b32 v23, 0 :: v_dual_mov_b32 v12, v17
	v_mov_b32_e32 v13, v19
	s_delay_alu instid0(VALU_DEP_1)
	v_mad_co_u64_u32 v[19:20], null, s3, s22, v[12:13]
	v_mad_co_u64_u32 v[24:25], null, s5, s22, v[13:14]
	v_mov_b32_e32 v12, 0
	v_dual_mov_b32 v20, 0 :: v_dual_mov_b32 v13, 0
	v_dual_mov_b32 v14, 0 :: v_dual_mov_b32 v21, 0
	v_mov_b32_e32 v15, 0
	v_mov_b32_e32 v17, v19
	;; [unrolled: 1-line block ×3, first 2 shown]
	s_branch .LBB58_9
.LBB58_8:                               ;   in Loop: Header=BB58_9 Depth=2
	s_wait_alu 0xfffe
	s_or_b32 exec_lo, exec_lo, s13
	s_wait_loadcnt 0x0
	ds_store_b64 v31, v[26:27]
	s_wait_dscnt 0x0
	s_barrier_signal -1
	s_barrier_wait -1
	global_inv scope:SCOPE_SE
	ds_load_b128 v[24:27], v33
	ds_load_2addr_b64 v[34:37], v32 offset1:16
	ds_load_b128 v[38:41], v33 offset:1024
	ds_load_b128 v[42:45], v33 offset:16
	;; [unrolled: 1-line block ×3, first 2 shown]
	v_add_co_u32 v16, vcc_lo, v16, 64
	s_wait_alu 0xfffd
	v_add_co_ci_u32_e64 v17, null, 0, v17, vcc_lo
	v_add_co_u32 v18, vcc_lo, v18, s10
	s_wait_alu 0xfffd
	v_add_co_ci_u32_e64 v19, null, s11, v19, vcc_lo
	s_add_co_i32 s12, s12, 8
	s_wait_alu 0xfffe
	s_cmp_lt_i32 s12, s21
	s_wait_dscnt 0x3
	v_fma_f64 v[22:23], v[34:35], v[24:25], v[22:23]
	v_fma_f64 v[20:21], v[36:37], v[24:25], v[20:21]
	s_wait_dscnt 0x2
	v_fma_f64 v[24:25], v[34:35], v[38:39], v[14:15]
	v_fma_f64 v[34:35], v[36:37], v[38:39], v[12:13]
	ds_load_2addr_b64 v[12:15], v32 offset0:32 offset1:48
	s_wait_dscnt 0x0
	v_fma_f64 v[22:23], v[12:13], v[26:27], v[22:23]
	v_fma_f64 v[20:21], v[14:15], v[26:27], v[20:21]
	v_fma_f64 v[24:25], v[12:13], v[40:41], v[24:25]
	v_fma_f64 v[26:27], v[14:15], v[40:41], v[34:35]
	ds_load_2addr_b64 v[12:15], v32 offset0:64 offset1:80
	s_wait_dscnt 0x0
	v_fma_f64 v[22:23], v[12:13], v[42:43], v[22:23]
	v_fma_f64 v[20:21], v[14:15], v[42:43], v[20:21]
	;; [unrolled: 6-line block ×3, first 2 shown]
	v_fma_f64 v[46:47], v[12:13], v[48:49], v[24:25]
	v_fma_f64 v[48:49], v[14:15], v[48:49], v[26:27]
	ds_load_b128 v[12:15], v33 offset:32
	ds_load_2addr_b64 v[20:23], v32 offset0:128 offset1:144
	ds_load_b128 v[24:27], v33 offset:1056
	ds_load_b128 v[34:37], v33 offset:48
	;; [unrolled: 1-line block ×3, first 2 shown]
	s_wait_dscnt 0x3
	v_fma_f64 v[42:43], v[20:21], v[12:13], v[42:43]
	v_fma_f64 v[12:13], v[22:23], v[12:13], v[44:45]
	s_wait_dscnt 0x2
	v_fma_f64 v[44:45], v[20:21], v[24:25], v[46:47]
	v_fma_f64 v[24:25], v[22:23], v[24:25], v[48:49]
	ds_load_2addr_b64 v[20:23], v32 offset0:160 offset1:176
	s_wait_dscnt 0x0
	v_fma_f64 v[42:43], v[20:21], v[14:15], v[42:43]
	v_fma_f64 v[46:47], v[22:23], v[14:15], v[12:13]
	;; [unrolled: 1-line block ×4, first 2 shown]
	ds_load_2addr_b64 v[12:15], v32 offset0:192 offset1:208
	ds_load_2addr_b64 v[24:27], v32 offset0:224 offset1:240
	s_wait_loadcnt_dscnt 0x0
	s_barrier_signal -1
	s_barrier_wait -1
	global_inv scope:SCOPE_SE
	v_fma_f64 v[42:43], v[12:13], v[34:35], v[42:43]
	v_fma_f64 v[34:35], v[14:15], v[34:35], v[46:47]
	;; [unrolled: 1-line block ×4, first 2 shown]
	s_delay_alu instid0(VALU_DEP_4) | instskip(NEXT) | instid1(VALU_DEP_4)
	v_fma_f64 v[22:23], v[24:25], v[36:37], v[42:43]
	v_fma_f64 v[20:21], v[26:27], v[36:37], v[34:35]
	s_delay_alu instid0(VALU_DEP_4) | instskip(NEXT) | instid1(VALU_DEP_4)
	v_fma_f64 v[14:15], v[24:25], v[40:41], v[12:13]
	v_fma_f64 v[12:13], v[26:27], v[40:41], v[38:39]
	s_cbranch_scc0 .LBB58_13
.LBB58_9:                               ;   Parent Loop BB58_6 Depth=1
                                        ; =>  This Inner Loop Header: Depth=2
	s_wait_alu 0xfffe
	v_add_nc_u32_e32 v24, s12, v29
	s_delay_alu instid0(VALU_DEP_1)
	v_cmp_gt_i32_e32 vcc_lo, s21, v24
	v_mov_b32_e32 v24, 0
	v_mov_b32_e32 v25, 0
	s_and_b32 s15, s0, vcc_lo
	s_wait_alu 0xfffe
	s_and_saveexec_b32 s13, s15
	s_cbranch_execz .LBB58_11
; %bb.10:                               ;   in Loop: Header=BB58_9 Depth=2
	global_load_b64 v[24:25], v[16:17], off
.LBB58_11:                              ;   in Loop: Header=BB58_9 Depth=2
	s_wait_alu 0xfffe
	s_or_b32 exec_lo, exec_lo, s13
	v_add_nc_u32_e32 v26, s12, v28
	s_wait_loadcnt 0x0
	ds_store_b64 v30, v[24:25]
	v_cmp_gt_i32_e32 vcc_lo, s21, v26
	v_mov_b32_e32 v26, 0
	v_mov_b32_e32 v27, 0
	s_and_b32 s15, vcc_lo, s1
	s_wait_alu 0xfffe
	s_and_saveexec_b32 s13, s15
	s_cbranch_execz .LBB58_8
; %bb.12:                               ;   in Loop: Header=BB58_9 Depth=2
	global_load_b64 v[26:27], v[18:19], off
	s_branch .LBB58_8
.LBB58_13:                              ;   in Loop: Header=BB58_6 Depth=1
	s_mul_u64 s[12:13], s[24:25], s[22:23]
	s_wait_alu 0xfffe
	s_lshl_b64 s[12:13], s[12:13], 3
	s_wait_alu 0xfffe
	s_add_nc_u64 s[12:13], s[16:17], s[12:13]
	s_wait_alu 0xfffe
	v_add_co_u32 v18, vcc_lo, s12, v6
	s_wait_alu 0xfffd
	v_add_co_ci_u32_e64 v19, null, s13, v7, vcc_lo
	s_and_saveexec_b32 s15, s29
	s_cbranch_execz .LBB58_17
; %bb.14:                               ;   in Loop: Header=BB58_6 Depth=1
	v_mul_f64_e32 v[16:17], s[8:9], v[22:23]
	s_and_b32 vcc_lo, exec_lo, s28
	s_wait_alu 0xfffe
	s_cbranch_vccz .LBB58_28
; %bb.15:                               ;   in Loop: Header=BB58_6 Depth=1
	v_add_co_u32 v22, vcc_lo, v18, v10
	s_wait_alu 0xfffd
	v_add_co_ci_u32_e64 v23, null, v19, v11, vcc_lo
	global_load_b64 v[24:25], v[22:23], off
	s_wait_loadcnt 0x0
	v_fma_f64 v[24:25], s[6:7], v[24:25], v[16:17]
	global_store_b64 v[22:23], v[24:25], off
	s_cbranch_execnz .LBB58_17
.LBB58_16:                              ;   in Loop: Header=BB58_6 Depth=1
	v_add_co_u32 v22, vcc_lo, v18, v10
	s_wait_alu 0xfffd
	v_add_co_ci_u32_e64 v23, null, v19, v11, vcc_lo
	global_store_b64 v[22:23], v[16:17], off
.LBB58_17:                              ;   in Loop: Header=BB58_6 Depth=1
	s_wait_alu 0xfffe
	s_or_b32 exec_lo, exec_lo, s15
	s_and_saveexec_b32 s15, s30
	s_cbranch_execz .LBB58_21
; %bb.18:                               ;   in Loop: Header=BB58_6 Depth=1
	v_mul_f64_e32 v[16:17], s[8:9], v[20:21]
	s_and_not1_b32 vcc_lo, exec_lo, s28
	s_wait_alu 0xfffe
	s_cbranch_vccnz .LBB58_29
; %bb.19:                               ;   in Loop: Header=BB58_6 Depth=1
	v_lshlrev_b64_e32 v[20:21], 3, v[0:1]
	s_delay_alu instid0(VALU_DEP_1) | instskip(SKIP_1) | instid1(VALU_DEP_2)
	v_add_co_u32 v20, vcc_lo, v18, v20
	s_wait_alu 0xfffd
	v_add_co_ci_u32_e64 v21, null, v19, v21, vcc_lo
	global_load_b64 v[22:23], v[20:21], off
	s_wait_loadcnt 0x0
	v_fma_f64 v[22:23], s[6:7], v[22:23], v[16:17]
	global_store_b64 v[20:21], v[22:23], off
	s_cbranch_execnz .LBB58_21
.LBB58_20:                              ;   in Loop: Header=BB58_6 Depth=1
	v_lshlrev_b64_e32 v[20:21], 3, v[0:1]
	s_delay_alu instid0(VALU_DEP_1) | instskip(SKIP_1) | instid1(VALU_DEP_2)
	v_add_co_u32 v18, vcc_lo, v18, v20
	s_wait_alu 0xfffd
	v_add_co_ci_u32_e64 v19, null, v19, v21, vcc_lo
	global_store_b64 v[18:19], v[16:17], off
.LBB58_21:                              ;   in Loop: Header=BB58_6 Depth=1
	s_wait_alu 0xfffe
	s_or_b32 exec_lo, exec_lo, s15
	v_add_co_u32 v16, vcc_lo, s12, v8
	s_wait_alu 0xfffd
	v_add_co_ci_u32_e64 v17, null, s13, v9, vcc_lo
	s_and_saveexec_b32 s12, s18
	s_cbranch_execz .LBB58_25
; %bb.22:                               ;   in Loop: Header=BB58_6 Depth=1
	v_mul_f64_e32 v[14:15], s[8:9], v[14:15]
	s_and_not1_b32 vcc_lo, exec_lo, s28
	s_wait_alu 0xfffe
	s_cbranch_vccnz .LBB58_30
; %bb.23:                               ;   in Loop: Header=BB58_6 Depth=1
	v_add_co_u32 v18, vcc_lo, v16, v10
	s_wait_alu 0xfffd
	v_add_co_ci_u32_e64 v19, null, v17, v11, vcc_lo
	global_load_b64 v[20:21], v[18:19], off
	s_wait_loadcnt 0x0
	v_fma_f64 v[20:21], s[6:7], v[20:21], v[14:15]
	global_store_b64 v[18:19], v[20:21], off
	s_cbranch_execnz .LBB58_25
.LBB58_24:                              ;   in Loop: Header=BB58_6 Depth=1
	v_add_co_u32 v18, vcc_lo, v16, v10
	s_wait_alu 0xfffd
	v_add_co_ci_u32_e64 v19, null, v17, v11, vcc_lo
	global_store_b64 v[18:19], v[14:15], off
.LBB58_25:                              ;   in Loop: Header=BB58_6 Depth=1
	s_wait_alu 0xfffe
	s_or_b32 exec_lo, exec_lo, s12
	s_and_saveexec_b32 s12, s20
	s_cbranch_execz .LBB58_5
; %bb.26:                               ;   in Loop: Header=BB58_6 Depth=1
	v_mul_f64_e32 v[12:13], s[8:9], v[12:13]
	v_lshlrev_b64_e32 v[14:15], 3, v[0:1]
	s_and_not1_b32 vcc_lo, exec_lo, s28
	s_wait_alu 0xfffe
	s_cbranch_vccnz .LBB58_31
; %bb.27:                               ;   in Loop: Header=BB58_6 Depth=1
	s_delay_alu instid0(VALU_DEP_1)
	v_add_co_u32 v18, vcc_lo, v16, v14
	s_wait_alu 0xfffd
	v_add_co_ci_u32_e64 v19, null, v17, v15, vcc_lo
	global_load_b64 v[20:21], v[18:19], off
	s_wait_loadcnt 0x0
	v_fma_f64 v[20:21], s[6:7], v[20:21], v[12:13]
	global_store_b64 v[18:19], v[20:21], off
	s_cbranch_execnz .LBB58_5
	s_branch .LBB58_32
.LBB58_28:                              ;   in Loop: Header=BB58_6 Depth=1
	s_branch .LBB58_16
.LBB58_29:                              ;   in Loop: Header=BB58_6 Depth=1
	s_branch .LBB58_20
.LBB58_30:                              ;   in Loop: Header=BB58_6 Depth=1
	s_branch .LBB58_24
.LBB58_31:                              ;   in Loop: Header=BB58_6 Depth=1
.LBB58_32:                              ;   in Loop: Header=BB58_6 Depth=1
	s_delay_alu instid0(VALU_DEP_1)
	v_add_co_u32 v14, vcc_lo, v16, v14
	s_wait_alu 0xfffd
	v_add_co_ci_u32_e64 v15, null, v17, v15, vcc_lo
	global_store_b64 v[14:15], v[12:13], off
	s_branch .LBB58_5
.LBB58_33:
	s_endpgm
	.section	.rodata,"a",@progbits
	.p2align	6, 0x0
	.amdhsa_kernel _ZL29rocblas_internal_gemmt_kernelIiLi16ELi32ELi8ELc84ELc84ELc85ELb0ELb0EddPKdPdEviT_T9_T10_S3_lS5_S3_lS4_T11_S3_li
		.amdhsa_group_segment_fixed_size 4096
		.amdhsa_private_segment_fixed_size 0
		.amdhsa_kernarg_size 100
		.amdhsa_user_sgpr_count 2
		.amdhsa_user_sgpr_dispatch_ptr 0
		.amdhsa_user_sgpr_queue_ptr 0
		.amdhsa_user_sgpr_kernarg_segment_ptr 1
		.amdhsa_user_sgpr_dispatch_id 0
		.amdhsa_user_sgpr_private_segment_size 0
		.amdhsa_wavefront_size32 1
		.amdhsa_uses_dynamic_stack 0
		.amdhsa_enable_private_segment 0
		.amdhsa_system_sgpr_workgroup_id_x 1
		.amdhsa_system_sgpr_workgroup_id_y 1
		.amdhsa_system_sgpr_workgroup_id_z 1
		.amdhsa_system_sgpr_workgroup_info 0
		.amdhsa_system_vgpr_workitem_id 1
		.amdhsa_next_free_vgpr 50
		.amdhsa_next_free_sgpr 35
		.amdhsa_reserve_vcc 1
		.amdhsa_float_round_mode_32 0
		.amdhsa_float_round_mode_16_64 0
		.amdhsa_float_denorm_mode_32 3
		.amdhsa_float_denorm_mode_16_64 3
		.amdhsa_fp16_overflow 0
		.amdhsa_workgroup_processor_mode 1
		.amdhsa_memory_ordered 1
		.amdhsa_forward_progress 1
		.amdhsa_inst_pref_size 16
		.amdhsa_round_robin_scheduling 0
		.amdhsa_exception_fp_ieee_invalid_op 0
		.amdhsa_exception_fp_denorm_src 0
		.amdhsa_exception_fp_ieee_div_zero 0
		.amdhsa_exception_fp_ieee_overflow 0
		.amdhsa_exception_fp_ieee_underflow 0
		.amdhsa_exception_fp_ieee_inexact 0
		.amdhsa_exception_int_div_zero 0
	.end_amdhsa_kernel
	.section	.text._ZL29rocblas_internal_gemmt_kernelIiLi16ELi32ELi8ELc84ELc84ELc85ELb0ELb0EddPKdPdEviT_T9_T10_S3_lS5_S3_lS4_T11_S3_li,"axG",@progbits,_ZL29rocblas_internal_gemmt_kernelIiLi16ELi32ELi8ELc84ELc84ELc85ELb0ELb0EddPKdPdEviT_T9_T10_S3_lS5_S3_lS4_T11_S3_li,comdat
.Lfunc_end58:
	.size	_ZL29rocblas_internal_gemmt_kernelIiLi16ELi32ELi8ELc84ELc84ELc85ELb0ELb0EddPKdPdEviT_T9_T10_S3_lS5_S3_lS4_T11_S3_li, .Lfunc_end58-_ZL29rocblas_internal_gemmt_kernelIiLi16ELi32ELi8ELc84ELc84ELc85ELb0ELb0EddPKdPdEviT_T9_T10_S3_lS5_S3_lS4_T11_S3_li
                                        ; -- End function
	.set _ZL29rocblas_internal_gemmt_kernelIiLi16ELi32ELi8ELc84ELc84ELc85ELb0ELb0EddPKdPdEviT_T9_T10_S3_lS5_S3_lS4_T11_S3_li.num_vgpr, 50
	.set _ZL29rocblas_internal_gemmt_kernelIiLi16ELi32ELi8ELc84ELc84ELc85ELb0ELb0EddPKdPdEviT_T9_T10_S3_lS5_S3_lS4_T11_S3_li.num_agpr, 0
	.set _ZL29rocblas_internal_gemmt_kernelIiLi16ELi32ELi8ELc84ELc84ELc85ELb0ELb0EddPKdPdEviT_T9_T10_S3_lS5_S3_lS4_T11_S3_li.numbered_sgpr, 35
	.set _ZL29rocblas_internal_gemmt_kernelIiLi16ELi32ELi8ELc84ELc84ELc85ELb0ELb0EddPKdPdEviT_T9_T10_S3_lS5_S3_lS4_T11_S3_li.num_named_barrier, 0
	.set _ZL29rocblas_internal_gemmt_kernelIiLi16ELi32ELi8ELc84ELc84ELc85ELb0ELb0EddPKdPdEviT_T9_T10_S3_lS5_S3_lS4_T11_S3_li.private_seg_size, 0
	.set _ZL29rocblas_internal_gemmt_kernelIiLi16ELi32ELi8ELc84ELc84ELc85ELb0ELb0EddPKdPdEviT_T9_T10_S3_lS5_S3_lS4_T11_S3_li.uses_vcc, 1
	.set _ZL29rocblas_internal_gemmt_kernelIiLi16ELi32ELi8ELc84ELc84ELc85ELb0ELb0EddPKdPdEviT_T9_T10_S3_lS5_S3_lS4_T11_S3_li.uses_flat_scratch, 0
	.set _ZL29rocblas_internal_gemmt_kernelIiLi16ELi32ELi8ELc84ELc84ELc85ELb0ELb0EddPKdPdEviT_T9_T10_S3_lS5_S3_lS4_T11_S3_li.has_dyn_sized_stack, 0
	.set _ZL29rocblas_internal_gemmt_kernelIiLi16ELi32ELi8ELc84ELc84ELc85ELb0ELb0EddPKdPdEviT_T9_T10_S3_lS5_S3_lS4_T11_S3_li.has_recursion, 0
	.set _ZL29rocblas_internal_gemmt_kernelIiLi16ELi32ELi8ELc84ELc84ELc85ELb0ELb0EddPKdPdEviT_T9_T10_S3_lS5_S3_lS4_T11_S3_li.has_indirect_call, 0
	.section	.AMDGPU.csdata,"",@progbits
; Kernel info:
; codeLenInByte = 1996
; TotalNumSgprs: 37
; NumVgprs: 50
; ScratchSize: 0
; MemoryBound: 0
; FloatMode: 240
; IeeeMode: 1
; LDSByteSize: 4096 bytes/workgroup (compile time only)
; SGPRBlocks: 0
; VGPRBlocks: 6
; NumSGPRsForWavesPerEU: 37
; NumVGPRsForWavesPerEU: 50
; Occupancy: 16
; WaveLimiterHint : 0
; COMPUTE_PGM_RSRC2:SCRATCH_EN: 0
; COMPUTE_PGM_RSRC2:USER_SGPR: 2
; COMPUTE_PGM_RSRC2:TRAP_HANDLER: 0
; COMPUTE_PGM_RSRC2:TGID_X_EN: 1
; COMPUTE_PGM_RSRC2:TGID_Y_EN: 1
; COMPUTE_PGM_RSRC2:TGID_Z_EN: 1
; COMPUTE_PGM_RSRC2:TIDIG_COMP_CNT: 1
	.section	.text._ZL29rocblas_internal_gemmt_kernelIiLi16ELi32ELi8ELc84ELc67ELc85ELb0ELb0EddPKdPdEviT_T9_T10_S3_lS5_S3_lS4_T11_S3_li,"axG",@progbits,_ZL29rocblas_internal_gemmt_kernelIiLi16ELi32ELi8ELc84ELc67ELc85ELb0ELb0EddPKdPdEviT_T9_T10_S3_lS5_S3_lS4_T11_S3_li,comdat
	.globl	_ZL29rocblas_internal_gemmt_kernelIiLi16ELi32ELi8ELc84ELc67ELc85ELb0ELb0EddPKdPdEviT_T9_T10_S3_lS5_S3_lS4_T11_S3_li ; -- Begin function _ZL29rocblas_internal_gemmt_kernelIiLi16ELi32ELi8ELc84ELc67ELc85ELb0ELb0EddPKdPdEviT_T9_T10_S3_lS5_S3_lS4_T11_S3_li
	.p2align	8
	.type	_ZL29rocblas_internal_gemmt_kernelIiLi16ELi32ELi8ELc84ELc67ELc85ELb0ELb0EddPKdPdEviT_T9_T10_S3_lS5_S3_lS4_T11_S3_li,@function
_ZL29rocblas_internal_gemmt_kernelIiLi16ELi32ELi8ELc84ELc67ELc85ELb0ELb0EddPKdPdEviT_T9_T10_S3_lS5_S3_lS4_T11_S3_li: ; @_ZL29rocblas_internal_gemmt_kernelIiLi16ELi32ELi8ELc84ELc67ELc85ELb0ELb0EddPKdPdEviT_T9_T10_S3_lS5_S3_lS4_T11_S3_li
; %bb.0:
	s_clause 0x2
	s_load_b128 s[4:7], s[0:1], 0x38
	s_load_b64 s[20:21], s[0:1], 0x0
	s_load_b128 s[8:11], s[0:1], 0x8
	s_wait_kmcnt 0x0
	v_cmp_neq_f64_e64 s2, s[6:7], 1.0
	s_and_b32 vcc_lo, exec_lo, s2
	s_cbranch_vccnz .LBB59_2
; %bb.1:
	v_cmp_neq_f64_e64 s2, s[8:9], 0
	s_cmp_lg_u32 s21, 0
	s_cselect_b32 s3, -1, 0
	s_delay_alu instid0(SALU_CYCLE_1)
	s_and_b32 s2, s3, s2
.LBB59_2:
	s_delay_alu instid0(SALU_CYCLE_1)
	s_and_not1_b32 vcc_lo, exec_lo, s2
	s_cbranch_vccnz .LBB59_33
; %bb.3:
	s_load_b32 s19, s[0:1], 0x60
	s_lshr_b32 s22, ttmp7, 16
	s_wait_kmcnt 0x0
	s_cmp_ge_u32 s22, s19
	s_cbranch_scc1 .LBB59_33
; %bb.4:
	v_and_b32_e32 v1, 0x3ff, v0
	v_bfe_u32 v2, v0, 10, 10
	v_and_b32_e32 v28, 7, v0
	s_clause 0x4
	s_load_b32 s31, s[0:1], 0x18
	s_load_b128 s[12:15], s[0:1], 0x20
	s_load_b96 s[16:18], s[0:1], 0x48
	s_load_b64 s[24:25], s[0:1], 0x58
	s_load_b32 s26, s[0:1], 0x30
	v_lshl_add_u32 v0, v2, 4, v1
	v_lshlrev_b32_e32 v4, 3, v28
	s_lshl_b32 s0, ttmp7, 5
	s_lshl_b32 s1, ttmp9, 5
	v_cmp_neq_f64_e64 s33, s[8:9], 0
	v_and_b32_e32 v3, 31, v0
	v_lshrrev_b32_e32 v29, 5, v0
	v_lshrrev_b32_e32 v0, 3, v0
	s_and_b32 s2, s0, 0x1fffe0
	v_add_nc_u32_e32 v10, s1, v1
	v_or_b32_e32 v5, s1, v3
	v_lshlrev_b32_e32 v3, 3, v3
	v_add_nc_u32_e32 v12, s2, v0
	v_lshl_or_b32 v0, v0, 6, v4
	v_cmp_neq_f64_e64 s28, s[6:7], 0
	v_lshl_add_u32 v33, v2, 6, 0x800
	v_lshl_or_b32 v30, v29, 8, v3
	v_add_nc_u32_e32 v3, s2, v2
	v_add_nc_u32_e32 v31, 0x800, v0
	;; [unrolled: 1-line block ×3, first 2 shown]
	v_cmp_gt_i32_e64 s0, s20, v5
	s_wait_kmcnt 0x0
	s_ashr_i32 s27, s26, 31
	v_cmp_gt_i32_e32 vcc_lo, s20, v3
	v_cmp_le_i32_e64 s2, v10, v3
	v_cmp_le_i32_e64 s3, v0, v3
	v_mad_co_i64_i32 v[6:7], null, v3, s18, 0
	v_add_nc_u32_e32 v8, 16, v3
	v_mad_co_i64_i32 v[2:3], null, s31, v5, 0
	v_mad_co_i64_i32 v[4:5], null, s26, v28, 0
	s_cmp_gt_i32 s21, 0
	v_lshlrev_b32_e32 v13, 3, v29
	s_cselect_b32 s34, -1, 0
	s_and_b32 s29, vcc_lo, s2
	v_lshlrev_b64_e32 v[2:3], 3, v[2:3]
	s_and_b32 s30, vcc_lo, s3
	v_cmp_gt_i32_e32 vcc_lo, s20, v8
	v_cmp_le_i32_e64 s2, v10, v8
	v_cmp_le_i32_e64 s3, v0, v8
	v_lshlrev_b64_e32 v[4:5], 3, v[4:5]
	v_cmp_gt_i32_e64 s1, s20, v12
	v_lshlrev_b32_e32 v12, 3, v12
	v_mad_co_i64_i32 v[8:9], null, v8, s18, 0
	s_and_b32 s18, vcc_lo, s2
	s_and_b32 s20, vcc_lo, s3
	v_add_co_u32 v2, vcc_lo, v2, v13
	s_delay_alu instid0(VALU_DEP_1)
	v_add_co_ci_u32_e64 v3, null, 0, v3, vcc_lo
	v_add_co_u32 v4, vcc_lo, v4, v12
	v_ashrrev_i32_e32 v11, 31, v10
	s_wait_alu 0xfffd
	v_add_co_ci_u32_e64 v5, null, 0, v5, vcc_lo
	v_add_co_u32 v2, vcc_lo, s10, v2
	s_wait_alu 0xfffd
	v_add_co_ci_u32_e64 v3, null, s11, v3, vcc_lo
	v_add_co_u32 v4, vcc_lo, s14, v4
	v_lshlrev_b64_e32 v[6:7], 3, v[6:7]
	v_lshlrev_b64_e32 v[8:9], 3, v[8:9]
	;; [unrolled: 1-line block ×3, first 2 shown]
	v_lshlrev_b32_e32 v32, 3, v1
	v_ashrrev_i32_e32 v1, 31, v0
	s_wait_alu 0xfffd
	v_add_co_ci_u32_e64 v5, null, s15, v5, vcc_lo
	s_mov_b32 s23, 0
	s_and_b32 s14, s33, s34
	s_lshl_b64 s[2:3], s[12:13], 3
	s_lshl_b64 s[4:5], s[4:5], 3
	;; [unrolled: 1-line block ×3, first 2 shown]
	s_branch .LBB59_6
.LBB59_5:                               ;   in Loop: Header=BB59_6 Depth=1
	s_wait_alu 0xfffe
	s_or_b32 exec_lo, exec_lo, s12
	s_add_co_i32 s22, s22, 0x10000
	s_wait_alu 0xfffe
	s_cmp_lt_u32 s22, s19
	s_cbranch_scc0 .LBB59_33
.LBB59_6:                               ; =>This Loop Header: Depth=1
                                        ;     Child Loop BB59_9 Depth 2
	v_mov_b32_e32 v22, 0
	v_dual_mov_b32 v14, 0 :: v_dual_mov_b32 v23, 0
	v_dual_mov_b32 v20, 0 :: v_dual_mov_b32 v15, 0
	;; [unrolled: 1-line block ×3, first 2 shown]
	v_mov_b32_e32 v13, 0
	s_wait_alu 0xfffe
	s_and_not1_b32 vcc_lo, exec_lo, s14
	s_wait_alu 0xfffe
	s_cbranch_vccnz .LBB59_13
; %bb.7:                                ;   in Loop: Header=BB59_6 Depth=1
	v_mad_co_u64_u32 v[16:17], null, s2, s22, v[2:3]
	v_mad_co_u64_u32 v[18:19], null, s4, s22, v[4:5]
	s_mov_b32 s12, 0
	v_mov_b32_e32 v22, 0
	v_dual_mov_b32 v23, 0 :: v_dual_mov_b32 v12, v17
	v_mov_b32_e32 v13, v19
	s_delay_alu instid0(VALU_DEP_1)
	v_mad_co_u64_u32 v[19:20], null, s3, s22, v[12:13]
	v_mad_co_u64_u32 v[24:25], null, s5, s22, v[13:14]
	v_mov_b32_e32 v12, 0
	v_dual_mov_b32 v20, 0 :: v_dual_mov_b32 v13, 0
	v_dual_mov_b32 v14, 0 :: v_dual_mov_b32 v21, 0
	v_mov_b32_e32 v15, 0
	v_mov_b32_e32 v17, v19
	;; [unrolled: 1-line block ×3, first 2 shown]
	s_branch .LBB59_9
.LBB59_8:                               ;   in Loop: Header=BB59_9 Depth=2
	s_wait_alu 0xfffe
	s_or_b32 exec_lo, exec_lo, s13
	s_wait_loadcnt 0x0
	ds_store_b64 v31, v[26:27]
	s_wait_dscnt 0x0
	s_barrier_signal -1
	s_barrier_wait -1
	global_inv scope:SCOPE_SE
	ds_load_b128 v[24:27], v33
	ds_load_2addr_b64 v[34:37], v32 offset1:16
	ds_load_b128 v[38:41], v33 offset:1024
	ds_load_b128 v[42:45], v33 offset:16
	;; [unrolled: 1-line block ×3, first 2 shown]
	v_add_co_u32 v16, vcc_lo, v16, 64
	s_wait_alu 0xfffd
	v_add_co_ci_u32_e64 v17, null, 0, v17, vcc_lo
	v_add_co_u32 v18, vcc_lo, v18, s10
	s_wait_alu 0xfffd
	v_add_co_ci_u32_e64 v19, null, s11, v19, vcc_lo
	s_add_co_i32 s12, s12, 8
	s_wait_alu 0xfffe
	s_cmp_lt_i32 s12, s21
	s_wait_dscnt 0x3
	v_fma_f64 v[22:23], v[34:35], v[24:25], v[22:23]
	v_fma_f64 v[20:21], v[36:37], v[24:25], v[20:21]
	s_wait_dscnt 0x2
	v_fma_f64 v[24:25], v[34:35], v[38:39], v[14:15]
	v_fma_f64 v[34:35], v[36:37], v[38:39], v[12:13]
	ds_load_2addr_b64 v[12:15], v32 offset0:32 offset1:48
	s_wait_dscnt 0x0
	v_fma_f64 v[22:23], v[12:13], v[26:27], v[22:23]
	v_fma_f64 v[20:21], v[14:15], v[26:27], v[20:21]
	v_fma_f64 v[24:25], v[12:13], v[40:41], v[24:25]
	v_fma_f64 v[26:27], v[14:15], v[40:41], v[34:35]
	ds_load_2addr_b64 v[12:15], v32 offset0:64 offset1:80
	s_wait_dscnt 0x0
	v_fma_f64 v[22:23], v[12:13], v[42:43], v[22:23]
	v_fma_f64 v[20:21], v[14:15], v[42:43], v[20:21]
	;; [unrolled: 6-line block ×3, first 2 shown]
	v_fma_f64 v[46:47], v[12:13], v[48:49], v[24:25]
	v_fma_f64 v[48:49], v[14:15], v[48:49], v[26:27]
	ds_load_b128 v[12:15], v33 offset:32
	ds_load_2addr_b64 v[20:23], v32 offset0:128 offset1:144
	ds_load_b128 v[24:27], v33 offset:1056
	ds_load_b128 v[34:37], v33 offset:48
	;; [unrolled: 1-line block ×3, first 2 shown]
	s_wait_dscnt 0x3
	v_fma_f64 v[42:43], v[20:21], v[12:13], v[42:43]
	v_fma_f64 v[12:13], v[22:23], v[12:13], v[44:45]
	s_wait_dscnt 0x2
	v_fma_f64 v[44:45], v[20:21], v[24:25], v[46:47]
	v_fma_f64 v[24:25], v[22:23], v[24:25], v[48:49]
	ds_load_2addr_b64 v[20:23], v32 offset0:160 offset1:176
	s_wait_dscnt 0x0
	v_fma_f64 v[42:43], v[20:21], v[14:15], v[42:43]
	v_fma_f64 v[46:47], v[22:23], v[14:15], v[12:13]
	;; [unrolled: 1-line block ×4, first 2 shown]
	ds_load_2addr_b64 v[12:15], v32 offset0:192 offset1:208
	ds_load_2addr_b64 v[24:27], v32 offset0:224 offset1:240
	s_wait_loadcnt_dscnt 0x0
	s_barrier_signal -1
	s_barrier_wait -1
	global_inv scope:SCOPE_SE
	v_fma_f64 v[42:43], v[12:13], v[34:35], v[42:43]
	v_fma_f64 v[34:35], v[14:15], v[34:35], v[46:47]
	;; [unrolled: 1-line block ×4, first 2 shown]
	s_delay_alu instid0(VALU_DEP_4) | instskip(NEXT) | instid1(VALU_DEP_4)
	v_fma_f64 v[22:23], v[24:25], v[36:37], v[42:43]
	v_fma_f64 v[20:21], v[26:27], v[36:37], v[34:35]
	s_delay_alu instid0(VALU_DEP_4) | instskip(NEXT) | instid1(VALU_DEP_4)
	v_fma_f64 v[14:15], v[24:25], v[40:41], v[12:13]
	v_fma_f64 v[12:13], v[26:27], v[40:41], v[38:39]
	s_cbranch_scc0 .LBB59_13
.LBB59_9:                               ;   Parent Loop BB59_6 Depth=1
                                        ; =>  This Inner Loop Header: Depth=2
	s_wait_alu 0xfffe
	v_add_nc_u32_e32 v24, s12, v29
	s_delay_alu instid0(VALU_DEP_1)
	v_cmp_gt_i32_e32 vcc_lo, s21, v24
	v_mov_b32_e32 v24, 0
	v_mov_b32_e32 v25, 0
	s_and_b32 s15, s0, vcc_lo
	s_wait_alu 0xfffe
	s_and_saveexec_b32 s13, s15
	s_cbranch_execz .LBB59_11
; %bb.10:                               ;   in Loop: Header=BB59_9 Depth=2
	global_load_b64 v[24:25], v[16:17], off
.LBB59_11:                              ;   in Loop: Header=BB59_9 Depth=2
	s_wait_alu 0xfffe
	s_or_b32 exec_lo, exec_lo, s13
	v_add_nc_u32_e32 v26, s12, v28
	s_wait_loadcnt 0x0
	ds_store_b64 v30, v[24:25]
	v_cmp_gt_i32_e32 vcc_lo, s21, v26
	v_mov_b32_e32 v26, 0
	v_mov_b32_e32 v27, 0
	s_and_b32 s15, vcc_lo, s1
	s_wait_alu 0xfffe
	s_and_saveexec_b32 s13, s15
	s_cbranch_execz .LBB59_8
; %bb.12:                               ;   in Loop: Header=BB59_9 Depth=2
	global_load_b64 v[26:27], v[18:19], off
	s_branch .LBB59_8
.LBB59_13:                              ;   in Loop: Header=BB59_6 Depth=1
	s_mul_u64 s[12:13], s[24:25], s[22:23]
	s_wait_alu 0xfffe
	s_lshl_b64 s[12:13], s[12:13], 3
	s_wait_alu 0xfffe
	s_add_nc_u64 s[12:13], s[16:17], s[12:13]
	s_wait_alu 0xfffe
	v_add_co_u32 v18, vcc_lo, s12, v6
	s_wait_alu 0xfffd
	v_add_co_ci_u32_e64 v19, null, s13, v7, vcc_lo
	s_and_saveexec_b32 s15, s29
	s_cbranch_execz .LBB59_17
; %bb.14:                               ;   in Loop: Header=BB59_6 Depth=1
	v_mul_f64_e32 v[16:17], s[8:9], v[22:23]
	s_and_b32 vcc_lo, exec_lo, s28
	s_wait_alu 0xfffe
	s_cbranch_vccz .LBB59_28
; %bb.15:                               ;   in Loop: Header=BB59_6 Depth=1
	v_add_co_u32 v22, vcc_lo, v18, v10
	s_wait_alu 0xfffd
	v_add_co_ci_u32_e64 v23, null, v19, v11, vcc_lo
	global_load_b64 v[24:25], v[22:23], off
	s_wait_loadcnt 0x0
	v_fma_f64 v[24:25], s[6:7], v[24:25], v[16:17]
	global_store_b64 v[22:23], v[24:25], off
	s_cbranch_execnz .LBB59_17
.LBB59_16:                              ;   in Loop: Header=BB59_6 Depth=1
	v_add_co_u32 v22, vcc_lo, v18, v10
	s_wait_alu 0xfffd
	v_add_co_ci_u32_e64 v23, null, v19, v11, vcc_lo
	global_store_b64 v[22:23], v[16:17], off
.LBB59_17:                              ;   in Loop: Header=BB59_6 Depth=1
	s_wait_alu 0xfffe
	s_or_b32 exec_lo, exec_lo, s15
	s_and_saveexec_b32 s15, s30
	s_cbranch_execz .LBB59_21
; %bb.18:                               ;   in Loop: Header=BB59_6 Depth=1
	v_mul_f64_e32 v[16:17], s[8:9], v[20:21]
	s_and_not1_b32 vcc_lo, exec_lo, s28
	s_wait_alu 0xfffe
	s_cbranch_vccnz .LBB59_29
; %bb.19:                               ;   in Loop: Header=BB59_6 Depth=1
	v_lshlrev_b64_e32 v[20:21], 3, v[0:1]
	s_delay_alu instid0(VALU_DEP_1) | instskip(SKIP_1) | instid1(VALU_DEP_2)
	v_add_co_u32 v20, vcc_lo, v18, v20
	s_wait_alu 0xfffd
	v_add_co_ci_u32_e64 v21, null, v19, v21, vcc_lo
	global_load_b64 v[22:23], v[20:21], off
	s_wait_loadcnt 0x0
	v_fma_f64 v[22:23], s[6:7], v[22:23], v[16:17]
	global_store_b64 v[20:21], v[22:23], off
	s_cbranch_execnz .LBB59_21
.LBB59_20:                              ;   in Loop: Header=BB59_6 Depth=1
	v_lshlrev_b64_e32 v[20:21], 3, v[0:1]
	s_delay_alu instid0(VALU_DEP_1) | instskip(SKIP_1) | instid1(VALU_DEP_2)
	v_add_co_u32 v18, vcc_lo, v18, v20
	s_wait_alu 0xfffd
	v_add_co_ci_u32_e64 v19, null, v19, v21, vcc_lo
	global_store_b64 v[18:19], v[16:17], off
.LBB59_21:                              ;   in Loop: Header=BB59_6 Depth=1
	s_wait_alu 0xfffe
	s_or_b32 exec_lo, exec_lo, s15
	v_add_co_u32 v16, vcc_lo, s12, v8
	s_wait_alu 0xfffd
	v_add_co_ci_u32_e64 v17, null, s13, v9, vcc_lo
	s_and_saveexec_b32 s12, s18
	s_cbranch_execz .LBB59_25
; %bb.22:                               ;   in Loop: Header=BB59_6 Depth=1
	v_mul_f64_e32 v[14:15], s[8:9], v[14:15]
	s_and_not1_b32 vcc_lo, exec_lo, s28
	s_wait_alu 0xfffe
	s_cbranch_vccnz .LBB59_30
; %bb.23:                               ;   in Loop: Header=BB59_6 Depth=1
	v_add_co_u32 v18, vcc_lo, v16, v10
	s_wait_alu 0xfffd
	v_add_co_ci_u32_e64 v19, null, v17, v11, vcc_lo
	global_load_b64 v[20:21], v[18:19], off
	s_wait_loadcnt 0x0
	v_fma_f64 v[20:21], s[6:7], v[20:21], v[14:15]
	global_store_b64 v[18:19], v[20:21], off
	s_cbranch_execnz .LBB59_25
.LBB59_24:                              ;   in Loop: Header=BB59_6 Depth=1
	v_add_co_u32 v18, vcc_lo, v16, v10
	s_wait_alu 0xfffd
	v_add_co_ci_u32_e64 v19, null, v17, v11, vcc_lo
	global_store_b64 v[18:19], v[14:15], off
.LBB59_25:                              ;   in Loop: Header=BB59_6 Depth=1
	s_wait_alu 0xfffe
	s_or_b32 exec_lo, exec_lo, s12
	s_and_saveexec_b32 s12, s20
	s_cbranch_execz .LBB59_5
; %bb.26:                               ;   in Loop: Header=BB59_6 Depth=1
	v_mul_f64_e32 v[12:13], s[8:9], v[12:13]
	v_lshlrev_b64_e32 v[14:15], 3, v[0:1]
	s_and_not1_b32 vcc_lo, exec_lo, s28
	s_wait_alu 0xfffe
	s_cbranch_vccnz .LBB59_31
; %bb.27:                               ;   in Loop: Header=BB59_6 Depth=1
	s_delay_alu instid0(VALU_DEP_1)
	v_add_co_u32 v18, vcc_lo, v16, v14
	s_wait_alu 0xfffd
	v_add_co_ci_u32_e64 v19, null, v17, v15, vcc_lo
	global_load_b64 v[20:21], v[18:19], off
	s_wait_loadcnt 0x0
	v_fma_f64 v[20:21], s[6:7], v[20:21], v[12:13]
	global_store_b64 v[18:19], v[20:21], off
	s_cbranch_execnz .LBB59_5
	s_branch .LBB59_32
.LBB59_28:                              ;   in Loop: Header=BB59_6 Depth=1
	s_branch .LBB59_16
.LBB59_29:                              ;   in Loop: Header=BB59_6 Depth=1
	s_branch .LBB59_20
.LBB59_30:                              ;   in Loop: Header=BB59_6 Depth=1
	s_branch .LBB59_24
.LBB59_31:                              ;   in Loop: Header=BB59_6 Depth=1
.LBB59_32:                              ;   in Loop: Header=BB59_6 Depth=1
	s_delay_alu instid0(VALU_DEP_1)
	v_add_co_u32 v14, vcc_lo, v16, v14
	s_wait_alu 0xfffd
	v_add_co_ci_u32_e64 v15, null, v17, v15, vcc_lo
	global_store_b64 v[14:15], v[12:13], off
	s_branch .LBB59_5
.LBB59_33:
	s_endpgm
	.section	.rodata,"a",@progbits
	.p2align	6, 0x0
	.amdhsa_kernel _ZL29rocblas_internal_gemmt_kernelIiLi16ELi32ELi8ELc84ELc67ELc85ELb0ELb0EddPKdPdEviT_T9_T10_S3_lS5_S3_lS4_T11_S3_li
		.amdhsa_group_segment_fixed_size 4096
		.amdhsa_private_segment_fixed_size 0
		.amdhsa_kernarg_size 100
		.amdhsa_user_sgpr_count 2
		.amdhsa_user_sgpr_dispatch_ptr 0
		.amdhsa_user_sgpr_queue_ptr 0
		.amdhsa_user_sgpr_kernarg_segment_ptr 1
		.amdhsa_user_sgpr_dispatch_id 0
		.amdhsa_user_sgpr_private_segment_size 0
		.amdhsa_wavefront_size32 1
		.amdhsa_uses_dynamic_stack 0
		.amdhsa_enable_private_segment 0
		.amdhsa_system_sgpr_workgroup_id_x 1
		.amdhsa_system_sgpr_workgroup_id_y 1
		.amdhsa_system_sgpr_workgroup_id_z 1
		.amdhsa_system_sgpr_workgroup_info 0
		.amdhsa_system_vgpr_workitem_id 1
		.amdhsa_next_free_vgpr 50
		.amdhsa_next_free_sgpr 35
		.amdhsa_reserve_vcc 1
		.amdhsa_float_round_mode_32 0
		.amdhsa_float_round_mode_16_64 0
		.amdhsa_float_denorm_mode_32 3
		.amdhsa_float_denorm_mode_16_64 3
		.amdhsa_fp16_overflow 0
		.amdhsa_workgroup_processor_mode 1
		.amdhsa_memory_ordered 1
		.amdhsa_forward_progress 1
		.amdhsa_inst_pref_size 16
		.amdhsa_round_robin_scheduling 0
		.amdhsa_exception_fp_ieee_invalid_op 0
		.amdhsa_exception_fp_denorm_src 0
		.amdhsa_exception_fp_ieee_div_zero 0
		.amdhsa_exception_fp_ieee_overflow 0
		.amdhsa_exception_fp_ieee_underflow 0
		.amdhsa_exception_fp_ieee_inexact 0
		.amdhsa_exception_int_div_zero 0
	.end_amdhsa_kernel
	.section	.text._ZL29rocblas_internal_gemmt_kernelIiLi16ELi32ELi8ELc84ELc67ELc85ELb0ELb0EddPKdPdEviT_T9_T10_S3_lS5_S3_lS4_T11_S3_li,"axG",@progbits,_ZL29rocblas_internal_gemmt_kernelIiLi16ELi32ELi8ELc84ELc67ELc85ELb0ELb0EddPKdPdEviT_T9_T10_S3_lS5_S3_lS4_T11_S3_li,comdat
.Lfunc_end59:
	.size	_ZL29rocblas_internal_gemmt_kernelIiLi16ELi32ELi8ELc84ELc67ELc85ELb0ELb0EddPKdPdEviT_T9_T10_S3_lS5_S3_lS4_T11_S3_li, .Lfunc_end59-_ZL29rocblas_internal_gemmt_kernelIiLi16ELi32ELi8ELc84ELc67ELc85ELb0ELb0EddPKdPdEviT_T9_T10_S3_lS5_S3_lS4_T11_S3_li
                                        ; -- End function
	.set _ZL29rocblas_internal_gemmt_kernelIiLi16ELi32ELi8ELc84ELc67ELc85ELb0ELb0EddPKdPdEviT_T9_T10_S3_lS5_S3_lS4_T11_S3_li.num_vgpr, 50
	.set _ZL29rocblas_internal_gemmt_kernelIiLi16ELi32ELi8ELc84ELc67ELc85ELb0ELb0EddPKdPdEviT_T9_T10_S3_lS5_S3_lS4_T11_S3_li.num_agpr, 0
	.set _ZL29rocblas_internal_gemmt_kernelIiLi16ELi32ELi8ELc84ELc67ELc85ELb0ELb0EddPKdPdEviT_T9_T10_S3_lS5_S3_lS4_T11_S3_li.numbered_sgpr, 35
	.set _ZL29rocblas_internal_gemmt_kernelIiLi16ELi32ELi8ELc84ELc67ELc85ELb0ELb0EddPKdPdEviT_T9_T10_S3_lS5_S3_lS4_T11_S3_li.num_named_barrier, 0
	.set _ZL29rocblas_internal_gemmt_kernelIiLi16ELi32ELi8ELc84ELc67ELc85ELb0ELb0EddPKdPdEviT_T9_T10_S3_lS5_S3_lS4_T11_S3_li.private_seg_size, 0
	.set _ZL29rocblas_internal_gemmt_kernelIiLi16ELi32ELi8ELc84ELc67ELc85ELb0ELb0EddPKdPdEviT_T9_T10_S3_lS5_S3_lS4_T11_S3_li.uses_vcc, 1
	.set _ZL29rocblas_internal_gemmt_kernelIiLi16ELi32ELi8ELc84ELc67ELc85ELb0ELb0EddPKdPdEviT_T9_T10_S3_lS5_S3_lS4_T11_S3_li.uses_flat_scratch, 0
	.set _ZL29rocblas_internal_gemmt_kernelIiLi16ELi32ELi8ELc84ELc67ELc85ELb0ELb0EddPKdPdEviT_T9_T10_S3_lS5_S3_lS4_T11_S3_li.has_dyn_sized_stack, 0
	.set _ZL29rocblas_internal_gemmt_kernelIiLi16ELi32ELi8ELc84ELc67ELc85ELb0ELb0EddPKdPdEviT_T9_T10_S3_lS5_S3_lS4_T11_S3_li.has_recursion, 0
	.set _ZL29rocblas_internal_gemmt_kernelIiLi16ELi32ELi8ELc84ELc67ELc85ELb0ELb0EddPKdPdEviT_T9_T10_S3_lS5_S3_lS4_T11_S3_li.has_indirect_call, 0
	.section	.AMDGPU.csdata,"",@progbits
; Kernel info:
; codeLenInByte = 1996
; TotalNumSgprs: 37
; NumVgprs: 50
; ScratchSize: 0
; MemoryBound: 0
; FloatMode: 240
; IeeeMode: 1
; LDSByteSize: 4096 bytes/workgroup (compile time only)
; SGPRBlocks: 0
; VGPRBlocks: 6
; NumSGPRsForWavesPerEU: 37
; NumVGPRsForWavesPerEU: 50
; Occupancy: 16
; WaveLimiterHint : 0
; COMPUTE_PGM_RSRC2:SCRATCH_EN: 0
; COMPUTE_PGM_RSRC2:USER_SGPR: 2
; COMPUTE_PGM_RSRC2:TRAP_HANDLER: 0
; COMPUTE_PGM_RSRC2:TGID_X_EN: 1
; COMPUTE_PGM_RSRC2:TGID_Y_EN: 1
; COMPUTE_PGM_RSRC2:TGID_Z_EN: 1
; COMPUTE_PGM_RSRC2:TIDIG_COMP_CNT: 1
	.section	.text._ZL29rocblas_internal_gemmt_kernelIiLi16ELi32ELi8ELc67ELc78ELc85ELb0ELb0EddPKdPdEviT_T9_T10_S3_lS5_S3_lS4_T11_S3_li,"axG",@progbits,_ZL29rocblas_internal_gemmt_kernelIiLi16ELi32ELi8ELc67ELc78ELc85ELb0ELb0EddPKdPdEviT_T9_T10_S3_lS5_S3_lS4_T11_S3_li,comdat
	.globl	_ZL29rocblas_internal_gemmt_kernelIiLi16ELi32ELi8ELc67ELc78ELc85ELb0ELb0EddPKdPdEviT_T9_T10_S3_lS5_S3_lS4_T11_S3_li ; -- Begin function _ZL29rocblas_internal_gemmt_kernelIiLi16ELi32ELi8ELc67ELc78ELc85ELb0ELb0EddPKdPdEviT_T9_T10_S3_lS5_S3_lS4_T11_S3_li
	.p2align	8
	.type	_ZL29rocblas_internal_gemmt_kernelIiLi16ELi32ELi8ELc67ELc78ELc85ELb0ELb0EddPKdPdEviT_T9_T10_S3_lS5_S3_lS4_T11_S3_li,@function
_ZL29rocblas_internal_gemmt_kernelIiLi16ELi32ELi8ELc67ELc78ELc85ELb0ELb0EddPKdPdEviT_T9_T10_S3_lS5_S3_lS4_T11_S3_li: ; @_ZL29rocblas_internal_gemmt_kernelIiLi16ELi32ELi8ELc67ELc78ELc85ELb0ELb0EddPKdPdEviT_T9_T10_S3_lS5_S3_lS4_T11_S3_li
; %bb.0:
	s_clause 0x2
	s_load_b128 s[4:7], s[0:1], 0x38
	s_load_b64 s[20:21], s[0:1], 0x0
	s_load_b128 s[8:11], s[0:1], 0x8
	s_wait_kmcnt 0x0
	v_cmp_neq_f64_e64 s2, s[6:7], 1.0
	s_and_b32 vcc_lo, exec_lo, s2
	s_cbranch_vccnz .LBB60_2
; %bb.1:
	v_cmp_neq_f64_e64 s2, s[8:9], 0
	s_cmp_lg_u32 s21, 0
	s_cselect_b32 s3, -1, 0
	s_delay_alu instid0(SALU_CYCLE_1)
	s_and_b32 s2, s3, s2
.LBB60_2:
	s_delay_alu instid0(SALU_CYCLE_1)
	s_and_not1_b32 vcc_lo, exec_lo, s2
	s_cbranch_vccnz .LBB60_33
; %bb.3:
	s_load_b32 s19, s[0:1], 0x60
	s_lshr_b32 s22, ttmp7, 16
	s_wait_kmcnt 0x0
	s_cmp_ge_u32 s22, s19
	s_cbranch_scc1 .LBB60_33
; %bb.4:
	v_and_b32_e32 v1, 0x3ff, v0
	v_bfe_u32 v2, v0, 10, 10
	v_and_b32_e32 v28, 7, v0
	s_clause 0x4
	s_load_b32 s29, s[0:1], 0x18
	s_load_b128 s[12:15], s[0:1], 0x20
	s_load_b32 s30, s[0:1], 0x30
	s_load_b96 s[16:18], s[0:1], 0x48
	s_load_b64 s[24:25], s[0:1], 0x58
	v_cmp_neq_f64_e64 s31, s[8:9], 0
	s_lshl_b32 s1, ttmp9, 5
	v_lshl_add_u32 v0, v2, 4, v1
	v_lshlrev_b32_e32 v12, 3, v28
	v_cmp_neq_f64_e64 s26, s[6:7], 0
	v_add_nc_u32_e32 v10, s1, v1
	s_lshl_b32 s0, ttmp7, 5
	v_and_b32_e32 v3, 31, v0
	v_lshrrev_b32_e32 v4, 3, v0
	v_lshrrev_b32_e32 v29, 5, v0
	s_wait_alu 0xfffe
	s_and_b32 s2, s0, 0x1fffe0
	v_lshl_add_u32 v33, v2, 6, 0x800
	v_lshlrev_b32_e32 v0, 3, v3
	v_or_b32_e32 v5, s1, v3
	v_lshl_or_b32 v3, v4, 6, v12
	v_add_nc_u32_e32 v8, s2, v4
	v_add_nc_u32_e32 v4, s2, v2
	v_lshl_or_b32 v30, v29, 8, v0
	v_add_nc_u32_e32 v0, 16, v10
	v_add_nc_u32_e32 v31, 0x800, v3
	s_wait_kmcnt 0x0
	v_mad_co_i64_i32 v[2:3], null, s29, v5, 0
	v_cmp_gt_i32_e64 s0, s20, v5
	v_cmp_gt_i32_e32 vcc_lo, s20, v4
	v_cmp_le_i32_e64 s2, v10, v4
	v_cmp_le_i32_e64 s3, v0, v4
	v_mad_co_i64_i32 v[6:7], null, v4, s18, 0
	v_add_nc_u32_e32 v13, 16, v4
	v_mad_co_i64_i32 v[4:5], null, s30, v8, 0
	v_lshlrev_b64_e32 v[2:3], 3, v[2:3]
	v_lshlrev_b32_e32 v14, 3, v29
	s_cmp_gt_i32 s21, 0
	v_cmp_gt_i32_e64 s1, s20, v8
	s_cselect_b32 s33, -1, 0
	s_and_b32 s28, vcc_lo, s3
	v_lshlrev_b64_e32 v[4:5], 3, v[4:5]
	v_mad_co_i64_i32 v[8:9], null, v13, s18, 0
	v_add_co_u32 v2, s3, v2, v14
	s_and_b32 s27, vcc_lo, s2
	v_cmp_gt_i32_e32 vcc_lo, s20, v13
	v_cmp_le_i32_e64 s2, v10, v13
	v_add_co_ci_u32_e64 v3, null, 0, v3, s3
	v_add_co_u32 v4, s3, v4, v12
	v_ashrrev_i32_e32 v11, 31, v10
	s_wait_alu 0xf1ff
	v_add_co_ci_u32_e64 v5, null, 0, v5, s3
	v_add_co_u32 v2, s3, s10, v2
	s_and_b32 s18, vcc_lo, s2
	v_cmp_le_i32_e64 s2, v0, v13
	v_add_co_ci_u32_e64 v3, null, s11, v3, s3
	v_add_co_u32 v4, s3, s14, v4
	v_lshlrev_b64_e32 v[6:7], 3, v[6:7]
	v_lshlrev_b64_e32 v[8:9], 3, v[8:9]
	;; [unrolled: 1-line block ×3, first 2 shown]
	v_lshlrev_b32_e32 v32, 3, v1
	v_ashrrev_i32_e32 v1, 31, v0
	s_wait_alu 0xf1ff
	v_add_co_ci_u32_e64 v5, null, s15, v5, s3
	s_mov_b32 s23, 0
	s_and_b32 s14, s31, s33
	s_and_b32 s15, vcc_lo, s2
	s_lshl_b64 s[2:3], s[12:13], 3
	s_lshl_b64 s[4:5], s[4:5], 3
	s_branch .LBB60_6
.LBB60_5:                               ;   in Loop: Header=BB60_6 Depth=1
	s_wait_alu 0xfffe
	s_or_b32 exec_lo, exec_lo, s10
	s_add_co_i32 s22, s22, 0x10000
	s_wait_alu 0xfffe
	s_cmp_lt_u32 s22, s19
	s_cbranch_scc0 .LBB60_33
.LBB60_6:                               ; =>This Loop Header: Depth=1
                                        ;     Child Loop BB60_9 Depth 2
	v_mov_b32_e32 v22, 0
	v_dual_mov_b32 v14, 0 :: v_dual_mov_b32 v23, 0
	v_dual_mov_b32 v20, 0 :: v_dual_mov_b32 v15, 0
	;; [unrolled: 1-line block ×3, first 2 shown]
	v_mov_b32_e32 v13, 0
	s_wait_alu 0xfffe
	s_and_not1_b32 vcc_lo, exec_lo, s14
	s_wait_alu 0xfffe
	s_cbranch_vccnz .LBB60_13
; %bb.7:                                ;   in Loop: Header=BB60_6 Depth=1
	v_mad_co_u64_u32 v[16:17], null, s2, s22, v[2:3]
	v_mad_co_u64_u32 v[18:19], null, s4, s22, v[4:5]
	s_mov_b32 s10, 0
	v_mov_b32_e32 v22, 0
	v_dual_mov_b32 v23, 0 :: v_dual_mov_b32 v12, v17
	v_mov_b32_e32 v13, v19
	s_delay_alu instid0(VALU_DEP_1)
	v_mad_co_u64_u32 v[19:20], null, s3, s22, v[12:13]
	v_mad_co_u64_u32 v[24:25], null, s5, s22, v[13:14]
	v_mov_b32_e32 v12, 0
	v_dual_mov_b32 v20, 0 :: v_dual_mov_b32 v13, 0
	v_dual_mov_b32 v14, 0 :: v_dual_mov_b32 v21, 0
	v_mov_b32_e32 v15, 0
	v_mov_b32_e32 v17, v19
	;; [unrolled: 1-line block ×3, first 2 shown]
	s_branch .LBB60_9
.LBB60_8:                               ;   in Loop: Header=BB60_9 Depth=2
	s_wait_alu 0xfffe
	s_or_b32 exec_lo, exec_lo, s11
	s_wait_loadcnt 0x0
	ds_store_b64 v31, v[26:27]
	s_wait_dscnt 0x0
	s_barrier_signal -1
	s_barrier_wait -1
	global_inv scope:SCOPE_SE
	ds_load_b128 v[24:27], v33
	ds_load_2addr_b64 v[34:37], v32 offset1:16
	ds_load_b128 v[38:41], v33 offset:1024
	ds_load_b128 v[42:45], v33 offset:16
	;; [unrolled: 1-line block ×3, first 2 shown]
	v_add_co_u32 v16, vcc_lo, v16, 64
	s_wait_alu 0xfffd
	v_add_co_ci_u32_e64 v17, null, 0, v17, vcc_lo
	v_add_co_u32 v18, vcc_lo, v18, 64
	s_wait_alu 0xfffd
	v_add_co_ci_u32_e64 v19, null, 0, v19, vcc_lo
	s_add_co_i32 s10, s10, 8
	s_wait_alu 0xfffe
	s_cmp_lt_i32 s10, s21
	s_wait_dscnt 0x3
	v_fma_f64 v[22:23], v[34:35], v[24:25], v[22:23]
	v_fma_f64 v[20:21], v[36:37], v[24:25], v[20:21]
	s_wait_dscnt 0x2
	v_fma_f64 v[24:25], v[34:35], v[38:39], v[14:15]
	v_fma_f64 v[34:35], v[36:37], v[38:39], v[12:13]
	ds_load_2addr_b64 v[12:15], v32 offset0:32 offset1:48
	s_wait_dscnt 0x0
	v_fma_f64 v[22:23], v[12:13], v[26:27], v[22:23]
	v_fma_f64 v[20:21], v[14:15], v[26:27], v[20:21]
	v_fma_f64 v[24:25], v[12:13], v[40:41], v[24:25]
	v_fma_f64 v[26:27], v[14:15], v[40:41], v[34:35]
	ds_load_2addr_b64 v[12:15], v32 offset0:64 offset1:80
	s_wait_dscnt 0x0
	v_fma_f64 v[22:23], v[12:13], v[42:43], v[22:23]
	v_fma_f64 v[20:21], v[14:15], v[42:43], v[20:21]
	;; [unrolled: 6-line block ×3, first 2 shown]
	v_fma_f64 v[46:47], v[12:13], v[48:49], v[24:25]
	v_fma_f64 v[48:49], v[14:15], v[48:49], v[26:27]
	ds_load_b128 v[12:15], v33 offset:32
	ds_load_2addr_b64 v[20:23], v32 offset0:128 offset1:144
	ds_load_b128 v[24:27], v33 offset:1056
	ds_load_b128 v[34:37], v33 offset:48
	;; [unrolled: 1-line block ×3, first 2 shown]
	s_wait_dscnt 0x3
	v_fma_f64 v[42:43], v[20:21], v[12:13], v[42:43]
	v_fma_f64 v[12:13], v[22:23], v[12:13], v[44:45]
	s_wait_dscnt 0x2
	v_fma_f64 v[44:45], v[20:21], v[24:25], v[46:47]
	v_fma_f64 v[24:25], v[22:23], v[24:25], v[48:49]
	ds_load_2addr_b64 v[20:23], v32 offset0:160 offset1:176
	s_wait_dscnt 0x0
	v_fma_f64 v[42:43], v[20:21], v[14:15], v[42:43]
	v_fma_f64 v[46:47], v[22:23], v[14:15], v[12:13]
	;; [unrolled: 1-line block ×4, first 2 shown]
	ds_load_2addr_b64 v[12:15], v32 offset0:192 offset1:208
	ds_load_2addr_b64 v[24:27], v32 offset0:224 offset1:240
	s_wait_loadcnt_dscnt 0x0
	s_barrier_signal -1
	s_barrier_wait -1
	global_inv scope:SCOPE_SE
	v_fma_f64 v[42:43], v[12:13], v[34:35], v[42:43]
	v_fma_f64 v[34:35], v[14:15], v[34:35], v[46:47]
	;; [unrolled: 1-line block ×4, first 2 shown]
	s_delay_alu instid0(VALU_DEP_4) | instskip(NEXT) | instid1(VALU_DEP_4)
	v_fma_f64 v[22:23], v[24:25], v[36:37], v[42:43]
	v_fma_f64 v[20:21], v[26:27], v[36:37], v[34:35]
	s_delay_alu instid0(VALU_DEP_4) | instskip(NEXT) | instid1(VALU_DEP_4)
	v_fma_f64 v[14:15], v[24:25], v[40:41], v[12:13]
	v_fma_f64 v[12:13], v[26:27], v[40:41], v[38:39]
	s_cbranch_scc0 .LBB60_13
.LBB60_9:                               ;   Parent Loop BB60_6 Depth=1
                                        ; =>  This Inner Loop Header: Depth=2
	s_wait_alu 0xfffe
	v_add_nc_u32_e32 v24, s10, v29
	s_delay_alu instid0(VALU_DEP_1) | instskip(SKIP_3) | instid1(SALU_CYCLE_1)
	v_cmp_gt_i32_e32 vcc_lo, s21, v24
	v_mov_b32_e32 v24, 0
	v_mov_b32_e32 v25, 0
	s_and_b32 s12, s0, vcc_lo
	s_and_saveexec_b32 s11, s12
	s_cbranch_execz .LBB60_11
; %bb.10:                               ;   in Loop: Header=BB60_9 Depth=2
	global_load_b64 v[24:25], v[16:17], off
.LBB60_11:                              ;   in Loop: Header=BB60_9 Depth=2
	s_wait_alu 0xfffe
	s_or_b32 exec_lo, exec_lo, s11
	v_add_nc_u32_e32 v26, s10, v28
	s_wait_loadcnt 0x0
	ds_store_b64 v30, v[24:25]
	v_cmp_gt_i32_e32 vcc_lo, s21, v26
	v_mov_b32_e32 v26, 0
	v_mov_b32_e32 v27, 0
	s_and_b32 s12, vcc_lo, s1
	s_delay_alu instid0(SALU_CYCLE_1)
	s_and_saveexec_b32 s11, s12
	s_cbranch_execz .LBB60_8
; %bb.12:                               ;   in Loop: Header=BB60_9 Depth=2
	global_load_b64 v[26:27], v[18:19], off
	s_branch .LBB60_8
.LBB60_13:                              ;   in Loop: Header=BB60_6 Depth=1
	s_mul_u64 s[10:11], s[24:25], s[22:23]
	s_wait_alu 0xfffe
	s_lshl_b64 s[10:11], s[10:11], 3
	s_wait_alu 0xfffe
	s_add_nc_u64 s[10:11], s[16:17], s[10:11]
	s_wait_alu 0xfffe
	v_add_co_u32 v18, vcc_lo, s10, v6
	s_wait_alu 0xfffd
	v_add_co_ci_u32_e64 v19, null, s11, v7, vcc_lo
	s_and_saveexec_b32 s12, s27
	s_cbranch_execz .LBB60_17
; %bb.14:                               ;   in Loop: Header=BB60_6 Depth=1
	v_mul_f64_e32 v[16:17], s[8:9], v[22:23]
	s_and_b32 vcc_lo, exec_lo, s26
	s_wait_alu 0xfffe
	s_cbranch_vccz .LBB60_28
; %bb.15:                               ;   in Loop: Header=BB60_6 Depth=1
	v_add_co_u32 v22, vcc_lo, v18, v10
	s_wait_alu 0xfffd
	v_add_co_ci_u32_e64 v23, null, v19, v11, vcc_lo
	global_load_b64 v[24:25], v[22:23], off
	s_wait_loadcnt 0x0
	v_fma_f64 v[24:25], s[6:7], v[24:25], v[16:17]
	global_store_b64 v[22:23], v[24:25], off
	s_cbranch_execnz .LBB60_17
.LBB60_16:                              ;   in Loop: Header=BB60_6 Depth=1
	v_add_co_u32 v22, vcc_lo, v18, v10
	s_wait_alu 0xfffd
	v_add_co_ci_u32_e64 v23, null, v19, v11, vcc_lo
	global_store_b64 v[22:23], v[16:17], off
.LBB60_17:                              ;   in Loop: Header=BB60_6 Depth=1
	s_or_b32 exec_lo, exec_lo, s12
	s_and_saveexec_b32 s12, s28
	s_cbranch_execz .LBB60_21
; %bb.18:                               ;   in Loop: Header=BB60_6 Depth=1
	v_mul_f64_e32 v[16:17], s[8:9], v[20:21]
	s_and_not1_b32 vcc_lo, exec_lo, s26
	s_wait_alu 0xfffe
	s_cbranch_vccnz .LBB60_29
; %bb.19:                               ;   in Loop: Header=BB60_6 Depth=1
	v_lshlrev_b64_e32 v[20:21], 3, v[0:1]
	s_delay_alu instid0(VALU_DEP_1) | instskip(SKIP_1) | instid1(VALU_DEP_2)
	v_add_co_u32 v20, vcc_lo, v18, v20
	s_wait_alu 0xfffd
	v_add_co_ci_u32_e64 v21, null, v19, v21, vcc_lo
	global_load_b64 v[22:23], v[20:21], off
	s_wait_loadcnt 0x0
	v_fma_f64 v[22:23], s[6:7], v[22:23], v[16:17]
	global_store_b64 v[20:21], v[22:23], off
	s_cbranch_execnz .LBB60_21
.LBB60_20:                              ;   in Loop: Header=BB60_6 Depth=1
	v_lshlrev_b64_e32 v[20:21], 3, v[0:1]
	s_delay_alu instid0(VALU_DEP_1) | instskip(SKIP_1) | instid1(VALU_DEP_2)
	v_add_co_u32 v18, vcc_lo, v18, v20
	s_wait_alu 0xfffd
	v_add_co_ci_u32_e64 v19, null, v19, v21, vcc_lo
	global_store_b64 v[18:19], v[16:17], off
.LBB60_21:                              ;   in Loop: Header=BB60_6 Depth=1
	s_or_b32 exec_lo, exec_lo, s12
	v_add_co_u32 v16, vcc_lo, s10, v8
	s_wait_alu 0xfffd
	v_add_co_ci_u32_e64 v17, null, s11, v9, vcc_lo
	s_and_saveexec_b32 s10, s18
	s_cbranch_execz .LBB60_25
; %bb.22:                               ;   in Loop: Header=BB60_6 Depth=1
	v_mul_f64_e32 v[14:15], s[8:9], v[14:15]
	s_and_not1_b32 vcc_lo, exec_lo, s26
	s_wait_alu 0xfffe
	s_cbranch_vccnz .LBB60_30
; %bb.23:                               ;   in Loop: Header=BB60_6 Depth=1
	v_add_co_u32 v18, vcc_lo, v16, v10
	s_wait_alu 0xfffd
	v_add_co_ci_u32_e64 v19, null, v17, v11, vcc_lo
	global_load_b64 v[20:21], v[18:19], off
	s_wait_loadcnt 0x0
	v_fma_f64 v[20:21], s[6:7], v[20:21], v[14:15]
	global_store_b64 v[18:19], v[20:21], off
	s_cbranch_execnz .LBB60_25
.LBB60_24:                              ;   in Loop: Header=BB60_6 Depth=1
	v_add_co_u32 v18, vcc_lo, v16, v10
	s_wait_alu 0xfffd
	v_add_co_ci_u32_e64 v19, null, v17, v11, vcc_lo
	global_store_b64 v[18:19], v[14:15], off
.LBB60_25:                              ;   in Loop: Header=BB60_6 Depth=1
	s_wait_alu 0xfffe
	s_or_b32 exec_lo, exec_lo, s10
	s_and_saveexec_b32 s10, s15
	s_cbranch_execz .LBB60_5
; %bb.26:                               ;   in Loop: Header=BB60_6 Depth=1
	v_mul_f64_e32 v[12:13], s[8:9], v[12:13]
	v_lshlrev_b64_e32 v[14:15], 3, v[0:1]
	s_and_not1_b32 vcc_lo, exec_lo, s26
	s_wait_alu 0xfffe
	s_cbranch_vccnz .LBB60_31
; %bb.27:                               ;   in Loop: Header=BB60_6 Depth=1
	s_delay_alu instid0(VALU_DEP_1)
	v_add_co_u32 v18, vcc_lo, v16, v14
	s_wait_alu 0xfffd
	v_add_co_ci_u32_e64 v19, null, v17, v15, vcc_lo
	global_load_b64 v[20:21], v[18:19], off
	s_wait_loadcnt 0x0
	v_fma_f64 v[20:21], s[6:7], v[20:21], v[12:13]
	global_store_b64 v[18:19], v[20:21], off
	s_cbranch_execnz .LBB60_5
	s_branch .LBB60_32
.LBB60_28:                              ;   in Loop: Header=BB60_6 Depth=1
	s_branch .LBB60_16
.LBB60_29:                              ;   in Loop: Header=BB60_6 Depth=1
	s_branch .LBB60_20
.LBB60_30:                              ;   in Loop: Header=BB60_6 Depth=1
	s_branch .LBB60_24
.LBB60_31:                              ;   in Loop: Header=BB60_6 Depth=1
.LBB60_32:                              ;   in Loop: Header=BB60_6 Depth=1
	s_delay_alu instid0(VALU_DEP_1)
	v_add_co_u32 v14, vcc_lo, v16, v14
	s_wait_alu 0xfffd
	v_add_co_ci_u32_e64 v15, null, v17, v15, vcc_lo
	global_store_b64 v[14:15], v[12:13], off
	s_branch .LBB60_5
.LBB60_33:
	s_endpgm
	.section	.rodata,"a",@progbits
	.p2align	6, 0x0
	.amdhsa_kernel _ZL29rocblas_internal_gemmt_kernelIiLi16ELi32ELi8ELc67ELc78ELc85ELb0ELb0EddPKdPdEviT_T9_T10_S3_lS5_S3_lS4_T11_S3_li
		.amdhsa_group_segment_fixed_size 4096
		.amdhsa_private_segment_fixed_size 0
		.amdhsa_kernarg_size 100
		.amdhsa_user_sgpr_count 2
		.amdhsa_user_sgpr_dispatch_ptr 0
		.amdhsa_user_sgpr_queue_ptr 0
		.amdhsa_user_sgpr_kernarg_segment_ptr 1
		.amdhsa_user_sgpr_dispatch_id 0
		.amdhsa_user_sgpr_private_segment_size 0
		.amdhsa_wavefront_size32 1
		.amdhsa_uses_dynamic_stack 0
		.amdhsa_enable_private_segment 0
		.amdhsa_system_sgpr_workgroup_id_x 1
		.amdhsa_system_sgpr_workgroup_id_y 1
		.amdhsa_system_sgpr_workgroup_id_z 1
		.amdhsa_system_sgpr_workgroup_info 0
		.amdhsa_system_vgpr_workitem_id 1
		.amdhsa_next_free_vgpr 50
		.amdhsa_next_free_sgpr 34
		.amdhsa_reserve_vcc 1
		.amdhsa_float_round_mode_32 0
		.amdhsa_float_round_mode_16_64 0
		.amdhsa_float_denorm_mode_32 3
		.amdhsa_float_denorm_mode_16_64 3
		.amdhsa_fp16_overflow 0
		.amdhsa_workgroup_processor_mode 1
		.amdhsa_memory_ordered 1
		.amdhsa_forward_progress 1
		.amdhsa_inst_pref_size 16
		.amdhsa_round_robin_scheduling 0
		.amdhsa_exception_fp_ieee_invalid_op 0
		.amdhsa_exception_fp_denorm_src 0
		.amdhsa_exception_fp_ieee_div_zero 0
		.amdhsa_exception_fp_ieee_overflow 0
		.amdhsa_exception_fp_ieee_underflow 0
		.amdhsa_exception_fp_ieee_inexact 0
		.amdhsa_exception_int_div_zero 0
	.end_amdhsa_kernel
	.section	.text._ZL29rocblas_internal_gemmt_kernelIiLi16ELi32ELi8ELc67ELc78ELc85ELb0ELb0EddPKdPdEviT_T9_T10_S3_lS5_S3_lS4_T11_S3_li,"axG",@progbits,_ZL29rocblas_internal_gemmt_kernelIiLi16ELi32ELi8ELc67ELc78ELc85ELb0ELb0EddPKdPdEviT_T9_T10_S3_lS5_S3_lS4_T11_S3_li,comdat
.Lfunc_end60:
	.size	_ZL29rocblas_internal_gemmt_kernelIiLi16ELi32ELi8ELc67ELc78ELc85ELb0ELb0EddPKdPdEviT_T9_T10_S3_lS5_S3_lS4_T11_S3_li, .Lfunc_end60-_ZL29rocblas_internal_gemmt_kernelIiLi16ELi32ELi8ELc67ELc78ELc85ELb0ELb0EddPKdPdEviT_T9_T10_S3_lS5_S3_lS4_T11_S3_li
                                        ; -- End function
	.set _ZL29rocblas_internal_gemmt_kernelIiLi16ELi32ELi8ELc67ELc78ELc85ELb0ELb0EddPKdPdEviT_T9_T10_S3_lS5_S3_lS4_T11_S3_li.num_vgpr, 50
	.set _ZL29rocblas_internal_gemmt_kernelIiLi16ELi32ELi8ELc67ELc78ELc85ELb0ELb0EddPKdPdEviT_T9_T10_S3_lS5_S3_lS4_T11_S3_li.num_agpr, 0
	.set _ZL29rocblas_internal_gemmt_kernelIiLi16ELi32ELi8ELc67ELc78ELc85ELb0ELb0EddPKdPdEviT_T9_T10_S3_lS5_S3_lS4_T11_S3_li.numbered_sgpr, 34
	.set _ZL29rocblas_internal_gemmt_kernelIiLi16ELi32ELi8ELc67ELc78ELc85ELb0ELb0EddPKdPdEviT_T9_T10_S3_lS5_S3_lS4_T11_S3_li.num_named_barrier, 0
	.set _ZL29rocblas_internal_gemmt_kernelIiLi16ELi32ELi8ELc67ELc78ELc85ELb0ELb0EddPKdPdEviT_T9_T10_S3_lS5_S3_lS4_T11_S3_li.private_seg_size, 0
	.set _ZL29rocblas_internal_gemmt_kernelIiLi16ELi32ELi8ELc67ELc78ELc85ELb0ELb0EddPKdPdEviT_T9_T10_S3_lS5_S3_lS4_T11_S3_li.uses_vcc, 1
	.set _ZL29rocblas_internal_gemmt_kernelIiLi16ELi32ELi8ELc67ELc78ELc85ELb0ELb0EddPKdPdEviT_T9_T10_S3_lS5_S3_lS4_T11_S3_li.uses_flat_scratch, 0
	.set _ZL29rocblas_internal_gemmt_kernelIiLi16ELi32ELi8ELc67ELc78ELc85ELb0ELb0EddPKdPdEviT_T9_T10_S3_lS5_S3_lS4_T11_S3_li.has_dyn_sized_stack, 0
	.set _ZL29rocblas_internal_gemmt_kernelIiLi16ELi32ELi8ELc67ELc78ELc85ELb0ELb0EddPKdPdEviT_T9_T10_S3_lS5_S3_lS4_T11_S3_li.has_recursion, 0
	.set _ZL29rocblas_internal_gemmt_kernelIiLi16ELi32ELi8ELc67ELc78ELc85ELb0ELb0EddPKdPdEviT_T9_T10_S3_lS5_S3_lS4_T11_S3_li.has_indirect_call, 0
	.section	.AMDGPU.csdata,"",@progbits
; Kernel info:
; codeLenInByte = 1968
; TotalNumSgprs: 36
; NumVgprs: 50
; ScratchSize: 0
; MemoryBound: 0
; FloatMode: 240
; IeeeMode: 1
; LDSByteSize: 4096 bytes/workgroup (compile time only)
; SGPRBlocks: 0
; VGPRBlocks: 6
; NumSGPRsForWavesPerEU: 36
; NumVGPRsForWavesPerEU: 50
; Occupancy: 16
; WaveLimiterHint : 0
; COMPUTE_PGM_RSRC2:SCRATCH_EN: 0
; COMPUTE_PGM_RSRC2:USER_SGPR: 2
; COMPUTE_PGM_RSRC2:TRAP_HANDLER: 0
; COMPUTE_PGM_RSRC2:TGID_X_EN: 1
; COMPUTE_PGM_RSRC2:TGID_Y_EN: 1
; COMPUTE_PGM_RSRC2:TGID_Z_EN: 1
; COMPUTE_PGM_RSRC2:TIDIG_COMP_CNT: 1
	.section	.text._ZL29rocblas_internal_gemmt_kernelIiLi16ELi32ELi8ELc67ELc84ELc85ELb0ELb0EddPKdPdEviT_T9_T10_S3_lS5_S3_lS4_T11_S3_li,"axG",@progbits,_ZL29rocblas_internal_gemmt_kernelIiLi16ELi32ELi8ELc67ELc84ELc85ELb0ELb0EddPKdPdEviT_T9_T10_S3_lS5_S3_lS4_T11_S3_li,comdat
	.globl	_ZL29rocblas_internal_gemmt_kernelIiLi16ELi32ELi8ELc67ELc84ELc85ELb0ELb0EddPKdPdEviT_T9_T10_S3_lS5_S3_lS4_T11_S3_li ; -- Begin function _ZL29rocblas_internal_gemmt_kernelIiLi16ELi32ELi8ELc67ELc84ELc85ELb0ELb0EddPKdPdEviT_T9_T10_S3_lS5_S3_lS4_T11_S3_li
	.p2align	8
	.type	_ZL29rocblas_internal_gemmt_kernelIiLi16ELi32ELi8ELc67ELc84ELc85ELb0ELb0EddPKdPdEviT_T9_T10_S3_lS5_S3_lS4_T11_S3_li,@function
_ZL29rocblas_internal_gemmt_kernelIiLi16ELi32ELi8ELc67ELc84ELc85ELb0ELb0EddPKdPdEviT_T9_T10_S3_lS5_S3_lS4_T11_S3_li: ; @_ZL29rocblas_internal_gemmt_kernelIiLi16ELi32ELi8ELc67ELc84ELc85ELb0ELb0EddPKdPdEviT_T9_T10_S3_lS5_S3_lS4_T11_S3_li
; %bb.0:
	s_clause 0x2
	s_load_b128 s[4:7], s[0:1], 0x38
	s_load_b64 s[20:21], s[0:1], 0x0
	s_load_b128 s[8:11], s[0:1], 0x8
	s_wait_kmcnt 0x0
	v_cmp_neq_f64_e64 s2, s[6:7], 1.0
	s_and_b32 vcc_lo, exec_lo, s2
	s_cbranch_vccnz .LBB61_2
; %bb.1:
	v_cmp_neq_f64_e64 s2, s[8:9], 0
	s_cmp_lg_u32 s21, 0
	s_cselect_b32 s3, -1, 0
	s_delay_alu instid0(SALU_CYCLE_1)
	s_and_b32 s2, s3, s2
.LBB61_2:
	s_delay_alu instid0(SALU_CYCLE_1)
	s_and_not1_b32 vcc_lo, exec_lo, s2
	s_cbranch_vccnz .LBB61_33
; %bb.3:
	s_load_b32 s19, s[0:1], 0x60
	s_lshr_b32 s22, ttmp7, 16
	s_wait_kmcnt 0x0
	s_cmp_ge_u32 s22, s19
	s_cbranch_scc1 .LBB61_33
; %bb.4:
	v_and_b32_e32 v1, 0x3ff, v0
	v_bfe_u32 v2, v0, 10, 10
	v_and_b32_e32 v28, 7, v0
	s_clause 0x4
	s_load_b32 s31, s[0:1], 0x18
	s_load_b128 s[12:15], s[0:1], 0x20
	s_load_b96 s[16:18], s[0:1], 0x48
	s_load_b64 s[24:25], s[0:1], 0x58
	s_load_b32 s26, s[0:1], 0x30
	v_lshl_add_u32 v0, v2, 4, v1
	v_lshlrev_b32_e32 v4, 3, v28
	s_lshl_b32 s0, ttmp7, 5
	s_lshl_b32 s1, ttmp9, 5
	v_cmp_neq_f64_e64 s33, s[8:9], 0
	v_and_b32_e32 v3, 31, v0
	v_lshrrev_b32_e32 v29, 5, v0
	v_lshrrev_b32_e32 v0, 3, v0
	s_and_b32 s2, s0, 0x1fffe0
	v_add_nc_u32_e32 v10, s1, v1
	v_or_b32_e32 v5, s1, v3
	v_lshlrev_b32_e32 v3, 3, v3
	v_add_nc_u32_e32 v12, s2, v0
	v_lshl_or_b32 v0, v0, 6, v4
	v_cmp_neq_f64_e64 s28, s[6:7], 0
	v_lshl_add_u32 v33, v2, 6, 0x800
	v_lshl_or_b32 v30, v29, 8, v3
	v_add_nc_u32_e32 v3, s2, v2
	v_add_nc_u32_e32 v31, 0x800, v0
	;; [unrolled: 1-line block ×3, first 2 shown]
	v_cmp_gt_i32_e64 s0, s20, v5
	s_wait_kmcnt 0x0
	s_ashr_i32 s27, s26, 31
	v_cmp_gt_i32_e32 vcc_lo, s20, v3
	v_cmp_le_i32_e64 s2, v10, v3
	v_cmp_le_i32_e64 s3, v0, v3
	v_mad_co_i64_i32 v[6:7], null, v3, s18, 0
	v_add_nc_u32_e32 v8, 16, v3
	v_mad_co_i64_i32 v[2:3], null, s31, v5, 0
	v_mad_co_i64_i32 v[4:5], null, s26, v28, 0
	s_cmp_gt_i32 s21, 0
	v_lshlrev_b32_e32 v13, 3, v29
	s_cselect_b32 s34, -1, 0
	s_and_b32 s29, vcc_lo, s2
	v_lshlrev_b64_e32 v[2:3], 3, v[2:3]
	s_and_b32 s30, vcc_lo, s3
	v_cmp_gt_i32_e32 vcc_lo, s20, v8
	v_cmp_le_i32_e64 s2, v10, v8
	v_cmp_le_i32_e64 s3, v0, v8
	v_lshlrev_b64_e32 v[4:5], 3, v[4:5]
	v_cmp_gt_i32_e64 s1, s20, v12
	v_lshlrev_b32_e32 v12, 3, v12
	v_mad_co_i64_i32 v[8:9], null, v8, s18, 0
	s_and_b32 s18, vcc_lo, s2
	s_and_b32 s20, vcc_lo, s3
	v_add_co_u32 v2, vcc_lo, v2, v13
	s_delay_alu instid0(VALU_DEP_1)
	v_add_co_ci_u32_e64 v3, null, 0, v3, vcc_lo
	v_add_co_u32 v4, vcc_lo, v4, v12
	v_ashrrev_i32_e32 v11, 31, v10
	s_wait_alu 0xfffd
	v_add_co_ci_u32_e64 v5, null, 0, v5, vcc_lo
	v_add_co_u32 v2, vcc_lo, s10, v2
	s_wait_alu 0xfffd
	v_add_co_ci_u32_e64 v3, null, s11, v3, vcc_lo
	v_add_co_u32 v4, vcc_lo, s14, v4
	v_lshlrev_b64_e32 v[6:7], 3, v[6:7]
	v_lshlrev_b64_e32 v[8:9], 3, v[8:9]
	;; [unrolled: 1-line block ×3, first 2 shown]
	v_lshlrev_b32_e32 v32, 3, v1
	v_ashrrev_i32_e32 v1, 31, v0
	s_wait_alu 0xfffd
	v_add_co_ci_u32_e64 v5, null, s15, v5, vcc_lo
	s_mov_b32 s23, 0
	s_and_b32 s14, s33, s34
	s_lshl_b64 s[2:3], s[12:13], 3
	s_lshl_b64 s[4:5], s[4:5], 3
	;; [unrolled: 1-line block ×3, first 2 shown]
	s_branch .LBB61_6
.LBB61_5:                               ;   in Loop: Header=BB61_6 Depth=1
	s_wait_alu 0xfffe
	s_or_b32 exec_lo, exec_lo, s12
	s_add_co_i32 s22, s22, 0x10000
	s_wait_alu 0xfffe
	s_cmp_lt_u32 s22, s19
	s_cbranch_scc0 .LBB61_33
.LBB61_6:                               ; =>This Loop Header: Depth=1
                                        ;     Child Loop BB61_9 Depth 2
	v_mov_b32_e32 v22, 0
	v_dual_mov_b32 v14, 0 :: v_dual_mov_b32 v23, 0
	v_dual_mov_b32 v20, 0 :: v_dual_mov_b32 v15, 0
	;; [unrolled: 1-line block ×3, first 2 shown]
	v_mov_b32_e32 v13, 0
	s_wait_alu 0xfffe
	s_and_not1_b32 vcc_lo, exec_lo, s14
	s_wait_alu 0xfffe
	s_cbranch_vccnz .LBB61_13
; %bb.7:                                ;   in Loop: Header=BB61_6 Depth=1
	v_mad_co_u64_u32 v[16:17], null, s2, s22, v[2:3]
	v_mad_co_u64_u32 v[18:19], null, s4, s22, v[4:5]
	s_mov_b32 s12, 0
	v_mov_b32_e32 v22, 0
	v_dual_mov_b32 v23, 0 :: v_dual_mov_b32 v12, v17
	v_mov_b32_e32 v13, v19
	s_delay_alu instid0(VALU_DEP_1)
	v_mad_co_u64_u32 v[19:20], null, s3, s22, v[12:13]
	v_mad_co_u64_u32 v[24:25], null, s5, s22, v[13:14]
	v_mov_b32_e32 v12, 0
	v_dual_mov_b32 v20, 0 :: v_dual_mov_b32 v13, 0
	v_dual_mov_b32 v14, 0 :: v_dual_mov_b32 v21, 0
	v_mov_b32_e32 v15, 0
	v_mov_b32_e32 v17, v19
	;; [unrolled: 1-line block ×3, first 2 shown]
	s_branch .LBB61_9
.LBB61_8:                               ;   in Loop: Header=BB61_9 Depth=2
	s_wait_alu 0xfffe
	s_or_b32 exec_lo, exec_lo, s13
	s_wait_loadcnt 0x0
	ds_store_b64 v31, v[26:27]
	s_wait_dscnt 0x0
	s_barrier_signal -1
	s_barrier_wait -1
	global_inv scope:SCOPE_SE
	ds_load_b128 v[24:27], v33
	ds_load_2addr_b64 v[34:37], v32 offset1:16
	ds_load_b128 v[38:41], v33 offset:1024
	ds_load_b128 v[42:45], v33 offset:16
	;; [unrolled: 1-line block ×3, first 2 shown]
	v_add_co_u32 v16, vcc_lo, v16, 64
	s_wait_alu 0xfffd
	v_add_co_ci_u32_e64 v17, null, 0, v17, vcc_lo
	v_add_co_u32 v18, vcc_lo, v18, s10
	s_wait_alu 0xfffd
	v_add_co_ci_u32_e64 v19, null, s11, v19, vcc_lo
	s_add_co_i32 s12, s12, 8
	s_wait_alu 0xfffe
	s_cmp_lt_i32 s12, s21
	s_wait_dscnt 0x3
	v_fma_f64 v[22:23], v[34:35], v[24:25], v[22:23]
	v_fma_f64 v[20:21], v[36:37], v[24:25], v[20:21]
	s_wait_dscnt 0x2
	v_fma_f64 v[24:25], v[34:35], v[38:39], v[14:15]
	v_fma_f64 v[34:35], v[36:37], v[38:39], v[12:13]
	ds_load_2addr_b64 v[12:15], v32 offset0:32 offset1:48
	s_wait_dscnt 0x0
	v_fma_f64 v[22:23], v[12:13], v[26:27], v[22:23]
	v_fma_f64 v[20:21], v[14:15], v[26:27], v[20:21]
	v_fma_f64 v[24:25], v[12:13], v[40:41], v[24:25]
	v_fma_f64 v[26:27], v[14:15], v[40:41], v[34:35]
	ds_load_2addr_b64 v[12:15], v32 offset0:64 offset1:80
	s_wait_dscnt 0x0
	v_fma_f64 v[22:23], v[12:13], v[42:43], v[22:23]
	v_fma_f64 v[20:21], v[14:15], v[42:43], v[20:21]
	;; [unrolled: 6-line block ×3, first 2 shown]
	v_fma_f64 v[46:47], v[12:13], v[48:49], v[24:25]
	v_fma_f64 v[48:49], v[14:15], v[48:49], v[26:27]
	ds_load_b128 v[12:15], v33 offset:32
	ds_load_2addr_b64 v[20:23], v32 offset0:128 offset1:144
	ds_load_b128 v[24:27], v33 offset:1056
	ds_load_b128 v[34:37], v33 offset:48
	;; [unrolled: 1-line block ×3, first 2 shown]
	s_wait_dscnt 0x3
	v_fma_f64 v[42:43], v[20:21], v[12:13], v[42:43]
	v_fma_f64 v[12:13], v[22:23], v[12:13], v[44:45]
	s_wait_dscnt 0x2
	v_fma_f64 v[44:45], v[20:21], v[24:25], v[46:47]
	v_fma_f64 v[24:25], v[22:23], v[24:25], v[48:49]
	ds_load_2addr_b64 v[20:23], v32 offset0:160 offset1:176
	s_wait_dscnt 0x0
	v_fma_f64 v[42:43], v[20:21], v[14:15], v[42:43]
	v_fma_f64 v[46:47], v[22:23], v[14:15], v[12:13]
	;; [unrolled: 1-line block ×4, first 2 shown]
	ds_load_2addr_b64 v[12:15], v32 offset0:192 offset1:208
	ds_load_2addr_b64 v[24:27], v32 offset0:224 offset1:240
	s_wait_loadcnt_dscnt 0x0
	s_barrier_signal -1
	s_barrier_wait -1
	global_inv scope:SCOPE_SE
	v_fma_f64 v[42:43], v[12:13], v[34:35], v[42:43]
	v_fma_f64 v[34:35], v[14:15], v[34:35], v[46:47]
	;; [unrolled: 1-line block ×4, first 2 shown]
	s_delay_alu instid0(VALU_DEP_4) | instskip(NEXT) | instid1(VALU_DEP_4)
	v_fma_f64 v[22:23], v[24:25], v[36:37], v[42:43]
	v_fma_f64 v[20:21], v[26:27], v[36:37], v[34:35]
	s_delay_alu instid0(VALU_DEP_4) | instskip(NEXT) | instid1(VALU_DEP_4)
	v_fma_f64 v[14:15], v[24:25], v[40:41], v[12:13]
	v_fma_f64 v[12:13], v[26:27], v[40:41], v[38:39]
	s_cbranch_scc0 .LBB61_13
.LBB61_9:                               ;   Parent Loop BB61_6 Depth=1
                                        ; =>  This Inner Loop Header: Depth=2
	s_wait_alu 0xfffe
	v_add_nc_u32_e32 v24, s12, v29
	s_delay_alu instid0(VALU_DEP_1)
	v_cmp_gt_i32_e32 vcc_lo, s21, v24
	v_mov_b32_e32 v24, 0
	v_mov_b32_e32 v25, 0
	s_and_b32 s15, s0, vcc_lo
	s_wait_alu 0xfffe
	s_and_saveexec_b32 s13, s15
	s_cbranch_execz .LBB61_11
; %bb.10:                               ;   in Loop: Header=BB61_9 Depth=2
	global_load_b64 v[24:25], v[16:17], off
.LBB61_11:                              ;   in Loop: Header=BB61_9 Depth=2
	s_wait_alu 0xfffe
	s_or_b32 exec_lo, exec_lo, s13
	v_add_nc_u32_e32 v26, s12, v28
	s_wait_loadcnt 0x0
	ds_store_b64 v30, v[24:25]
	v_cmp_gt_i32_e32 vcc_lo, s21, v26
	v_mov_b32_e32 v26, 0
	v_mov_b32_e32 v27, 0
	s_and_b32 s15, vcc_lo, s1
	s_wait_alu 0xfffe
	s_and_saveexec_b32 s13, s15
	s_cbranch_execz .LBB61_8
; %bb.12:                               ;   in Loop: Header=BB61_9 Depth=2
	global_load_b64 v[26:27], v[18:19], off
	s_branch .LBB61_8
.LBB61_13:                              ;   in Loop: Header=BB61_6 Depth=1
	s_mul_u64 s[12:13], s[24:25], s[22:23]
	s_wait_alu 0xfffe
	s_lshl_b64 s[12:13], s[12:13], 3
	s_wait_alu 0xfffe
	s_add_nc_u64 s[12:13], s[16:17], s[12:13]
	s_wait_alu 0xfffe
	v_add_co_u32 v18, vcc_lo, s12, v6
	s_wait_alu 0xfffd
	v_add_co_ci_u32_e64 v19, null, s13, v7, vcc_lo
	s_and_saveexec_b32 s15, s29
	s_cbranch_execz .LBB61_17
; %bb.14:                               ;   in Loop: Header=BB61_6 Depth=1
	v_mul_f64_e32 v[16:17], s[8:9], v[22:23]
	s_and_b32 vcc_lo, exec_lo, s28
	s_wait_alu 0xfffe
	s_cbranch_vccz .LBB61_28
; %bb.15:                               ;   in Loop: Header=BB61_6 Depth=1
	v_add_co_u32 v22, vcc_lo, v18, v10
	s_wait_alu 0xfffd
	v_add_co_ci_u32_e64 v23, null, v19, v11, vcc_lo
	global_load_b64 v[24:25], v[22:23], off
	s_wait_loadcnt 0x0
	v_fma_f64 v[24:25], s[6:7], v[24:25], v[16:17]
	global_store_b64 v[22:23], v[24:25], off
	s_cbranch_execnz .LBB61_17
.LBB61_16:                              ;   in Loop: Header=BB61_6 Depth=1
	v_add_co_u32 v22, vcc_lo, v18, v10
	s_wait_alu 0xfffd
	v_add_co_ci_u32_e64 v23, null, v19, v11, vcc_lo
	global_store_b64 v[22:23], v[16:17], off
.LBB61_17:                              ;   in Loop: Header=BB61_6 Depth=1
	s_wait_alu 0xfffe
	s_or_b32 exec_lo, exec_lo, s15
	s_and_saveexec_b32 s15, s30
	s_cbranch_execz .LBB61_21
; %bb.18:                               ;   in Loop: Header=BB61_6 Depth=1
	v_mul_f64_e32 v[16:17], s[8:9], v[20:21]
	s_and_not1_b32 vcc_lo, exec_lo, s28
	s_wait_alu 0xfffe
	s_cbranch_vccnz .LBB61_29
; %bb.19:                               ;   in Loop: Header=BB61_6 Depth=1
	v_lshlrev_b64_e32 v[20:21], 3, v[0:1]
	s_delay_alu instid0(VALU_DEP_1) | instskip(SKIP_1) | instid1(VALU_DEP_2)
	v_add_co_u32 v20, vcc_lo, v18, v20
	s_wait_alu 0xfffd
	v_add_co_ci_u32_e64 v21, null, v19, v21, vcc_lo
	global_load_b64 v[22:23], v[20:21], off
	s_wait_loadcnt 0x0
	v_fma_f64 v[22:23], s[6:7], v[22:23], v[16:17]
	global_store_b64 v[20:21], v[22:23], off
	s_cbranch_execnz .LBB61_21
.LBB61_20:                              ;   in Loop: Header=BB61_6 Depth=1
	v_lshlrev_b64_e32 v[20:21], 3, v[0:1]
	s_delay_alu instid0(VALU_DEP_1) | instskip(SKIP_1) | instid1(VALU_DEP_2)
	v_add_co_u32 v18, vcc_lo, v18, v20
	s_wait_alu 0xfffd
	v_add_co_ci_u32_e64 v19, null, v19, v21, vcc_lo
	global_store_b64 v[18:19], v[16:17], off
.LBB61_21:                              ;   in Loop: Header=BB61_6 Depth=1
	s_wait_alu 0xfffe
	s_or_b32 exec_lo, exec_lo, s15
	v_add_co_u32 v16, vcc_lo, s12, v8
	s_wait_alu 0xfffd
	v_add_co_ci_u32_e64 v17, null, s13, v9, vcc_lo
	s_and_saveexec_b32 s12, s18
	s_cbranch_execz .LBB61_25
; %bb.22:                               ;   in Loop: Header=BB61_6 Depth=1
	v_mul_f64_e32 v[14:15], s[8:9], v[14:15]
	s_and_not1_b32 vcc_lo, exec_lo, s28
	s_wait_alu 0xfffe
	s_cbranch_vccnz .LBB61_30
; %bb.23:                               ;   in Loop: Header=BB61_6 Depth=1
	v_add_co_u32 v18, vcc_lo, v16, v10
	s_wait_alu 0xfffd
	v_add_co_ci_u32_e64 v19, null, v17, v11, vcc_lo
	global_load_b64 v[20:21], v[18:19], off
	s_wait_loadcnt 0x0
	v_fma_f64 v[20:21], s[6:7], v[20:21], v[14:15]
	global_store_b64 v[18:19], v[20:21], off
	s_cbranch_execnz .LBB61_25
.LBB61_24:                              ;   in Loop: Header=BB61_6 Depth=1
	v_add_co_u32 v18, vcc_lo, v16, v10
	s_wait_alu 0xfffd
	v_add_co_ci_u32_e64 v19, null, v17, v11, vcc_lo
	global_store_b64 v[18:19], v[14:15], off
.LBB61_25:                              ;   in Loop: Header=BB61_6 Depth=1
	s_wait_alu 0xfffe
	s_or_b32 exec_lo, exec_lo, s12
	s_and_saveexec_b32 s12, s20
	s_cbranch_execz .LBB61_5
; %bb.26:                               ;   in Loop: Header=BB61_6 Depth=1
	v_mul_f64_e32 v[12:13], s[8:9], v[12:13]
	v_lshlrev_b64_e32 v[14:15], 3, v[0:1]
	s_and_not1_b32 vcc_lo, exec_lo, s28
	s_wait_alu 0xfffe
	s_cbranch_vccnz .LBB61_31
; %bb.27:                               ;   in Loop: Header=BB61_6 Depth=1
	s_delay_alu instid0(VALU_DEP_1)
	v_add_co_u32 v18, vcc_lo, v16, v14
	s_wait_alu 0xfffd
	v_add_co_ci_u32_e64 v19, null, v17, v15, vcc_lo
	global_load_b64 v[20:21], v[18:19], off
	s_wait_loadcnt 0x0
	v_fma_f64 v[20:21], s[6:7], v[20:21], v[12:13]
	global_store_b64 v[18:19], v[20:21], off
	s_cbranch_execnz .LBB61_5
	s_branch .LBB61_32
.LBB61_28:                              ;   in Loop: Header=BB61_6 Depth=1
	s_branch .LBB61_16
.LBB61_29:                              ;   in Loop: Header=BB61_6 Depth=1
	s_branch .LBB61_20
.LBB61_30:                              ;   in Loop: Header=BB61_6 Depth=1
	s_branch .LBB61_24
.LBB61_31:                              ;   in Loop: Header=BB61_6 Depth=1
.LBB61_32:                              ;   in Loop: Header=BB61_6 Depth=1
	s_delay_alu instid0(VALU_DEP_1)
	v_add_co_u32 v14, vcc_lo, v16, v14
	s_wait_alu 0xfffd
	v_add_co_ci_u32_e64 v15, null, v17, v15, vcc_lo
	global_store_b64 v[14:15], v[12:13], off
	s_branch .LBB61_5
.LBB61_33:
	s_endpgm
	.section	.rodata,"a",@progbits
	.p2align	6, 0x0
	.amdhsa_kernel _ZL29rocblas_internal_gemmt_kernelIiLi16ELi32ELi8ELc67ELc84ELc85ELb0ELb0EddPKdPdEviT_T9_T10_S3_lS5_S3_lS4_T11_S3_li
		.amdhsa_group_segment_fixed_size 4096
		.amdhsa_private_segment_fixed_size 0
		.amdhsa_kernarg_size 100
		.amdhsa_user_sgpr_count 2
		.amdhsa_user_sgpr_dispatch_ptr 0
		.amdhsa_user_sgpr_queue_ptr 0
		.amdhsa_user_sgpr_kernarg_segment_ptr 1
		.amdhsa_user_sgpr_dispatch_id 0
		.amdhsa_user_sgpr_private_segment_size 0
		.amdhsa_wavefront_size32 1
		.amdhsa_uses_dynamic_stack 0
		.amdhsa_enable_private_segment 0
		.amdhsa_system_sgpr_workgroup_id_x 1
		.amdhsa_system_sgpr_workgroup_id_y 1
		.amdhsa_system_sgpr_workgroup_id_z 1
		.amdhsa_system_sgpr_workgroup_info 0
		.amdhsa_system_vgpr_workitem_id 1
		.amdhsa_next_free_vgpr 50
		.amdhsa_next_free_sgpr 35
		.amdhsa_reserve_vcc 1
		.amdhsa_float_round_mode_32 0
		.amdhsa_float_round_mode_16_64 0
		.amdhsa_float_denorm_mode_32 3
		.amdhsa_float_denorm_mode_16_64 3
		.amdhsa_fp16_overflow 0
		.amdhsa_workgroup_processor_mode 1
		.amdhsa_memory_ordered 1
		.amdhsa_forward_progress 1
		.amdhsa_inst_pref_size 16
		.amdhsa_round_robin_scheduling 0
		.amdhsa_exception_fp_ieee_invalid_op 0
		.amdhsa_exception_fp_denorm_src 0
		.amdhsa_exception_fp_ieee_div_zero 0
		.amdhsa_exception_fp_ieee_overflow 0
		.amdhsa_exception_fp_ieee_underflow 0
		.amdhsa_exception_fp_ieee_inexact 0
		.amdhsa_exception_int_div_zero 0
	.end_amdhsa_kernel
	.section	.text._ZL29rocblas_internal_gemmt_kernelIiLi16ELi32ELi8ELc67ELc84ELc85ELb0ELb0EddPKdPdEviT_T9_T10_S3_lS5_S3_lS4_T11_S3_li,"axG",@progbits,_ZL29rocblas_internal_gemmt_kernelIiLi16ELi32ELi8ELc67ELc84ELc85ELb0ELb0EddPKdPdEviT_T9_T10_S3_lS5_S3_lS4_T11_S3_li,comdat
.Lfunc_end61:
	.size	_ZL29rocblas_internal_gemmt_kernelIiLi16ELi32ELi8ELc67ELc84ELc85ELb0ELb0EddPKdPdEviT_T9_T10_S3_lS5_S3_lS4_T11_S3_li, .Lfunc_end61-_ZL29rocblas_internal_gemmt_kernelIiLi16ELi32ELi8ELc67ELc84ELc85ELb0ELb0EddPKdPdEviT_T9_T10_S3_lS5_S3_lS4_T11_S3_li
                                        ; -- End function
	.set _ZL29rocblas_internal_gemmt_kernelIiLi16ELi32ELi8ELc67ELc84ELc85ELb0ELb0EddPKdPdEviT_T9_T10_S3_lS5_S3_lS4_T11_S3_li.num_vgpr, 50
	.set _ZL29rocblas_internal_gemmt_kernelIiLi16ELi32ELi8ELc67ELc84ELc85ELb0ELb0EddPKdPdEviT_T9_T10_S3_lS5_S3_lS4_T11_S3_li.num_agpr, 0
	.set _ZL29rocblas_internal_gemmt_kernelIiLi16ELi32ELi8ELc67ELc84ELc85ELb0ELb0EddPKdPdEviT_T9_T10_S3_lS5_S3_lS4_T11_S3_li.numbered_sgpr, 35
	.set _ZL29rocblas_internal_gemmt_kernelIiLi16ELi32ELi8ELc67ELc84ELc85ELb0ELb0EddPKdPdEviT_T9_T10_S3_lS5_S3_lS4_T11_S3_li.num_named_barrier, 0
	.set _ZL29rocblas_internal_gemmt_kernelIiLi16ELi32ELi8ELc67ELc84ELc85ELb0ELb0EddPKdPdEviT_T9_T10_S3_lS5_S3_lS4_T11_S3_li.private_seg_size, 0
	.set _ZL29rocblas_internal_gemmt_kernelIiLi16ELi32ELi8ELc67ELc84ELc85ELb0ELb0EddPKdPdEviT_T9_T10_S3_lS5_S3_lS4_T11_S3_li.uses_vcc, 1
	.set _ZL29rocblas_internal_gemmt_kernelIiLi16ELi32ELi8ELc67ELc84ELc85ELb0ELb0EddPKdPdEviT_T9_T10_S3_lS5_S3_lS4_T11_S3_li.uses_flat_scratch, 0
	.set _ZL29rocblas_internal_gemmt_kernelIiLi16ELi32ELi8ELc67ELc84ELc85ELb0ELb0EddPKdPdEviT_T9_T10_S3_lS5_S3_lS4_T11_S3_li.has_dyn_sized_stack, 0
	.set _ZL29rocblas_internal_gemmt_kernelIiLi16ELi32ELi8ELc67ELc84ELc85ELb0ELb0EddPKdPdEviT_T9_T10_S3_lS5_S3_lS4_T11_S3_li.has_recursion, 0
	.set _ZL29rocblas_internal_gemmt_kernelIiLi16ELi32ELi8ELc67ELc84ELc85ELb0ELb0EddPKdPdEviT_T9_T10_S3_lS5_S3_lS4_T11_S3_li.has_indirect_call, 0
	.section	.AMDGPU.csdata,"",@progbits
; Kernel info:
; codeLenInByte = 1996
; TotalNumSgprs: 37
; NumVgprs: 50
; ScratchSize: 0
; MemoryBound: 0
; FloatMode: 240
; IeeeMode: 1
; LDSByteSize: 4096 bytes/workgroup (compile time only)
; SGPRBlocks: 0
; VGPRBlocks: 6
; NumSGPRsForWavesPerEU: 37
; NumVGPRsForWavesPerEU: 50
; Occupancy: 16
; WaveLimiterHint : 0
; COMPUTE_PGM_RSRC2:SCRATCH_EN: 0
; COMPUTE_PGM_RSRC2:USER_SGPR: 2
; COMPUTE_PGM_RSRC2:TRAP_HANDLER: 0
; COMPUTE_PGM_RSRC2:TGID_X_EN: 1
; COMPUTE_PGM_RSRC2:TGID_Y_EN: 1
; COMPUTE_PGM_RSRC2:TGID_Z_EN: 1
; COMPUTE_PGM_RSRC2:TIDIG_COMP_CNT: 1
	.section	.text._ZL29rocblas_internal_gemmt_kernelIiLi16ELi32ELi8ELc67ELc67ELc85ELb0ELb0EddPKdPdEviT_T9_T10_S3_lS5_S3_lS4_T11_S3_li,"axG",@progbits,_ZL29rocblas_internal_gemmt_kernelIiLi16ELi32ELi8ELc67ELc67ELc85ELb0ELb0EddPKdPdEviT_T9_T10_S3_lS5_S3_lS4_T11_S3_li,comdat
	.globl	_ZL29rocblas_internal_gemmt_kernelIiLi16ELi32ELi8ELc67ELc67ELc85ELb0ELb0EddPKdPdEviT_T9_T10_S3_lS5_S3_lS4_T11_S3_li ; -- Begin function _ZL29rocblas_internal_gemmt_kernelIiLi16ELi32ELi8ELc67ELc67ELc85ELb0ELb0EddPKdPdEviT_T9_T10_S3_lS5_S3_lS4_T11_S3_li
	.p2align	8
	.type	_ZL29rocblas_internal_gemmt_kernelIiLi16ELi32ELi8ELc67ELc67ELc85ELb0ELb0EddPKdPdEviT_T9_T10_S3_lS5_S3_lS4_T11_S3_li,@function
_ZL29rocblas_internal_gemmt_kernelIiLi16ELi32ELi8ELc67ELc67ELc85ELb0ELb0EddPKdPdEviT_T9_T10_S3_lS5_S3_lS4_T11_S3_li: ; @_ZL29rocblas_internal_gemmt_kernelIiLi16ELi32ELi8ELc67ELc67ELc85ELb0ELb0EddPKdPdEviT_T9_T10_S3_lS5_S3_lS4_T11_S3_li
; %bb.0:
	s_clause 0x2
	s_load_b128 s[4:7], s[0:1], 0x38
	s_load_b64 s[20:21], s[0:1], 0x0
	s_load_b128 s[8:11], s[0:1], 0x8
	s_wait_kmcnt 0x0
	v_cmp_neq_f64_e64 s2, s[6:7], 1.0
	s_and_b32 vcc_lo, exec_lo, s2
	s_cbranch_vccnz .LBB62_2
; %bb.1:
	v_cmp_neq_f64_e64 s2, s[8:9], 0
	s_cmp_lg_u32 s21, 0
	s_cselect_b32 s3, -1, 0
	s_delay_alu instid0(SALU_CYCLE_1)
	s_and_b32 s2, s3, s2
.LBB62_2:
	s_delay_alu instid0(SALU_CYCLE_1)
	s_and_not1_b32 vcc_lo, exec_lo, s2
	s_cbranch_vccnz .LBB62_33
; %bb.3:
	s_load_b32 s19, s[0:1], 0x60
	s_lshr_b32 s22, ttmp7, 16
	s_wait_kmcnt 0x0
	s_cmp_ge_u32 s22, s19
	s_cbranch_scc1 .LBB62_33
; %bb.4:
	v_and_b32_e32 v1, 0x3ff, v0
	v_bfe_u32 v2, v0, 10, 10
	v_and_b32_e32 v28, 7, v0
	s_clause 0x4
	s_load_b32 s31, s[0:1], 0x18
	s_load_b128 s[12:15], s[0:1], 0x20
	s_load_b96 s[16:18], s[0:1], 0x48
	s_load_b64 s[24:25], s[0:1], 0x58
	s_load_b32 s26, s[0:1], 0x30
	v_lshl_add_u32 v0, v2, 4, v1
	v_lshlrev_b32_e32 v4, 3, v28
	s_lshl_b32 s0, ttmp7, 5
	s_lshl_b32 s1, ttmp9, 5
	v_cmp_neq_f64_e64 s33, s[8:9], 0
	v_and_b32_e32 v3, 31, v0
	v_lshrrev_b32_e32 v29, 5, v0
	v_lshrrev_b32_e32 v0, 3, v0
	s_and_b32 s2, s0, 0x1fffe0
	v_add_nc_u32_e32 v10, s1, v1
	v_or_b32_e32 v5, s1, v3
	v_lshlrev_b32_e32 v3, 3, v3
	v_add_nc_u32_e32 v12, s2, v0
	v_lshl_or_b32 v0, v0, 6, v4
	v_cmp_neq_f64_e64 s28, s[6:7], 0
	v_lshl_add_u32 v33, v2, 6, 0x800
	v_lshl_or_b32 v30, v29, 8, v3
	v_add_nc_u32_e32 v3, s2, v2
	v_add_nc_u32_e32 v31, 0x800, v0
	v_add_nc_u32_e32 v0, 16, v10
	v_cmp_gt_i32_e64 s0, s20, v5
	s_wait_kmcnt 0x0
	s_ashr_i32 s27, s26, 31
	v_cmp_gt_i32_e32 vcc_lo, s20, v3
	v_cmp_le_i32_e64 s2, v10, v3
	v_cmp_le_i32_e64 s3, v0, v3
	v_mad_co_i64_i32 v[6:7], null, v3, s18, 0
	v_add_nc_u32_e32 v8, 16, v3
	v_mad_co_i64_i32 v[2:3], null, s31, v5, 0
	v_mad_co_i64_i32 v[4:5], null, s26, v28, 0
	s_cmp_gt_i32 s21, 0
	v_lshlrev_b32_e32 v13, 3, v29
	s_cselect_b32 s34, -1, 0
	s_and_b32 s29, vcc_lo, s2
	v_lshlrev_b64_e32 v[2:3], 3, v[2:3]
	s_and_b32 s30, vcc_lo, s3
	v_cmp_gt_i32_e32 vcc_lo, s20, v8
	v_cmp_le_i32_e64 s2, v10, v8
	v_cmp_le_i32_e64 s3, v0, v8
	v_lshlrev_b64_e32 v[4:5], 3, v[4:5]
	v_cmp_gt_i32_e64 s1, s20, v12
	v_lshlrev_b32_e32 v12, 3, v12
	v_mad_co_i64_i32 v[8:9], null, v8, s18, 0
	s_and_b32 s18, vcc_lo, s2
	s_and_b32 s20, vcc_lo, s3
	v_add_co_u32 v2, vcc_lo, v2, v13
	s_delay_alu instid0(VALU_DEP_1)
	v_add_co_ci_u32_e64 v3, null, 0, v3, vcc_lo
	v_add_co_u32 v4, vcc_lo, v4, v12
	v_ashrrev_i32_e32 v11, 31, v10
	s_wait_alu 0xfffd
	v_add_co_ci_u32_e64 v5, null, 0, v5, vcc_lo
	v_add_co_u32 v2, vcc_lo, s10, v2
	s_wait_alu 0xfffd
	v_add_co_ci_u32_e64 v3, null, s11, v3, vcc_lo
	v_add_co_u32 v4, vcc_lo, s14, v4
	v_lshlrev_b64_e32 v[6:7], 3, v[6:7]
	v_lshlrev_b64_e32 v[8:9], 3, v[8:9]
	v_lshlrev_b64_e32 v[10:11], 3, v[10:11]
	v_lshlrev_b32_e32 v32, 3, v1
	v_ashrrev_i32_e32 v1, 31, v0
	s_wait_alu 0xfffd
	v_add_co_ci_u32_e64 v5, null, s15, v5, vcc_lo
	s_mov_b32 s23, 0
	s_and_b32 s14, s33, s34
	s_lshl_b64 s[2:3], s[12:13], 3
	s_lshl_b64 s[4:5], s[4:5], 3
	s_lshl_b64 s[10:11], s[26:27], 6
	s_branch .LBB62_6
.LBB62_5:                               ;   in Loop: Header=BB62_6 Depth=1
	s_wait_alu 0xfffe
	s_or_b32 exec_lo, exec_lo, s12
	s_add_co_i32 s22, s22, 0x10000
	s_wait_alu 0xfffe
	s_cmp_lt_u32 s22, s19
	s_cbranch_scc0 .LBB62_33
.LBB62_6:                               ; =>This Loop Header: Depth=1
                                        ;     Child Loop BB62_9 Depth 2
	v_mov_b32_e32 v22, 0
	v_dual_mov_b32 v14, 0 :: v_dual_mov_b32 v23, 0
	v_dual_mov_b32 v20, 0 :: v_dual_mov_b32 v15, 0
	;; [unrolled: 1-line block ×3, first 2 shown]
	v_mov_b32_e32 v13, 0
	s_wait_alu 0xfffe
	s_and_not1_b32 vcc_lo, exec_lo, s14
	s_wait_alu 0xfffe
	s_cbranch_vccnz .LBB62_13
; %bb.7:                                ;   in Loop: Header=BB62_6 Depth=1
	v_mad_co_u64_u32 v[16:17], null, s2, s22, v[2:3]
	v_mad_co_u64_u32 v[18:19], null, s4, s22, v[4:5]
	s_mov_b32 s12, 0
	v_mov_b32_e32 v22, 0
	v_dual_mov_b32 v23, 0 :: v_dual_mov_b32 v12, v17
	v_mov_b32_e32 v13, v19
	s_delay_alu instid0(VALU_DEP_1)
	v_mad_co_u64_u32 v[19:20], null, s3, s22, v[12:13]
	v_mad_co_u64_u32 v[24:25], null, s5, s22, v[13:14]
	v_mov_b32_e32 v12, 0
	v_dual_mov_b32 v20, 0 :: v_dual_mov_b32 v13, 0
	v_dual_mov_b32 v14, 0 :: v_dual_mov_b32 v21, 0
	v_mov_b32_e32 v15, 0
	v_mov_b32_e32 v17, v19
	;; [unrolled: 1-line block ×3, first 2 shown]
	s_branch .LBB62_9
.LBB62_8:                               ;   in Loop: Header=BB62_9 Depth=2
	s_wait_alu 0xfffe
	s_or_b32 exec_lo, exec_lo, s13
	s_wait_loadcnt 0x0
	ds_store_b64 v31, v[26:27]
	s_wait_dscnt 0x0
	s_barrier_signal -1
	s_barrier_wait -1
	global_inv scope:SCOPE_SE
	ds_load_b128 v[24:27], v33
	ds_load_2addr_b64 v[34:37], v32 offset1:16
	ds_load_b128 v[38:41], v33 offset:1024
	ds_load_b128 v[42:45], v33 offset:16
	;; [unrolled: 1-line block ×3, first 2 shown]
	v_add_co_u32 v16, vcc_lo, v16, 64
	s_wait_alu 0xfffd
	v_add_co_ci_u32_e64 v17, null, 0, v17, vcc_lo
	v_add_co_u32 v18, vcc_lo, v18, s10
	s_wait_alu 0xfffd
	v_add_co_ci_u32_e64 v19, null, s11, v19, vcc_lo
	s_add_co_i32 s12, s12, 8
	s_wait_alu 0xfffe
	s_cmp_lt_i32 s12, s21
	s_wait_dscnt 0x3
	v_fma_f64 v[22:23], v[34:35], v[24:25], v[22:23]
	v_fma_f64 v[20:21], v[36:37], v[24:25], v[20:21]
	s_wait_dscnt 0x2
	v_fma_f64 v[24:25], v[34:35], v[38:39], v[14:15]
	v_fma_f64 v[34:35], v[36:37], v[38:39], v[12:13]
	ds_load_2addr_b64 v[12:15], v32 offset0:32 offset1:48
	s_wait_dscnt 0x0
	v_fma_f64 v[22:23], v[12:13], v[26:27], v[22:23]
	v_fma_f64 v[20:21], v[14:15], v[26:27], v[20:21]
	v_fma_f64 v[24:25], v[12:13], v[40:41], v[24:25]
	v_fma_f64 v[26:27], v[14:15], v[40:41], v[34:35]
	ds_load_2addr_b64 v[12:15], v32 offset0:64 offset1:80
	s_wait_dscnt 0x0
	v_fma_f64 v[22:23], v[12:13], v[42:43], v[22:23]
	v_fma_f64 v[20:21], v[14:15], v[42:43], v[20:21]
	;; [unrolled: 6-line block ×3, first 2 shown]
	v_fma_f64 v[46:47], v[12:13], v[48:49], v[24:25]
	v_fma_f64 v[48:49], v[14:15], v[48:49], v[26:27]
	ds_load_b128 v[12:15], v33 offset:32
	ds_load_2addr_b64 v[20:23], v32 offset0:128 offset1:144
	ds_load_b128 v[24:27], v33 offset:1056
	ds_load_b128 v[34:37], v33 offset:48
	;; [unrolled: 1-line block ×3, first 2 shown]
	s_wait_dscnt 0x3
	v_fma_f64 v[42:43], v[20:21], v[12:13], v[42:43]
	v_fma_f64 v[12:13], v[22:23], v[12:13], v[44:45]
	s_wait_dscnt 0x2
	v_fma_f64 v[44:45], v[20:21], v[24:25], v[46:47]
	v_fma_f64 v[24:25], v[22:23], v[24:25], v[48:49]
	ds_load_2addr_b64 v[20:23], v32 offset0:160 offset1:176
	s_wait_dscnt 0x0
	v_fma_f64 v[42:43], v[20:21], v[14:15], v[42:43]
	v_fma_f64 v[46:47], v[22:23], v[14:15], v[12:13]
	;; [unrolled: 1-line block ×4, first 2 shown]
	ds_load_2addr_b64 v[12:15], v32 offset0:192 offset1:208
	ds_load_2addr_b64 v[24:27], v32 offset0:224 offset1:240
	s_wait_loadcnt_dscnt 0x0
	s_barrier_signal -1
	s_barrier_wait -1
	global_inv scope:SCOPE_SE
	v_fma_f64 v[42:43], v[12:13], v[34:35], v[42:43]
	v_fma_f64 v[34:35], v[14:15], v[34:35], v[46:47]
	;; [unrolled: 1-line block ×4, first 2 shown]
	s_delay_alu instid0(VALU_DEP_4) | instskip(NEXT) | instid1(VALU_DEP_4)
	v_fma_f64 v[22:23], v[24:25], v[36:37], v[42:43]
	v_fma_f64 v[20:21], v[26:27], v[36:37], v[34:35]
	s_delay_alu instid0(VALU_DEP_4) | instskip(NEXT) | instid1(VALU_DEP_4)
	v_fma_f64 v[14:15], v[24:25], v[40:41], v[12:13]
	v_fma_f64 v[12:13], v[26:27], v[40:41], v[38:39]
	s_cbranch_scc0 .LBB62_13
.LBB62_9:                               ;   Parent Loop BB62_6 Depth=1
                                        ; =>  This Inner Loop Header: Depth=2
	s_wait_alu 0xfffe
	v_add_nc_u32_e32 v24, s12, v29
	s_delay_alu instid0(VALU_DEP_1)
	v_cmp_gt_i32_e32 vcc_lo, s21, v24
	v_mov_b32_e32 v24, 0
	v_mov_b32_e32 v25, 0
	s_and_b32 s15, s0, vcc_lo
	s_wait_alu 0xfffe
	s_and_saveexec_b32 s13, s15
	s_cbranch_execz .LBB62_11
; %bb.10:                               ;   in Loop: Header=BB62_9 Depth=2
	global_load_b64 v[24:25], v[16:17], off
.LBB62_11:                              ;   in Loop: Header=BB62_9 Depth=2
	s_wait_alu 0xfffe
	s_or_b32 exec_lo, exec_lo, s13
	v_add_nc_u32_e32 v26, s12, v28
	s_wait_loadcnt 0x0
	ds_store_b64 v30, v[24:25]
	v_cmp_gt_i32_e32 vcc_lo, s21, v26
	v_mov_b32_e32 v26, 0
	v_mov_b32_e32 v27, 0
	s_and_b32 s15, vcc_lo, s1
	s_wait_alu 0xfffe
	s_and_saveexec_b32 s13, s15
	s_cbranch_execz .LBB62_8
; %bb.12:                               ;   in Loop: Header=BB62_9 Depth=2
	global_load_b64 v[26:27], v[18:19], off
	s_branch .LBB62_8
.LBB62_13:                              ;   in Loop: Header=BB62_6 Depth=1
	s_mul_u64 s[12:13], s[24:25], s[22:23]
	s_wait_alu 0xfffe
	s_lshl_b64 s[12:13], s[12:13], 3
	s_wait_alu 0xfffe
	s_add_nc_u64 s[12:13], s[16:17], s[12:13]
	s_wait_alu 0xfffe
	v_add_co_u32 v18, vcc_lo, s12, v6
	s_wait_alu 0xfffd
	v_add_co_ci_u32_e64 v19, null, s13, v7, vcc_lo
	s_and_saveexec_b32 s15, s29
	s_cbranch_execz .LBB62_17
; %bb.14:                               ;   in Loop: Header=BB62_6 Depth=1
	v_mul_f64_e32 v[16:17], s[8:9], v[22:23]
	s_and_b32 vcc_lo, exec_lo, s28
	s_wait_alu 0xfffe
	s_cbranch_vccz .LBB62_28
; %bb.15:                               ;   in Loop: Header=BB62_6 Depth=1
	v_add_co_u32 v22, vcc_lo, v18, v10
	s_wait_alu 0xfffd
	v_add_co_ci_u32_e64 v23, null, v19, v11, vcc_lo
	global_load_b64 v[24:25], v[22:23], off
	s_wait_loadcnt 0x0
	v_fma_f64 v[24:25], s[6:7], v[24:25], v[16:17]
	global_store_b64 v[22:23], v[24:25], off
	s_cbranch_execnz .LBB62_17
.LBB62_16:                              ;   in Loop: Header=BB62_6 Depth=1
	v_add_co_u32 v22, vcc_lo, v18, v10
	s_wait_alu 0xfffd
	v_add_co_ci_u32_e64 v23, null, v19, v11, vcc_lo
	global_store_b64 v[22:23], v[16:17], off
.LBB62_17:                              ;   in Loop: Header=BB62_6 Depth=1
	s_wait_alu 0xfffe
	s_or_b32 exec_lo, exec_lo, s15
	s_and_saveexec_b32 s15, s30
	s_cbranch_execz .LBB62_21
; %bb.18:                               ;   in Loop: Header=BB62_6 Depth=1
	v_mul_f64_e32 v[16:17], s[8:9], v[20:21]
	s_and_not1_b32 vcc_lo, exec_lo, s28
	s_wait_alu 0xfffe
	s_cbranch_vccnz .LBB62_29
; %bb.19:                               ;   in Loop: Header=BB62_6 Depth=1
	v_lshlrev_b64_e32 v[20:21], 3, v[0:1]
	s_delay_alu instid0(VALU_DEP_1) | instskip(SKIP_1) | instid1(VALU_DEP_2)
	v_add_co_u32 v20, vcc_lo, v18, v20
	s_wait_alu 0xfffd
	v_add_co_ci_u32_e64 v21, null, v19, v21, vcc_lo
	global_load_b64 v[22:23], v[20:21], off
	s_wait_loadcnt 0x0
	v_fma_f64 v[22:23], s[6:7], v[22:23], v[16:17]
	global_store_b64 v[20:21], v[22:23], off
	s_cbranch_execnz .LBB62_21
.LBB62_20:                              ;   in Loop: Header=BB62_6 Depth=1
	v_lshlrev_b64_e32 v[20:21], 3, v[0:1]
	s_delay_alu instid0(VALU_DEP_1) | instskip(SKIP_1) | instid1(VALU_DEP_2)
	v_add_co_u32 v18, vcc_lo, v18, v20
	s_wait_alu 0xfffd
	v_add_co_ci_u32_e64 v19, null, v19, v21, vcc_lo
	global_store_b64 v[18:19], v[16:17], off
.LBB62_21:                              ;   in Loop: Header=BB62_6 Depth=1
	s_wait_alu 0xfffe
	s_or_b32 exec_lo, exec_lo, s15
	v_add_co_u32 v16, vcc_lo, s12, v8
	s_wait_alu 0xfffd
	v_add_co_ci_u32_e64 v17, null, s13, v9, vcc_lo
	s_and_saveexec_b32 s12, s18
	s_cbranch_execz .LBB62_25
; %bb.22:                               ;   in Loop: Header=BB62_6 Depth=1
	v_mul_f64_e32 v[14:15], s[8:9], v[14:15]
	s_and_not1_b32 vcc_lo, exec_lo, s28
	s_wait_alu 0xfffe
	s_cbranch_vccnz .LBB62_30
; %bb.23:                               ;   in Loop: Header=BB62_6 Depth=1
	v_add_co_u32 v18, vcc_lo, v16, v10
	s_wait_alu 0xfffd
	v_add_co_ci_u32_e64 v19, null, v17, v11, vcc_lo
	global_load_b64 v[20:21], v[18:19], off
	s_wait_loadcnt 0x0
	v_fma_f64 v[20:21], s[6:7], v[20:21], v[14:15]
	global_store_b64 v[18:19], v[20:21], off
	s_cbranch_execnz .LBB62_25
.LBB62_24:                              ;   in Loop: Header=BB62_6 Depth=1
	v_add_co_u32 v18, vcc_lo, v16, v10
	s_wait_alu 0xfffd
	v_add_co_ci_u32_e64 v19, null, v17, v11, vcc_lo
	global_store_b64 v[18:19], v[14:15], off
.LBB62_25:                              ;   in Loop: Header=BB62_6 Depth=1
	s_wait_alu 0xfffe
	s_or_b32 exec_lo, exec_lo, s12
	s_and_saveexec_b32 s12, s20
	s_cbranch_execz .LBB62_5
; %bb.26:                               ;   in Loop: Header=BB62_6 Depth=1
	v_mul_f64_e32 v[12:13], s[8:9], v[12:13]
	v_lshlrev_b64_e32 v[14:15], 3, v[0:1]
	s_and_not1_b32 vcc_lo, exec_lo, s28
	s_wait_alu 0xfffe
	s_cbranch_vccnz .LBB62_31
; %bb.27:                               ;   in Loop: Header=BB62_6 Depth=1
	s_delay_alu instid0(VALU_DEP_1)
	v_add_co_u32 v18, vcc_lo, v16, v14
	s_wait_alu 0xfffd
	v_add_co_ci_u32_e64 v19, null, v17, v15, vcc_lo
	global_load_b64 v[20:21], v[18:19], off
	s_wait_loadcnt 0x0
	v_fma_f64 v[20:21], s[6:7], v[20:21], v[12:13]
	global_store_b64 v[18:19], v[20:21], off
	s_cbranch_execnz .LBB62_5
	s_branch .LBB62_32
.LBB62_28:                              ;   in Loop: Header=BB62_6 Depth=1
	s_branch .LBB62_16
.LBB62_29:                              ;   in Loop: Header=BB62_6 Depth=1
	s_branch .LBB62_20
.LBB62_30:                              ;   in Loop: Header=BB62_6 Depth=1
	s_branch .LBB62_24
.LBB62_31:                              ;   in Loop: Header=BB62_6 Depth=1
.LBB62_32:                              ;   in Loop: Header=BB62_6 Depth=1
	s_delay_alu instid0(VALU_DEP_1)
	v_add_co_u32 v14, vcc_lo, v16, v14
	s_wait_alu 0xfffd
	v_add_co_ci_u32_e64 v15, null, v17, v15, vcc_lo
	global_store_b64 v[14:15], v[12:13], off
	s_branch .LBB62_5
.LBB62_33:
	s_endpgm
	.section	.rodata,"a",@progbits
	.p2align	6, 0x0
	.amdhsa_kernel _ZL29rocblas_internal_gemmt_kernelIiLi16ELi32ELi8ELc67ELc67ELc85ELb0ELb0EddPKdPdEviT_T9_T10_S3_lS5_S3_lS4_T11_S3_li
		.amdhsa_group_segment_fixed_size 4096
		.amdhsa_private_segment_fixed_size 0
		.amdhsa_kernarg_size 100
		.amdhsa_user_sgpr_count 2
		.amdhsa_user_sgpr_dispatch_ptr 0
		.amdhsa_user_sgpr_queue_ptr 0
		.amdhsa_user_sgpr_kernarg_segment_ptr 1
		.amdhsa_user_sgpr_dispatch_id 0
		.amdhsa_user_sgpr_private_segment_size 0
		.amdhsa_wavefront_size32 1
		.amdhsa_uses_dynamic_stack 0
		.amdhsa_enable_private_segment 0
		.amdhsa_system_sgpr_workgroup_id_x 1
		.amdhsa_system_sgpr_workgroup_id_y 1
		.amdhsa_system_sgpr_workgroup_id_z 1
		.amdhsa_system_sgpr_workgroup_info 0
		.amdhsa_system_vgpr_workitem_id 1
		.amdhsa_next_free_vgpr 50
		.amdhsa_next_free_sgpr 35
		.amdhsa_reserve_vcc 1
		.amdhsa_float_round_mode_32 0
		.amdhsa_float_round_mode_16_64 0
		.amdhsa_float_denorm_mode_32 3
		.amdhsa_float_denorm_mode_16_64 3
		.amdhsa_fp16_overflow 0
		.amdhsa_workgroup_processor_mode 1
		.amdhsa_memory_ordered 1
		.amdhsa_forward_progress 1
		.amdhsa_inst_pref_size 16
		.amdhsa_round_robin_scheduling 0
		.amdhsa_exception_fp_ieee_invalid_op 0
		.amdhsa_exception_fp_denorm_src 0
		.amdhsa_exception_fp_ieee_div_zero 0
		.amdhsa_exception_fp_ieee_overflow 0
		.amdhsa_exception_fp_ieee_underflow 0
		.amdhsa_exception_fp_ieee_inexact 0
		.amdhsa_exception_int_div_zero 0
	.end_amdhsa_kernel
	.section	.text._ZL29rocblas_internal_gemmt_kernelIiLi16ELi32ELi8ELc67ELc67ELc85ELb0ELb0EddPKdPdEviT_T9_T10_S3_lS5_S3_lS4_T11_S3_li,"axG",@progbits,_ZL29rocblas_internal_gemmt_kernelIiLi16ELi32ELi8ELc67ELc67ELc85ELb0ELb0EddPKdPdEviT_T9_T10_S3_lS5_S3_lS4_T11_S3_li,comdat
.Lfunc_end62:
	.size	_ZL29rocblas_internal_gemmt_kernelIiLi16ELi32ELi8ELc67ELc67ELc85ELb0ELb0EddPKdPdEviT_T9_T10_S3_lS5_S3_lS4_T11_S3_li, .Lfunc_end62-_ZL29rocblas_internal_gemmt_kernelIiLi16ELi32ELi8ELc67ELc67ELc85ELb0ELb0EddPKdPdEviT_T9_T10_S3_lS5_S3_lS4_T11_S3_li
                                        ; -- End function
	.set _ZL29rocblas_internal_gemmt_kernelIiLi16ELi32ELi8ELc67ELc67ELc85ELb0ELb0EddPKdPdEviT_T9_T10_S3_lS5_S3_lS4_T11_S3_li.num_vgpr, 50
	.set _ZL29rocblas_internal_gemmt_kernelIiLi16ELi32ELi8ELc67ELc67ELc85ELb0ELb0EddPKdPdEviT_T9_T10_S3_lS5_S3_lS4_T11_S3_li.num_agpr, 0
	.set _ZL29rocblas_internal_gemmt_kernelIiLi16ELi32ELi8ELc67ELc67ELc85ELb0ELb0EddPKdPdEviT_T9_T10_S3_lS5_S3_lS4_T11_S3_li.numbered_sgpr, 35
	.set _ZL29rocblas_internal_gemmt_kernelIiLi16ELi32ELi8ELc67ELc67ELc85ELb0ELb0EddPKdPdEviT_T9_T10_S3_lS5_S3_lS4_T11_S3_li.num_named_barrier, 0
	.set _ZL29rocblas_internal_gemmt_kernelIiLi16ELi32ELi8ELc67ELc67ELc85ELb0ELb0EddPKdPdEviT_T9_T10_S3_lS5_S3_lS4_T11_S3_li.private_seg_size, 0
	.set _ZL29rocblas_internal_gemmt_kernelIiLi16ELi32ELi8ELc67ELc67ELc85ELb0ELb0EddPKdPdEviT_T9_T10_S3_lS5_S3_lS4_T11_S3_li.uses_vcc, 1
	.set _ZL29rocblas_internal_gemmt_kernelIiLi16ELi32ELi8ELc67ELc67ELc85ELb0ELb0EddPKdPdEviT_T9_T10_S3_lS5_S3_lS4_T11_S3_li.uses_flat_scratch, 0
	.set _ZL29rocblas_internal_gemmt_kernelIiLi16ELi32ELi8ELc67ELc67ELc85ELb0ELb0EddPKdPdEviT_T9_T10_S3_lS5_S3_lS4_T11_S3_li.has_dyn_sized_stack, 0
	.set _ZL29rocblas_internal_gemmt_kernelIiLi16ELi32ELi8ELc67ELc67ELc85ELb0ELb0EddPKdPdEviT_T9_T10_S3_lS5_S3_lS4_T11_S3_li.has_recursion, 0
	.set _ZL29rocblas_internal_gemmt_kernelIiLi16ELi32ELi8ELc67ELc67ELc85ELb0ELb0EddPKdPdEviT_T9_T10_S3_lS5_S3_lS4_T11_S3_li.has_indirect_call, 0
	.section	.AMDGPU.csdata,"",@progbits
; Kernel info:
; codeLenInByte = 1996
; TotalNumSgprs: 37
; NumVgprs: 50
; ScratchSize: 0
; MemoryBound: 0
; FloatMode: 240
; IeeeMode: 1
; LDSByteSize: 4096 bytes/workgroup (compile time only)
; SGPRBlocks: 0
; VGPRBlocks: 6
; NumSGPRsForWavesPerEU: 37
; NumVGPRsForWavesPerEU: 50
; Occupancy: 16
; WaveLimiterHint : 0
; COMPUTE_PGM_RSRC2:SCRATCH_EN: 0
; COMPUTE_PGM_RSRC2:USER_SGPR: 2
; COMPUTE_PGM_RSRC2:TRAP_HANDLER: 0
; COMPUTE_PGM_RSRC2:TGID_X_EN: 1
; COMPUTE_PGM_RSRC2:TGID_Y_EN: 1
; COMPUTE_PGM_RSRC2:TGID_Z_EN: 1
; COMPUTE_PGM_RSRC2:TIDIG_COMP_CNT: 1
	.section	.text._ZL29rocblas_internal_gemmt_kernelIiLi16ELi32ELi8ELc78ELc78ELc76ELb0ELb0EddPKdPdEviT_T9_T10_S3_lS5_S3_lS4_T11_S3_li,"axG",@progbits,_ZL29rocblas_internal_gemmt_kernelIiLi16ELi32ELi8ELc78ELc78ELc76ELb0ELb0EddPKdPdEviT_T9_T10_S3_lS5_S3_lS4_T11_S3_li,comdat
	.globl	_ZL29rocblas_internal_gemmt_kernelIiLi16ELi32ELi8ELc78ELc78ELc76ELb0ELb0EddPKdPdEviT_T9_T10_S3_lS5_S3_lS4_T11_S3_li ; -- Begin function _ZL29rocblas_internal_gemmt_kernelIiLi16ELi32ELi8ELc78ELc78ELc76ELb0ELb0EddPKdPdEviT_T9_T10_S3_lS5_S3_lS4_T11_S3_li
	.p2align	8
	.type	_ZL29rocblas_internal_gemmt_kernelIiLi16ELi32ELi8ELc78ELc78ELc76ELb0ELb0EddPKdPdEviT_T9_T10_S3_lS5_S3_lS4_T11_S3_li,@function
_ZL29rocblas_internal_gemmt_kernelIiLi16ELi32ELi8ELc78ELc78ELc76ELb0ELb0EddPKdPdEviT_T9_T10_S3_lS5_S3_lS4_T11_S3_li: ; @_ZL29rocblas_internal_gemmt_kernelIiLi16ELi32ELi8ELc78ELc78ELc76ELb0ELb0EddPKdPdEviT_T9_T10_S3_lS5_S3_lS4_T11_S3_li
; %bb.0:
	s_clause 0x2
	s_load_b128 s[8:11], s[0:1], 0x38
	s_load_b64 s[4:5], s[0:1], 0x0
	s_load_b128 s[12:15], s[0:1], 0x8
	s_wait_kmcnt 0x0
	v_cmp_neq_f64_e64 s2, s[10:11], 1.0
	s_and_b32 vcc_lo, exec_lo, s2
	s_cbranch_vccnz .LBB63_2
; %bb.1:
	v_cmp_neq_f64_e64 s2, s[12:13], 0
	s_cmp_lg_u32 s5, 0
	s_cselect_b32 s3, -1, 0
	s_delay_alu instid0(SALU_CYCLE_1)
	s_and_b32 s2, s3, s2
.LBB63_2:
	s_delay_alu instid0(SALU_CYCLE_1)
	s_and_not1_b32 vcc_lo, exec_lo, s2
	s_cbranch_vccnz .LBB63_33
; %bb.3:
	s_load_b32 s23, s[0:1], 0x60
	s_lshr_b32 s6, ttmp7, 16
	s_wait_kmcnt 0x0
	s_cmp_ge_u32 s6, s23
	s_cbranch_scc1 .LBB63_33
; %bb.4:
	v_and_b32_e32 v1, 0x3ff, v0
	v_bfe_u32 v2, v0, 10, 10
	v_and_b32_e32 v28, 7, v0
	s_clause 0x4
	s_load_b32 s26, s[0:1], 0x18
	s_load_b128 s[16:19], s[0:1], 0x20
	s_load_b32 s31, s[0:1], 0x30
	s_load_b96 s[20:22], s[0:1], 0x48
	s_load_b64 s[24:25], s[0:1], 0x58
	s_lshl_b32 s1, ttmp9, 5
	v_lshl_add_u32 v0, v2, 4, v1
	v_cmp_neq_f64_e64 s33, s[12:13], 0
	v_lshlrev_b32_e32 v14, 3, v28
	s_lshl_b32 s0, ttmp7, 5
	v_cmp_neq_f64_e64 s28, s[10:11], 0
	v_and_b32_e32 v3, 31, v0
	v_lshrrev_b32_e32 v29, 5, v0
	v_lshrrev_b32_e32 v0, 3, v0
	s_and_b32 s2, s0, 0x1fffe0
	v_lshl_add_u32 v33, v2, 6, 0x800
	v_or_b32_e32 v4, s1, v3
	v_lshlrev_b32_e32 v3, 3, v3
	v_add_nc_u32_e32 v10, s2, v0
	v_lshl_or_b32 v5, v0, 6, v14
	v_add_nc_u32_e32 v0, s1, v1
	v_cmp_gt_i32_e64 s0, s4, v4
	v_lshl_or_b32 v30, v29, 8, v3
	v_add_nc_u32_e32 v3, s2, v2
	s_wait_kmcnt 0x0
	v_mad_co_i64_i32 v[6:7], null, v29, s26, 0
	v_cmp_gt_i32_e64 s2, s4, v0
	v_add_nc_u32_e32 v2, 16, v0
	v_cmp_le_i32_e32 vcc_lo, v3, v0
	s_ashr_i32 s27, s26, 31
	s_cmp_gt_i32 s5, 0
	v_cmp_gt_i32_e64 s1, s4, v10
	v_mad_co_i64_i32 v[10:11], null, s31, v10, 0
	v_add_nc_u32_e32 v31, 0x800, v5
	v_ashrrev_i32_e32 v5, 31, v4
	s_cselect_b32 s34, -1, 0
	s_and_b32 s29, vcc_lo, s2
	v_cmp_le_i32_e32 vcc_lo, v3, v2
	v_cmp_gt_i32_e64 s3, s4, v2
	v_add_nc_u32_e32 v12, 16, v3
	v_lshlrev_b64_e32 v[6:7], 3, v[6:7]
	v_lshlrev_b64_e32 v[4:5], 3, v[4:5]
	;; [unrolled: 1-line block ×3, first 2 shown]
	s_and_b32 s30, vcc_lo, s3
	v_cmp_le_i32_e32 vcc_lo, v12, v0
	v_mad_co_i64_i32 v[8:9], null, v3, s22, 0
	v_cmp_le_i32_e64 s4, v12, v2
	v_mad_co_i64_i32 v[12:13], null, v12, s22, 0
	s_and_b32 s22, vcc_lo, s2
	v_add_co_u32 v4, vcc_lo, v6, v4
	s_delay_alu instid0(VALU_DEP_1)
	v_add_co_ci_u32_e64 v5, null, v7, v5, vcc_lo
	v_add_co_u32 v6, vcc_lo, v10, v14
	s_wait_alu 0xfffd
	v_add_co_ci_u32_e64 v7, null, 0, v11, vcc_lo
	v_add_co_u32 v4, vcc_lo, s14, v4
	s_wait_alu 0xfffd
	v_add_co_ci_u32_e64 v5, null, s15, v5, vcc_lo
	v_add_co_u32 v6, vcc_lo, s18, v6
	v_lshlrev_b64_e32 v[8:9], 3, v[8:9]
	v_lshlrev_b64_e32 v[10:11], 3, v[12:13]
	v_lshlrev_b32_e32 v32, 3, v1
	v_ashrrev_i32_e32 v1, 31, v0
	v_ashrrev_i32_e32 v3, 31, v2
	s_wait_alu 0xfffd
	v_add_co_ci_u32_e64 v7, null, s19, v7, vcc_lo
	s_mov_b32 s7, 0
	s_and_b32 s4, s4, s3
	s_and_b32 s18, s33, s34
	s_lshl_b64 s[2:3], s[16:17], 3
	s_wait_alu 0xfffe
	s_lshl_b64 s[14:15], s[26:27], 6
	s_lshl_b64 s[8:9], s[8:9], 3
	s_branch .LBB63_6
.LBB63_5:                               ;   in Loop: Header=BB63_6 Depth=1
	s_wait_alu 0xfffe
	s_or_b32 exec_lo, exec_lo, s16
	s_add_co_i32 s6, s6, 0x10000
	s_wait_alu 0xfffe
	s_cmp_lt_u32 s6, s23
	s_cbranch_scc0 .LBB63_33
.LBB63_6:                               ; =>This Loop Header: Depth=1
                                        ;     Child Loop BB63_9 Depth 2
	v_mov_b32_e32 v22, 0
	v_dual_mov_b32 v14, 0 :: v_dual_mov_b32 v23, 0
	v_dual_mov_b32 v20, 0 :: v_dual_mov_b32 v15, 0
	;; [unrolled: 1-line block ×3, first 2 shown]
	v_mov_b32_e32 v13, 0
	s_and_not1_b32 vcc_lo, exec_lo, s18
	s_wait_alu 0xfffe
	s_cbranch_vccnz .LBB63_13
; %bb.7:                                ;   in Loop: Header=BB63_6 Depth=1
	v_mad_co_u64_u32 v[16:17], null, s2, s6, v[4:5]
	v_mad_co_u64_u32 v[18:19], null, s8, s6, v[6:7]
	s_mov_b32 s16, 0
	v_mov_b32_e32 v22, 0
	v_dual_mov_b32 v23, 0 :: v_dual_mov_b32 v12, v17
	v_mov_b32_e32 v13, v19
	s_delay_alu instid0(VALU_DEP_1)
	v_mad_co_u64_u32 v[19:20], null, s3, s6, v[12:13]
	v_mad_co_u64_u32 v[24:25], null, s9, s6, v[13:14]
	v_mov_b32_e32 v12, 0
	v_dual_mov_b32 v20, 0 :: v_dual_mov_b32 v13, 0
	v_dual_mov_b32 v14, 0 :: v_dual_mov_b32 v21, 0
	v_mov_b32_e32 v15, 0
	v_mov_b32_e32 v17, v19
	;; [unrolled: 1-line block ×3, first 2 shown]
	s_branch .LBB63_9
.LBB63_8:                               ;   in Loop: Header=BB63_9 Depth=2
	s_wait_alu 0xfffe
	s_or_b32 exec_lo, exec_lo, s17
	s_wait_loadcnt 0x0
	ds_store_b64 v31, v[26:27]
	s_wait_dscnt 0x0
	s_barrier_signal -1
	s_barrier_wait -1
	global_inv scope:SCOPE_SE
	ds_load_b128 v[24:27], v33
	ds_load_2addr_b64 v[34:37], v32 offset1:16
	ds_load_b128 v[38:41], v33 offset:1024
	ds_load_b128 v[42:45], v33 offset:16
	;; [unrolled: 1-line block ×3, first 2 shown]
	v_add_co_u32 v16, vcc_lo, v16, s14
	s_wait_alu 0xfffd
	v_add_co_ci_u32_e64 v17, null, s15, v17, vcc_lo
	v_add_co_u32 v18, vcc_lo, v18, 64
	s_wait_alu 0xfffd
	v_add_co_ci_u32_e64 v19, null, 0, v19, vcc_lo
	s_add_co_i32 s16, s16, 8
	s_wait_alu 0xfffe
	s_cmp_lt_i32 s16, s5
	s_wait_dscnt 0x3
	v_fma_f64 v[22:23], v[34:35], v[24:25], v[22:23]
	v_fma_f64 v[20:21], v[36:37], v[24:25], v[20:21]
	s_wait_dscnt 0x2
	v_fma_f64 v[24:25], v[34:35], v[38:39], v[14:15]
	v_fma_f64 v[34:35], v[36:37], v[38:39], v[12:13]
	ds_load_2addr_b64 v[12:15], v32 offset0:32 offset1:48
	s_wait_dscnt 0x0
	v_fma_f64 v[22:23], v[12:13], v[26:27], v[22:23]
	v_fma_f64 v[20:21], v[14:15], v[26:27], v[20:21]
	v_fma_f64 v[24:25], v[12:13], v[40:41], v[24:25]
	v_fma_f64 v[26:27], v[14:15], v[40:41], v[34:35]
	ds_load_2addr_b64 v[12:15], v32 offset0:64 offset1:80
	s_wait_dscnt 0x0
	v_fma_f64 v[22:23], v[12:13], v[42:43], v[22:23]
	v_fma_f64 v[20:21], v[14:15], v[42:43], v[20:21]
	;; [unrolled: 6-line block ×3, first 2 shown]
	v_fma_f64 v[46:47], v[12:13], v[48:49], v[24:25]
	v_fma_f64 v[48:49], v[14:15], v[48:49], v[26:27]
	ds_load_b128 v[12:15], v33 offset:32
	ds_load_2addr_b64 v[20:23], v32 offset0:128 offset1:144
	ds_load_b128 v[24:27], v33 offset:1056
	ds_load_b128 v[34:37], v33 offset:48
	;; [unrolled: 1-line block ×3, first 2 shown]
	s_wait_dscnt 0x3
	v_fma_f64 v[42:43], v[20:21], v[12:13], v[42:43]
	v_fma_f64 v[12:13], v[22:23], v[12:13], v[44:45]
	s_wait_dscnt 0x2
	v_fma_f64 v[44:45], v[20:21], v[24:25], v[46:47]
	v_fma_f64 v[24:25], v[22:23], v[24:25], v[48:49]
	ds_load_2addr_b64 v[20:23], v32 offset0:160 offset1:176
	s_wait_dscnt 0x0
	v_fma_f64 v[42:43], v[20:21], v[14:15], v[42:43]
	v_fma_f64 v[46:47], v[22:23], v[14:15], v[12:13]
	;; [unrolled: 1-line block ×4, first 2 shown]
	ds_load_2addr_b64 v[12:15], v32 offset0:192 offset1:208
	ds_load_2addr_b64 v[24:27], v32 offset0:224 offset1:240
	s_wait_loadcnt_dscnt 0x0
	s_barrier_signal -1
	s_barrier_wait -1
	global_inv scope:SCOPE_SE
	v_fma_f64 v[42:43], v[12:13], v[34:35], v[42:43]
	v_fma_f64 v[34:35], v[14:15], v[34:35], v[46:47]
	;; [unrolled: 1-line block ×4, first 2 shown]
	s_delay_alu instid0(VALU_DEP_4) | instskip(NEXT) | instid1(VALU_DEP_4)
	v_fma_f64 v[22:23], v[24:25], v[36:37], v[42:43]
	v_fma_f64 v[20:21], v[26:27], v[36:37], v[34:35]
	s_delay_alu instid0(VALU_DEP_4) | instskip(NEXT) | instid1(VALU_DEP_4)
	v_fma_f64 v[14:15], v[24:25], v[40:41], v[12:13]
	v_fma_f64 v[12:13], v[26:27], v[40:41], v[38:39]
	s_cbranch_scc0 .LBB63_13
.LBB63_9:                               ;   Parent Loop BB63_6 Depth=1
                                        ; =>  This Inner Loop Header: Depth=2
	s_wait_alu 0xfffe
	v_add_nc_u32_e32 v24, s16, v29
	s_delay_alu instid0(VALU_DEP_1)
	v_cmp_gt_i32_e32 vcc_lo, s5, v24
	v_mov_b32_e32 v24, 0
	v_mov_b32_e32 v25, 0
	s_and_b32 s19, s0, vcc_lo
	s_wait_alu 0xfffe
	s_and_saveexec_b32 s17, s19
	s_cbranch_execz .LBB63_11
; %bb.10:                               ;   in Loop: Header=BB63_9 Depth=2
	global_load_b64 v[24:25], v[16:17], off
.LBB63_11:                              ;   in Loop: Header=BB63_9 Depth=2
	s_wait_alu 0xfffe
	s_or_b32 exec_lo, exec_lo, s17
	v_add_nc_u32_e32 v26, s16, v28
	s_wait_loadcnt 0x0
	ds_store_b64 v30, v[24:25]
	v_cmp_gt_i32_e32 vcc_lo, s5, v26
	v_mov_b32_e32 v26, 0
	v_mov_b32_e32 v27, 0
	s_and_b32 s19, vcc_lo, s1
	s_wait_alu 0xfffe
	s_and_saveexec_b32 s17, s19
	s_cbranch_execz .LBB63_8
; %bb.12:                               ;   in Loop: Header=BB63_9 Depth=2
	global_load_b64 v[26:27], v[18:19], off
	s_branch .LBB63_8
.LBB63_13:                              ;   in Loop: Header=BB63_6 Depth=1
	s_mul_u64 s[16:17], s[24:25], s[6:7]
	s_wait_alu 0xfffe
	s_lshl_b64 s[16:17], s[16:17], 3
	s_wait_alu 0xfffe
	s_add_nc_u64 s[16:17], s[20:21], s[16:17]
	s_wait_alu 0xfffe
	v_add_co_u32 v18, vcc_lo, s16, v8
	s_wait_alu 0xfffd
	v_add_co_ci_u32_e64 v19, null, s17, v9, vcc_lo
	s_and_saveexec_b32 s19, s29
	s_cbranch_execz .LBB63_17
; %bb.14:                               ;   in Loop: Header=BB63_6 Depth=1
	v_mul_f64_e32 v[16:17], s[12:13], v[22:23]
	s_and_b32 vcc_lo, exec_lo, s28
	s_wait_alu 0xfffe
	s_cbranch_vccz .LBB63_28
; %bb.15:                               ;   in Loop: Header=BB63_6 Depth=1
	v_lshlrev_b64_e32 v[22:23], 3, v[0:1]
	s_delay_alu instid0(VALU_DEP_1) | instskip(SKIP_1) | instid1(VALU_DEP_2)
	v_add_co_u32 v22, vcc_lo, v18, v22
	s_wait_alu 0xfffd
	v_add_co_ci_u32_e64 v23, null, v19, v23, vcc_lo
	global_load_b64 v[24:25], v[22:23], off
	s_wait_loadcnt 0x0
	v_fma_f64 v[24:25], s[10:11], v[24:25], v[16:17]
	global_store_b64 v[22:23], v[24:25], off
	s_cbranch_execnz .LBB63_17
.LBB63_16:                              ;   in Loop: Header=BB63_6 Depth=1
	v_lshlrev_b64_e32 v[22:23], 3, v[0:1]
	s_delay_alu instid0(VALU_DEP_1) | instskip(SKIP_1) | instid1(VALU_DEP_2)
	v_add_co_u32 v22, vcc_lo, v18, v22
	s_wait_alu 0xfffd
	v_add_co_ci_u32_e64 v23, null, v19, v23, vcc_lo
	global_store_b64 v[22:23], v[16:17], off
.LBB63_17:                              ;   in Loop: Header=BB63_6 Depth=1
	s_wait_alu 0xfffe
	s_or_b32 exec_lo, exec_lo, s19
	s_and_saveexec_b32 s19, s30
	s_cbranch_execz .LBB63_21
; %bb.18:                               ;   in Loop: Header=BB63_6 Depth=1
	v_mul_f64_e32 v[16:17], s[12:13], v[20:21]
	s_and_not1_b32 vcc_lo, exec_lo, s28
	s_wait_alu 0xfffe
	s_cbranch_vccnz .LBB63_29
; %bb.19:                               ;   in Loop: Header=BB63_6 Depth=1
	v_lshlrev_b64_e32 v[20:21], 3, v[2:3]
	s_delay_alu instid0(VALU_DEP_1) | instskip(SKIP_1) | instid1(VALU_DEP_2)
	v_add_co_u32 v20, vcc_lo, v18, v20
	s_wait_alu 0xfffd
	v_add_co_ci_u32_e64 v21, null, v19, v21, vcc_lo
	global_load_b64 v[22:23], v[20:21], off
	s_wait_loadcnt 0x0
	v_fma_f64 v[22:23], s[10:11], v[22:23], v[16:17]
	global_store_b64 v[20:21], v[22:23], off
	s_cbranch_execnz .LBB63_21
.LBB63_20:                              ;   in Loop: Header=BB63_6 Depth=1
	v_lshlrev_b64_e32 v[20:21], 3, v[2:3]
	s_delay_alu instid0(VALU_DEP_1) | instskip(SKIP_1) | instid1(VALU_DEP_2)
	v_add_co_u32 v18, vcc_lo, v18, v20
	s_wait_alu 0xfffd
	v_add_co_ci_u32_e64 v19, null, v19, v21, vcc_lo
	global_store_b64 v[18:19], v[16:17], off
.LBB63_21:                              ;   in Loop: Header=BB63_6 Depth=1
	s_wait_alu 0xfffe
	s_or_b32 exec_lo, exec_lo, s19
	v_add_co_u32 v18, vcc_lo, s16, v10
	s_wait_alu 0xfffd
	v_add_co_ci_u32_e64 v19, null, s17, v11, vcc_lo
	s_and_saveexec_b32 s16, s22
	s_cbranch_execz .LBB63_25
; %bb.22:                               ;   in Loop: Header=BB63_6 Depth=1
	v_mul_f64_e32 v[14:15], s[12:13], v[14:15]
	v_lshlrev_b64_e32 v[16:17], 3, v[0:1]
	s_and_not1_b32 vcc_lo, exec_lo, s28
	s_wait_alu 0xfffe
	s_cbranch_vccnz .LBB63_30
; %bb.23:                               ;   in Loop: Header=BB63_6 Depth=1
	s_delay_alu instid0(VALU_DEP_1)
	v_add_co_u32 v20, vcc_lo, v18, v16
	s_wait_alu 0xfffd
	v_add_co_ci_u32_e64 v21, null, v19, v17, vcc_lo
	global_load_b64 v[22:23], v[20:21], off
	s_wait_loadcnt 0x0
	v_fma_f64 v[22:23], s[10:11], v[22:23], v[14:15]
	global_store_b64 v[20:21], v[22:23], off
	s_cbranch_execnz .LBB63_25
.LBB63_24:                              ;   in Loop: Header=BB63_6 Depth=1
	s_delay_alu instid0(VALU_DEP_1)
	v_add_co_u32 v16, vcc_lo, v18, v16
	s_wait_alu 0xfffd
	v_add_co_ci_u32_e64 v17, null, v19, v17, vcc_lo
	global_store_b64 v[16:17], v[14:15], off
.LBB63_25:                              ;   in Loop: Header=BB63_6 Depth=1
	s_wait_alu 0xfffe
	s_or_b32 exec_lo, exec_lo, s16
	s_and_saveexec_b32 s16, s4
	s_cbranch_execz .LBB63_5
; %bb.26:                               ;   in Loop: Header=BB63_6 Depth=1
	v_mul_f64_e32 v[12:13], s[12:13], v[12:13]
	v_lshlrev_b64_e32 v[14:15], 3, v[2:3]
	s_and_not1_b32 vcc_lo, exec_lo, s28
	s_wait_alu 0xfffe
	s_cbranch_vccnz .LBB63_31
; %bb.27:                               ;   in Loop: Header=BB63_6 Depth=1
	s_delay_alu instid0(VALU_DEP_1)
	v_add_co_u32 v16, vcc_lo, v18, v14
	s_wait_alu 0xfffd
	v_add_co_ci_u32_e64 v17, null, v19, v15, vcc_lo
	global_load_b64 v[20:21], v[16:17], off
	s_wait_loadcnt 0x0
	v_fma_f64 v[20:21], s[10:11], v[20:21], v[12:13]
	global_store_b64 v[16:17], v[20:21], off
	s_cbranch_execnz .LBB63_5
	s_branch .LBB63_32
.LBB63_28:                              ;   in Loop: Header=BB63_6 Depth=1
	s_branch .LBB63_16
.LBB63_29:                              ;   in Loop: Header=BB63_6 Depth=1
	s_branch .LBB63_20
.LBB63_30:                              ;   in Loop: Header=BB63_6 Depth=1
	s_branch .LBB63_24
.LBB63_31:                              ;   in Loop: Header=BB63_6 Depth=1
.LBB63_32:                              ;   in Loop: Header=BB63_6 Depth=1
	s_delay_alu instid0(VALU_DEP_1)
	v_add_co_u32 v14, vcc_lo, v18, v14
	s_wait_alu 0xfffd
	v_add_co_ci_u32_e64 v15, null, v19, v15, vcc_lo
	global_store_b64 v[14:15], v[12:13], off
	s_branch .LBB63_5
.LBB63_33:
	s_endpgm
	.section	.rodata,"a",@progbits
	.p2align	6, 0x0
	.amdhsa_kernel _ZL29rocblas_internal_gemmt_kernelIiLi16ELi32ELi8ELc78ELc78ELc76ELb0ELb0EddPKdPdEviT_T9_T10_S3_lS5_S3_lS4_T11_S3_li
		.amdhsa_group_segment_fixed_size 4096
		.amdhsa_private_segment_fixed_size 0
		.amdhsa_kernarg_size 100
		.amdhsa_user_sgpr_count 2
		.amdhsa_user_sgpr_dispatch_ptr 0
		.amdhsa_user_sgpr_queue_ptr 0
		.amdhsa_user_sgpr_kernarg_segment_ptr 1
		.amdhsa_user_sgpr_dispatch_id 0
		.amdhsa_user_sgpr_private_segment_size 0
		.amdhsa_wavefront_size32 1
		.amdhsa_uses_dynamic_stack 0
		.amdhsa_enable_private_segment 0
		.amdhsa_system_sgpr_workgroup_id_x 1
		.amdhsa_system_sgpr_workgroup_id_y 1
		.amdhsa_system_sgpr_workgroup_id_z 1
		.amdhsa_system_sgpr_workgroup_info 0
		.amdhsa_system_vgpr_workitem_id 1
		.amdhsa_next_free_vgpr 50
		.amdhsa_next_free_sgpr 35
		.amdhsa_reserve_vcc 1
		.amdhsa_float_round_mode_32 0
		.amdhsa_float_round_mode_16_64 0
		.amdhsa_float_denorm_mode_32 3
		.amdhsa_float_denorm_mode_16_64 3
		.amdhsa_fp16_overflow 0
		.amdhsa_workgroup_processor_mode 1
		.amdhsa_memory_ordered 1
		.amdhsa_forward_progress 1
		.amdhsa_inst_pref_size 16
		.amdhsa_round_robin_scheduling 0
		.amdhsa_exception_fp_ieee_invalid_op 0
		.amdhsa_exception_fp_denorm_src 0
		.amdhsa_exception_fp_ieee_div_zero 0
		.amdhsa_exception_fp_ieee_overflow 0
		.amdhsa_exception_fp_ieee_underflow 0
		.amdhsa_exception_fp_ieee_inexact 0
		.amdhsa_exception_int_div_zero 0
	.end_amdhsa_kernel
	.section	.text._ZL29rocblas_internal_gemmt_kernelIiLi16ELi32ELi8ELc78ELc78ELc76ELb0ELb0EddPKdPdEviT_T9_T10_S3_lS5_S3_lS4_T11_S3_li,"axG",@progbits,_ZL29rocblas_internal_gemmt_kernelIiLi16ELi32ELi8ELc78ELc78ELc76ELb0ELb0EddPKdPdEviT_T9_T10_S3_lS5_S3_lS4_T11_S3_li,comdat
.Lfunc_end63:
	.size	_ZL29rocblas_internal_gemmt_kernelIiLi16ELi32ELi8ELc78ELc78ELc76ELb0ELb0EddPKdPdEviT_T9_T10_S3_lS5_S3_lS4_T11_S3_li, .Lfunc_end63-_ZL29rocblas_internal_gemmt_kernelIiLi16ELi32ELi8ELc78ELc78ELc76ELb0ELb0EddPKdPdEviT_T9_T10_S3_lS5_S3_lS4_T11_S3_li
                                        ; -- End function
	.set _ZL29rocblas_internal_gemmt_kernelIiLi16ELi32ELi8ELc78ELc78ELc76ELb0ELb0EddPKdPdEviT_T9_T10_S3_lS5_S3_lS4_T11_S3_li.num_vgpr, 50
	.set _ZL29rocblas_internal_gemmt_kernelIiLi16ELi32ELi8ELc78ELc78ELc76ELb0ELb0EddPKdPdEviT_T9_T10_S3_lS5_S3_lS4_T11_S3_li.num_agpr, 0
	.set _ZL29rocblas_internal_gemmt_kernelIiLi16ELi32ELi8ELc78ELc78ELc76ELb0ELb0EddPKdPdEviT_T9_T10_S3_lS5_S3_lS4_T11_S3_li.numbered_sgpr, 35
	.set _ZL29rocblas_internal_gemmt_kernelIiLi16ELi32ELi8ELc78ELc78ELc76ELb0ELb0EddPKdPdEviT_T9_T10_S3_lS5_S3_lS4_T11_S3_li.num_named_barrier, 0
	.set _ZL29rocblas_internal_gemmt_kernelIiLi16ELi32ELi8ELc78ELc78ELc76ELb0ELb0EddPKdPdEviT_T9_T10_S3_lS5_S3_lS4_T11_S3_li.private_seg_size, 0
	.set _ZL29rocblas_internal_gemmt_kernelIiLi16ELi32ELi8ELc78ELc78ELc76ELb0ELb0EddPKdPdEviT_T9_T10_S3_lS5_S3_lS4_T11_S3_li.uses_vcc, 1
	.set _ZL29rocblas_internal_gemmt_kernelIiLi16ELi32ELi8ELc78ELc78ELc76ELb0ELb0EddPKdPdEviT_T9_T10_S3_lS5_S3_lS4_T11_S3_li.uses_flat_scratch, 0
	.set _ZL29rocblas_internal_gemmt_kernelIiLi16ELi32ELi8ELc78ELc78ELc76ELb0ELb0EddPKdPdEviT_T9_T10_S3_lS5_S3_lS4_T11_S3_li.has_dyn_sized_stack, 0
	.set _ZL29rocblas_internal_gemmt_kernelIiLi16ELi32ELi8ELc78ELc78ELc76ELb0ELb0EddPKdPdEviT_T9_T10_S3_lS5_S3_lS4_T11_S3_li.has_recursion, 0
	.set _ZL29rocblas_internal_gemmt_kernelIiLi16ELi32ELi8ELc78ELc78ELc76ELb0ELb0EddPKdPdEviT_T9_T10_S3_lS5_S3_lS4_T11_S3_li.has_indirect_call, 0
	.section	.AMDGPU.csdata,"",@progbits
; Kernel info:
; codeLenInByte = 2016
; TotalNumSgprs: 37
; NumVgprs: 50
; ScratchSize: 0
; MemoryBound: 0
; FloatMode: 240
; IeeeMode: 1
; LDSByteSize: 4096 bytes/workgroup (compile time only)
; SGPRBlocks: 0
; VGPRBlocks: 6
; NumSGPRsForWavesPerEU: 37
; NumVGPRsForWavesPerEU: 50
; Occupancy: 16
; WaveLimiterHint : 0
; COMPUTE_PGM_RSRC2:SCRATCH_EN: 0
; COMPUTE_PGM_RSRC2:USER_SGPR: 2
; COMPUTE_PGM_RSRC2:TRAP_HANDLER: 0
; COMPUTE_PGM_RSRC2:TGID_X_EN: 1
; COMPUTE_PGM_RSRC2:TGID_Y_EN: 1
; COMPUTE_PGM_RSRC2:TGID_Z_EN: 1
; COMPUTE_PGM_RSRC2:TIDIG_COMP_CNT: 1
	.section	.text._ZL29rocblas_internal_gemmt_kernelIiLi16ELi32ELi8ELc78ELc84ELc76ELb0ELb0EddPKdPdEviT_T9_T10_S3_lS5_S3_lS4_T11_S3_li,"axG",@progbits,_ZL29rocblas_internal_gemmt_kernelIiLi16ELi32ELi8ELc78ELc84ELc76ELb0ELb0EddPKdPdEviT_T9_T10_S3_lS5_S3_lS4_T11_S3_li,comdat
	.globl	_ZL29rocblas_internal_gemmt_kernelIiLi16ELi32ELi8ELc78ELc84ELc76ELb0ELb0EddPKdPdEviT_T9_T10_S3_lS5_S3_lS4_T11_S3_li ; -- Begin function _ZL29rocblas_internal_gemmt_kernelIiLi16ELi32ELi8ELc78ELc84ELc76ELb0ELb0EddPKdPdEviT_T9_T10_S3_lS5_S3_lS4_T11_S3_li
	.p2align	8
	.type	_ZL29rocblas_internal_gemmt_kernelIiLi16ELi32ELi8ELc78ELc84ELc76ELb0ELb0EddPKdPdEviT_T9_T10_S3_lS5_S3_lS4_T11_S3_li,@function
_ZL29rocblas_internal_gemmt_kernelIiLi16ELi32ELi8ELc78ELc84ELc76ELb0ELb0EddPKdPdEviT_T9_T10_S3_lS5_S3_lS4_T11_S3_li: ; @_ZL29rocblas_internal_gemmt_kernelIiLi16ELi32ELi8ELc78ELc84ELc76ELb0ELb0EddPKdPdEviT_T9_T10_S3_lS5_S3_lS4_T11_S3_li
; %bb.0:
	s_clause 0x2
	s_load_b128 s[8:11], s[0:1], 0x38
	s_load_b64 s[4:5], s[0:1], 0x0
	s_load_b128 s[12:15], s[0:1], 0x8
	s_wait_kmcnt 0x0
	v_cmp_neq_f64_e64 s2, s[10:11], 1.0
	s_and_b32 vcc_lo, exec_lo, s2
	s_cbranch_vccnz .LBB64_2
; %bb.1:
	v_cmp_neq_f64_e64 s2, s[12:13], 0
	s_cmp_lg_u32 s5, 0
	s_cselect_b32 s3, -1, 0
	s_delay_alu instid0(SALU_CYCLE_1)
	s_and_b32 s2, s3, s2
.LBB64_2:
	s_delay_alu instid0(SALU_CYCLE_1)
	s_and_not1_b32 vcc_lo, exec_lo, s2
	s_cbranch_vccnz .LBB64_33
; %bb.3:
	s_load_b32 s23, s[0:1], 0x60
	s_lshr_b32 s6, ttmp7, 16
	s_wait_kmcnt 0x0
	s_cmp_ge_u32 s6, s23
	s_cbranch_scc1 .LBB64_33
; %bb.4:
	v_and_b32_e32 v1, 0x3ff, v0
	v_bfe_u32 v2, v0, 10, 10
	v_and_b32_e32 v28, 7, v0
	s_clause 0x4
	s_load_b32 s26, s[0:1], 0x18
	s_load_b32 s28, s[0:1], 0x30
	s_load_b96 s[20:22], s[0:1], 0x48
	s_load_b64 s[24:25], s[0:1], 0x58
	s_load_b128 s[16:19], s[0:1], 0x20
	v_lshl_add_u32 v0, v2, 4, v1
	v_lshlrev_b32_e32 v6, 3, v28
	s_lshl_b32 s0, ttmp7, 5
	s_lshl_b32 s1, ttmp9, 5
	s_and_b32 s2, s0, 0x1fffe0
	v_and_b32_e32 v3, 31, v0
	v_lshrrev_b32_e32 v5, 3, v0
	v_lshrrev_b32_e32 v29, 5, v0
	v_cmp_neq_f64_e64 s34, s[12:13], 0
	v_cmp_neq_f64_e64 s30, s[10:11], 0
	v_lshlrev_b32_e32 v0, 3, v3
	v_or_b32_e32 v4, s1, v3
	v_add_nc_u32_e32 v14, s2, v5
	v_lshl_or_b32 v3, v5, 6, v6
	v_add_nc_u32_e32 v5, s2, v2
	v_lshl_or_b32 v30, v29, 8, v0
	v_add_nc_u32_e32 v0, s1, v1
	v_lshl_add_u32 v33, v2, 6, 0x800
	s_wait_kmcnt 0x0
	s_ashr_i32 s27, s26, 31
	s_ashr_i32 s29, s28, 31
	v_mad_co_i64_i32 v[6:7], null, v29, s26, 0
	v_cmp_le_i32_e32 vcc_lo, v5, v0
	v_cmp_gt_i32_e64 s2, s4, v0
	v_add_nc_u32_e32 v2, 16, v0
	s_cmp_gt_i32 s5, 0
	v_mad_co_i64_i32 v[8:9], null, v5, s22, 0
	s_cselect_b32 s35, -1, 0
	s_and_b32 s31, vcc_lo, s2
	v_cmp_le_i32_e32 vcc_lo, v5, v2
	v_add_nc_u32_e32 v12, 16, v5
	v_ashrrev_i32_e32 v5, 31, v4
	v_cmp_gt_i32_e64 s3, s4, v2
	v_cmp_gt_i32_e64 s0, s4, v4
	v_lshlrev_b64_e32 v[6:7], 3, v[6:7]
	v_mad_co_i64_i32 v[10:11], null, s28, v28, 0
	v_lshlrev_b64_e32 v[4:5], 3, v[4:5]
	s_and_b32 s33, vcc_lo, s3
	v_cmp_le_i32_e32 vcc_lo, v12, v0
	v_cmp_gt_i32_e64 s1, s4, v14
	v_cmp_le_i32_e64 s4, v12, v2
	v_mad_co_i64_i32 v[12:13], null, v12, s22, 0
	s_and_b32 s22, vcc_lo, s2
	v_add_co_u32 v4, vcc_lo, v6, v4
	s_delay_alu instid0(VALU_DEP_1) | instskip(SKIP_2) | instid1(VALU_DEP_4)
	v_add_co_ci_u32_e64 v5, null, v7, v5, vcc_lo
	v_lshlrev_b64_e32 v[6:7], 3, v[10:11]
	v_lshlrev_b32_e32 v10, 3, v14
	v_add_co_u32 v4, vcc_lo, s14, v4
	s_wait_alu 0xfffd
	v_add_co_ci_u32_e64 v5, null, s15, v5, vcc_lo
	s_delay_alu instid0(VALU_DEP_3) | instskip(SKIP_3) | instid1(VALU_DEP_3)
	v_add_co_u32 v6, vcc_lo, v6, v10
	s_wait_alu 0xfffd
	v_add_co_ci_u32_e64 v7, null, 0, v7, vcc_lo
	v_lshlrev_b64_e32 v[8:9], 3, v[8:9]
	v_add_co_u32 v6, vcc_lo, s18, v6
	v_lshlrev_b64_e32 v[10:11], 3, v[12:13]
	v_add_nc_u32_e32 v31, 0x800, v3
	v_lshlrev_b32_e32 v32, 3, v1
	v_ashrrev_i32_e32 v1, 31, v0
	v_ashrrev_i32_e32 v3, 31, v2
	s_wait_alu 0xfffd
	v_add_co_ci_u32_e64 v7, null, s19, v7, vcc_lo
	s_mov_b32 s7, 0
	s_and_b32 s4, s4, s3
	s_lshl_b64 s[2:3], s[16:17], 3
	s_and_b32 s34, s34, s35
	s_lshl_b64 s[14:15], s[26:27], 6
	s_lshl_b64 s[8:9], s[8:9], 3
	;; [unrolled: 1-line block ×3, first 2 shown]
	s_branch .LBB64_6
.LBB64_5:                               ;   in Loop: Header=BB64_6 Depth=1
	s_wait_alu 0xfffe
	s_or_b32 exec_lo, exec_lo, s18
	s_add_co_i32 s6, s6, 0x10000
	s_wait_alu 0xfffe
	s_cmp_lt_u32 s6, s23
	s_cbranch_scc0 .LBB64_33
.LBB64_6:                               ; =>This Loop Header: Depth=1
                                        ;     Child Loop BB64_9 Depth 2
	v_mov_b32_e32 v22, 0
	v_dual_mov_b32 v14, 0 :: v_dual_mov_b32 v23, 0
	v_dual_mov_b32 v20, 0 :: v_dual_mov_b32 v15, 0
	v_dual_mov_b32 v12, 0 :: v_dual_mov_b32 v21, 0
	v_mov_b32_e32 v13, 0
	s_and_not1_b32 vcc_lo, exec_lo, s34
	s_wait_alu 0xfffe
	s_cbranch_vccnz .LBB64_13
; %bb.7:                                ;   in Loop: Header=BB64_6 Depth=1
	v_mad_co_u64_u32 v[16:17], null, s2, s6, v[4:5]
	v_mad_co_u64_u32 v[18:19], null, s8, s6, v[6:7]
	s_mov_b32 s18, 0
	v_mov_b32_e32 v22, 0
	v_dual_mov_b32 v23, 0 :: v_dual_mov_b32 v12, v17
	v_mov_b32_e32 v13, v19
	s_delay_alu instid0(VALU_DEP_1)
	v_mad_co_u64_u32 v[19:20], null, s3, s6, v[12:13]
	v_mad_co_u64_u32 v[24:25], null, s9, s6, v[13:14]
	v_mov_b32_e32 v12, 0
	v_dual_mov_b32 v20, 0 :: v_dual_mov_b32 v13, 0
	v_dual_mov_b32 v14, 0 :: v_dual_mov_b32 v21, 0
	v_mov_b32_e32 v15, 0
	v_mov_b32_e32 v17, v19
	v_mov_b32_e32 v19, v24
	s_branch .LBB64_9
.LBB64_8:                               ;   in Loop: Header=BB64_9 Depth=2
	s_wait_alu 0xfffe
	s_or_b32 exec_lo, exec_lo, s19
	s_wait_loadcnt 0x0
	ds_store_b64 v31, v[26:27]
	s_wait_dscnt 0x0
	s_barrier_signal -1
	s_barrier_wait -1
	global_inv scope:SCOPE_SE
	ds_load_b128 v[24:27], v33
	ds_load_2addr_b64 v[34:37], v32 offset1:16
	ds_load_b128 v[38:41], v33 offset:1024
	ds_load_b128 v[42:45], v33 offset:16
	;; [unrolled: 1-line block ×3, first 2 shown]
	v_add_co_u32 v16, vcc_lo, v16, s14
	s_wait_alu 0xfffd
	v_add_co_ci_u32_e64 v17, null, s15, v17, vcc_lo
	v_add_co_u32 v18, vcc_lo, v18, s16
	s_wait_alu 0xfffd
	v_add_co_ci_u32_e64 v19, null, s17, v19, vcc_lo
	s_add_co_i32 s18, s18, 8
	s_wait_alu 0xfffe
	s_cmp_lt_i32 s18, s5
	s_wait_dscnt 0x3
	v_fma_f64 v[22:23], v[34:35], v[24:25], v[22:23]
	v_fma_f64 v[20:21], v[36:37], v[24:25], v[20:21]
	s_wait_dscnt 0x2
	v_fma_f64 v[24:25], v[34:35], v[38:39], v[14:15]
	v_fma_f64 v[34:35], v[36:37], v[38:39], v[12:13]
	ds_load_2addr_b64 v[12:15], v32 offset0:32 offset1:48
	s_wait_dscnt 0x0
	v_fma_f64 v[22:23], v[12:13], v[26:27], v[22:23]
	v_fma_f64 v[20:21], v[14:15], v[26:27], v[20:21]
	v_fma_f64 v[24:25], v[12:13], v[40:41], v[24:25]
	v_fma_f64 v[26:27], v[14:15], v[40:41], v[34:35]
	ds_load_2addr_b64 v[12:15], v32 offset0:64 offset1:80
	s_wait_dscnt 0x0
	v_fma_f64 v[22:23], v[12:13], v[42:43], v[22:23]
	v_fma_f64 v[20:21], v[14:15], v[42:43], v[20:21]
	;; [unrolled: 6-line block ×3, first 2 shown]
	v_fma_f64 v[46:47], v[12:13], v[48:49], v[24:25]
	v_fma_f64 v[48:49], v[14:15], v[48:49], v[26:27]
	ds_load_b128 v[12:15], v33 offset:32
	ds_load_2addr_b64 v[20:23], v32 offset0:128 offset1:144
	ds_load_b128 v[24:27], v33 offset:1056
	ds_load_b128 v[34:37], v33 offset:48
	ds_load_b128 v[38:41], v33 offset:1072
	s_wait_dscnt 0x3
	v_fma_f64 v[42:43], v[20:21], v[12:13], v[42:43]
	v_fma_f64 v[12:13], v[22:23], v[12:13], v[44:45]
	s_wait_dscnt 0x2
	v_fma_f64 v[44:45], v[20:21], v[24:25], v[46:47]
	v_fma_f64 v[24:25], v[22:23], v[24:25], v[48:49]
	ds_load_2addr_b64 v[20:23], v32 offset0:160 offset1:176
	s_wait_dscnt 0x0
	v_fma_f64 v[42:43], v[20:21], v[14:15], v[42:43]
	v_fma_f64 v[46:47], v[22:23], v[14:15], v[12:13]
	v_fma_f64 v[20:21], v[20:21], v[26:27], v[44:45]
	v_fma_f64 v[22:23], v[22:23], v[26:27], v[24:25]
	ds_load_2addr_b64 v[12:15], v32 offset0:192 offset1:208
	ds_load_2addr_b64 v[24:27], v32 offset0:224 offset1:240
	s_wait_loadcnt_dscnt 0x0
	s_barrier_signal -1
	s_barrier_wait -1
	global_inv scope:SCOPE_SE
	v_fma_f64 v[42:43], v[12:13], v[34:35], v[42:43]
	v_fma_f64 v[34:35], v[14:15], v[34:35], v[46:47]
	;; [unrolled: 1-line block ×4, first 2 shown]
	s_delay_alu instid0(VALU_DEP_4) | instskip(NEXT) | instid1(VALU_DEP_4)
	v_fma_f64 v[22:23], v[24:25], v[36:37], v[42:43]
	v_fma_f64 v[20:21], v[26:27], v[36:37], v[34:35]
	s_delay_alu instid0(VALU_DEP_4) | instskip(NEXT) | instid1(VALU_DEP_4)
	v_fma_f64 v[14:15], v[24:25], v[40:41], v[12:13]
	v_fma_f64 v[12:13], v[26:27], v[40:41], v[38:39]
	s_cbranch_scc0 .LBB64_13
.LBB64_9:                               ;   Parent Loop BB64_6 Depth=1
                                        ; =>  This Inner Loop Header: Depth=2
	s_wait_alu 0xfffe
	v_add_nc_u32_e32 v24, s18, v29
	s_delay_alu instid0(VALU_DEP_1)
	v_cmp_gt_i32_e32 vcc_lo, s5, v24
	v_mov_b32_e32 v24, 0
	v_mov_b32_e32 v25, 0
	s_and_b32 s26, s0, vcc_lo
	s_wait_alu 0xfffe
	s_and_saveexec_b32 s19, s26
	s_cbranch_execz .LBB64_11
; %bb.10:                               ;   in Loop: Header=BB64_9 Depth=2
	global_load_b64 v[24:25], v[16:17], off
.LBB64_11:                              ;   in Loop: Header=BB64_9 Depth=2
	s_wait_alu 0xfffe
	s_or_b32 exec_lo, exec_lo, s19
	v_add_nc_u32_e32 v26, s18, v28
	s_wait_loadcnt 0x0
	ds_store_b64 v30, v[24:25]
	v_cmp_gt_i32_e32 vcc_lo, s5, v26
	v_mov_b32_e32 v26, 0
	v_mov_b32_e32 v27, 0
	s_and_b32 s26, vcc_lo, s1
	s_wait_alu 0xfffe
	s_and_saveexec_b32 s19, s26
	s_cbranch_execz .LBB64_8
; %bb.12:                               ;   in Loop: Header=BB64_9 Depth=2
	global_load_b64 v[26:27], v[18:19], off
	s_branch .LBB64_8
.LBB64_13:                              ;   in Loop: Header=BB64_6 Depth=1
	s_mul_u64 s[18:19], s[24:25], s[6:7]
	s_wait_alu 0xfffe
	s_lshl_b64 s[18:19], s[18:19], 3
	s_wait_alu 0xfffe
	s_add_nc_u64 s[18:19], s[20:21], s[18:19]
	s_wait_alu 0xfffe
	v_add_co_u32 v18, vcc_lo, s18, v8
	s_wait_alu 0xfffd
	v_add_co_ci_u32_e64 v19, null, s19, v9, vcc_lo
	s_and_saveexec_b32 s26, s31
	s_cbranch_execz .LBB64_17
; %bb.14:                               ;   in Loop: Header=BB64_6 Depth=1
	v_mul_f64_e32 v[16:17], s[12:13], v[22:23]
	s_and_b32 vcc_lo, exec_lo, s30
	s_wait_alu 0xfffe
	s_cbranch_vccz .LBB64_28
; %bb.15:                               ;   in Loop: Header=BB64_6 Depth=1
	v_lshlrev_b64_e32 v[22:23], 3, v[0:1]
	s_delay_alu instid0(VALU_DEP_1) | instskip(SKIP_1) | instid1(VALU_DEP_2)
	v_add_co_u32 v22, vcc_lo, v18, v22
	s_wait_alu 0xfffd
	v_add_co_ci_u32_e64 v23, null, v19, v23, vcc_lo
	global_load_b64 v[24:25], v[22:23], off
	s_wait_loadcnt 0x0
	v_fma_f64 v[24:25], s[10:11], v[24:25], v[16:17]
	global_store_b64 v[22:23], v[24:25], off
	s_cbranch_execnz .LBB64_17
.LBB64_16:                              ;   in Loop: Header=BB64_6 Depth=1
	v_lshlrev_b64_e32 v[22:23], 3, v[0:1]
	s_delay_alu instid0(VALU_DEP_1) | instskip(SKIP_1) | instid1(VALU_DEP_2)
	v_add_co_u32 v22, vcc_lo, v18, v22
	s_wait_alu 0xfffd
	v_add_co_ci_u32_e64 v23, null, v19, v23, vcc_lo
	global_store_b64 v[22:23], v[16:17], off
.LBB64_17:                              ;   in Loop: Header=BB64_6 Depth=1
	s_wait_alu 0xfffe
	s_or_b32 exec_lo, exec_lo, s26
	s_and_saveexec_b32 s26, s33
	s_cbranch_execz .LBB64_21
; %bb.18:                               ;   in Loop: Header=BB64_6 Depth=1
	v_mul_f64_e32 v[16:17], s[12:13], v[20:21]
	s_and_not1_b32 vcc_lo, exec_lo, s30
	s_wait_alu 0xfffe
	s_cbranch_vccnz .LBB64_29
; %bb.19:                               ;   in Loop: Header=BB64_6 Depth=1
	v_lshlrev_b64_e32 v[20:21], 3, v[2:3]
	s_delay_alu instid0(VALU_DEP_1) | instskip(SKIP_1) | instid1(VALU_DEP_2)
	v_add_co_u32 v20, vcc_lo, v18, v20
	s_wait_alu 0xfffd
	v_add_co_ci_u32_e64 v21, null, v19, v21, vcc_lo
	global_load_b64 v[22:23], v[20:21], off
	s_wait_loadcnt 0x0
	v_fma_f64 v[22:23], s[10:11], v[22:23], v[16:17]
	global_store_b64 v[20:21], v[22:23], off
	s_cbranch_execnz .LBB64_21
.LBB64_20:                              ;   in Loop: Header=BB64_6 Depth=1
	v_lshlrev_b64_e32 v[20:21], 3, v[2:3]
	s_delay_alu instid0(VALU_DEP_1) | instskip(SKIP_1) | instid1(VALU_DEP_2)
	v_add_co_u32 v18, vcc_lo, v18, v20
	s_wait_alu 0xfffd
	v_add_co_ci_u32_e64 v19, null, v19, v21, vcc_lo
	global_store_b64 v[18:19], v[16:17], off
.LBB64_21:                              ;   in Loop: Header=BB64_6 Depth=1
	s_wait_alu 0xfffe
	s_or_b32 exec_lo, exec_lo, s26
	v_add_co_u32 v18, vcc_lo, s18, v10
	s_wait_alu 0xfffd
	v_add_co_ci_u32_e64 v19, null, s19, v11, vcc_lo
	s_and_saveexec_b32 s18, s22
	s_cbranch_execz .LBB64_25
; %bb.22:                               ;   in Loop: Header=BB64_6 Depth=1
	v_mul_f64_e32 v[14:15], s[12:13], v[14:15]
	v_lshlrev_b64_e32 v[16:17], 3, v[0:1]
	s_and_not1_b32 vcc_lo, exec_lo, s30
	s_wait_alu 0xfffe
	s_cbranch_vccnz .LBB64_30
; %bb.23:                               ;   in Loop: Header=BB64_6 Depth=1
	s_delay_alu instid0(VALU_DEP_1)
	v_add_co_u32 v20, vcc_lo, v18, v16
	s_wait_alu 0xfffd
	v_add_co_ci_u32_e64 v21, null, v19, v17, vcc_lo
	global_load_b64 v[22:23], v[20:21], off
	s_wait_loadcnt 0x0
	v_fma_f64 v[22:23], s[10:11], v[22:23], v[14:15]
	global_store_b64 v[20:21], v[22:23], off
	s_cbranch_execnz .LBB64_25
.LBB64_24:                              ;   in Loop: Header=BB64_6 Depth=1
	s_delay_alu instid0(VALU_DEP_1)
	v_add_co_u32 v16, vcc_lo, v18, v16
	s_wait_alu 0xfffd
	v_add_co_ci_u32_e64 v17, null, v19, v17, vcc_lo
	global_store_b64 v[16:17], v[14:15], off
.LBB64_25:                              ;   in Loop: Header=BB64_6 Depth=1
	s_wait_alu 0xfffe
	s_or_b32 exec_lo, exec_lo, s18
	s_and_saveexec_b32 s18, s4
	s_cbranch_execz .LBB64_5
; %bb.26:                               ;   in Loop: Header=BB64_6 Depth=1
	v_mul_f64_e32 v[12:13], s[12:13], v[12:13]
	v_lshlrev_b64_e32 v[14:15], 3, v[2:3]
	s_and_not1_b32 vcc_lo, exec_lo, s30
	s_wait_alu 0xfffe
	s_cbranch_vccnz .LBB64_31
; %bb.27:                               ;   in Loop: Header=BB64_6 Depth=1
	s_delay_alu instid0(VALU_DEP_1)
	v_add_co_u32 v16, vcc_lo, v18, v14
	s_wait_alu 0xfffd
	v_add_co_ci_u32_e64 v17, null, v19, v15, vcc_lo
	global_load_b64 v[20:21], v[16:17], off
	s_wait_loadcnt 0x0
	v_fma_f64 v[20:21], s[10:11], v[20:21], v[12:13]
	global_store_b64 v[16:17], v[20:21], off
	s_cbranch_execnz .LBB64_5
	s_branch .LBB64_32
.LBB64_28:                              ;   in Loop: Header=BB64_6 Depth=1
	s_branch .LBB64_16
.LBB64_29:                              ;   in Loop: Header=BB64_6 Depth=1
	s_branch .LBB64_20
.LBB64_30:                              ;   in Loop: Header=BB64_6 Depth=1
	s_branch .LBB64_24
.LBB64_31:                              ;   in Loop: Header=BB64_6 Depth=1
.LBB64_32:                              ;   in Loop: Header=BB64_6 Depth=1
	s_delay_alu instid0(VALU_DEP_1)
	v_add_co_u32 v14, vcc_lo, v18, v14
	s_wait_alu 0xfffd
	v_add_co_ci_u32_e64 v15, null, v19, v15, vcc_lo
	global_store_b64 v[14:15], v[12:13], off
	s_branch .LBB64_5
.LBB64_33:
	s_endpgm
	.section	.rodata,"a",@progbits
	.p2align	6, 0x0
	.amdhsa_kernel _ZL29rocblas_internal_gemmt_kernelIiLi16ELi32ELi8ELc78ELc84ELc76ELb0ELb0EddPKdPdEviT_T9_T10_S3_lS5_S3_lS4_T11_S3_li
		.amdhsa_group_segment_fixed_size 4096
		.amdhsa_private_segment_fixed_size 0
		.amdhsa_kernarg_size 100
		.amdhsa_user_sgpr_count 2
		.amdhsa_user_sgpr_dispatch_ptr 0
		.amdhsa_user_sgpr_queue_ptr 0
		.amdhsa_user_sgpr_kernarg_segment_ptr 1
		.amdhsa_user_sgpr_dispatch_id 0
		.amdhsa_user_sgpr_private_segment_size 0
		.amdhsa_wavefront_size32 1
		.amdhsa_uses_dynamic_stack 0
		.amdhsa_enable_private_segment 0
		.amdhsa_system_sgpr_workgroup_id_x 1
		.amdhsa_system_sgpr_workgroup_id_y 1
		.amdhsa_system_sgpr_workgroup_id_z 1
		.amdhsa_system_sgpr_workgroup_info 0
		.amdhsa_system_vgpr_workitem_id 1
		.amdhsa_next_free_vgpr 50
		.amdhsa_next_free_sgpr 36
		.amdhsa_reserve_vcc 1
		.amdhsa_float_round_mode_32 0
		.amdhsa_float_round_mode_16_64 0
		.amdhsa_float_denorm_mode_32 3
		.amdhsa_float_denorm_mode_16_64 3
		.amdhsa_fp16_overflow 0
		.amdhsa_workgroup_processor_mode 1
		.amdhsa_memory_ordered 1
		.amdhsa_forward_progress 1
		.amdhsa_inst_pref_size 16
		.amdhsa_round_robin_scheduling 0
		.amdhsa_exception_fp_ieee_invalid_op 0
		.amdhsa_exception_fp_denorm_src 0
		.amdhsa_exception_fp_ieee_div_zero 0
		.amdhsa_exception_fp_ieee_overflow 0
		.amdhsa_exception_fp_ieee_underflow 0
		.amdhsa_exception_fp_ieee_inexact 0
		.amdhsa_exception_int_div_zero 0
	.end_amdhsa_kernel
	.section	.text._ZL29rocblas_internal_gemmt_kernelIiLi16ELi32ELi8ELc78ELc84ELc76ELb0ELb0EddPKdPdEviT_T9_T10_S3_lS5_S3_lS4_T11_S3_li,"axG",@progbits,_ZL29rocblas_internal_gemmt_kernelIiLi16ELi32ELi8ELc78ELc84ELc76ELb0ELb0EddPKdPdEviT_T9_T10_S3_lS5_S3_lS4_T11_S3_li,comdat
.Lfunc_end64:
	.size	_ZL29rocblas_internal_gemmt_kernelIiLi16ELi32ELi8ELc78ELc84ELc76ELb0ELb0EddPKdPdEviT_T9_T10_S3_lS5_S3_lS4_T11_S3_li, .Lfunc_end64-_ZL29rocblas_internal_gemmt_kernelIiLi16ELi32ELi8ELc78ELc84ELc76ELb0ELb0EddPKdPdEviT_T9_T10_S3_lS5_S3_lS4_T11_S3_li
                                        ; -- End function
	.set _ZL29rocblas_internal_gemmt_kernelIiLi16ELi32ELi8ELc78ELc84ELc76ELb0ELb0EddPKdPdEviT_T9_T10_S3_lS5_S3_lS4_T11_S3_li.num_vgpr, 50
	.set _ZL29rocblas_internal_gemmt_kernelIiLi16ELi32ELi8ELc78ELc84ELc76ELb0ELb0EddPKdPdEviT_T9_T10_S3_lS5_S3_lS4_T11_S3_li.num_agpr, 0
	.set _ZL29rocblas_internal_gemmt_kernelIiLi16ELi32ELi8ELc78ELc84ELc76ELb0ELb0EddPKdPdEviT_T9_T10_S3_lS5_S3_lS4_T11_S3_li.numbered_sgpr, 36
	.set _ZL29rocblas_internal_gemmt_kernelIiLi16ELi32ELi8ELc78ELc84ELc76ELb0ELb0EddPKdPdEviT_T9_T10_S3_lS5_S3_lS4_T11_S3_li.num_named_barrier, 0
	.set _ZL29rocblas_internal_gemmt_kernelIiLi16ELi32ELi8ELc78ELc84ELc76ELb0ELb0EddPKdPdEviT_T9_T10_S3_lS5_S3_lS4_T11_S3_li.private_seg_size, 0
	.set _ZL29rocblas_internal_gemmt_kernelIiLi16ELi32ELi8ELc78ELc84ELc76ELb0ELb0EddPKdPdEviT_T9_T10_S3_lS5_S3_lS4_T11_S3_li.uses_vcc, 1
	.set _ZL29rocblas_internal_gemmt_kernelIiLi16ELi32ELi8ELc78ELc84ELc76ELb0ELb0EddPKdPdEviT_T9_T10_S3_lS5_S3_lS4_T11_S3_li.uses_flat_scratch, 0
	.set _ZL29rocblas_internal_gemmt_kernelIiLi16ELi32ELi8ELc78ELc84ELc76ELb0ELb0EddPKdPdEviT_T9_T10_S3_lS5_S3_lS4_T11_S3_li.has_dyn_sized_stack, 0
	.set _ZL29rocblas_internal_gemmt_kernelIiLi16ELi32ELi8ELc78ELc84ELc76ELb0ELb0EddPKdPdEviT_T9_T10_S3_lS5_S3_lS4_T11_S3_li.has_recursion, 0
	.set _ZL29rocblas_internal_gemmt_kernelIiLi16ELi32ELi8ELc78ELc84ELc76ELb0ELb0EddPKdPdEviT_T9_T10_S3_lS5_S3_lS4_T11_S3_li.has_indirect_call, 0
	.section	.AMDGPU.csdata,"",@progbits
; Kernel info:
; codeLenInByte = 2028
; TotalNumSgprs: 38
; NumVgprs: 50
; ScratchSize: 0
; MemoryBound: 0
; FloatMode: 240
; IeeeMode: 1
; LDSByteSize: 4096 bytes/workgroup (compile time only)
; SGPRBlocks: 0
; VGPRBlocks: 6
; NumSGPRsForWavesPerEU: 38
; NumVGPRsForWavesPerEU: 50
; Occupancy: 16
; WaveLimiterHint : 0
; COMPUTE_PGM_RSRC2:SCRATCH_EN: 0
; COMPUTE_PGM_RSRC2:USER_SGPR: 2
; COMPUTE_PGM_RSRC2:TRAP_HANDLER: 0
; COMPUTE_PGM_RSRC2:TGID_X_EN: 1
; COMPUTE_PGM_RSRC2:TGID_Y_EN: 1
; COMPUTE_PGM_RSRC2:TGID_Z_EN: 1
; COMPUTE_PGM_RSRC2:TIDIG_COMP_CNT: 1
	.section	.text._ZL29rocblas_internal_gemmt_kernelIiLi16ELi32ELi8ELc78ELc67ELc76ELb0ELb0EddPKdPdEviT_T9_T10_S3_lS5_S3_lS4_T11_S3_li,"axG",@progbits,_ZL29rocblas_internal_gemmt_kernelIiLi16ELi32ELi8ELc78ELc67ELc76ELb0ELb0EddPKdPdEviT_T9_T10_S3_lS5_S3_lS4_T11_S3_li,comdat
	.globl	_ZL29rocblas_internal_gemmt_kernelIiLi16ELi32ELi8ELc78ELc67ELc76ELb0ELb0EddPKdPdEviT_T9_T10_S3_lS5_S3_lS4_T11_S3_li ; -- Begin function _ZL29rocblas_internal_gemmt_kernelIiLi16ELi32ELi8ELc78ELc67ELc76ELb0ELb0EddPKdPdEviT_T9_T10_S3_lS5_S3_lS4_T11_S3_li
	.p2align	8
	.type	_ZL29rocblas_internal_gemmt_kernelIiLi16ELi32ELi8ELc78ELc67ELc76ELb0ELb0EddPKdPdEviT_T9_T10_S3_lS5_S3_lS4_T11_S3_li,@function
_ZL29rocblas_internal_gemmt_kernelIiLi16ELi32ELi8ELc78ELc67ELc76ELb0ELb0EddPKdPdEviT_T9_T10_S3_lS5_S3_lS4_T11_S3_li: ; @_ZL29rocblas_internal_gemmt_kernelIiLi16ELi32ELi8ELc78ELc67ELc76ELb0ELb0EddPKdPdEviT_T9_T10_S3_lS5_S3_lS4_T11_S3_li
; %bb.0:
	s_clause 0x2
	s_load_b128 s[8:11], s[0:1], 0x38
	s_load_b64 s[4:5], s[0:1], 0x0
	s_load_b128 s[12:15], s[0:1], 0x8
	s_wait_kmcnt 0x0
	v_cmp_neq_f64_e64 s2, s[10:11], 1.0
	s_and_b32 vcc_lo, exec_lo, s2
	s_cbranch_vccnz .LBB65_2
; %bb.1:
	v_cmp_neq_f64_e64 s2, s[12:13], 0
	s_cmp_lg_u32 s5, 0
	s_cselect_b32 s3, -1, 0
	s_delay_alu instid0(SALU_CYCLE_1)
	s_and_b32 s2, s3, s2
.LBB65_2:
	s_delay_alu instid0(SALU_CYCLE_1)
	s_and_not1_b32 vcc_lo, exec_lo, s2
	s_cbranch_vccnz .LBB65_33
; %bb.3:
	s_load_b32 s23, s[0:1], 0x60
	s_lshr_b32 s6, ttmp7, 16
	s_wait_kmcnt 0x0
	s_cmp_ge_u32 s6, s23
	s_cbranch_scc1 .LBB65_33
; %bb.4:
	v_and_b32_e32 v1, 0x3ff, v0
	v_bfe_u32 v2, v0, 10, 10
	v_and_b32_e32 v28, 7, v0
	s_clause 0x4
	s_load_b32 s26, s[0:1], 0x18
	s_load_b32 s28, s[0:1], 0x30
	s_load_b96 s[20:22], s[0:1], 0x48
	s_load_b64 s[24:25], s[0:1], 0x58
	s_load_b128 s[16:19], s[0:1], 0x20
	v_lshl_add_u32 v0, v2, 4, v1
	v_lshlrev_b32_e32 v6, 3, v28
	s_lshl_b32 s0, ttmp7, 5
	s_lshl_b32 s1, ttmp9, 5
	s_and_b32 s2, s0, 0x1fffe0
	v_and_b32_e32 v3, 31, v0
	v_lshrrev_b32_e32 v5, 3, v0
	v_lshrrev_b32_e32 v29, 5, v0
	v_cmp_neq_f64_e64 s34, s[12:13], 0
	v_cmp_neq_f64_e64 s30, s[10:11], 0
	v_lshlrev_b32_e32 v0, 3, v3
	v_or_b32_e32 v4, s1, v3
	v_add_nc_u32_e32 v14, s2, v5
	v_lshl_or_b32 v3, v5, 6, v6
	v_add_nc_u32_e32 v5, s2, v2
	v_lshl_or_b32 v30, v29, 8, v0
	v_add_nc_u32_e32 v0, s1, v1
	v_lshl_add_u32 v33, v2, 6, 0x800
	s_wait_kmcnt 0x0
	s_ashr_i32 s27, s26, 31
	s_ashr_i32 s29, s28, 31
	v_mad_co_i64_i32 v[6:7], null, v29, s26, 0
	v_cmp_le_i32_e32 vcc_lo, v5, v0
	v_cmp_gt_i32_e64 s2, s4, v0
	v_add_nc_u32_e32 v2, 16, v0
	s_cmp_gt_i32 s5, 0
	v_mad_co_i64_i32 v[8:9], null, v5, s22, 0
	s_cselect_b32 s35, -1, 0
	s_and_b32 s31, vcc_lo, s2
	v_cmp_le_i32_e32 vcc_lo, v5, v2
	v_add_nc_u32_e32 v12, 16, v5
	v_ashrrev_i32_e32 v5, 31, v4
	v_cmp_gt_i32_e64 s3, s4, v2
	v_cmp_gt_i32_e64 s0, s4, v4
	v_lshlrev_b64_e32 v[6:7], 3, v[6:7]
	v_mad_co_i64_i32 v[10:11], null, s28, v28, 0
	v_lshlrev_b64_e32 v[4:5], 3, v[4:5]
	s_and_b32 s33, vcc_lo, s3
	v_cmp_le_i32_e32 vcc_lo, v12, v0
	v_cmp_gt_i32_e64 s1, s4, v14
	v_cmp_le_i32_e64 s4, v12, v2
	v_mad_co_i64_i32 v[12:13], null, v12, s22, 0
	s_and_b32 s22, vcc_lo, s2
	v_add_co_u32 v4, vcc_lo, v6, v4
	s_delay_alu instid0(VALU_DEP_1) | instskip(SKIP_2) | instid1(VALU_DEP_4)
	v_add_co_ci_u32_e64 v5, null, v7, v5, vcc_lo
	v_lshlrev_b64_e32 v[6:7], 3, v[10:11]
	v_lshlrev_b32_e32 v10, 3, v14
	v_add_co_u32 v4, vcc_lo, s14, v4
	s_wait_alu 0xfffd
	v_add_co_ci_u32_e64 v5, null, s15, v5, vcc_lo
	s_delay_alu instid0(VALU_DEP_3) | instskip(SKIP_3) | instid1(VALU_DEP_3)
	v_add_co_u32 v6, vcc_lo, v6, v10
	s_wait_alu 0xfffd
	v_add_co_ci_u32_e64 v7, null, 0, v7, vcc_lo
	v_lshlrev_b64_e32 v[8:9], 3, v[8:9]
	v_add_co_u32 v6, vcc_lo, s18, v6
	v_lshlrev_b64_e32 v[10:11], 3, v[12:13]
	v_add_nc_u32_e32 v31, 0x800, v3
	v_lshlrev_b32_e32 v32, 3, v1
	v_ashrrev_i32_e32 v1, 31, v0
	v_ashrrev_i32_e32 v3, 31, v2
	s_wait_alu 0xfffd
	v_add_co_ci_u32_e64 v7, null, s19, v7, vcc_lo
	s_mov_b32 s7, 0
	s_and_b32 s4, s4, s3
	s_lshl_b64 s[2:3], s[16:17], 3
	s_and_b32 s34, s34, s35
	s_lshl_b64 s[14:15], s[26:27], 6
	s_lshl_b64 s[8:9], s[8:9], 3
	;; [unrolled: 1-line block ×3, first 2 shown]
	s_branch .LBB65_6
.LBB65_5:                               ;   in Loop: Header=BB65_6 Depth=1
	s_wait_alu 0xfffe
	s_or_b32 exec_lo, exec_lo, s18
	s_add_co_i32 s6, s6, 0x10000
	s_wait_alu 0xfffe
	s_cmp_lt_u32 s6, s23
	s_cbranch_scc0 .LBB65_33
.LBB65_6:                               ; =>This Loop Header: Depth=1
                                        ;     Child Loop BB65_9 Depth 2
	v_mov_b32_e32 v22, 0
	v_dual_mov_b32 v14, 0 :: v_dual_mov_b32 v23, 0
	v_dual_mov_b32 v20, 0 :: v_dual_mov_b32 v15, 0
	;; [unrolled: 1-line block ×3, first 2 shown]
	v_mov_b32_e32 v13, 0
	s_and_not1_b32 vcc_lo, exec_lo, s34
	s_wait_alu 0xfffe
	s_cbranch_vccnz .LBB65_13
; %bb.7:                                ;   in Loop: Header=BB65_6 Depth=1
	v_mad_co_u64_u32 v[16:17], null, s2, s6, v[4:5]
	v_mad_co_u64_u32 v[18:19], null, s8, s6, v[6:7]
	s_mov_b32 s18, 0
	v_mov_b32_e32 v22, 0
	v_dual_mov_b32 v23, 0 :: v_dual_mov_b32 v12, v17
	v_mov_b32_e32 v13, v19
	s_delay_alu instid0(VALU_DEP_1)
	v_mad_co_u64_u32 v[19:20], null, s3, s6, v[12:13]
	v_mad_co_u64_u32 v[24:25], null, s9, s6, v[13:14]
	v_mov_b32_e32 v12, 0
	v_dual_mov_b32 v20, 0 :: v_dual_mov_b32 v13, 0
	v_dual_mov_b32 v14, 0 :: v_dual_mov_b32 v21, 0
	v_mov_b32_e32 v15, 0
	v_mov_b32_e32 v17, v19
	;; [unrolled: 1-line block ×3, first 2 shown]
	s_branch .LBB65_9
.LBB65_8:                               ;   in Loop: Header=BB65_9 Depth=2
	s_wait_alu 0xfffe
	s_or_b32 exec_lo, exec_lo, s19
	s_wait_loadcnt 0x0
	ds_store_b64 v31, v[26:27]
	s_wait_dscnt 0x0
	s_barrier_signal -1
	s_barrier_wait -1
	global_inv scope:SCOPE_SE
	ds_load_b128 v[24:27], v33
	ds_load_2addr_b64 v[34:37], v32 offset1:16
	ds_load_b128 v[38:41], v33 offset:1024
	ds_load_b128 v[42:45], v33 offset:16
	;; [unrolled: 1-line block ×3, first 2 shown]
	v_add_co_u32 v16, vcc_lo, v16, s14
	s_wait_alu 0xfffd
	v_add_co_ci_u32_e64 v17, null, s15, v17, vcc_lo
	v_add_co_u32 v18, vcc_lo, v18, s16
	s_wait_alu 0xfffd
	v_add_co_ci_u32_e64 v19, null, s17, v19, vcc_lo
	s_add_co_i32 s18, s18, 8
	s_wait_alu 0xfffe
	s_cmp_lt_i32 s18, s5
	s_wait_dscnt 0x3
	v_fma_f64 v[22:23], v[34:35], v[24:25], v[22:23]
	v_fma_f64 v[20:21], v[36:37], v[24:25], v[20:21]
	s_wait_dscnt 0x2
	v_fma_f64 v[24:25], v[34:35], v[38:39], v[14:15]
	v_fma_f64 v[34:35], v[36:37], v[38:39], v[12:13]
	ds_load_2addr_b64 v[12:15], v32 offset0:32 offset1:48
	s_wait_dscnt 0x0
	v_fma_f64 v[22:23], v[12:13], v[26:27], v[22:23]
	v_fma_f64 v[20:21], v[14:15], v[26:27], v[20:21]
	v_fma_f64 v[24:25], v[12:13], v[40:41], v[24:25]
	v_fma_f64 v[26:27], v[14:15], v[40:41], v[34:35]
	ds_load_2addr_b64 v[12:15], v32 offset0:64 offset1:80
	s_wait_dscnt 0x0
	v_fma_f64 v[22:23], v[12:13], v[42:43], v[22:23]
	v_fma_f64 v[20:21], v[14:15], v[42:43], v[20:21]
	;; [unrolled: 6-line block ×3, first 2 shown]
	v_fma_f64 v[46:47], v[12:13], v[48:49], v[24:25]
	v_fma_f64 v[48:49], v[14:15], v[48:49], v[26:27]
	ds_load_b128 v[12:15], v33 offset:32
	ds_load_2addr_b64 v[20:23], v32 offset0:128 offset1:144
	ds_load_b128 v[24:27], v33 offset:1056
	ds_load_b128 v[34:37], v33 offset:48
	;; [unrolled: 1-line block ×3, first 2 shown]
	s_wait_dscnt 0x3
	v_fma_f64 v[42:43], v[20:21], v[12:13], v[42:43]
	v_fma_f64 v[12:13], v[22:23], v[12:13], v[44:45]
	s_wait_dscnt 0x2
	v_fma_f64 v[44:45], v[20:21], v[24:25], v[46:47]
	v_fma_f64 v[24:25], v[22:23], v[24:25], v[48:49]
	ds_load_2addr_b64 v[20:23], v32 offset0:160 offset1:176
	s_wait_dscnt 0x0
	v_fma_f64 v[42:43], v[20:21], v[14:15], v[42:43]
	v_fma_f64 v[46:47], v[22:23], v[14:15], v[12:13]
	;; [unrolled: 1-line block ×4, first 2 shown]
	ds_load_2addr_b64 v[12:15], v32 offset0:192 offset1:208
	ds_load_2addr_b64 v[24:27], v32 offset0:224 offset1:240
	s_wait_loadcnt_dscnt 0x0
	s_barrier_signal -1
	s_barrier_wait -1
	global_inv scope:SCOPE_SE
	v_fma_f64 v[42:43], v[12:13], v[34:35], v[42:43]
	v_fma_f64 v[34:35], v[14:15], v[34:35], v[46:47]
	;; [unrolled: 1-line block ×4, first 2 shown]
	s_delay_alu instid0(VALU_DEP_4) | instskip(NEXT) | instid1(VALU_DEP_4)
	v_fma_f64 v[22:23], v[24:25], v[36:37], v[42:43]
	v_fma_f64 v[20:21], v[26:27], v[36:37], v[34:35]
	s_delay_alu instid0(VALU_DEP_4) | instskip(NEXT) | instid1(VALU_DEP_4)
	v_fma_f64 v[14:15], v[24:25], v[40:41], v[12:13]
	v_fma_f64 v[12:13], v[26:27], v[40:41], v[38:39]
	s_cbranch_scc0 .LBB65_13
.LBB65_9:                               ;   Parent Loop BB65_6 Depth=1
                                        ; =>  This Inner Loop Header: Depth=2
	s_wait_alu 0xfffe
	v_add_nc_u32_e32 v24, s18, v29
	s_delay_alu instid0(VALU_DEP_1)
	v_cmp_gt_i32_e32 vcc_lo, s5, v24
	v_mov_b32_e32 v24, 0
	v_mov_b32_e32 v25, 0
	s_and_b32 s26, s0, vcc_lo
	s_wait_alu 0xfffe
	s_and_saveexec_b32 s19, s26
	s_cbranch_execz .LBB65_11
; %bb.10:                               ;   in Loop: Header=BB65_9 Depth=2
	global_load_b64 v[24:25], v[16:17], off
.LBB65_11:                              ;   in Loop: Header=BB65_9 Depth=2
	s_wait_alu 0xfffe
	s_or_b32 exec_lo, exec_lo, s19
	v_add_nc_u32_e32 v26, s18, v28
	s_wait_loadcnt 0x0
	ds_store_b64 v30, v[24:25]
	v_cmp_gt_i32_e32 vcc_lo, s5, v26
	v_mov_b32_e32 v26, 0
	v_mov_b32_e32 v27, 0
	s_and_b32 s26, vcc_lo, s1
	s_wait_alu 0xfffe
	s_and_saveexec_b32 s19, s26
	s_cbranch_execz .LBB65_8
; %bb.12:                               ;   in Loop: Header=BB65_9 Depth=2
	global_load_b64 v[26:27], v[18:19], off
	s_branch .LBB65_8
.LBB65_13:                              ;   in Loop: Header=BB65_6 Depth=1
	s_mul_u64 s[18:19], s[24:25], s[6:7]
	s_wait_alu 0xfffe
	s_lshl_b64 s[18:19], s[18:19], 3
	s_wait_alu 0xfffe
	s_add_nc_u64 s[18:19], s[20:21], s[18:19]
	s_wait_alu 0xfffe
	v_add_co_u32 v18, vcc_lo, s18, v8
	s_wait_alu 0xfffd
	v_add_co_ci_u32_e64 v19, null, s19, v9, vcc_lo
	s_and_saveexec_b32 s26, s31
	s_cbranch_execz .LBB65_17
; %bb.14:                               ;   in Loop: Header=BB65_6 Depth=1
	v_mul_f64_e32 v[16:17], s[12:13], v[22:23]
	s_and_b32 vcc_lo, exec_lo, s30
	s_wait_alu 0xfffe
	s_cbranch_vccz .LBB65_28
; %bb.15:                               ;   in Loop: Header=BB65_6 Depth=1
	v_lshlrev_b64_e32 v[22:23], 3, v[0:1]
	s_delay_alu instid0(VALU_DEP_1) | instskip(SKIP_1) | instid1(VALU_DEP_2)
	v_add_co_u32 v22, vcc_lo, v18, v22
	s_wait_alu 0xfffd
	v_add_co_ci_u32_e64 v23, null, v19, v23, vcc_lo
	global_load_b64 v[24:25], v[22:23], off
	s_wait_loadcnt 0x0
	v_fma_f64 v[24:25], s[10:11], v[24:25], v[16:17]
	global_store_b64 v[22:23], v[24:25], off
	s_cbranch_execnz .LBB65_17
.LBB65_16:                              ;   in Loop: Header=BB65_6 Depth=1
	v_lshlrev_b64_e32 v[22:23], 3, v[0:1]
	s_delay_alu instid0(VALU_DEP_1) | instskip(SKIP_1) | instid1(VALU_DEP_2)
	v_add_co_u32 v22, vcc_lo, v18, v22
	s_wait_alu 0xfffd
	v_add_co_ci_u32_e64 v23, null, v19, v23, vcc_lo
	global_store_b64 v[22:23], v[16:17], off
.LBB65_17:                              ;   in Loop: Header=BB65_6 Depth=1
	s_wait_alu 0xfffe
	s_or_b32 exec_lo, exec_lo, s26
	s_and_saveexec_b32 s26, s33
	s_cbranch_execz .LBB65_21
; %bb.18:                               ;   in Loop: Header=BB65_6 Depth=1
	v_mul_f64_e32 v[16:17], s[12:13], v[20:21]
	s_and_not1_b32 vcc_lo, exec_lo, s30
	s_wait_alu 0xfffe
	s_cbranch_vccnz .LBB65_29
; %bb.19:                               ;   in Loop: Header=BB65_6 Depth=1
	v_lshlrev_b64_e32 v[20:21], 3, v[2:3]
	s_delay_alu instid0(VALU_DEP_1) | instskip(SKIP_1) | instid1(VALU_DEP_2)
	v_add_co_u32 v20, vcc_lo, v18, v20
	s_wait_alu 0xfffd
	v_add_co_ci_u32_e64 v21, null, v19, v21, vcc_lo
	global_load_b64 v[22:23], v[20:21], off
	s_wait_loadcnt 0x0
	v_fma_f64 v[22:23], s[10:11], v[22:23], v[16:17]
	global_store_b64 v[20:21], v[22:23], off
	s_cbranch_execnz .LBB65_21
.LBB65_20:                              ;   in Loop: Header=BB65_6 Depth=1
	v_lshlrev_b64_e32 v[20:21], 3, v[2:3]
	s_delay_alu instid0(VALU_DEP_1) | instskip(SKIP_1) | instid1(VALU_DEP_2)
	v_add_co_u32 v18, vcc_lo, v18, v20
	s_wait_alu 0xfffd
	v_add_co_ci_u32_e64 v19, null, v19, v21, vcc_lo
	global_store_b64 v[18:19], v[16:17], off
.LBB65_21:                              ;   in Loop: Header=BB65_6 Depth=1
	s_wait_alu 0xfffe
	s_or_b32 exec_lo, exec_lo, s26
	v_add_co_u32 v18, vcc_lo, s18, v10
	s_wait_alu 0xfffd
	v_add_co_ci_u32_e64 v19, null, s19, v11, vcc_lo
	s_and_saveexec_b32 s18, s22
	s_cbranch_execz .LBB65_25
; %bb.22:                               ;   in Loop: Header=BB65_6 Depth=1
	v_mul_f64_e32 v[14:15], s[12:13], v[14:15]
	v_lshlrev_b64_e32 v[16:17], 3, v[0:1]
	s_and_not1_b32 vcc_lo, exec_lo, s30
	s_wait_alu 0xfffe
	s_cbranch_vccnz .LBB65_30
; %bb.23:                               ;   in Loop: Header=BB65_6 Depth=1
	s_delay_alu instid0(VALU_DEP_1)
	v_add_co_u32 v20, vcc_lo, v18, v16
	s_wait_alu 0xfffd
	v_add_co_ci_u32_e64 v21, null, v19, v17, vcc_lo
	global_load_b64 v[22:23], v[20:21], off
	s_wait_loadcnt 0x0
	v_fma_f64 v[22:23], s[10:11], v[22:23], v[14:15]
	global_store_b64 v[20:21], v[22:23], off
	s_cbranch_execnz .LBB65_25
.LBB65_24:                              ;   in Loop: Header=BB65_6 Depth=1
	s_delay_alu instid0(VALU_DEP_1)
	v_add_co_u32 v16, vcc_lo, v18, v16
	s_wait_alu 0xfffd
	v_add_co_ci_u32_e64 v17, null, v19, v17, vcc_lo
	global_store_b64 v[16:17], v[14:15], off
.LBB65_25:                              ;   in Loop: Header=BB65_6 Depth=1
	s_wait_alu 0xfffe
	s_or_b32 exec_lo, exec_lo, s18
	s_and_saveexec_b32 s18, s4
	s_cbranch_execz .LBB65_5
; %bb.26:                               ;   in Loop: Header=BB65_6 Depth=1
	v_mul_f64_e32 v[12:13], s[12:13], v[12:13]
	v_lshlrev_b64_e32 v[14:15], 3, v[2:3]
	s_and_not1_b32 vcc_lo, exec_lo, s30
	s_wait_alu 0xfffe
	s_cbranch_vccnz .LBB65_31
; %bb.27:                               ;   in Loop: Header=BB65_6 Depth=1
	s_delay_alu instid0(VALU_DEP_1)
	v_add_co_u32 v16, vcc_lo, v18, v14
	s_wait_alu 0xfffd
	v_add_co_ci_u32_e64 v17, null, v19, v15, vcc_lo
	global_load_b64 v[20:21], v[16:17], off
	s_wait_loadcnt 0x0
	v_fma_f64 v[20:21], s[10:11], v[20:21], v[12:13]
	global_store_b64 v[16:17], v[20:21], off
	s_cbranch_execnz .LBB65_5
	s_branch .LBB65_32
.LBB65_28:                              ;   in Loop: Header=BB65_6 Depth=1
	s_branch .LBB65_16
.LBB65_29:                              ;   in Loop: Header=BB65_6 Depth=1
	s_branch .LBB65_20
.LBB65_30:                              ;   in Loop: Header=BB65_6 Depth=1
	s_branch .LBB65_24
.LBB65_31:                              ;   in Loop: Header=BB65_6 Depth=1
.LBB65_32:                              ;   in Loop: Header=BB65_6 Depth=1
	s_delay_alu instid0(VALU_DEP_1)
	v_add_co_u32 v14, vcc_lo, v18, v14
	s_wait_alu 0xfffd
	v_add_co_ci_u32_e64 v15, null, v19, v15, vcc_lo
	global_store_b64 v[14:15], v[12:13], off
	s_branch .LBB65_5
.LBB65_33:
	s_endpgm
	.section	.rodata,"a",@progbits
	.p2align	6, 0x0
	.amdhsa_kernel _ZL29rocblas_internal_gemmt_kernelIiLi16ELi32ELi8ELc78ELc67ELc76ELb0ELb0EddPKdPdEviT_T9_T10_S3_lS5_S3_lS4_T11_S3_li
		.amdhsa_group_segment_fixed_size 4096
		.amdhsa_private_segment_fixed_size 0
		.amdhsa_kernarg_size 100
		.amdhsa_user_sgpr_count 2
		.amdhsa_user_sgpr_dispatch_ptr 0
		.amdhsa_user_sgpr_queue_ptr 0
		.amdhsa_user_sgpr_kernarg_segment_ptr 1
		.amdhsa_user_sgpr_dispatch_id 0
		.amdhsa_user_sgpr_private_segment_size 0
		.amdhsa_wavefront_size32 1
		.amdhsa_uses_dynamic_stack 0
		.amdhsa_enable_private_segment 0
		.amdhsa_system_sgpr_workgroup_id_x 1
		.amdhsa_system_sgpr_workgroup_id_y 1
		.amdhsa_system_sgpr_workgroup_id_z 1
		.amdhsa_system_sgpr_workgroup_info 0
		.amdhsa_system_vgpr_workitem_id 1
		.amdhsa_next_free_vgpr 50
		.amdhsa_next_free_sgpr 36
		.amdhsa_reserve_vcc 1
		.amdhsa_float_round_mode_32 0
		.amdhsa_float_round_mode_16_64 0
		.amdhsa_float_denorm_mode_32 3
		.amdhsa_float_denorm_mode_16_64 3
		.amdhsa_fp16_overflow 0
		.amdhsa_workgroup_processor_mode 1
		.amdhsa_memory_ordered 1
		.amdhsa_forward_progress 1
		.amdhsa_inst_pref_size 16
		.amdhsa_round_robin_scheduling 0
		.amdhsa_exception_fp_ieee_invalid_op 0
		.amdhsa_exception_fp_denorm_src 0
		.amdhsa_exception_fp_ieee_div_zero 0
		.amdhsa_exception_fp_ieee_overflow 0
		.amdhsa_exception_fp_ieee_underflow 0
		.amdhsa_exception_fp_ieee_inexact 0
		.amdhsa_exception_int_div_zero 0
	.end_amdhsa_kernel
	.section	.text._ZL29rocblas_internal_gemmt_kernelIiLi16ELi32ELi8ELc78ELc67ELc76ELb0ELb0EddPKdPdEviT_T9_T10_S3_lS5_S3_lS4_T11_S3_li,"axG",@progbits,_ZL29rocblas_internal_gemmt_kernelIiLi16ELi32ELi8ELc78ELc67ELc76ELb0ELb0EddPKdPdEviT_T9_T10_S3_lS5_S3_lS4_T11_S3_li,comdat
.Lfunc_end65:
	.size	_ZL29rocblas_internal_gemmt_kernelIiLi16ELi32ELi8ELc78ELc67ELc76ELb0ELb0EddPKdPdEviT_T9_T10_S3_lS5_S3_lS4_T11_S3_li, .Lfunc_end65-_ZL29rocblas_internal_gemmt_kernelIiLi16ELi32ELi8ELc78ELc67ELc76ELb0ELb0EddPKdPdEviT_T9_T10_S3_lS5_S3_lS4_T11_S3_li
                                        ; -- End function
	.set _ZL29rocblas_internal_gemmt_kernelIiLi16ELi32ELi8ELc78ELc67ELc76ELb0ELb0EddPKdPdEviT_T9_T10_S3_lS5_S3_lS4_T11_S3_li.num_vgpr, 50
	.set _ZL29rocblas_internal_gemmt_kernelIiLi16ELi32ELi8ELc78ELc67ELc76ELb0ELb0EddPKdPdEviT_T9_T10_S3_lS5_S3_lS4_T11_S3_li.num_agpr, 0
	.set _ZL29rocblas_internal_gemmt_kernelIiLi16ELi32ELi8ELc78ELc67ELc76ELb0ELb0EddPKdPdEviT_T9_T10_S3_lS5_S3_lS4_T11_S3_li.numbered_sgpr, 36
	.set _ZL29rocblas_internal_gemmt_kernelIiLi16ELi32ELi8ELc78ELc67ELc76ELb0ELb0EddPKdPdEviT_T9_T10_S3_lS5_S3_lS4_T11_S3_li.num_named_barrier, 0
	.set _ZL29rocblas_internal_gemmt_kernelIiLi16ELi32ELi8ELc78ELc67ELc76ELb0ELb0EddPKdPdEviT_T9_T10_S3_lS5_S3_lS4_T11_S3_li.private_seg_size, 0
	.set _ZL29rocblas_internal_gemmt_kernelIiLi16ELi32ELi8ELc78ELc67ELc76ELb0ELb0EddPKdPdEviT_T9_T10_S3_lS5_S3_lS4_T11_S3_li.uses_vcc, 1
	.set _ZL29rocblas_internal_gemmt_kernelIiLi16ELi32ELi8ELc78ELc67ELc76ELb0ELb0EddPKdPdEviT_T9_T10_S3_lS5_S3_lS4_T11_S3_li.uses_flat_scratch, 0
	.set _ZL29rocblas_internal_gemmt_kernelIiLi16ELi32ELi8ELc78ELc67ELc76ELb0ELb0EddPKdPdEviT_T9_T10_S3_lS5_S3_lS4_T11_S3_li.has_dyn_sized_stack, 0
	.set _ZL29rocblas_internal_gemmt_kernelIiLi16ELi32ELi8ELc78ELc67ELc76ELb0ELb0EddPKdPdEviT_T9_T10_S3_lS5_S3_lS4_T11_S3_li.has_recursion, 0
	.set _ZL29rocblas_internal_gemmt_kernelIiLi16ELi32ELi8ELc78ELc67ELc76ELb0ELb0EddPKdPdEviT_T9_T10_S3_lS5_S3_lS4_T11_S3_li.has_indirect_call, 0
	.section	.AMDGPU.csdata,"",@progbits
; Kernel info:
; codeLenInByte = 2028
; TotalNumSgprs: 38
; NumVgprs: 50
; ScratchSize: 0
; MemoryBound: 0
; FloatMode: 240
; IeeeMode: 1
; LDSByteSize: 4096 bytes/workgroup (compile time only)
; SGPRBlocks: 0
; VGPRBlocks: 6
; NumSGPRsForWavesPerEU: 38
; NumVGPRsForWavesPerEU: 50
; Occupancy: 16
; WaveLimiterHint : 0
; COMPUTE_PGM_RSRC2:SCRATCH_EN: 0
; COMPUTE_PGM_RSRC2:USER_SGPR: 2
; COMPUTE_PGM_RSRC2:TRAP_HANDLER: 0
; COMPUTE_PGM_RSRC2:TGID_X_EN: 1
; COMPUTE_PGM_RSRC2:TGID_Y_EN: 1
; COMPUTE_PGM_RSRC2:TGID_Z_EN: 1
; COMPUTE_PGM_RSRC2:TIDIG_COMP_CNT: 1
	.section	.text._ZL29rocblas_internal_gemmt_kernelIiLi16ELi32ELi8ELc84ELc78ELc76ELb0ELb0EddPKdPdEviT_T9_T10_S3_lS5_S3_lS4_T11_S3_li,"axG",@progbits,_ZL29rocblas_internal_gemmt_kernelIiLi16ELi32ELi8ELc84ELc78ELc76ELb0ELb0EddPKdPdEviT_T9_T10_S3_lS5_S3_lS4_T11_S3_li,comdat
	.globl	_ZL29rocblas_internal_gemmt_kernelIiLi16ELi32ELi8ELc84ELc78ELc76ELb0ELb0EddPKdPdEviT_T9_T10_S3_lS5_S3_lS4_T11_S3_li ; -- Begin function _ZL29rocblas_internal_gemmt_kernelIiLi16ELi32ELi8ELc84ELc78ELc76ELb0ELb0EddPKdPdEviT_T9_T10_S3_lS5_S3_lS4_T11_S3_li
	.p2align	8
	.type	_ZL29rocblas_internal_gemmt_kernelIiLi16ELi32ELi8ELc84ELc78ELc76ELb0ELb0EddPKdPdEviT_T9_T10_S3_lS5_S3_lS4_T11_S3_li,@function
_ZL29rocblas_internal_gemmt_kernelIiLi16ELi32ELi8ELc84ELc78ELc76ELb0ELb0EddPKdPdEviT_T9_T10_S3_lS5_S3_lS4_T11_S3_li: ; @_ZL29rocblas_internal_gemmt_kernelIiLi16ELi32ELi8ELc84ELc78ELc76ELb0ELb0EddPKdPdEviT_T9_T10_S3_lS5_S3_lS4_T11_S3_li
; %bb.0:
	s_clause 0x2
	s_load_b128 s[4:7], s[0:1], 0x38
	s_load_b64 s[20:21], s[0:1], 0x0
	s_load_b128 s[8:11], s[0:1], 0x8
	s_wait_kmcnt 0x0
	v_cmp_neq_f64_e64 s2, s[6:7], 1.0
	s_and_b32 vcc_lo, exec_lo, s2
	s_cbranch_vccnz .LBB66_2
; %bb.1:
	v_cmp_neq_f64_e64 s2, s[8:9], 0
	s_cmp_lg_u32 s21, 0
	s_cselect_b32 s3, -1, 0
	s_delay_alu instid0(SALU_CYCLE_1)
	s_and_b32 s2, s3, s2
.LBB66_2:
	s_delay_alu instid0(SALU_CYCLE_1)
	s_and_not1_b32 vcc_lo, exec_lo, s2
	s_cbranch_vccnz .LBB66_33
; %bb.3:
	s_load_b32 s19, s[0:1], 0x60
	s_lshr_b32 s22, ttmp7, 16
	s_wait_kmcnt 0x0
	s_cmp_ge_u32 s22, s19
	s_cbranch_scc1 .LBB66_33
; %bb.4:
	v_and_b32_e32 v1, 0x3ff, v0
	v_bfe_u32 v2, v0, 10, 10
	v_and_b32_e32 v28, 7, v0
	s_clause 0x4
	s_load_b32 s28, s[0:1], 0x18
	s_load_b128 s[12:15], s[0:1], 0x20
	s_load_b32 s29, s[0:1], 0x30
	s_load_b96 s[16:18], s[0:1], 0x48
	s_load_b64 s[24:25], s[0:1], 0x58
	s_lshl_b32 s0, ttmp7, 5
	v_cmp_neq_f64_e64 s30, s[8:9], 0
	v_lshl_add_u32 v0, v2, 4, v1
	v_lshlrev_b32_e32 v12, 3, v28
	s_lshl_b32 s1, ttmp9, 5
	s_and_b32 s2, s0, 0x1fffe0
	v_cmp_neq_f64_e64 s26, s[6:7], 0
	v_and_b32_e32 v3, 31, v0
	v_lshrrev_b32_e32 v4, 3, v0
	v_lshrrev_b32_e32 v29, 5, v0
	v_add_nc_u32_e32 v10, s1, v1
	s_cmp_gt_i32 s21, 0
	v_or_b32_e32 v5, s1, v3
	v_add_nc_u32_e32 v8, s2, v4
	v_lshlrev_b32_e32 v0, 3, v3
	v_lshl_or_b32 v3, v4, 6, v12
	v_add_nc_u32_e32 v4, s2, v2
	v_cmp_gt_i32_e64 s2, s20, v10
	v_lshl_add_u32 v33, v2, 6, 0x800
	v_lshl_or_b32 v30, v29, 8, v0
	v_add_nc_u32_e32 v0, 16, v10
	v_cmp_le_i32_e32 vcc_lo, v4, v10
	v_add_nc_u32_e32 v31, 0x800, v3
	s_wait_kmcnt 0x0
	v_mad_co_i64_i32 v[2:3], null, s28, v5, 0
	s_cselect_b32 s31, -1, 0
	v_cmp_gt_i32_e64 s0, s20, v5
	v_mad_co_i64_i32 v[6:7], null, v4, s18, 0
	s_and_b32 s27, vcc_lo, s2
	v_cmp_le_i32_e32 vcc_lo, v4, v0
	v_add_nc_u32_e32 v13, 16, v4
	v_mad_co_i64_i32 v[4:5], null, s29, v8, 0
	v_cmp_gt_i32_e64 s3, s20, v0
	v_lshlrev_b64_e32 v[2:3], 3, v[2:3]
	v_cmp_gt_i32_e64 s1, s20, v8
	v_lshlrev_b32_e32 v14, 3, v29
	v_mad_co_i64_i32 v[8:9], null, v13, s18, 0
	s_and_b32 s20, vcc_lo, s3
	v_cmp_le_i32_e32 vcc_lo, v13, v10
	v_lshlrev_b64_e32 v[4:5], 3, v[4:5]
	v_ashrrev_i32_e32 v11, 31, v10
	v_lshlrev_b64_e32 v[6:7], 3, v[6:7]
	v_lshlrev_b32_e32 v32, 3, v1
	s_and_b32 s18, vcc_lo, s2
	v_add_co_u32 v2, s2, v2, v14
	s_wait_alu 0xf1ff
	v_add_co_ci_u32_e64 v3, null, 0, v3, s2
	v_add_co_u32 v4, s2, v4, v12
	s_wait_alu 0xf1ff
	v_add_co_ci_u32_e64 v5, null, 0, v5, s2
	v_add_co_u32 v2, s2, s10, v2
	v_cmp_le_i32_e32 vcc_lo, v13, v0
	s_wait_alu 0xf1ff
	v_add_co_ci_u32_e64 v3, null, s11, v3, s2
	v_add_co_u32 v4, s2, s14, v4
	v_lshlrev_b64_e32 v[8:9], 3, v[8:9]
	v_lshlrev_b64_e32 v[10:11], 3, v[10:11]
	v_ashrrev_i32_e32 v1, 31, v0
	s_wait_alu 0xf1ff
	v_add_co_ci_u32_e64 v5, null, s15, v5, s2
	s_mov_b32 s23, 0
	s_and_b32 s14, s30, s31
	s_and_b32 s15, vcc_lo, s3
	s_lshl_b64 s[2:3], s[12:13], 3
	s_lshl_b64 s[4:5], s[4:5], 3
	s_branch .LBB66_6
.LBB66_5:                               ;   in Loop: Header=BB66_6 Depth=1
	s_wait_alu 0xfffe
	s_or_b32 exec_lo, exec_lo, s10
	s_add_co_i32 s22, s22, 0x10000
	s_wait_alu 0xfffe
	s_cmp_lt_u32 s22, s19
	s_cbranch_scc0 .LBB66_33
.LBB66_6:                               ; =>This Loop Header: Depth=1
                                        ;     Child Loop BB66_9 Depth 2
	v_mov_b32_e32 v22, 0
	v_dual_mov_b32 v14, 0 :: v_dual_mov_b32 v23, 0
	v_dual_mov_b32 v20, 0 :: v_dual_mov_b32 v15, 0
	;; [unrolled: 1-line block ×3, first 2 shown]
	v_mov_b32_e32 v13, 0
	s_wait_alu 0xfffe
	s_and_not1_b32 vcc_lo, exec_lo, s14
	s_wait_alu 0xfffe
	s_cbranch_vccnz .LBB66_13
; %bb.7:                                ;   in Loop: Header=BB66_6 Depth=1
	v_mad_co_u64_u32 v[16:17], null, s2, s22, v[2:3]
	v_mad_co_u64_u32 v[18:19], null, s4, s22, v[4:5]
	s_mov_b32 s10, 0
	v_mov_b32_e32 v22, 0
	v_dual_mov_b32 v23, 0 :: v_dual_mov_b32 v12, v17
	v_mov_b32_e32 v13, v19
	s_delay_alu instid0(VALU_DEP_1)
	v_mad_co_u64_u32 v[19:20], null, s3, s22, v[12:13]
	v_mad_co_u64_u32 v[24:25], null, s5, s22, v[13:14]
	v_mov_b32_e32 v12, 0
	v_dual_mov_b32 v20, 0 :: v_dual_mov_b32 v13, 0
	v_dual_mov_b32 v14, 0 :: v_dual_mov_b32 v21, 0
	v_mov_b32_e32 v15, 0
	v_mov_b32_e32 v17, v19
	v_mov_b32_e32 v19, v24
	s_branch .LBB66_9
.LBB66_8:                               ;   in Loop: Header=BB66_9 Depth=2
	s_wait_alu 0xfffe
	s_or_b32 exec_lo, exec_lo, s11
	s_wait_loadcnt 0x0
	ds_store_b64 v31, v[26:27]
	s_wait_dscnt 0x0
	s_barrier_signal -1
	s_barrier_wait -1
	global_inv scope:SCOPE_SE
	ds_load_b128 v[24:27], v33
	ds_load_2addr_b64 v[34:37], v32 offset1:16
	ds_load_b128 v[38:41], v33 offset:1024
	ds_load_b128 v[42:45], v33 offset:16
	;; [unrolled: 1-line block ×3, first 2 shown]
	v_add_co_u32 v16, vcc_lo, v16, 64
	s_wait_alu 0xfffd
	v_add_co_ci_u32_e64 v17, null, 0, v17, vcc_lo
	v_add_co_u32 v18, vcc_lo, v18, 64
	s_wait_alu 0xfffd
	v_add_co_ci_u32_e64 v19, null, 0, v19, vcc_lo
	s_add_co_i32 s10, s10, 8
	s_wait_alu 0xfffe
	s_cmp_lt_i32 s10, s21
	s_wait_dscnt 0x3
	v_fma_f64 v[22:23], v[34:35], v[24:25], v[22:23]
	v_fma_f64 v[20:21], v[36:37], v[24:25], v[20:21]
	s_wait_dscnt 0x2
	v_fma_f64 v[24:25], v[34:35], v[38:39], v[14:15]
	v_fma_f64 v[34:35], v[36:37], v[38:39], v[12:13]
	ds_load_2addr_b64 v[12:15], v32 offset0:32 offset1:48
	s_wait_dscnt 0x0
	v_fma_f64 v[22:23], v[12:13], v[26:27], v[22:23]
	v_fma_f64 v[20:21], v[14:15], v[26:27], v[20:21]
	v_fma_f64 v[24:25], v[12:13], v[40:41], v[24:25]
	v_fma_f64 v[26:27], v[14:15], v[40:41], v[34:35]
	ds_load_2addr_b64 v[12:15], v32 offset0:64 offset1:80
	s_wait_dscnt 0x0
	v_fma_f64 v[22:23], v[12:13], v[42:43], v[22:23]
	v_fma_f64 v[20:21], v[14:15], v[42:43], v[20:21]
	;; [unrolled: 6-line block ×3, first 2 shown]
	v_fma_f64 v[46:47], v[12:13], v[48:49], v[24:25]
	v_fma_f64 v[48:49], v[14:15], v[48:49], v[26:27]
	ds_load_b128 v[12:15], v33 offset:32
	ds_load_2addr_b64 v[20:23], v32 offset0:128 offset1:144
	ds_load_b128 v[24:27], v33 offset:1056
	ds_load_b128 v[34:37], v33 offset:48
	;; [unrolled: 1-line block ×3, first 2 shown]
	s_wait_dscnt 0x3
	v_fma_f64 v[42:43], v[20:21], v[12:13], v[42:43]
	v_fma_f64 v[12:13], v[22:23], v[12:13], v[44:45]
	s_wait_dscnt 0x2
	v_fma_f64 v[44:45], v[20:21], v[24:25], v[46:47]
	v_fma_f64 v[24:25], v[22:23], v[24:25], v[48:49]
	ds_load_2addr_b64 v[20:23], v32 offset0:160 offset1:176
	s_wait_dscnt 0x0
	v_fma_f64 v[42:43], v[20:21], v[14:15], v[42:43]
	v_fma_f64 v[46:47], v[22:23], v[14:15], v[12:13]
	;; [unrolled: 1-line block ×4, first 2 shown]
	ds_load_2addr_b64 v[12:15], v32 offset0:192 offset1:208
	ds_load_2addr_b64 v[24:27], v32 offset0:224 offset1:240
	s_wait_loadcnt_dscnt 0x0
	s_barrier_signal -1
	s_barrier_wait -1
	global_inv scope:SCOPE_SE
	v_fma_f64 v[42:43], v[12:13], v[34:35], v[42:43]
	v_fma_f64 v[34:35], v[14:15], v[34:35], v[46:47]
	v_fma_f64 v[12:13], v[12:13], v[38:39], v[20:21]
	v_fma_f64 v[38:39], v[14:15], v[38:39], v[22:23]
	s_delay_alu instid0(VALU_DEP_4) | instskip(NEXT) | instid1(VALU_DEP_4)
	v_fma_f64 v[22:23], v[24:25], v[36:37], v[42:43]
	v_fma_f64 v[20:21], v[26:27], v[36:37], v[34:35]
	s_delay_alu instid0(VALU_DEP_4) | instskip(NEXT) | instid1(VALU_DEP_4)
	v_fma_f64 v[14:15], v[24:25], v[40:41], v[12:13]
	v_fma_f64 v[12:13], v[26:27], v[40:41], v[38:39]
	s_cbranch_scc0 .LBB66_13
.LBB66_9:                               ;   Parent Loop BB66_6 Depth=1
                                        ; =>  This Inner Loop Header: Depth=2
	s_wait_alu 0xfffe
	v_add_nc_u32_e32 v24, s10, v29
	s_delay_alu instid0(VALU_DEP_1) | instskip(SKIP_3) | instid1(SALU_CYCLE_1)
	v_cmp_gt_i32_e32 vcc_lo, s21, v24
	v_mov_b32_e32 v24, 0
	v_mov_b32_e32 v25, 0
	s_and_b32 s12, s0, vcc_lo
	s_and_saveexec_b32 s11, s12
	s_cbranch_execz .LBB66_11
; %bb.10:                               ;   in Loop: Header=BB66_9 Depth=2
	global_load_b64 v[24:25], v[16:17], off
.LBB66_11:                              ;   in Loop: Header=BB66_9 Depth=2
	s_wait_alu 0xfffe
	s_or_b32 exec_lo, exec_lo, s11
	v_add_nc_u32_e32 v26, s10, v28
	s_wait_loadcnt 0x0
	ds_store_b64 v30, v[24:25]
	v_cmp_gt_i32_e32 vcc_lo, s21, v26
	v_mov_b32_e32 v26, 0
	v_mov_b32_e32 v27, 0
	s_and_b32 s12, vcc_lo, s1
	s_delay_alu instid0(SALU_CYCLE_1)
	s_and_saveexec_b32 s11, s12
	s_cbranch_execz .LBB66_8
; %bb.12:                               ;   in Loop: Header=BB66_9 Depth=2
	global_load_b64 v[26:27], v[18:19], off
	s_branch .LBB66_8
.LBB66_13:                              ;   in Loop: Header=BB66_6 Depth=1
	s_mul_u64 s[10:11], s[24:25], s[22:23]
	s_wait_alu 0xfffe
	s_lshl_b64 s[10:11], s[10:11], 3
	s_wait_alu 0xfffe
	s_add_nc_u64 s[10:11], s[16:17], s[10:11]
	s_wait_alu 0xfffe
	v_add_co_u32 v18, vcc_lo, s10, v6
	s_wait_alu 0xfffd
	v_add_co_ci_u32_e64 v19, null, s11, v7, vcc_lo
	s_and_saveexec_b32 s12, s27
	s_cbranch_execz .LBB66_17
; %bb.14:                               ;   in Loop: Header=BB66_6 Depth=1
	v_mul_f64_e32 v[16:17], s[8:9], v[22:23]
	s_and_b32 vcc_lo, exec_lo, s26
	s_wait_alu 0xfffe
	s_cbranch_vccz .LBB66_28
; %bb.15:                               ;   in Loop: Header=BB66_6 Depth=1
	v_add_co_u32 v22, vcc_lo, v18, v10
	s_wait_alu 0xfffd
	v_add_co_ci_u32_e64 v23, null, v19, v11, vcc_lo
	global_load_b64 v[24:25], v[22:23], off
	s_wait_loadcnt 0x0
	v_fma_f64 v[24:25], s[6:7], v[24:25], v[16:17]
	global_store_b64 v[22:23], v[24:25], off
	s_cbranch_execnz .LBB66_17
.LBB66_16:                              ;   in Loop: Header=BB66_6 Depth=1
	v_add_co_u32 v22, vcc_lo, v18, v10
	s_wait_alu 0xfffd
	v_add_co_ci_u32_e64 v23, null, v19, v11, vcc_lo
	global_store_b64 v[22:23], v[16:17], off
.LBB66_17:                              ;   in Loop: Header=BB66_6 Depth=1
	s_or_b32 exec_lo, exec_lo, s12
	s_and_saveexec_b32 s12, s20
	s_cbranch_execz .LBB66_21
; %bb.18:                               ;   in Loop: Header=BB66_6 Depth=1
	v_mul_f64_e32 v[16:17], s[8:9], v[20:21]
	s_and_not1_b32 vcc_lo, exec_lo, s26
	s_wait_alu 0xfffe
	s_cbranch_vccnz .LBB66_29
; %bb.19:                               ;   in Loop: Header=BB66_6 Depth=1
	v_lshlrev_b64_e32 v[20:21], 3, v[0:1]
	s_delay_alu instid0(VALU_DEP_1) | instskip(SKIP_1) | instid1(VALU_DEP_2)
	v_add_co_u32 v20, vcc_lo, v18, v20
	s_wait_alu 0xfffd
	v_add_co_ci_u32_e64 v21, null, v19, v21, vcc_lo
	global_load_b64 v[22:23], v[20:21], off
	s_wait_loadcnt 0x0
	v_fma_f64 v[22:23], s[6:7], v[22:23], v[16:17]
	global_store_b64 v[20:21], v[22:23], off
	s_cbranch_execnz .LBB66_21
.LBB66_20:                              ;   in Loop: Header=BB66_6 Depth=1
	v_lshlrev_b64_e32 v[20:21], 3, v[0:1]
	s_delay_alu instid0(VALU_DEP_1) | instskip(SKIP_1) | instid1(VALU_DEP_2)
	v_add_co_u32 v18, vcc_lo, v18, v20
	s_wait_alu 0xfffd
	v_add_co_ci_u32_e64 v19, null, v19, v21, vcc_lo
	global_store_b64 v[18:19], v[16:17], off
.LBB66_21:                              ;   in Loop: Header=BB66_6 Depth=1
	s_or_b32 exec_lo, exec_lo, s12
	v_add_co_u32 v16, vcc_lo, s10, v8
	s_wait_alu 0xfffd
	v_add_co_ci_u32_e64 v17, null, s11, v9, vcc_lo
	s_and_saveexec_b32 s10, s18
	s_cbranch_execz .LBB66_25
; %bb.22:                               ;   in Loop: Header=BB66_6 Depth=1
	v_mul_f64_e32 v[14:15], s[8:9], v[14:15]
	s_and_not1_b32 vcc_lo, exec_lo, s26
	s_wait_alu 0xfffe
	s_cbranch_vccnz .LBB66_30
; %bb.23:                               ;   in Loop: Header=BB66_6 Depth=1
	v_add_co_u32 v18, vcc_lo, v16, v10
	s_wait_alu 0xfffd
	v_add_co_ci_u32_e64 v19, null, v17, v11, vcc_lo
	global_load_b64 v[20:21], v[18:19], off
	s_wait_loadcnt 0x0
	v_fma_f64 v[20:21], s[6:7], v[20:21], v[14:15]
	global_store_b64 v[18:19], v[20:21], off
	s_cbranch_execnz .LBB66_25
.LBB66_24:                              ;   in Loop: Header=BB66_6 Depth=1
	v_add_co_u32 v18, vcc_lo, v16, v10
	s_wait_alu 0xfffd
	v_add_co_ci_u32_e64 v19, null, v17, v11, vcc_lo
	global_store_b64 v[18:19], v[14:15], off
.LBB66_25:                              ;   in Loop: Header=BB66_6 Depth=1
	s_wait_alu 0xfffe
	s_or_b32 exec_lo, exec_lo, s10
	s_and_saveexec_b32 s10, s15
	s_cbranch_execz .LBB66_5
; %bb.26:                               ;   in Loop: Header=BB66_6 Depth=1
	v_mul_f64_e32 v[12:13], s[8:9], v[12:13]
	v_lshlrev_b64_e32 v[14:15], 3, v[0:1]
	s_and_not1_b32 vcc_lo, exec_lo, s26
	s_wait_alu 0xfffe
	s_cbranch_vccnz .LBB66_31
; %bb.27:                               ;   in Loop: Header=BB66_6 Depth=1
	s_delay_alu instid0(VALU_DEP_1)
	v_add_co_u32 v18, vcc_lo, v16, v14
	s_wait_alu 0xfffd
	v_add_co_ci_u32_e64 v19, null, v17, v15, vcc_lo
	global_load_b64 v[20:21], v[18:19], off
	s_wait_loadcnt 0x0
	v_fma_f64 v[20:21], s[6:7], v[20:21], v[12:13]
	global_store_b64 v[18:19], v[20:21], off
	s_cbranch_execnz .LBB66_5
	s_branch .LBB66_32
.LBB66_28:                              ;   in Loop: Header=BB66_6 Depth=1
	s_branch .LBB66_16
.LBB66_29:                              ;   in Loop: Header=BB66_6 Depth=1
	s_branch .LBB66_20
.LBB66_30:                              ;   in Loop: Header=BB66_6 Depth=1
	s_branch .LBB66_24
.LBB66_31:                              ;   in Loop: Header=BB66_6 Depth=1
.LBB66_32:                              ;   in Loop: Header=BB66_6 Depth=1
	s_delay_alu instid0(VALU_DEP_1)
	v_add_co_u32 v14, vcc_lo, v16, v14
	s_wait_alu 0xfffd
	v_add_co_ci_u32_e64 v15, null, v17, v15, vcc_lo
	global_store_b64 v[14:15], v[12:13], off
	s_branch .LBB66_5
.LBB66_33:
	s_endpgm
	.section	.rodata,"a",@progbits
	.p2align	6, 0x0
	.amdhsa_kernel _ZL29rocblas_internal_gemmt_kernelIiLi16ELi32ELi8ELc84ELc78ELc76ELb0ELb0EddPKdPdEviT_T9_T10_S3_lS5_S3_lS4_T11_S3_li
		.amdhsa_group_segment_fixed_size 4096
		.amdhsa_private_segment_fixed_size 0
		.amdhsa_kernarg_size 100
		.amdhsa_user_sgpr_count 2
		.amdhsa_user_sgpr_dispatch_ptr 0
		.amdhsa_user_sgpr_queue_ptr 0
		.amdhsa_user_sgpr_kernarg_segment_ptr 1
		.amdhsa_user_sgpr_dispatch_id 0
		.amdhsa_user_sgpr_private_segment_size 0
		.amdhsa_wavefront_size32 1
		.amdhsa_uses_dynamic_stack 0
		.amdhsa_enable_private_segment 0
		.amdhsa_system_sgpr_workgroup_id_x 1
		.amdhsa_system_sgpr_workgroup_id_y 1
		.amdhsa_system_sgpr_workgroup_id_z 1
		.amdhsa_system_sgpr_workgroup_info 0
		.amdhsa_system_vgpr_workitem_id 1
		.amdhsa_next_free_vgpr 50
		.amdhsa_next_free_sgpr 32
		.amdhsa_reserve_vcc 1
		.amdhsa_float_round_mode_32 0
		.amdhsa_float_round_mode_16_64 0
		.amdhsa_float_denorm_mode_32 3
		.amdhsa_float_denorm_mode_16_64 3
		.amdhsa_fp16_overflow 0
		.amdhsa_workgroup_processor_mode 1
		.amdhsa_memory_ordered 1
		.amdhsa_forward_progress 1
		.amdhsa_inst_pref_size 16
		.amdhsa_round_robin_scheduling 0
		.amdhsa_exception_fp_ieee_invalid_op 0
		.amdhsa_exception_fp_denorm_src 0
		.amdhsa_exception_fp_ieee_div_zero 0
		.amdhsa_exception_fp_ieee_overflow 0
		.amdhsa_exception_fp_ieee_underflow 0
		.amdhsa_exception_fp_ieee_inexact 0
		.amdhsa_exception_int_div_zero 0
	.end_amdhsa_kernel
	.section	.text._ZL29rocblas_internal_gemmt_kernelIiLi16ELi32ELi8ELc84ELc78ELc76ELb0ELb0EddPKdPdEviT_T9_T10_S3_lS5_S3_lS4_T11_S3_li,"axG",@progbits,_ZL29rocblas_internal_gemmt_kernelIiLi16ELi32ELi8ELc84ELc78ELc76ELb0ELb0EddPKdPdEviT_T9_T10_S3_lS5_S3_lS4_T11_S3_li,comdat
.Lfunc_end66:
	.size	_ZL29rocblas_internal_gemmt_kernelIiLi16ELi32ELi8ELc84ELc78ELc76ELb0ELb0EddPKdPdEviT_T9_T10_S3_lS5_S3_lS4_T11_S3_li, .Lfunc_end66-_ZL29rocblas_internal_gemmt_kernelIiLi16ELi32ELi8ELc84ELc78ELc76ELb0ELb0EddPKdPdEviT_T9_T10_S3_lS5_S3_lS4_T11_S3_li
                                        ; -- End function
	.set _ZL29rocblas_internal_gemmt_kernelIiLi16ELi32ELi8ELc84ELc78ELc76ELb0ELb0EddPKdPdEviT_T9_T10_S3_lS5_S3_lS4_T11_S3_li.num_vgpr, 50
	.set _ZL29rocblas_internal_gemmt_kernelIiLi16ELi32ELi8ELc84ELc78ELc76ELb0ELb0EddPKdPdEviT_T9_T10_S3_lS5_S3_lS4_T11_S3_li.num_agpr, 0
	.set _ZL29rocblas_internal_gemmt_kernelIiLi16ELi32ELi8ELc84ELc78ELc76ELb0ELb0EddPKdPdEviT_T9_T10_S3_lS5_S3_lS4_T11_S3_li.numbered_sgpr, 32
	.set _ZL29rocblas_internal_gemmt_kernelIiLi16ELi32ELi8ELc84ELc78ELc76ELb0ELb0EddPKdPdEviT_T9_T10_S3_lS5_S3_lS4_T11_S3_li.num_named_barrier, 0
	.set _ZL29rocblas_internal_gemmt_kernelIiLi16ELi32ELi8ELc84ELc78ELc76ELb0ELb0EddPKdPdEviT_T9_T10_S3_lS5_S3_lS4_T11_S3_li.private_seg_size, 0
	.set _ZL29rocblas_internal_gemmt_kernelIiLi16ELi32ELi8ELc84ELc78ELc76ELb0ELb0EddPKdPdEviT_T9_T10_S3_lS5_S3_lS4_T11_S3_li.uses_vcc, 1
	.set _ZL29rocblas_internal_gemmt_kernelIiLi16ELi32ELi8ELc84ELc78ELc76ELb0ELb0EddPKdPdEviT_T9_T10_S3_lS5_S3_lS4_T11_S3_li.uses_flat_scratch, 0
	.set _ZL29rocblas_internal_gemmt_kernelIiLi16ELi32ELi8ELc84ELc78ELc76ELb0ELb0EddPKdPdEviT_T9_T10_S3_lS5_S3_lS4_T11_S3_li.has_dyn_sized_stack, 0
	.set _ZL29rocblas_internal_gemmt_kernelIiLi16ELi32ELi8ELc84ELc78ELc76ELb0ELb0EddPKdPdEviT_T9_T10_S3_lS5_S3_lS4_T11_S3_li.has_recursion, 0
	.set _ZL29rocblas_internal_gemmt_kernelIiLi16ELi32ELi8ELc84ELc78ELc76ELb0ELb0EddPKdPdEviT_T9_T10_S3_lS5_S3_lS4_T11_S3_li.has_indirect_call, 0
	.section	.AMDGPU.csdata,"",@progbits
; Kernel info:
; codeLenInByte = 1964
; TotalNumSgprs: 34
; NumVgprs: 50
; ScratchSize: 0
; MemoryBound: 0
; FloatMode: 240
; IeeeMode: 1
; LDSByteSize: 4096 bytes/workgroup (compile time only)
; SGPRBlocks: 0
; VGPRBlocks: 6
; NumSGPRsForWavesPerEU: 34
; NumVGPRsForWavesPerEU: 50
; Occupancy: 16
; WaveLimiterHint : 0
; COMPUTE_PGM_RSRC2:SCRATCH_EN: 0
; COMPUTE_PGM_RSRC2:USER_SGPR: 2
; COMPUTE_PGM_RSRC2:TRAP_HANDLER: 0
; COMPUTE_PGM_RSRC2:TGID_X_EN: 1
; COMPUTE_PGM_RSRC2:TGID_Y_EN: 1
; COMPUTE_PGM_RSRC2:TGID_Z_EN: 1
; COMPUTE_PGM_RSRC2:TIDIG_COMP_CNT: 1
	.section	.text._ZL29rocblas_internal_gemmt_kernelIiLi16ELi32ELi8ELc84ELc84ELc76ELb0ELb0EddPKdPdEviT_T9_T10_S3_lS5_S3_lS4_T11_S3_li,"axG",@progbits,_ZL29rocblas_internal_gemmt_kernelIiLi16ELi32ELi8ELc84ELc84ELc76ELb0ELb0EddPKdPdEviT_T9_T10_S3_lS5_S3_lS4_T11_S3_li,comdat
	.globl	_ZL29rocblas_internal_gemmt_kernelIiLi16ELi32ELi8ELc84ELc84ELc76ELb0ELb0EddPKdPdEviT_T9_T10_S3_lS5_S3_lS4_T11_S3_li ; -- Begin function _ZL29rocblas_internal_gemmt_kernelIiLi16ELi32ELi8ELc84ELc84ELc76ELb0ELb0EddPKdPdEviT_T9_T10_S3_lS5_S3_lS4_T11_S3_li
	.p2align	8
	.type	_ZL29rocblas_internal_gemmt_kernelIiLi16ELi32ELi8ELc84ELc84ELc76ELb0ELb0EddPKdPdEviT_T9_T10_S3_lS5_S3_lS4_T11_S3_li,@function
_ZL29rocblas_internal_gemmt_kernelIiLi16ELi32ELi8ELc84ELc84ELc76ELb0ELb0EddPKdPdEviT_T9_T10_S3_lS5_S3_lS4_T11_S3_li: ; @_ZL29rocblas_internal_gemmt_kernelIiLi16ELi32ELi8ELc84ELc84ELc76ELb0ELb0EddPKdPdEviT_T9_T10_S3_lS5_S3_lS4_T11_S3_li
; %bb.0:
	s_clause 0x2
	s_load_b128 s[8:11], s[0:1], 0x38
	s_load_b64 s[4:5], s[0:1], 0x0
	s_load_b128 s[12:15], s[0:1], 0x8
	s_wait_kmcnt 0x0
	v_cmp_neq_f64_e64 s2, s[10:11], 1.0
	s_and_b32 vcc_lo, exec_lo, s2
	s_cbranch_vccnz .LBB67_2
; %bb.1:
	v_cmp_neq_f64_e64 s2, s[12:13], 0
	s_cmp_lg_u32 s5, 0
	s_cselect_b32 s3, -1, 0
	s_delay_alu instid0(SALU_CYCLE_1)
	s_and_b32 s2, s3, s2
.LBB67_2:
	s_delay_alu instid0(SALU_CYCLE_1)
	s_and_not1_b32 vcc_lo, exec_lo, s2
	s_cbranch_vccnz .LBB67_33
; %bb.3:
	s_load_b32 s23, s[0:1], 0x60
	s_lshr_b32 s6, ttmp7, 16
	s_wait_kmcnt 0x0
	s_cmp_ge_u32 s6, s23
	s_cbranch_scc1 .LBB67_33
; %bb.4:
	v_and_b32_e32 v1, 0x3ff, v0
	v_bfe_u32 v2, v0, 10, 10
	v_and_b32_e32 v28, 7, v0
	s_clause 0x4
	s_load_b32 s31, s[0:1], 0x18
	s_load_b128 s[16:19], s[0:1], 0x20
	s_load_b96 s[20:22], s[0:1], 0x48
	s_load_b64 s[24:25], s[0:1], 0x58
	s_load_b32 s26, s[0:1], 0x30
	v_lshl_add_u32 v0, v2, 4, v1
	v_lshlrev_b32_e32 v4, 3, v28
	s_lshl_b32 s0, ttmp7, 5
	s_lshl_b32 s1, ttmp9, 5
	v_cmp_neq_f64_e64 s33, s[12:13], 0
	v_and_b32_e32 v3, 31, v0
	v_lshrrev_b32_e32 v29, 5, v0
	v_lshrrev_b32_e32 v0, 3, v0
	s_and_b32 s2, s0, 0x1fffe0
	v_add_nc_u32_e32 v10, s1, v1
	v_or_b32_e32 v5, s1, v3
	v_lshlrev_b32_e32 v3, 3, v3
	v_add_nc_u32_e32 v12, s2, v0
	v_lshl_or_b32 v0, v0, 6, v4
	v_cmp_neq_f64_e64 s28, s[10:11], 0
	v_lshl_add_u32 v33, v2, 6, 0x800
	v_lshl_or_b32 v30, v29, 8, v3
	v_add_nc_u32_e32 v3, s2, v2
	v_add_nc_u32_e32 v31, 0x800, v0
	;; [unrolled: 1-line block ×3, first 2 shown]
	v_cmp_gt_i32_e64 s0, s4, v5
	v_cmp_gt_i32_e64 s2, s4, v10
	v_cmp_le_i32_e32 vcc_lo, v3, v10
	s_wait_kmcnt 0x0
	v_mad_co_i64_i32 v[6:7], null, v3, s22, 0
	v_cmp_le_i32_e64 s3, v3, v0
	v_add_nc_u32_e32 v8, 16, v3
	v_mad_co_i64_i32 v[2:3], null, s31, v5, 0
	v_mad_co_i64_i32 v[4:5], null, s26, v28, 0
	s_ashr_i32 s27, s26, 31
	s_cmp_gt_i32 s5, 0
	v_cmp_gt_i32_e64 s1, s4, v12
	s_cselect_b32 s34, -1, 0
	v_lshlrev_b64_e32 v[2:3], 3, v[2:3]
	v_cmp_gt_i32_e64 s4, s4, v0
	s_and_b32 s29, vcc_lo, s2
	v_cmp_le_i32_e32 vcc_lo, v8, v10
	v_lshlrev_b32_e32 v13, 3, v29
	v_lshlrev_b64_e32 v[4:5], 3, v[4:5]
	v_lshlrev_b32_e32 v12, 3, v12
	s_and_b32 s30, s3, s4
	v_cmp_le_i32_e64 s3, v8, v0
	v_mad_co_i64_i32 v[8:9], null, v8, s22, 0
	s_and_b32 s22, vcc_lo, s2
	v_add_co_u32 v2, vcc_lo, v2, v13
	s_delay_alu instid0(VALU_DEP_1)
	v_add_co_ci_u32_e64 v3, null, 0, v3, vcc_lo
	v_add_co_u32 v4, vcc_lo, v4, v12
	v_ashrrev_i32_e32 v11, 31, v10
	s_wait_alu 0xfffd
	v_add_co_ci_u32_e64 v5, null, 0, v5, vcc_lo
	v_add_co_u32 v2, vcc_lo, s14, v2
	s_wait_alu 0xfffd
	v_add_co_ci_u32_e64 v3, null, s15, v3, vcc_lo
	v_add_co_u32 v4, vcc_lo, s18, v4
	v_lshlrev_b64_e32 v[6:7], 3, v[6:7]
	v_lshlrev_b64_e32 v[8:9], 3, v[8:9]
	;; [unrolled: 1-line block ×3, first 2 shown]
	v_lshlrev_b32_e32 v32, 3, v1
	v_ashrrev_i32_e32 v1, 31, v0
	s_wait_alu 0xfffd
	v_add_co_ci_u32_e64 v5, null, s19, v5, vcc_lo
	s_mov_b32 s7, 0
	s_and_b32 s4, s3, s4
	s_and_b32 s18, s33, s34
	s_lshl_b64 s[2:3], s[16:17], 3
	s_lshl_b64 s[8:9], s[8:9], 3
	s_wait_alu 0xfffe
	s_lshl_b64 s[14:15], s[26:27], 6
	s_branch .LBB67_6
.LBB67_5:                               ;   in Loop: Header=BB67_6 Depth=1
	s_wait_alu 0xfffe
	s_or_b32 exec_lo, exec_lo, s16
	s_add_co_i32 s6, s6, 0x10000
	s_wait_alu 0xfffe
	s_cmp_lt_u32 s6, s23
	s_cbranch_scc0 .LBB67_33
.LBB67_6:                               ; =>This Loop Header: Depth=1
                                        ;     Child Loop BB67_9 Depth 2
	v_mov_b32_e32 v22, 0
	v_dual_mov_b32 v14, 0 :: v_dual_mov_b32 v23, 0
	v_dual_mov_b32 v20, 0 :: v_dual_mov_b32 v15, 0
	;; [unrolled: 1-line block ×3, first 2 shown]
	v_mov_b32_e32 v13, 0
	s_and_not1_b32 vcc_lo, exec_lo, s18
	s_wait_alu 0xfffe
	s_cbranch_vccnz .LBB67_13
; %bb.7:                                ;   in Loop: Header=BB67_6 Depth=1
	v_mad_co_u64_u32 v[16:17], null, s2, s6, v[2:3]
	v_mad_co_u64_u32 v[18:19], null, s8, s6, v[4:5]
	s_mov_b32 s16, 0
	v_mov_b32_e32 v22, 0
	v_dual_mov_b32 v23, 0 :: v_dual_mov_b32 v12, v17
	v_mov_b32_e32 v13, v19
	s_delay_alu instid0(VALU_DEP_1)
	v_mad_co_u64_u32 v[19:20], null, s3, s6, v[12:13]
	v_mad_co_u64_u32 v[24:25], null, s9, s6, v[13:14]
	v_mov_b32_e32 v12, 0
	v_dual_mov_b32 v20, 0 :: v_dual_mov_b32 v13, 0
	v_dual_mov_b32 v14, 0 :: v_dual_mov_b32 v21, 0
	v_mov_b32_e32 v15, 0
	v_mov_b32_e32 v17, v19
	;; [unrolled: 1-line block ×3, first 2 shown]
	s_branch .LBB67_9
.LBB67_8:                               ;   in Loop: Header=BB67_9 Depth=2
	s_wait_alu 0xfffe
	s_or_b32 exec_lo, exec_lo, s17
	s_wait_loadcnt 0x0
	ds_store_b64 v31, v[26:27]
	s_wait_dscnt 0x0
	s_barrier_signal -1
	s_barrier_wait -1
	global_inv scope:SCOPE_SE
	ds_load_b128 v[24:27], v33
	ds_load_2addr_b64 v[34:37], v32 offset1:16
	ds_load_b128 v[38:41], v33 offset:1024
	ds_load_b128 v[42:45], v33 offset:16
	ds_load_b128 v[46:49], v33 offset:1040
	v_add_co_u32 v16, vcc_lo, v16, 64
	s_wait_alu 0xfffd
	v_add_co_ci_u32_e64 v17, null, 0, v17, vcc_lo
	v_add_co_u32 v18, vcc_lo, v18, s14
	s_wait_alu 0xfffd
	v_add_co_ci_u32_e64 v19, null, s15, v19, vcc_lo
	s_add_co_i32 s16, s16, 8
	s_wait_alu 0xfffe
	s_cmp_lt_i32 s16, s5
	s_wait_dscnt 0x3
	v_fma_f64 v[22:23], v[34:35], v[24:25], v[22:23]
	v_fma_f64 v[20:21], v[36:37], v[24:25], v[20:21]
	s_wait_dscnt 0x2
	v_fma_f64 v[24:25], v[34:35], v[38:39], v[14:15]
	v_fma_f64 v[34:35], v[36:37], v[38:39], v[12:13]
	ds_load_2addr_b64 v[12:15], v32 offset0:32 offset1:48
	s_wait_dscnt 0x0
	v_fma_f64 v[22:23], v[12:13], v[26:27], v[22:23]
	v_fma_f64 v[20:21], v[14:15], v[26:27], v[20:21]
	v_fma_f64 v[24:25], v[12:13], v[40:41], v[24:25]
	v_fma_f64 v[26:27], v[14:15], v[40:41], v[34:35]
	ds_load_2addr_b64 v[12:15], v32 offset0:64 offset1:80
	s_wait_dscnt 0x0
	v_fma_f64 v[22:23], v[12:13], v[42:43], v[22:23]
	v_fma_f64 v[20:21], v[14:15], v[42:43], v[20:21]
	;; [unrolled: 6-line block ×3, first 2 shown]
	v_fma_f64 v[46:47], v[12:13], v[48:49], v[24:25]
	v_fma_f64 v[48:49], v[14:15], v[48:49], v[26:27]
	ds_load_b128 v[12:15], v33 offset:32
	ds_load_2addr_b64 v[20:23], v32 offset0:128 offset1:144
	ds_load_b128 v[24:27], v33 offset:1056
	ds_load_b128 v[34:37], v33 offset:48
	;; [unrolled: 1-line block ×3, first 2 shown]
	s_wait_dscnt 0x3
	v_fma_f64 v[42:43], v[20:21], v[12:13], v[42:43]
	v_fma_f64 v[12:13], v[22:23], v[12:13], v[44:45]
	s_wait_dscnt 0x2
	v_fma_f64 v[44:45], v[20:21], v[24:25], v[46:47]
	v_fma_f64 v[24:25], v[22:23], v[24:25], v[48:49]
	ds_load_2addr_b64 v[20:23], v32 offset0:160 offset1:176
	s_wait_dscnt 0x0
	v_fma_f64 v[42:43], v[20:21], v[14:15], v[42:43]
	v_fma_f64 v[46:47], v[22:23], v[14:15], v[12:13]
	;; [unrolled: 1-line block ×4, first 2 shown]
	ds_load_2addr_b64 v[12:15], v32 offset0:192 offset1:208
	ds_load_2addr_b64 v[24:27], v32 offset0:224 offset1:240
	s_wait_loadcnt_dscnt 0x0
	s_barrier_signal -1
	s_barrier_wait -1
	global_inv scope:SCOPE_SE
	v_fma_f64 v[42:43], v[12:13], v[34:35], v[42:43]
	v_fma_f64 v[34:35], v[14:15], v[34:35], v[46:47]
	;; [unrolled: 1-line block ×4, first 2 shown]
	s_delay_alu instid0(VALU_DEP_4) | instskip(NEXT) | instid1(VALU_DEP_4)
	v_fma_f64 v[22:23], v[24:25], v[36:37], v[42:43]
	v_fma_f64 v[20:21], v[26:27], v[36:37], v[34:35]
	s_delay_alu instid0(VALU_DEP_4) | instskip(NEXT) | instid1(VALU_DEP_4)
	v_fma_f64 v[14:15], v[24:25], v[40:41], v[12:13]
	v_fma_f64 v[12:13], v[26:27], v[40:41], v[38:39]
	s_cbranch_scc0 .LBB67_13
.LBB67_9:                               ;   Parent Loop BB67_6 Depth=1
                                        ; =>  This Inner Loop Header: Depth=2
	s_wait_alu 0xfffe
	v_add_nc_u32_e32 v24, s16, v29
	s_delay_alu instid0(VALU_DEP_1)
	v_cmp_gt_i32_e32 vcc_lo, s5, v24
	v_mov_b32_e32 v24, 0
	v_mov_b32_e32 v25, 0
	s_and_b32 s19, s0, vcc_lo
	s_wait_alu 0xfffe
	s_and_saveexec_b32 s17, s19
	s_cbranch_execz .LBB67_11
; %bb.10:                               ;   in Loop: Header=BB67_9 Depth=2
	global_load_b64 v[24:25], v[16:17], off
.LBB67_11:                              ;   in Loop: Header=BB67_9 Depth=2
	s_wait_alu 0xfffe
	s_or_b32 exec_lo, exec_lo, s17
	v_add_nc_u32_e32 v26, s16, v28
	s_wait_loadcnt 0x0
	ds_store_b64 v30, v[24:25]
	v_cmp_gt_i32_e32 vcc_lo, s5, v26
	v_mov_b32_e32 v26, 0
	v_mov_b32_e32 v27, 0
	s_and_b32 s19, vcc_lo, s1
	s_wait_alu 0xfffe
	s_and_saveexec_b32 s17, s19
	s_cbranch_execz .LBB67_8
; %bb.12:                               ;   in Loop: Header=BB67_9 Depth=2
	global_load_b64 v[26:27], v[18:19], off
	s_branch .LBB67_8
.LBB67_13:                              ;   in Loop: Header=BB67_6 Depth=1
	s_mul_u64 s[16:17], s[24:25], s[6:7]
	s_wait_alu 0xfffe
	s_lshl_b64 s[16:17], s[16:17], 3
	s_wait_alu 0xfffe
	s_add_nc_u64 s[16:17], s[20:21], s[16:17]
	s_wait_alu 0xfffe
	v_add_co_u32 v18, vcc_lo, s16, v6
	s_wait_alu 0xfffd
	v_add_co_ci_u32_e64 v19, null, s17, v7, vcc_lo
	s_and_saveexec_b32 s19, s29
	s_cbranch_execz .LBB67_17
; %bb.14:                               ;   in Loop: Header=BB67_6 Depth=1
	v_mul_f64_e32 v[16:17], s[12:13], v[22:23]
	s_and_b32 vcc_lo, exec_lo, s28
	s_wait_alu 0xfffe
	s_cbranch_vccz .LBB67_28
; %bb.15:                               ;   in Loop: Header=BB67_6 Depth=1
	v_add_co_u32 v22, vcc_lo, v18, v10
	s_wait_alu 0xfffd
	v_add_co_ci_u32_e64 v23, null, v19, v11, vcc_lo
	global_load_b64 v[24:25], v[22:23], off
	s_wait_loadcnt 0x0
	v_fma_f64 v[24:25], s[10:11], v[24:25], v[16:17]
	global_store_b64 v[22:23], v[24:25], off
	s_cbranch_execnz .LBB67_17
.LBB67_16:                              ;   in Loop: Header=BB67_6 Depth=1
	v_add_co_u32 v22, vcc_lo, v18, v10
	s_wait_alu 0xfffd
	v_add_co_ci_u32_e64 v23, null, v19, v11, vcc_lo
	global_store_b64 v[22:23], v[16:17], off
.LBB67_17:                              ;   in Loop: Header=BB67_6 Depth=1
	s_wait_alu 0xfffe
	s_or_b32 exec_lo, exec_lo, s19
	s_and_saveexec_b32 s19, s30
	s_cbranch_execz .LBB67_21
; %bb.18:                               ;   in Loop: Header=BB67_6 Depth=1
	v_mul_f64_e32 v[16:17], s[12:13], v[20:21]
	s_and_not1_b32 vcc_lo, exec_lo, s28
	s_wait_alu 0xfffe
	s_cbranch_vccnz .LBB67_29
; %bb.19:                               ;   in Loop: Header=BB67_6 Depth=1
	v_lshlrev_b64_e32 v[20:21], 3, v[0:1]
	s_delay_alu instid0(VALU_DEP_1) | instskip(SKIP_1) | instid1(VALU_DEP_2)
	v_add_co_u32 v20, vcc_lo, v18, v20
	s_wait_alu 0xfffd
	v_add_co_ci_u32_e64 v21, null, v19, v21, vcc_lo
	global_load_b64 v[22:23], v[20:21], off
	s_wait_loadcnt 0x0
	v_fma_f64 v[22:23], s[10:11], v[22:23], v[16:17]
	global_store_b64 v[20:21], v[22:23], off
	s_cbranch_execnz .LBB67_21
.LBB67_20:                              ;   in Loop: Header=BB67_6 Depth=1
	v_lshlrev_b64_e32 v[20:21], 3, v[0:1]
	s_delay_alu instid0(VALU_DEP_1) | instskip(SKIP_1) | instid1(VALU_DEP_2)
	v_add_co_u32 v18, vcc_lo, v18, v20
	s_wait_alu 0xfffd
	v_add_co_ci_u32_e64 v19, null, v19, v21, vcc_lo
	global_store_b64 v[18:19], v[16:17], off
.LBB67_21:                              ;   in Loop: Header=BB67_6 Depth=1
	s_wait_alu 0xfffe
	s_or_b32 exec_lo, exec_lo, s19
	v_add_co_u32 v16, vcc_lo, s16, v8
	s_wait_alu 0xfffd
	v_add_co_ci_u32_e64 v17, null, s17, v9, vcc_lo
	s_and_saveexec_b32 s16, s22
	s_cbranch_execz .LBB67_25
; %bb.22:                               ;   in Loop: Header=BB67_6 Depth=1
	v_mul_f64_e32 v[14:15], s[12:13], v[14:15]
	s_and_not1_b32 vcc_lo, exec_lo, s28
	s_wait_alu 0xfffe
	s_cbranch_vccnz .LBB67_30
; %bb.23:                               ;   in Loop: Header=BB67_6 Depth=1
	v_add_co_u32 v18, vcc_lo, v16, v10
	s_wait_alu 0xfffd
	v_add_co_ci_u32_e64 v19, null, v17, v11, vcc_lo
	global_load_b64 v[20:21], v[18:19], off
	s_wait_loadcnt 0x0
	v_fma_f64 v[20:21], s[10:11], v[20:21], v[14:15]
	global_store_b64 v[18:19], v[20:21], off
	s_cbranch_execnz .LBB67_25
.LBB67_24:                              ;   in Loop: Header=BB67_6 Depth=1
	v_add_co_u32 v18, vcc_lo, v16, v10
	s_wait_alu 0xfffd
	v_add_co_ci_u32_e64 v19, null, v17, v11, vcc_lo
	global_store_b64 v[18:19], v[14:15], off
.LBB67_25:                              ;   in Loop: Header=BB67_6 Depth=1
	s_wait_alu 0xfffe
	s_or_b32 exec_lo, exec_lo, s16
	s_and_saveexec_b32 s16, s4
	s_cbranch_execz .LBB67_5
; %bb.26:                               ;   in Loop: Header=BB67_6 Depth=1
	v_mul_f64_e32 v[12:13], s[12:13], v[12:13]
	v_lshlrev_b64_e32 v[14:15], 3, v[0:1]
	s_and_not1_b32 vcc_lo, exec_lo, s28
	s_wait_alu 0xfffe
	s_cbranch_vccnz .LBB67_31
; %bb.27:                               ;   in Loop: Header=BB67_6 Depth=1
	s_delay_alu instid0(VALU_DEP_1)
	v_add_co_u32 v18, vcc_lo, v16, v14
	s_wait_alu 0xfffd
	v_add_co_ci_u32_e64 v19, null, v17, v15, vcc_lo
	global_load_b64 v[20:21], v[18:19], off
	s_wait_loadcnt 0x0
	v_fma_f64 v[20:21], s[10:11], v[20:21], v[12:13]
	global_store_b64 v[18:19], v[20:21], off
	s_cbranch_execnz .LBB67_5
	s_branch .LBB67_32
.LBB67_28:                              ;   in Loop: Header=BB67_6 Depth=1
	s_branch .LBB67_16
.LBB67_29:                              ;   in Loop: Header=BB67_6 Depth=1
	s_branch .LBB67_20
.LBB67_30:                              ;   in Loop: Header=BB67_6 Depth=1
	s_branch .LBB67_24
.LBB67_31:                              ;   in Loop: Header=BB67_6 Depth=1
.LBB67_32:                              ;   in Loop: Header=BB67_6 Depth=1
	s_delay_alu instid0(VALU_DEP_1)
	v_add_co_u32 v14, vcc_lo, v16, v14
	s_wait_alu 0xfffd
	v_add_co_ci_u32_e64 v15, null, v17, v15, vcc_lo
	global_store_b64 v[14:15], v[12:13], off
	s_branch .LBB67_5
.LBB67_33:
	s_endpgm
	.section	.rodata,"a",@progbits
	.p2align	6, 0x0
	.amdhsa_kernel _ZL29rocblas_internal_gemmt_kernelIiLi16ELi32ELi8ELc84ELc84ELc76ELb0ELb0EddPKdPdEviT_T9_T10_S3_lS5_S3_lS4_T11_S3_li
		.amdhsa_group_segment_fixed_size 4096
		.amdhsa_private_segment_fixed_size 0
		.amdhsa_kernarg_size 100
		.amdhsa_user_sgpr_count 2
		.amdhsa_user_sgpr_dispatch_ptr 0
		.amdhsa_user_sgpr_queue_ptr 0
		.amdhsa_user_sgpr_kernarg_segment_ptr 1
		.amdhsa_user_sgpr_dispatch_id 0
		.amdhsa_user_sgpr_private_segment_size 0
		.amdhsa_wavefront_size32 1
		.amdhsa_uses_dynamic_stack 0
		.amdhsa_enable_private_segment 0
		.amdhsa_system_sgpr_workgroup_id_x 1
		.amdhsa_system_sgpr_workgroup_id_y 1
		.amdhsa_system_sgpr_workgroup_id_z 1
		.amdhsa_system_sgpr_workgroup_info 0
		.amdhsa_system_vgpr_workitem_id 1
		.amdhsa_next_free_vgpr 50
		.amdhsa_next_free_sgpr 35
		.amdhsa_reserve_vcc 1
		.amdhsa_float_round_mode_32 0
		.amdhsa_float_round_mode_16_64 0
		.amdhsa_float_denorm_mode_32 3
		.amdhsa_float_denorm_mode_16_64 3
		.amdhsa_fp16_overflow 0
		.amdhsa_workgroup_processor_mode 1
		.amdhsa_memory_ordered 1
		.amdhsa_forward_progress 1
		.amdhsa_inst_pref_size 16
		.amdhsa_round_robin_scheduling 0
		.amdhsa_exception_fp_ieee_invalid_op 0
		.amdhsa_exception_fp_denorm_src 0
		.amdhsa_exception_fp_ieee_div_zero 0
		.amdhsa_exception_fp_ieee_overflow 0
		.amdhsa_exception_fp_ieee_underflow 0
		.amdhsa_exception_fp_ieee_inexact 0
		.amdhsa_exception_int_div_zero 0
	.end_amdhsa_kernel
	.section	.text._ZL29rocblas_internal_gemmt_kernelIiLi16ELi32ELi8ELc84ELc84ELc76ELb0ELb0EddPKdPdEviT_T9_T10_S3_lS5_S3_lS4_T11_S3_li,"axG",@progbits,_ZL29rocblas_internal_gemmt_kernelIiLi16ELi32ELi8ELc84ELc84ELc76ELb0ELb0EddPKdPdEviT_T9_T10_S3_lS5_S3_lS4_T11_S3_li,comdat
.Lfunc_end67:
	.size	_ZL29rocblas_internal_gemmt_kernelIiLi16ELi32ELi8ELc84ELc84ELc76ELb0ELb0EddPKdPdEviT_T9_T10_S3_lS5_S3_lS4_T11_S3_li, .Lfunc_end67-_ZL29rocblas_internal_gemmt_kernelIiLi16ELi32ELi8ELc84ELc84ELc76ELb0ELb0EddPKdPdEviT_T9_T10_S3_lS5_S3_lS4_T11_S3_li
                                        ; -- End function
	.set _ZL29rocblas_internal_gemmt_kernelIiLi16ELi32ELi8ELc84ELc84ELc76ELb0ELb0EddPKdPdEviT_T9_T10_S3_lS5_S3_lS4_T11_S3_li.num_vgpr, 50
	.set _ZL29rocblas_internal_gemmt_kernelIiLi16ELi32ELi8ELc84ELc84ELc76ELb0ELb0EddPKdPdEviT_T9_T10_S3_lS5_S3_lS4_T11_S3_li.num_agpr, 0
	.set _ZL29rocblas_internal_gemmt_kernelIiLi16ELi32ELi8ELc84ELc84ELc76ELb0ELb0EddPKdPdEviT_T9_T10_S3_lS5_S3_lS4_T11_S3_li.numbered_sgpr, 35
	.set _ZL29rocblas_internal_gemmt_kernelIiLi16ELi32ELi8ELc84ELc84ELc76ELb0ELb0EddPKdPdEviT_T9_T10_S3_lS5_S3_lS4_T11_S3_li.num_named_barrier, 0
	.set _ZL29rocblas_internal_gemmt_kernelIiLi16ELi32ELi8ELc84ELc84ELc76ELb0ELb0EddPKdPdEviT_T9_T10_S3_lS5_S3_lS4_T11_S3_li.private_seg_size, 0
	.set _ZL29rocblas_internal_gemmt_kernelIiLi16ELi32ELi8ELc84ELc84ELc76ELb0ELb0EddPKdPdEviT_T9_T10_S3_lS5_S3_lS4_T11_S3_li.uses_vcc, 1
	.set _ZL29rocblas_internal_gemmt_kernelIiLi16ELi32ELi8ELc84ELc84ELc76ELb0ELb0EddPKdPdEviT_T9_T10_S3_lS5_S3_lS4_T11_S3_li.uses_flat_scratch, 0
	.set _ZL29rocblas_internal_gemmt_kernelIiLi16ELi32ELi8ELc84ELc84ELc76ELb0ELb0EddPKdPdEviT_T9_T10_S3_lS5_S3_lS4_T11_S3_li.has_dyn_sized_stack, 0
	.set _ZL29rocblas_internal_gemmt_kernelIiLi16ELi32ELi8ELc84ELc84ELc76ELb0ELb0EddPKdPdEviT_T9_T10_S3_lS5_S3_lS4_T11_S3_li.has_recursion, 0
	.set _ZL29rocblas_internal_gemmt_kernelIiLi16ELi32ELi8ELc84ELc84ELc76ELb0ELb0EddPKdPdEviT_T9_T10_S3_lS5_S3_lS4_T11_S3_li.has_indirect_call, 0
	.section	.AMDGPU.csdata,"",@progbits
; Kernel info:
; codeLenInByte = 1996
; TotalNumSgprs: 37
; NumVgprs: 50
; ScratchSize: 0
; MemoryBound: 0
; FloatMode: 240
; IeeeMode: 1
; LDSByteSize: 4096 bytes/workgroup (compile time only)
; SGPRBlocks: 0
; VGPRBlocks: 6
; NumSGPRsForWavesPerEU: 37
; NumVGPRsForWavesPerEU: 50
; Occupancy: 16
; WaveLimiterHint : 0
; COMPUTE_PGM_RSRC2:SCRATCH_EN: 0
; COMPUTE_PGM_RSRC2:USER_SGPR: 2
; COMPUTE_PGM_RSRC2:TRAP_HANDLER: 0
; COMPUTE_PGM_RSRC2:TGID_X_EN: 1
; COMPUTE_PGM_RSRC2:TGID_Y_EN: 1
; COMPUTE_PGM_RSRC2:TGID_Z_EN: 1
; COMPUTE_PGM_RSRC2:TIDIG_COMP_CNT: 1
	.section	.text._ZL29rocblas_internal_gemmt_kernelIiLi16ELi32ELi8ELc84ELc67ELc76ELb0ELb0EddPKdPdEviT_T9_T10_S3_lS5_S3_lS4_T11_S3_li,"axG",@progbits,_ZL29rocblas_internal_gemmt_kernelIiLi16ELi32ELi8ELc84ELc67ELc76ELb0ELb0EddPKdPdEviT_T9_T10_S3_lS5_S3_lS4_T11_S3_li,comdat
	.globl	_ZL29rocblas_internal_gemmt_kernelIiLi16ELi32ELi8ELc84ELc67ELc76ELb0ELb0EddPKdPdEviT_T9_T10_S3_lS5_S3_lS4_T11_S3_li ; -- Begin function _ZL29rocblas_internal_gemmt_kernelIiLi16ELi32ELi8ELc84ELc67ELc76ELb0ELb0EddPKdPdEviT_T9_T10_S3_lS5_S3_lS4_T11_S3_li
	.p2align	8
	.type	_ZL29rocblas_internal_gemmt_kernelIiLi16ELi32ELi8ELc84ELc67ELc76ELb0ELb0EddPKdPdEviT_T9_T10_S3_lS5_S3_lS4_T11_S3_li,@function
_ZL29rocblas_internal_gemmt_kernelIiLi16ELi32ELi8ELc84ELc67ELc76ELb0ELb0EddPKdPdEviT_T9_T10_S3_lS5_S3_lS4_T11_S3_li: ; @_ZL29rocblas_internal_gemmt_kernelIiLi16ELi32ELi8ELc84ELc67ELc76ELb0ELb0EddPKdPdEviT_T9_T10_S3_lS5_S3_lS4_T11_S3_li
; %bb.0:
	s_clause 0x2
	s_load_b128 s[8:11], s[0:1], 0x38
	s_load_b64 s[4:5], s[0:1], 0x0
	s_load_b128 s[12:15], s[0:1], 0x8
	s_wait_kmcnt 0x0
	v_cmp_neq_f64_e64 s2, s[10:11], 1.0
	s_and_b32 vcc_lo, exec_lo, s2
	s_cbranch_vccnz .LBB68_2
; %bb.1:
	v_cmp_neq_f64_e64 s2, s[12:13], 0
	s_cmp_lg_u32 s5, 0
	s_cselect_b32 s3, -1, 0
	s_delay_alu instid0(SALU_CYCLE_1)
	s_and_b32 s2, s3, s2
.LBB68_2:
	s_delay_alu instid0(SALU_CYCLE_1)
	s_and_not1_b32 vcc_lo, exec_lo, s2
	s_cbranch_vccnz .LBB68_33
; %bb.3:
	s_load_b32 s23, s[0:1], 0x60
	s_lshr_b32 s6, ttmp7, 16
	s_wait_kmcnt 0x0
	s_cmp_ge_u32 s6, s23
	s_cbranch_scc1 .LBB68_33
; %bb.4:
	v_and_b32_e32 v1, 0x3ff, v0
	v_bfe_u32 v2, v0, 10, 10
	v_and_b32_e32 v28, 7, v0
	s_clause 0x4
	s_load_b32 s31, s[0:1], 0x18
	s_load_b128 s[16:19], s[0:1], 0x20
	s_load_b96 s[20:22], s[0:1], 0x48
	s_load_b64 s[24:25], s[0:1], 0x58
	s_load_b32 s26, s[0:1], 0x30
	v_lshl_add_u32 v0, v2, 4, v1
	v_lshlrev_b32_e32 v4, 3, v28
	s_lshl_b32 s0, ttmp7, 5
	s_lshl_b32 s1, ttmp9, 5
	v_cmp_neq_f64_e64 s33, s[12:13], 0
	v_and_b32_e32 v3, 31, v0
	v_lshrrev_b32_e32 v29, 5, v0
	v_lshrrev_b32_e32 v0, 3, v0
	s_and_b32 s2, s0, 0x1fffe0
	v_add_nc_u32_e32 v10, s1, v1
	v_or_b32_e32 v5, s1, v3
	v_lshlrev_b32_e32 v3, 3, v3
	v_add_nc_u32_e32 v12, s2, v0
	v_lshl_or_b32 v0, v0, 6, v4
	v_cmp_neq_f64_e64 s28, s[10:11], 0
	v_lshl_add_u32 v33, v2, 6, 0x800
	v_lshl_or_b32 v30, v29, 8, v3
	v_add_nc_u32_e32 v3, s2, v2
	v_add_nc_u32_e32 v31, 0x800, v0
	;; [unrolled: 1-line block ×3, first 2 shown]
	v_cmp_gt_i32_e64 s0, s4, v5
	v_cmp_gt_i32_e64 s2, s4, v10
	v_cmp_le_i32_e32 vcc_lo, v3, v10
	s_wait_kmcnt 0x0
	v_mad_co_i64_i32 v[6:7], null, v3, s22, 0
	v_cmp_le_i32_e64 s3, v3, v0
	v_add_nc_u32_e32 v8, 16, v3
	v_mad_co_i64_i32 v[2:3], null, s31, v5, 0
	v_mad_co_i64_i32 v[4:5], null, s26, v28, 0
	s_ashr_i32 s27, s26, 31
	s_cmp_gt_i32 s5, 0
	v_cmp_gt_i32_e64 s1, s4, v12
	s_cselect_b32 s34, -1, 0
	v_lshlrev_b64_e32 v[2:3], 3, v[2:3]
	v_cmp_gt_i32_e64 s4, s4, v0
	s_and_b32 s29, vcc_lo, s2
	v_cmp_le_i32_e32 vcc_lo, v8, v10
	v_lshlrev_b32_e32 v13, 3, v29
	v_lshlrev_b64_e32 v[4:5], 3, v[4:5]
	v_lshlrev_b32_e32 v12, 3, v12
	s_and_b32 s30, s3, s4
	v_cmp_le_i32_e64 s3, v8, v0
	v_mad_co_i64_i32 v[8:9], null, v8, s22, 0
	s_and_b32 s22, vcc_lo, s2
	v_add_co_u32 v2, vcc_lo, v2, v13
	s_delay_alu instid0(VALU_DEP_1)
	v_add_co_ci_u32_e64 v3, null, 0, v3, vcc_lo
	v_add_co_u32 v4, vcc_lo, v4, v12
	v_ashrrev_i32_e32 v11, 31, v10
	s_wait_alu 0xfffd
	v_add_co_ci_u32_e64 v5, null, 0, v5, vcc_lo
	v_add_co_u32 v2, vcc_lo, s14, v2
	s_wait_alu 0xfffd
	v_add_co_ci_u32_e64 v3, null, s15, v3, vcc_lo
	v_add_co_u32 v4, vcc_lo, s18, v4
	v_lshlrev_b64_e32 v[6:7], 3, v[6:7]
	v_lshlrev_b64_e32 v[8:9], 3, v[8:9]
	;; [unrolled: 1-line block ×3, first 2 shown]
	v_lshlrev_b32_e32 v32, 3, v1
	v_ashrrev_i32_e32 v1, 31, v0
	s_wait_alu 0xfffd
	v_add_co_ci_u32_e64 v5, null, s19, v5, vcc_lo
	s_mov_b32 s7, 0
	s_and_b32 s4, s3, s4
	s_and_b32 s18, s33, s34
	s_lshl_b64 s[2:3], s[16:17], 3
	s_lshl_b64 s[8:9], s[8:9], 3
	s_wait_alu 0xfffe
	s_lshl_b64 s[14:15], s[26:27], 6
	s_branch .LBB68_6
.LBB68_5:                               ;   in Loop: Header=BB68_6 Depth=1
	s_wait_alu 0xfffe
	s_or_b32 exec_lo, exec_lo, s16
	s_add_co_i32 s6, s6, 0x10000
	s_wait_alu 0xfffe
	s_cmp_lt_u32 s6, s23
	s_cbranch_scc0 .LBB68_33
.LBB68_6:                               ; =>This Loop Header: Depth=1
                                        ;     Child Loop BB68_9 Depth 2
	v_mov_b32_e32 v22, 0
	v_dual_mov_b32 v14, 0 :: v_dual_mov_b32 v23, 0
	v_dual_mov_b32 v20, 0 :: v_dual_mov_b32 v15, 0
	;; [unrolled: 1-line block ×3, first 2 shown]
	v_mov_b32_e32 v13, 0
	s_and_not1_b32 vcc_lo, exec_lo, s18
	s_wait_alu 0xfffe
	s_cbranch_vccnz .LBB68_13
; %bb.7:                                ;   in Loop: Header=BB68_6 Depth=1
	v_mad_co_u64_u32 v[16:17], null, s2, s6, v[2:3]
	v_mad_co_u64_u32 v[18:19], null, s8, s6, v[4:5]
	s_mov_b32 s16, 0
	v_mov_b32_e32 v22, 0
	v_dual_mov_b32 v23, 0 :: v_dual_mov_b32 v12, v17
	v_mov_b32_e32 v13, v19
	s_delay_alu instid0(VALU_DEP_1)
	v_mad_co_u64_u32 v[19:20], null, s3, s6, v[12:13]
	v_mad_co_u64_u32 v[24:25], null, s9, s6, v[13:14]
	v_mov_b32_e32 v12, 0
	v_dual_mov_b32 v20, 0 :: v_dual_mov_b32 v13, 0
	v_dual_mov_b32 v14, 0 :: v_dual_mov_b32 v21, 0
	v_mov_b32_e32 v15, 0
	v_mov_b32_e32 v17, v19
	;; [unrolled: 1-line block ×3, first 2 shown]
	s_branch .LBB68_9
.LBB68_8:                               ;   in Loop: Header=BB68_9 Depth=2
	s_wait_alu 0xfffe
	s_or_b32 exec_lo, exec_lo, s17
	s_wait_loadcnt 0x0
	ds_store_b64 v31, v[26:27]
	s_wait_dscnt 0x0
	s_barrier_signal -1
	s_barrier_wait -1
	global_inv scope:SCOPE_SE
	ds_load_b128 v[24:27], v33
	ds_load_2addr_b64 v[34:37], v32 offset1:16
	ds_load_b128 v[38:41], v33 offset:1024
	ds_load_b128 v[42:45], v33 offset:16
	;; [unrolled: 1-line block ×3, first 2 shown]
	v_add_co_u32 v16, vcc_lo, v16, 64
	s_wait_alu 0xfffd
	v_add_co_ci_u32_e64 v17, null, 0, v17, vcc_lo
	v_add_co_u32 v18, vcc_lo, v18, s14
	s_wait_alu 0xfffd
	v_add_co_ci_u32_e64 v19, null, s15, v19, vcc_lo
	s_add_co_i32 s16, s16, 8
	s_wait_alu 0xfffe
	s_cmp_lt_i32 s16, s5
	s_wait_dscnt 0x3
	v_fma_f64 v[22:23], v[34:35], v[24:25], v[22:23]
	v_fma_f64 v[20:21], v[36:37], v[24:25], v[20:21]
	s_wait_dscnt 0x2
	v_fma_f64 v[24:25], v[34:35], v[38:39], v[14:15]
	v_fma_f64 v[34:35], v[36:37], v[38:39], v[12:13]
	ds_load_2addr_b64 v[12:15], v32 offset0:32 offset1:48
	s_wait_dscnt 0x0
	v_fma_f64 v[22:23], v[12:13], v[26:27], v[22:23]
	v_fma_f64 v[20:21], v[14:15], v[26:27], v[20:21]
	v_fma_f64 v[24:25], v[12:13], v[40:41], v[24:25]
	v_fma_f64 v[26:27], v[14:15], v[40:41], v[34:35]
	ds_load_2addr_b64 v[12:15], v32 offset0:64 offset1:80
	s_wait_dscnt 0x0
	v_fma_f64 v[22:23], v[12:13], v[42:43], v[22:23]
	v_fma_f64 v[20:21], v[14:15], v[42:43], v[20:21]
	;; [unrolled: 6-line block ×3, first 2 shown]
	v_fma_f64 v[46:47], v[12:13], v[48:49], v[24:25]
	v_fma_f64 v[48:49], v[14:15], v[48:49], v[26:27]
	ds_load_b128 v[12:15], v33 offset:32
	ds_load_2addr_b64 v[20:23], v32 offset0:128 offset1:144
	ds_load_b128 v[24:27], v33 offset:1056
	ds_load_b128 v[34:37], v33 offset:48
	ds_load_b128 v[38:41], v33 offset:1072
	s_wait_dscnt 0x3
	v_fma_f64 v[42:43], v[20:21], v[12:13], v[42:43]
	v_fma_f64 v[12:13], v[22:23], v[12:13], v[44:45]
	s_wait_dscnt 0x2
	v_fma_f64 v[44:45], v[20:21], v[24:25], v[46:47]
	v_fma_f64 v[24:25], v[22:23], v[24:25], v[48:49]
	ds_load_2addr_b64 v[20:23], v32 offset0:160 offset1:176
	s_wait_dscnt 0x0
	v_fma_f64 v[42:43], v[20:21], v[14:15], v[42:43]
	v_fma_f64 v[46:47], v[22:23], v[14:15], v[12:13]
	;; [unrolled: 1-line block ×4, first 2 shown]
	ds_load_2addr_b64 v[12:15], v32 offset0:192 offset1:208
	ds_load_2addr_b64 v[24:27], v32 offset0:224 offset1:240
	s_wait_loadcnt_dscnt 0x0
	s_barrier_signal -1
	s_barrier_wait -1
	global_inv scope:SCOPE_SE
	v_fma_f64 v[42:43], v[12:13], v[34:35], v[42:43]
	v_fma_f64 v[34:35], v[14:15], v[34:35], v[46:47]
	;; [unrolled: 1-line block ×4, first 2 shown]
	s_delay_alu instid0(VALU_DEP_4) | instskip(NEXT) | instid1(VALU_DEP_4)
	v_fma_f64 v[22:23], v[24:25], v[36:37], v[42:43]
	v_fma_f64 v[20:21], v[26:27], v[36:37], v[34:35]
	s_delay_alu instid0(VALU_DEP_4) | instskip(NEXT) | instid1(VALU_DEP_4)
	v_fma_f64 v[14:15], v[24:25], v[40:41], v[12:13]
	v_fma_f64 v[12:13], v[26:27], v[40:41], v[38:39]
	s_cbranch_scc0 .LBB68_13
.LBB68_9:                               ;   Parent Loop BB68_6 Depth=1
                                        ; =>  This Inner Loop Header: Depth=2
	s_wait_alu 0xfffe
	v_add_nc_u32_e32 v24, s16, v29
	s_delay_alu instid0(VALU_DEP_1)
	v_cmp_gt_i32_e32 vcc_lo, s5, v24
	v_mov_b32_e32 v24, 0
	v_mov_b32_e32 v25, 0
	s_and_b32 s19, s0, vcc_lo
	s_wait_alu 0xfffe
	s_and_saveexec_b32 s17, s19
	s_cbranch_execz .LBB68_11
; %bb.10:                               ;   in Loop: Header=BB68_9 Depth=2
	global_load_b64 v[24:25], v[16:17], off
.LBB68_11:                              ;   in Loop: Header=BB68_9 Depth=2
	s_wait_alu 0xfffe
	s_or_b32 exec_lo, exec_lo, s17
	v_add_nc_u32_e32 v26, s16, v28
	s_wait_loadcnt 0x0
	ds_store_b64 v30, v[24:25]
	v_cmp_gt_i32_e32 vcc_lo, s5, v26
	v_mov_b32_e32 v26, 0
	v_mov_b32_e32 v27, 0
	s_and_b32 s19, vcc_lo, s1
	s_wait_alu 0xfffe
	s_and_saveexec_b32 s17, s19
	s_cbranch_execz .LBB68_8
; %bb.12:                               ;   in Loop: Header=BB68_9 Depth=2
	global_load_b64 v[26:27], v[18:19], off
	s_branch .LBB68_8
.LBB68_13:                              ;   in Loop: Header=BB68_6 Depth=1
	s_mul_u64 s[16:17], s[24:25], s[6:7]
	s_wait_alu 0xfffe
	s_lshl_b64 s[16:17], s[16:17], 3
	s_wait_alu 0xfffe
	s_add_nc_u64 s[16:17], s[20:21], s[16:17]
	s_wait_alu 0xfffe
	v_add_co_u32 v18, vcc_lo, s16, v6
	s_wait_alu 0xfffd
	v_add_co_ci_u32_e64 v19, null, s17, v7, vcc_lo
	s_and_saveexec_b32 s19, s29
	s_cbranch_execz .LBB68_17
; %bb.14:                               ;   in Loop: Header=BB68_6 Depth=1
	v_mul_f64_e32 v[16:17], s[12:13], v[22:23]
	s_and_b32 vcc_lo, exec_lo, s28
	s_wait_alu 0xfffe
	s_cbranch_vccz .LBB68_28
; %bb.15:                               ;   in Loop: Header=BB68_6 Depth=1
	v_add_co_u32 v22, vcc_lo, v18, v10
	s_wait_alu 0xfffd
	v_add_co_ci_u32_e64 v23, null, v19, v11, vcc_lo
	global_load_b64 v[24:25], v[22:23], off
	s_wait_loadcnt 0x0
	v_fma_f64 v[24:25], s[10:11], v[24:25], v[16:17]
	global_store_b64 v[22:23], v[24:25], off
	s_cbranch_execnz .LBB68_17
.LBB68_16:                              ;   in Loop: Header=BB68_6 Depth=1
	v_add_co_u32 v22, vcc_lo, v18, v10
	s_wait_alu 0xfffd
	v_add_co_ci_u32_e64 v23, null, v19, v11, vcc_lo
	global_store_b64 v[22:23], v[16:17], off
.LBB68_17:                              ;   in Loop: Header=BB68_6 Depth=1
	s_wait_alu 0xfffe
	s_or_b32 exec_lo, exec_lo, s19
	s_and_saveexec_b32 s19, s30
	s_cbranch_execz .LBB68_21
; %bb.18:                               ;   in Loop: Header=BB68_6 Depth=1
	v_mul_f64_e32 v[16:17], s[12:13], v[20:21]
	s_and_not1_b32 vcc_lo, exec_lo, s28
	s_wait_alu 0xfffe
	s_cbranch_vccnz .LBB68_29
; %bb.19:                               ;   in Loop: Header=BB68_6 Depth=1
	v_lshlrev_b64_e32 v[20:21], 3, v[0:1]
	s_delay_alu instid0(VALU_DEP_1) | instskip(SKIP_1) | instid1(VALU_DEP_2)
	v_add_co_u32 v20, vcc_lo, v18, v20
	s_wait_alu 0xfffd
	v_add_co_ci_u32_e64 v21, null, v19, v21, vcc_lo
	global_load_b64 v[22:23], v[20:21], off
	s_wait_loadcnt 0x0
	v_fma_f64 v[22:23], s[10:11], v[22:23], v[16:17]
	global_store_b64 v[20:21], v[22:23], off
	s_cbranch_execnz .LBB68_21
.LBB68_20:                              ;   in Loop: Header=BB68_6 Depth=1
	v_lshlrev_b64_e32 v[20:21], 3, v[0:1]
	s_delay_alu instid0(VALU_DEP_1) | instskip(SKIP_1) | instid1(VALU_DEP_2)
	v_add_co_u32 v18, vcc_lo, v18, v20
	s_wait_alu 0xfffd
	v_add_co_ci_u32_e64 v19, null, v19, v21, vcc_lo
	global_store_b64 v[18:19], v[16:17], off
.LBB68_21:                              ;   in Loop: Header=BB68_6 Depth=1
	s_wait_alu 0xfffe
	s_or_b32 exec_lo, exec_lo, s19
	v_add_co_u32 v16, vcc_lo, s16, v8
	s_wait_alu 0xfffd
	v_add_co_ci_u32_e64 v17, null, s17, v9, vcc_lo
	s_and_saveexec_b32 s16, s22
	s_cbranch_execz .LBB68_25
; %bb.22:                               ;   in Loop: Header=BB68_6 Depth=1
	v_mul_f64_e32 v[14:15], s[12:13], v[14:15]
	s_and_not1_b32 vcc_lo, exec_lo, s28
	s_wait_alu 0xfffe
	s_cbranch_vccnz .LBB68_30
; %bb.23:                               ;   in Loop: Header=BB68_6 Depth=1
	v_add_co_u32 v18, vcc_lo, v16, v10
	s_wait_alu 0xfffd
	v_add_co_ci_u32_e64 v19, null, v17, v11, vcc_lo
	global_load_b64 v[20:21], v[18:19], off
	s_wait_loadcnt 0x0
	v_fma_f64 v[20:21], s[10:11], v[20:21], v[14:15]
	global_store_b64 v[18:19], v[20:21], off
	s_cbranch_execnz .LBB68_25
.LBB68_24:                              ;   in Loop: Header=BB68_6 Depth=1
	v_add_co_u32 v18, vcc_lo, v16, v10
	s_wait_alu 0xfffd
	v_add_co_ci_u32_e64 v19, null, v17, v11, vcc_lo
	global_store_b64 v[18:19], v[14:15], off
.LBB68_25:                              ;   in Loop: Header=BB68_6 Depth=1
	s_wait_alu 0xfffe
	s_or_b32 exec_lo, exec_lo, s16
	s_and_saveexec_b32 s16, s4
	s_cbranch_execz .LBB68_5
; %bb.26:                               ;   in Loop: Header=BB68_6 Depth=1
	v_mul_f64_e32 v[12:13], s[12:13], v[12:13]
	v_lshlrev_b64_e32 v[14:15], 3, v[0:1]
	s_and_not1_b32 vcc_lo, exec_lo, s28
	s_wait_alu 0xfffe
	s_cbranch_vccnz .LBB68_31
; %bb.27:                               ;   in Loop: Header=BB68_6 Depth=1
	s_delay_alu instid0(VALU_DEP_1)
	v_add_co_u32 v18, vcc_lo, v16, v14
	s_wait_alu 0xfffd
	v_add_co_ci_u32_e64 v19, null, v17, v15, vcc_lo
	global_load_b64 v[20:21], v[18:19], off
	s_wait_loadcnt 0x0
	v_fma_f64 v[20:21], s[10:11], v[20:21], v[12:13]
	global_store_b64 v[18:19], v[20:21], off
	s_cbranch_execnz .LBB68_5
	s_branch .LBB68_32
.LBB68_28:                              ;   in Loop: Header=BB68_6 Depth=1
	s_branch .LBB68_16
.LBB68_29:                              ;   in Loop: Header=BB68_6 Depth=1
	s_branch .LBB68_20
.LBB68_30:                              ;   in Loop: Header=BB68_6 Depth=1
	s_branch .LBB68_24
.LBB68_31:                              ;   in Loop: Header=BB68_6 Depth=1
.LBB68_32:                              ;   in Loop: Header=BB68_6 Depth=1
	s_delay_alu instid0(VALU_DEP_1)
	v_add_co_u32 v14, vcc_lo, v16, v14
	s_wait_alu 0xfffd
	v_add_co_ci_u32_e64 v15, null, v17, v15, vcc_lo
	global_store_b64 v[14:15], v[12:13], off
	s_branch .LBB68_5
.LBB68_33:
	s_endpgm
	.section	.rodata,"a",@progbits
	.p2align	6, 0x0
	.amdhsa_kernel _ZL29rocblas_internal_gemmt_kernelIiLi16ELi32ELi8ELc84ELc67ELc76ELb0ELb0EddPKdPdEviT_T9_T10_S3_lS5_S3_lS4_T11_S3_li
		.amdhsa_group_segment_fixed_size 4096
		.amdhsa_private_segment_fixed_size 0
		.amdhsa_kernarg_size 100
		.amdhsa_user_sgpr_count 2
		.amdhsa_user_sgpr_dispatch_ptr 0
		.amdhsa_user_sgpr_queue_ptr 0
		.amdhsa_user_sgpr_kernarg_segment_ptr 1
		.amdhsa_user_sgpr_dispatch_id 0
		.amdhsa_user_sgpr_private_segment_size 0
		.amdhsa_wavefront_size32 1
		.amdhsa_uses_dynamic_stack 0
		.amdhsa_enable_private_segment 0
		.amdhsa_system_sgpr_workgroup_id_x 1
		.amdhsa_system_sgpr_workgroup_id_y 1
		.amdhsa_system_sgpr_workgroup_id_z 1
		.amdhsa_system_sgpr_workgroup_info 0
		.amdhsa_system_vgpr_workitem_id 1
		.amdhsa_next_free_vgpr 50
		.amdhsa_next_free_sgpr 35
		.amdhsa_reserve_vcc 1
		.amdhsa_float_round_mode_32 0
		.amdhsa_float_round_mode_16_64 0
		.amdhsa_float_denorm_mode_32 3
		.amdhsa_float_denorm_mode_16_64 3
		.amdhsa_fp16_overflow 0
		.amdhsa_workgroup_processor_mode 1
		.amdhsa_memory_ordered 1
		.amdhsa_forward_progress 1
		.amdhsa_inst_pref_size 16
		.amdhsa_round_robin_scheduling 0
		.amdhsa_exception_fp_ieee_invalid_op 0
		.amdhsa_exception_fp_denorm_src 0
		.amdhsa_exception_fp_ieee_div_zero 0
		.amdhsa_exception_fp_ieee_overflow 0
		.amdhsa_exception_fp_ieee_underflow 0
		.amdhsa_exception_fp_ieee_inexact 0
		.amdhsa_exception_int_div_zero 0
	.end_amdhsa_kernel
	.section	.text._ZL29rocblas_internal_gemmt_kernelIiLi16ELi32ELi8ELc84ELc67ELc76ELb0ELb0EddPKdPdEviT_T9_T10_S3_lS5_S3_lS4_T11_S3_li,"axG",@progbits,_ZL29rocblas_internal_gemmt_kernelIiLi16ELi32ELi8ELc84ELc67ELc76ELb0ELb0EddPKdPdEviT_T9_T10_S3_lS5_S3_lS4_T11_S3_li,comdat
.Lfunc_end68:
	.size	_ZL29rocblas_internal_gemmt_kernelIiLi16ELi32ELi8ELc84ELc67ELc76ELb0ELb0EddPKdPdEviT_T9_T10_S3_lS5_S3_lS4_T11_S3_li, .Lfunc_end68-_ZL29rocblas_internal_gemmt_kernelIiLi16ELi32ELi8ELc84ELc67ELc76ELb0ELb0EddPKdPdEviT_T9_T10_S3_lS5_S3_lS4_T11_S3_li
                                        ; -- End function
	.set _ZL29rocblas_internal_gemmt_kernelIiLi16ELi32ELi8ELc84ELc67ELc76ELb0ELb0EddPKdPdEviT_T9_T10_S3_lS5_S3_lS4_T11_S3_li.num_vgpr, 50
	.set _ZL29rocblas_internal_gemmt_kernelIiLi16ELi32ELi8ELc84ELc67ELc76ELb0ELb0EddPKdPdEviT_T9_T10_S3_lS5_S3_lS4_T11_S3_li.num_agpr, 0
	.set _ZL29rocblas_internal_gemmt_kernelIiLi16ELi32ELi8ELc84ELc67ELc76ELb0ELb0EddPKdPdEviT_T9_T10_S3_lS5_S3_lS4_T11_S3_li.numbered_sgpr, 35
	.set _ZL29rocblas_internal_gemmt_kernelIiLi16ELi32ELi8ELc84ELc67ELc76ELb0ELb0EddPKdPdEviT_T9_T10_S3_lS5_S3_lS4_T11_S3_li.num_named_barrier, 0
	.set _ZL29rocblas_internal_gemmt_kernelIiLi16ELi32ELi8ELc84ELc67ELc76ELb0ELb0EddPKdPdEviT_T9_T10_S3_lS5_S3_lS4_T11_S3_li.private_seg_size, 0
	.set _ZL29rocblas_internal_gemmt_kernelIiLi16ELi32ELi8ELc84ELc67ELc76ELb0ELb0EddPKdPdEviT_T9_T10_S3_lS5_S3_lS4_T11_S3_li.uses_vcc, 1
	.set _ZL29rocblas_internal_gemmt_kernelIiLi16ELi32ELi8ELc84ELc67ELc76ELb0ELb0EddPKdPdEviT_T9_T10_S3_lS5_S3_lS4_T11_S3_li.uses_flat_scratch, 0
	.set _ZL29rocblas_internal_gemmt_kernelIiLi16ELi32ELi8ELc84ELc67ELc76ELb0ELb0EddPKdPdEviT_T9_T10_S3_lS5_S3_lS4_T11_S3_li.has_dyn_sized_stack, 0
	.set _ZL29rocblas_internal_gemmt_kernelIiLi16ELi32ELi8ELc84ELc67ELc76ELb0ELb0EddPKdPdEviT_T9_T10_S3_lS5_S3_lS4_T11_S3_li.has_recursion, 0
	.set _ZL29rocblas_internal_gemmt_kernelIiLi16ELi32ELi8ELc84ELc67ELc76ELb0ELb0EddPKdPdEviT_T9_T10_S3_lS5_S3_lS4_T11_S3_li.has_indirect_call, 0
	.section	.AMDGPU.csdata,"",@progbits
; Kernel info:
; codeLenInByte = 1996
; TotalNumSgprs: 37
; NumVgprs: 50
; ScratchSize: 0
; MemoryBound: 0
; FloatMode: 240
; IeeeMode: 1
; LDSByteSize: 4096 bytes/workgroup (compile time only)
; SGPRBlocks: 0
; VGPRBlocks: 6
; NumSGPRsForWavesPerEU: 37
; NumVGPRsForWavesPerEU: 50
; Occupancy: 16
; WaveLimiterHint : 0
; COMPUTE_PGM_RSRC2:SCRATCH_EN: 0
; COMPUTE_PGM_RSRC2:USER_SGPR: 2
; COMPUTE_PGM_RSRC2:TRAP_HANDLER: 0
; COMPUTE_PGM_RSRC2:TGID_X_EN: 1
; COMPUTE_PGM_RSRC2:TGID_Y_EN: 1
; COMPUTE_PGM_RSRC2:TGID_Z_EN: 1
; COMPUTE_PGM_RSRC2:TIDIG_COMP_CNT: 1
	.section	.text._ZL29rocblas_internal_gemmt_kernelIiLi16ELi32ELi8ELc67ELc78ELc76ELb0ELb0EddPKdPdEviT_T9_T10_S3_lS5_S3_lS4_T11_S3_li,"axG",@progbits,_ZL29rocblas_internal_gemmt_kernelIiLi16ELi32ELi8ELc67ELc78ELc76ELb0ELb0EddPKdPdEviT_T9_T10_S3_lS5_S3_lS4_T11_S3_li,comdat
	.globl	_ZL29rocblas_internal_gemmt_kernelIiLi16ELi32ELi8ELc67ELc78ELc76ELb0ELb0EddPKdPdEviT_T9_T10_S3_lS5_S3_lS4_T11_S3_li ; -- Begin function _ZL29rocblas_internal_gemmt_kernelIiLi16ELi32ELi8ELc67ELc78ELc76ELb0ELb0EddPKdPdEviT_T9_T10_S3_lS5_S3_lS4_T11_S3_li
	.p2align	8
	.type	_ZL29rocblas_internal_gemmt_kernelIiLi16ELi32ELi8ELc67ELc78ELc76ELb0ELb0EddPKdPdEviT_T9_T10_S3_lS5_S3_lS4_T11_S3_li,@function
_ZL29rocblas_internal_gemmt_kernelIiLi16ELi32ELi8ELc67ELc78ELc76ELb0ELb0EddPKdPdEviT_T9_T10_S3_lS5_S3_lS4_T11_S3_li: ; @_ZL29rocblas_internal_gemmt_kernelIiLi16ELi32ELi8ELc67ELc78ELc76ELb0ELb0EddPKdPdEviT_T9_T10_S3_lS5_S3_lS4_T11_S3_li
; %bb.0:
	s_clause 0x2
	s_load_b128 s[4:7], s[0:1], 0x38
	s_load_b64 s[20:21], s[0:1], 0x0
	s_load_b128 s[8:11], s[0:1], 0x8
	s_wait_kmcnt 0x0
	v_cmp_neq_f64_e64 s2, s[6:7], 1.0
	s_and_b32 vcc_lo, exec_lo, s2
	s_cbranch_vccnz .LBB69_2
; %bb.1:
	v_cmp_neq_f64_e64 s2, s[8:9], 0
	s_cmp_lg_u32 s21, 0
	s_cselect_b32 s3, -1, 0
	s_delay_alu instid0(SALU_CYCLE_1)
	s_and_b32 s2, s3, s2
.LBB69_2:
	s_delay_alu instid0(SALU_CYCLE_1)
	s_and_not1_b32 vcc_lo, exec_lo, s2
	s_cbranch_vccnz .LBB69_33
; %bb.3:
	s_load_b32 s19, s[0:1], 0x60
	s_lshr_b32 s22, ttmp7, 16
	s_wait_kmcnt 0x0
	s_cmp_ge_u32 s22, s19
	s_cbranch_scc1 .LBB69_33
; %bb.4:
	v_and_b32_e32 v1, 0x3ff, v0
	v_bfe_u32 v2, v0, 10, 10
	v_and_b32_e32 v28, 7, v0
	s_clause 0x4
	s_load_b32 s28, s[0:1], 0x18
	s_load_b128 s[12:15], s[0:1], 0x20
	s_load_b32 s29, s[0:1], 0x30
	s_load_b96 s[16:18], s[0:1], 0x48
	s_load_b64 s[24:25], s[0:1], 0x58
	s_lshl_b32 s0, ttmp7, 5
	v_cmp_neq_f64_e64 s30, s[8:9], 0
	v_lshl_add_u32 v0, v2, 4, v1
	v_lshlrev_b32_e32 v12, 3, v28
	s_lshl_b32 s1, ttmp9, 5
	s_and_b32 s2, s0, 0x1fffe0
	v_cmp_neq_f64_e64 s26, s[6:7], 0
	v_and_b32_e32 v3, 31, v0
	v_lshrrev_b32_e32 v4, 3, v0
	v_lshrrev_b32_e32 v29, 5, v0
	v_add_nc_u32_e32 v10, s1, v1
	s_cmp_gt_i32 s21, 0
	v_or_b32_e32 v5, s1, v3
	v_add_nc_u32_e32 v8, s2, v4
	v_lshlrev_b32_e32 v0, 3, v3
	v_lshl_or_b32 v3, v4, 6, v12
	v_add_nc_u32_e32 v4, s2, v2
	v_cmp_gt_i32_e64 s2, s20, v10
	v_lshl_add_u32 v33, v2, 6, 0x800
	v_lshl_or_b32 v30, v29, 8, v0
	v_add_nc_u32_e32 v0, 16, v10
	v_cmp_le_i32_e32 vcc_lo, v4, v10
	v_add_nc_u32_e32 v31, 0x800, v3
	s_wait_kmcnt 0x0
	v_mad_co_i64_i32 v[2:3], null, s28, v5, 0
	s_cselect_b32 s31, -1, 0
	v_cmp_gt_i32_e64 s0, s20, v5
	v_mad_co_i64_i32 v[6:7], null, v4, s18, 0
	s_and_b32 s27, vcc_lo, s2
	v_cmp_le_i32_e32 vcc_lo, v4, v0
	v_add_nc_u32_e32 v13, 16, v4
	v_mad_co_i64_i32 v[4:5], null, s29, v8, 0
	v_cmp_gt_i32_e64 s3, s20, v0
	v_lshlrev_b64_e32 v[2:3], 3, v[2:3]
	v_cmp_gt_i32_e64 s1, s20, v8
	v_lshlrev_b32_e32 v14, 3, v29
	v_mad_co_i64_i32 v[8:9], null, v13, s18, 0
	s_and_b32 s20, vcc_lo, s3
	v_cmp_le_i32_e32 vcc_lo, v13, v10
	v_lshlrev_b64_e32 v[4:5], 3, v[4:5]
	v_ashrrev_i32_e32 v11, 31, v10
	v_lshlrev_b64_e32 v[6:7], 3, v[6:7]
	v_lshlrev_b32_e32 v32, 3, v1
	s_and_b32 s18, vcc_lo, s2
	v_add_co_u32 v2, s2, v2, v14
	s_wait_alu 0xf1ff
	v_add_co_ci_u32_e64 v3, null, 0, v3, s2
	v_add_co_u32 v4, s2, v4, v12
	s_wait_alu 0xf1ff
	v_add_co_ci_u32_e64 v5, null, 0, v5, s2
	v_add_co_u32 v2, s2, s10, v2
	v_cmp_le_i32_e32 vcc_lo, v13, v0
	s_wait_alu 0xf1ff
	v_add_co_ci_u32_e64 v3, null, s11, v3, s2
	v_add_co_u32 v4, s2, s14, v4
	v_lshlrev_b64_e32 v[8:9], 3, v[8:9]
	v_lshlrev_b64_e32 v[10:11], 3, v[10:11]
	v_ashrrev_i32_e32 v1, 31, v0
	s_wait_alu 0xf1ff
	v_add_co_ci_u32_e64 v5, null, s15, v5, s2
	s_mov_b32 s23, 0
	s_and_b32 s14, s30, s31
	s_and_b32 s15, vcc_lo, s3
	s_lshl_b64 s[2:3], s[12:13], 3
	s_lshl_b64 s[4:5], s[4:5], 3
	s_branch .LBB69_6
.LBB69_5:                               ;   in Loop: Header=BB69_6 Depth=1
	s_wait_alu 0xfffe
	s_or_b32 exec_lo, exec_lo, s10
	s_add_co_i32 s22, s22, 0x10000
	s_wait_alu 0xfffe
	s_cmp_lt_u32 s22, s19
	s_cbranch_scc0 .LBB69_33
.LBB69_6:                               ; =>This Loop Header: Depth=1
                                        ;     Child Loop BB69_9 Depth 2
	v_mov_b32_e32 v22, 0
	v_dual_mov_b32 v14, 0 :: v_dual_mov_b32 v23, 0
	v_dual_mov_b32 v20, 0 :: v_dual_mov_b32 v15, 0
	;; [unrolled: 1-line block ×3, first 2 shown]
	v_mov_b32_e32 v13, 0
	s_wait_alu 0xfffe
	s_and_not1_b32 vcc_lo, exec_lo, s14
	s_wait_alu 0xfffe
	s_cbranch_vccnz .LBB69_13
; %bb.7:                                ;   in Loop: Header=BB69_6 Depth=1
	v_mad_co_u64_u32 v[16:17], null, s2, s22, v[2:3]
	v_mad_co_u64_u32 v[18:19], null, s4, s22, v[4:5]
	s_mov_b32 s10, 0
	v_mov_b32_e32 v22, 0
	v_dual_mov_b32 v23, 0 :: v_dual_mov_b32 v12, v17
	v_mov_b32_e32 v13, v19
	s_delay_alu instid0(VALU_DEP_1)
	v_mad_co_u64_u32 v[19:20], null, s3, s22, v[12:13]
	v_mad_co_u64_u32 v[24:25], null, s5, s22, v[13:14]
	v_mov_b32_e32 v12, 0
	v_dual_mov_b32 v20, 0 :: v_dual_mov_b32 v13, 0
	v_dual_mov_b32 v14, 0 :: v_dual_mov_b32 v21, 0
	v_mov_b32_e32 v15, 0
	v_mov_b32_e32 v17, v19
	;; [unrolled: 1-line block ×3, first 2 shown]
	s_branch .LBB69_9
.LBB69_8:                               ;   in Loop: Header=BB69_9 Depth=2
	s_wait_alu 0xfffe
	s_or_b32 exec_lo, exec_lo, s11
	s_wait_loadcnt 0x0
	ds_store_b64 v31, v[26:27]
	s_wait_dscnt 0x0
	s_barrier_signal -1
	s_barrier_wait -1
	global_inv scope:SCOPE_SE
	ds_load_b128 v[24:27], v33
	ds_load_2addr_b64 v[34:37], v32 offset1:16
	ds_load_b128 v[38:41], v33 offset:1024
	ds_load_b128 v[42:45], v33 offset:16
	;; [unrolled: 1-line block ×3, first 2 shown]
	v_add_co_u32 v16, vcc_lo, v16, 64
	s_wait_alu 0xfffd
	v_add_co_ci_u32_e64 v17, null, 0, v17, vcc_lo
	v_add_co_u32 v18, vcc_lo, v18, 64
	s_wait_alu 0xfffd
	v_add_co_ci_u32_e64 v19, null, 0, v19, vcc_lo
	s_add_co_i32 s10, s10, 8
	s_wait_alu 0xfffe
	s_cmp_lt_i32 s10, s21
	s_wait_dscnt 0x3
	v_fma_f64 v[22:23], v[34:35], v[24:25], v[22:23]
	v_fma_f64 v[20:21], v[36:37], v[24:25], v[20:21]
	s_wait_dscnt 0x2
	v_fma_f64 v[24:25], v[34:35], v[38:39], v[14:15]
	v_fma_f64 v[34:35], v[36:37], v[38:39], v[12:13]
	ds_load_2addr_b64 v[12:15], v32 offset0:32 offset1:48
	s_wait_dscnt 0x0
	v_fma_f64 v[22:23], v[12:13], v[26:27], v[22:23]
	v_fma_f64 v[20:21], v[14:15], v[26:27], v[20:21]
	v_fma_f64 v[24:25], v[12:13], v[40:41], v[24:25]
	v_fma_f64 v[26:27], v[14:15], v[40:41], v[34:35]
	ds_load_2addr_b64 v[12:15], v32 offset0:64 offset1:80
	s_wait_dscnt 0x0
	v_fma_f64 v[22:23], v[12:13], v[42:43], v[22:23]
	v_fma_f64 v[20:21], v[14:15], v[42:43], v[20:21]
	;; [unrolled: 6-line block ×3, first 2 shown]
	v_fma_f64 v[46:47], v[12:13], v[48:49], v[24:25]
	v_fma_f64 v[48:49], v[14:15], v[48:49], v[26:27]
	ds_load_b128 v[12:15], v33 offset:32
	ds_load_2addr_b64 v[20:23], v32 offset0:128 offset1:144
	ds_load_b128 v[24:27], v33 offset:1056
	ds_load_b128 v[34:37], v33 offset:48
	;; [unrolled: 1-line block ×3, first 2 shown]
	s_wait_dscnt 0x3
	v_fma_f64 v[42:43], v[20:21], v[12:13], v[42:43]
	v_fma_f64 v[12:13], v[22:23], v[12:13], v[44:45]
	s_wait_dscnt 0x2
	v_fma_f64 v[44:45], v[20:21], v[24:25], v[46:47]
	v_fma_f64 v[24:25], v[22:23], v[24:25], v[48:49]
	ds_load_2addr_b64 v[20:23], v32 offset0:160 offset1:176
	s_wait_dscnt 0x0
	v_fma_f64 v[42:43], v[20:21], v[14:15], v[42:43]
	v_fma_f64 v[46:47], v[22:23], v[14:15], v[12:13]
	;; [unrolled: 1-line block ×4, first 2 shown]
	ds_load_2addr_b64 v[12:15], v32 offset0:192 offset1:208
	ds_load_2addr_b64 v[24:27], v32 offset0:224 offset1:240
	s_wait_loadcnt_dscnt 0x0
	s_barrier_signal -1
	s_barrier_wait -1
	global_inv scope:SCOPE_SE
	v_fma_f64 v[42:43], v[12:13], v[34:35], v[42:43]
	v_fma_f64 v[34:35], v[14:15], v[34:35], v[46:47]
	;; [unrolled: 1-line block ×4, first 2 shown]
	s_delay_alu instid0(VALU_DEP_4) | instskip(NEXT) | instid1(VALU_DEP_4)
	v_fma_f64 v[22:23], v[24:25], v[36:37], v[42:43]
	v_fma_f64 v[20:21], v[26:27], v[36:37], v[34:35]
	s_delay_alu instid0(VALU_DEP_4) | instskip(NEXT) | instid1(VALU_DEP_4)
	v_fma_f64 v[14:15], v[24:25], v[40:41], v[12:13]
	v_fma_f64 v[12:13], v[26:27], v[40:41], v[38:39]
	s_cbranch_scc0 .LBB69_13
.LBB69_9:                               ;   Parent Loop BB69_6 Depth=1
                                        ; =>  This Inner Loop Header: Depth=2
	s_wait_alu 0xfffe
	v_add_nc_u32_e32 v24, s10, v29
	s_delay_alu instid0(VALU_DEP_1) | instskip(SKIP_3) | instid1(SALU_CYCLE_1)
	v_cmp_gt_i32_e32 vcc_lo, s21, v24
	v_mov_b32_e32 v24, 0
	v_mov_b32_e32 v25, 0
	s_and_b32 s12, s0, vcc_lo
	s_and_saveexec_b32 s11, s12
	s_cbranch_execz .LBB69_11
; %bb.10:                               ;   in Loop: Header=BB69_9 Depth=2
	global_load_b64 v[24:25], v[16:17], off
.LBB69_11:                              ;   in Loop: Header=BB69_9 Depth=2
	s_wait_alu 0xfffe
	s_or_b32 exec_lo, exec_lo, s11
	v_add_nc_u32_e32 v26, s10, v28
	s_wait_loadcnt 0x0
	ds_store_b64 v30, v[24:25]
	v_cmp_gt_i32_e32 vcc_lo, s21, v26
	v_mov_b32_e32 v26, 0
	v_mov_b32_e32 v27, 0
	s_and_b32 s12, vcc_lo, s1
	s_delay_alu instid0(SALU_CYCLE_1)
	s_and_saveexec_b32 s11, s12
	s_cbranch_execz .LBB69_8
; %bb.12:                               ;   in Loop: Header=BB69_9 Depth=2
	global_load_b64 v[26:27], v[18:19], off
	s_branch .LBB69_8
.LBB69_13:                              ;   in Loop: Header=BB69_6 Depth=1
	s_mul_u64 s[10:11], s[24:25], s[22:23]
	s_wait_alu 0xfffe
	s_lshl_b64 s[10:11], s[10:11], 3
	s_wait_alu 0xfffe
	s_add_nc_u64 s[10:11], s[16:17], s[10:11]
	s_wait_alu 0xfffe
	v_add_co_u32 v18, vcc_lo, s10, v6
	s_wait_alu 0xfffd
	v_add_co_ci_u32_e64 v19, null, s11, v7, vcc_lo
	s_and_saveexec_b32 s12, s27
	s_cbranch_execz .LBB69_17
; %bb.14:                               ;   in Loop: Header=BB69_6 Depth=1
	v_mul_f64_e32 v[16:17], s[8:9], v[22:23]
	s_and_b32 vcc_lo, exec_lo, s26
	s_wait_alu 0xfffe
	s_cbranch_vccz .LBB69_28
; %bb.15:                               ;   in Loop: Header=BB69_6 Depth=1
	v_add_co_u32 v22, vcc_lo, v18, v10
	s_wait_alu 0xfffd
	v_add_co_ci_u32_e64 v23, null, v19, v11, vcc_lo
	global_load_b64 v[24:25], v[22:23], off
	s_wait_loadcnt 0x0
	v_fma_f64 v[24:25], s[6:7], v[24:25], v[16:17]
	global_store_b64 v[22:23], v[24:25], off
	s_cbranch_execnz .LBB69_17
.LBB69_16:                              ;   in Loop: Header=BB69_6 Depth=1
	v_add_co_u32 v22, vcc_lo, v18, v10
	s_wait_alu 0xfffd
	v_add_co_ci_u32_e64 v23, null, v19, v11, vcc_lo
	global_store_b64 v[22:23], v[16:17], off
.LBB69_17:                              ;   in Loop: Header=BB69_6 Depth=1
	s_or_b32 exec_lo, exec_lo, s12
	s_and_saveexec_b32 s12, s20
	s_cbranch_execz .LBB69_21
; %bb.18:                               ;   in Loop: Header=BB69_6 Depth=1
	v_mul_f64_e32 v[16:17], s[8:9], v[20:21]
	s_and_not1_b32 vcc_lo, exec_lo, s26
	s_wait_alu 0xfffe
	s_cbranch_vccnz .LBB69_29
; %bb.19:                               ;   in Loop: Header=BB69_6 Depth=1
	v_lshlrev_b64_e32 v[20:21], 3, v[0:1]
	s_delay_alu instid0(VALU_DEP_1) | instskip(SKIP_1) | instid1(VALU_DEP_2)
	v_add_co_u32 v20, vcc_lo, v18, v20
	s_wait_alu 0xfffd
	v_add_co_ci_u32_e64 v21, null, v19, v21, vcc_lo
	global_load_b64 v[22:23], v[20:21], off
	s_wait_loadcnt 0x0
	v_fma_f64 v[22:23], s[6:7], v[22:23], v[16:17]
	global_store_b64 v[20:21], v[22:23], off
	s_cbranch_execnz .LBB69_21
.LBB69_20:                              ;   in Loop: Header=BB69_6 Depth=1
	v_lshlrev_b64_e32 v[20:21], 3, v[0:1]
	s_delay_alu instid0(VALU_DEP_1) | instskip(SKIP_1) | instid1(VALU_DEP_2)
	v_add_co_u32 v18, vcc_lo, v18, v20
	s_wait_alu 0xfffd
	v_add_co_ci_u32_e64 v19, null, v19, v21, vcc_lo
	global_store_b64 v[18:19], v[16:17], off
.LBB69_21:                              ;   in Loop: Header=BB69_6 Depth=1
	s_or_b32 exec_lo, exec_lo, s12
	v_add_co_u32 v16, vcc_lo, s10, v8
	s_wait_alu 0xfffd
	v_add_co_ci_u32_e64 v17, null, s11, v9, vcc_lo
	s_and_saveexec_b32 s10, s18
	s_cbranch_execz .LBB69_25
; %bb.22:                               ;   in Loop: Header=BB69_6 Depth=1
	v_mul_f64_e32 v[14:15], s[8:9], v[14:15]
	s_and_not1_b32 vcc_lo, exec_lo, s26
	s_wait_alu 0xfffe
	s_cbranch_vccnz .LBB69_30
; %bb.23:                               ;   in Loop: Header=BB69_6 Depth=1
	v_add_co_u32 v18, vcc_lo, v16, v10
	s_wait_alu 0xfffd
	v_add_co_ci_u32_e64 v19, null, v17, v11, vcc_lo
	global_load_b64 v[20:21], v[18:19], off
	s_wait_loadcnt 0x0
	v_fma_f64 v[20:21], s[6:7], v[20:21], v[14:15]
	global_store_b64 v[18:19], v[20:21], off
	s_cbranch_execnz .LBB69_25
.LBB69_24:                              ;   in Loop: Header=BB69_6 Depth=1
	v_add_co_u32 v18, vcc_lo, v16, v10
	s_wait_alu 0xfffd
	v_add_co_ci_u32_e64 v19, null, v17, v11, vcc_lo
	global_store_b64 v[18:19], v[14:15], off
.LBB69_25:                              ;   in Loop: Header=BB69_6 Depth=1
	s_wait_alu 0xfffe
	s_or_b32 exec_lo, exec_lo, s10
	s_and_saveexec_b32 s10, s15
	s_cbranch_execz .LBB69_5
; %bb.26:                               ;   in Loop: Header=BB69_6 Depth=1
	v_mul_f64_e32 v[12:13], s[8:9], v[12:13]
	v_lshlrev_b64_e32 v[14:15], 3, v[0:1]
	s_and_not1_b32 vcc_lo, exec_lo, s26
	s_wait_alu 0xfffe
	s_cbranch_vccnz .LBB69_31
; %bb.27:                               ;   in Loop: Header=BB69_6 Depth=1
	s_delay_alu instid0(VALU_DEP_1)
	v_add_co_u32 v18, vcc_lo, v16, v14
	s_wait_alu 0xfffd
	v_add_co_ci_u32_e64 v19, null, v17, v15, vcc_lo
	global_load_b64 v[20:21], v[18:19], off
	s_wait_loadcnt 0x0
	v_fma_f64 v[20:21], s[6:7], v[20:21], v[12:13]
	global_store_b64 v[18:19], v[20:21], off
	s_cbranch_execnz .LBB69_5
	s_branch .LBB69_32
.LBB69_28:                              ;   in Loop: Header=BB69_6 Depth=1
	s_branch .LBB69_16
.LBB69_29:                              ;   in Loop: Header=BB69_6 Depth=1
	s_branch .LBB69_20
.LBB69_30:                              ;   in Loop: Header=BB69_6 Depth=1
	s_branch .LBB69_24
.LBB69_31:                              ;   in Loop: Header=BB69_6 Depth=1
.LBB69_32:                              ;   in Loop: Header=BB69_6 Depth=1
	s_delay_alu instid0(VALU_DEP_1)
	v_add_co_u32 v14, vcc_lo, v16, v14
	s_wait_alu 0xfffd
	v_add_co_ci_u32_e64 v15, null, v17, v15, vcc_lo
	global_store_b64 v[14:15], v[12:13], off
	s_branch .LBB69_5
.LBB69_33:
	s_endpgm
	.section	.rodata,"a",@progbits
	.p2align	6, 0x0
	.amdhsa_kernel _ZL29rocblas_internal_gemmt_kernelIiLi16ELi32ELi8ELc67ELc78ELc76ELb0ELb0EddPKdPdEviT_T9_T10_S3_lS5_S3_lS4_T11_S3_li
		.amdhsa_group_segment_fixed_size 4096
		.amdhsa_private_segment_fixed_size 0
		.amdhsa_kernarg_size 100
		.amdhsa_user_sgpr_count 2
		.amdhsa_user_sgpr_dispatch_ptr 0
		.amdhsa_user_sgpr_queue_ptr 0
		.amdhsa_user_sgpr_kernarg_segment_ptr 1
		.amdhsa_user_sgpr_dispatch_id 0
		.amdhsa_user_sgpr_private_segment_size 0
		.amdhsa_wavefront_size32 1
		.amdhsa_uses_dynamic_stack 0
		.amdhsa_enable_private_segment 0
		.amdhsa_system_sgpr_workgroup_id_x 1
		.amdhsa_system_sgpr_workgroup_id_y 1
		.amdhsa_system_sgpr_workgroup_id_z 1
		.amdhsa_system_sgpr_workgroup_info 0
		.amdhsa_system_vgpr_workitem_id 1
		.amdhsa_next_free_vgpr 50
		.amdhsa_next_free_sgpr 32
		.amdhsa_reserve_vcc 1
		.amdhsa_float_round_mode_32 0
		.amdhsa_float_round_mode_16_64 0
		.amdhsa_float_denorm_mode_32 3
		.amdhsa_float_denorm_mode_16_64 3
		.amdhsa_fp16_overflow 0
		.amdhsa_workgroup_processor_mode 1
		.amdhsa_memory_ordered 1
		.amdhsa_forward_progress 1
		.amdhsa_inst_pref_size 16
		.amdhsa_round_robin_scheduling 0
		.amdhsa_exception_fp_ieee_invalid_op 0
		.amdhsa_exception_fp_denorm_src 0
		.amdhsa_exception_fp_ieee_div_zero 0
		.amdhsa_exception_fp_ieee_overflow 0
		.amdhsa_exception_fp_ieee_underflow 0
		.amdhsa_exception_fp_ieee_inexact 0
		.amdhsa_exception_int_div_zero 0
	.end_amdhsa_kernel
	.section	.text._ZL29rocblas_internal_gemmt_kernelIiLi16ELi32ELi8ELc67ELc78ELc76ELb0ELb0EddPKdPdEviT_T9_T10_S3_lS5_S3_lS4_T11_S3_li,"axG",@progbits,_ZL29rocblas_internal_gemmt_kernelIiLi16ELi32ELi8ELc67ELc78ELc76ELb0ELb0EddPKdPdEviT_T9_T10_S3_lS5_S3_lS4_T11_S3_li,comdat
.Lfunc_end69:
	.size	_ZL29rocblas_internal_gemmt_kernelIiLi16ELi32ELi8ELc67ELc78ELc76ELb0ELb0EddPKdPdEviT_T9_T10_S3_lS5_S3_lS4_T11_S3_li, .Lfunc_end69-_ZL29rocblas_internal_gemmt_kernelIiLi16ELi32ELi8ELc67ELc78ELc76ELb0ELb0EddPKdPdEviT_T9_T10_S3_lS5_S3_lS4_T11_S3_li
                                        ; -- End function
	.set _ZL29rocblas_internal_gemmt_kernelIiLi16ELi32ELi8ELc67ELc78ELc76ELb0ELb0EddPKdPdEviT_T9_T10_S3_lS5_S3_lS4_T11_S3_li.num_vgpr, 50
	.set _ZL29rocblas_internal_gemmt_kernelIiLi16ELi32ELi8ELc67ELc78ELc76ELb0ELb0EddPKdPdEviT_T9_T10_S3_lS5_S3_lS4_T11_S3_li.num_agpr, 0
	.set _ZL29rocblas_internal_gemmt_kernelIiLi16ELi32ELi8ELc67ELc78ELc76ELb0ELb0EddPKdPdEviT_T9_T10_S3_lS5_S3_lS4_T11_S3_li.numbered_sgpr, 32
	.set _ZL29rocblas_internal_gemmt_kernelIiLi16ELi32ELi8ELc67ELc78ELc76ELb0ELb0EddPKdPdEviT_T9_T10_S3_lS5_S3_lS4_T11_S3_li.num_named_barrier, 0
	.set _ZL29rocblas_internal_gemmt_kernelIiLi16ELi32ELi8ELc67ELc78ELc76ELb0ELb0EddPKdPdEviT_T9_T10_S3_lS5_S3_lS4_T11_S3_li.private_seg_size, 0
	.set _ZL29rocblas_internal_gemmt_kernelIiLi16ELi32ELi8ELc67ELc78ELc76ELb0ELb0EddPKdPdEviT_T9_T10_S3_lS5_S3_lS4_T11_S3_li.uses_vcc, 1
	.set _ZL29rocblas_internal_gemmt_kernelIiLi16ELi32ELi8ELc67ELc78ELc76ELb0ELb0EddPKdPdEviT_T9_T10_S3_lS5_S3_lS4_T11_S3_li.uses_flat_scratch, 0
	.set _ZL29rocblas_internal_gemmt_kernelIiLi16ELi32ELi8ELc67ELc78ELc76ELb0ELb0EddPKdPdEviT_T9_T10_S3_lS5_S3_lS4_T11_S3_li.has_dyn_sized_stack, 0
	.set _ZL29rocblas_internal_gemmt_kernelIiLi16ELi32ELi8ELc67ELc78ELc76ELb0ELb0EddPKdPdEviT_T9_T10_S3_lS5_S3_lS4_T11_S3_li.has_recursion, 0
	.set _ZL29rocblas_internal_gemmt_kernelIiLi16ELi32ELi8ELc67ELc78ELc76ELb0ELb0EddPKdPdEviT_T9_T10_S3_lS5_S3_lS4_T11_S3_li.has_indirect_call, 0
	.section	.AMDGPU.csdata,"",@progbits
; Kernel info:
; codeLenInByte = 1964
; TotalNumSgprs: 34
; NumVgprs: 50
; ScratchSize: 0
; MemoryBound: 0
; FloatMode: 240
; IeeeMode: 1
; LDSByteSize: 4096 bytes/workgroup (compile time only)
; SGPRBlocks: 0
; VGPRBlocks: 6
; NumSGPRsForWavesPerEU: 34
; NumVGPRsForWavesPerEU: 50
; Occupancy: 16
; WaveLimiterHint : 0
; COMPUTE_PGM_RSRC2:SCRATCH_EN: 0
; COMPUTE_PGM_RSRC2:USER_SGPR: 2
; COMPUTE_PGM_RSRC2:TRAP_HANDLER: 0
; COMPUTE_PGM_RSRC2:TGID_X_EN: 1
; COMPUTE_PGM_RSRC2:TGID_Y_EN: 1
; COMPUTE_PGM_RSRC2:TGID_Z_EN: 1
; COMPUTE_PGM_RSRC2:TIDIG_COMP_CNT: 1
	.section	.text._ZL29rocblas_internal_gemmt_kernelIiLi16ELi32ELi8ELc67ELc84ELc76ELb0ELb0EddPKdPdEviT_T9_T10_S3_lS5_S3_lS4_T11_S3_li,"axG",@progbits,_ZL29rocblas_internal_gemmt_kernelIiLi16ELi32ELi8ELc67ELc84ELc76ELb0ELb0EddPKdPdEviT_T9_T10_S3_lS5_S3_lS4_T11_S3_li,comdat
	.globl	_ZL29rocblas_internal_gemmt_kernelIiLi16ELi32ELi8ELc67ELc84ELc76ELb0ELb0EddPKdPdEviT_T9_T10_S3_lS5_S3_lS4_T11_S3_li ; -- Begin function _ZL29rocblas_internal_gemmt_kernelIiLi16ELi32ELi8ELc67ELc84ELc76ELb0ELb0EddPKdPdEviT_T9_T10_S3_lS5_S3_lS4_T11_S3_li
	.p2align	8
	.type	_ZL29rocblas_internal_gemmt_kernelIiLi16ELi32ELi8ELc67ELc84ELc76ELb0ELb0EddPKdPdEviT_T9_T10_S3_lS5_S3_lS4_T11_S3_li,@function
_ZL29rocblas_internal_gemmt_kernelIiLi16ELi32ELi8ELc67ELc84ELc76ELb0ELb0EddPKdPdEviT_T9_T10_S3_lS5_S3_lS4_T11_S3_li: ; @_ZL29rocblas_internal_gemmt_kernelIiLi16ELi32ELi8ELc67ELc84ELc76ELb0ELb0EddPKdPdEviT_T9_T10_S3_lS5_S3_lS4_T11_S3_li
; %bb.0:
	s_clause 0x2
	s_load_b128 s[8:11], s[0:1], 0x38
	s_load_b64 s[4:5], s[0:1], 0x0
	s_load_b128 s[12:15], s[0:1], 0x8
	s_wait_kmcnt 0x0
	v_cmp_neq_f64_e64 s2, s[10:11], 1.0
	s_and_b32 vcc_lo, exec_lo, s2
	s_cbranch_vccnz .LBB70_2
; %bb.1:
	v_cmp_neq_f64_e64 s2, s[12:13], 0
	s_cmp_lg_u32 s5, 0
	s_cselect_b32 s3, -1, 0
	s_delay_alu instid0(SALU_CYCLE_1)
	s_and_b32 s2, s3, s2
.LBB70_2:
	s_delay_alu instid0(SALU_CYCLE_1)
	s_and_not1_b32 vcc_lo, exec_lo, s2
	s_cbranch_vccnz .LBB70_33
; %bb.3:
	s_load_b32 s23, s[0:1], 0x60
	s_lshr_b32 s6, ttmp7, 16
	s_wait_kmcnt 0x0
	s_cmp_ge_u32 s6, s23
	s_cbranch_scc1 .LBB70_33
; %bb.4:
	v_and_b32_e32 v1, 0x3ff, v0
	v_bfe_u32 v2, v0, 10, 10
	v_and_b32_e32 v28, 7, v0
	s_clause 0x4
	s_load_b32 s31, s[0:1], 0x18
	s_load_b128 s[16:19], s[0:1], 0x20
	s_load_b96 s[20:22], s[0:1], 0x48
	s_load_b64 s[24:25], s[0:1], 0x58
	s_load_b32 s26, s[0:1], 0x30
	v_lshl_add_u32 v0, v2, 4, v1
	v_lshlrev_b32_e32 v4, 3, v28
	s_lshl_b32 s0, ttmp7, 5
	s_lshl_b32 s1, ttmp9, 5
	v_cmp_neq_f64_e64 s33, s[12:13], 0
	v_and_b32_e32 v3, 31, v0
	v_lshrrev_b32_e32 v29, 5, v0
	v_lshrrev_b32_e32 v0, 3, v0
	s_and_b32 s2, s0, 0x1fffe0
	v_add_nc_u32_e32 v10, s1, v1
	v_or_b32_e32 v5, s1, v3
	v_lshlrev_b32_e32 v3, 3, v3
	v_add_nc_u32_e32 v12, s2, v0
	v_lshl_or_b32 v0, v0, 6, v4
	v_cmp_neq_f64_e64 s28, s[10:11], 0
	v_lshl_add_u32 v33, v2, 6, 0x800
	v_lshl_or_b32 v30, v29, 8, v3
	v_add_nc_u32_e32 v3, s2, v2
	v_add_nc_u32_e32 v31, 0x800, v0
	;; [unrolled: 1-line block ×3, first 2 shown]
	v_cmp_gt_i32_e64 s0, s4, v5
	v_cmp_gt_i32_e64 s2, s4, v10
	v_cmp_le_i32_e32 vcc_lo, v3, v10
	s_wait_kmcnt 0x0
	v_mad_co_i64_i32 v[6:7], null, v3, s22, 0
	v_cmp_le_i32_e64 s3, v3, v0
	v_add_nc_u32_e32 v8, 16, v3
	v_mad_co_i64_i32 v[2:3], null, s31, v5, 0
	v_mad_co_i64_i32 v[4:5], null, s26, v28, 0
	s_ashr_i32 s27, s26, 31
	s_cmp_gt_i32 s5, 0
	v_cmp_gt_i32_e64 s1, s4, v12
	s_cselect_b32 s34, -1, 0
	v_lshlrev_b64_e32 v[2:3], 3, v[2:3]
	v_cmp_gt_i32_e64 s4, s4, v0
	s_and_b32 s29, vcc_lo, s2
	v_cmp_le_i32_e32 vcc_lo, v8, v10
	v_lshlrev_b32_e32 v13, 3, v29
	v_lshlrev_b64_e32 v[4:5], 3, v[4:5]
	v_lshlrev_b32_e32 v12, 3, v12
	s_and_b32 s30, s3, s4
	v_cmp_le_i32_e64 s3, v8, v0
	v_mad_co_i64_i32 v[8:9], null, v8, s22, 0
	s_and_b32 s22, vcc_lo, s2
	v_add_co_u32 v2, vcc_lo, v2, v13
	s_delay_alu instid0(VALU_DEP_1)
	v_add_co_ci_u32_e64 v3, null, 0, v3, vcc_lo
	v_add_co_u32 v4, vcc_lo, v4, v12
	v_ashrrev_i32_e32 v11, 31, v10
	s_wait_alu 0xfffd
	v_add_co_ci_u32_e64 v5, null, 0, v5, vcc_lo
	v_add_co_u32 v2, vcc_lo, s14, v2
	s_wait_alu 0xfffd
	v_add_co_ci_u32_e64 v3, null, s15, v3, vcc_lo
	v_add_co_u32 v4, vcc_lo, s18, v4
	v_lshlrev_b64_e32 v[6:7], 3, v[6:7]
	v_lshlrev_b64_e32 v[8:9], 3, v[8:9]
	;; [unrolled: 1-line block ×3, first 2 shown]
	v_lshlrev_b32_e32 v32, 3, v1
	v_ashrrev_i32_e32 v1, 31, v0
	s_wait_alu 0xfffd
	v_add_co_ci_u32_e64 v5, null, s19, v5, vcc_lo
	s_mov_b32 s7, 0
	s_and_b32 s4, s3, s4
	s_and_b32 s18, s33, s34
	s_lshl_b64 s[2:3], s[16:17], 3
	s_lshl_b64 s[8:9], s[8:9], 3
	s_wait_alu 0xfffe
	s_lshl_b64 s[14:15], s[26:27], 6
	s_branch .LBB70_6
.LBB70_5:                               ;   in Loop: Header=BB70_6 Depth=1
	s_wait_alu 0xfffe
	s_or_b32 exec_lo, exec_lo, s16
	s_add_co_i32 s6, s6, 0x10000
	s_wait_alu 0xfffe
	s_cmp_lt_u32 s6, s23
	s_cbranch_scc0 .LBB70_33
.LBB70_6:                               ; =>This Loop Header: Depth=1
                                        ;     Child Loop BB70_9 Depth 2
	v_mov_b32_e32 v22, 0
	v_dual_mov_b32 v14, 0 :: v_dual_mov_b32 v23, 0
	v_dual_mov_b32 v20, 0 :: v_dual_mov_b32 v15, 0
	;; [unrolled: 1-line block ×3, first 2 shown]
	v_mov_b32_e32 v13, 0
	s_and_not1_b32 vcc_lo, exec_lo, s18
	s_wait_alu 0xfffe
	s_cbranch_vccnz .LBB70_13
; %bb.7:                                ;   in Loop: Header=BB70_6 Depth=1
	v_mad_co_u64_u32 v[16:17], null, s2, s6, v[2:3]
	v_mad_co_u64_u32 v[18:19], null, s8, s6, v[4:5]
	s_mov_b32 s16, 0
	v_mov_b32_e32 v22, 0
	v_dual_mov_b32 v23, 0 :: v_dual_mov_b32 v12, v17
	v_mov_b32_e32 v13, v19
	s_delay_alu instid0(VALU_DEP_1)
	v_mad_co_u64_u32 v[19:20], null, s3, s6, v[12:13]
	v_mad_co_u64_u32 v[24:25], null, s9, s6, v[13:14]
	v_mov_b32_e32 v12, 0
	v_dual_mov_b32 v20, 0 :: v_dual_mov_b32 v13, 0
	v_dual_mov_b32 v14, 0 :: v_dual_mov_b32 v21, 0
	v_mov_b32_e32 v15, 0
	v_mov_b32_e32 v17, v19
	;; [unrolled: 1-line block ×3, first 2 shown]
	s_branch .LBB70_9
.LBB70_8:                               ;   in Loop: Header=BB70_9 Depth=2
	s_wait_alu 0xfffe
	s_or_b32 exec_lo, exec_lo, s17
	s_wait_loadcnt 0x0
	ds_store_b64 v31, v[26:27]
	s_wait_dscnt 0x0
	s_barrier_signal -1
	s_barrier_wait -1
	global_inv scope:SCOPE_SE
	ds_load_b128 v[24:27], v33
	ds_load_2addr_b64 v[34:37], v32 offset1:16
	ds_load_b128 v[38:41], v33 offset:1024
	ds_load_b128 v[42:45], v33 offset:16
	;; [unrolled: 1-line block ×3, first 2 shown]
	v_add_co_u32 v16, vcc_lo, v16, 64
	s_wait_alu 0xfffd
	v_add_co_ci_u32_e64 v17, null, 0, v17, vcc_lo
	v_add_co_u32 v18, vcc_lo, v18, s14
	s_wait_alu 0xfffd
	v_add_co_ci_u32_e64 v19, null, s15, v19, vcc_lo
	s_add_co_i32 s16, s16, 8
	s_wait_alu 0xfffe
	s_cmp_lt_i32 s16, s5
	s_wait_dscnt 0x3
	v_fma_f64 v[22:23], v[34:35], v[24:25], v[22:23]
	v_fma_f64 v[20:21], v[36:37], v[24:25], v[20:21]
	s_wait_dscnt 0x2
	v_fma_f64 v[24:25], v[34:35], v[38:39], v[14:15]
	v_fma_f64 v[34:35], v[36:37], v[38:39], v[12:13]
	ds_load_2addr_b64 v[12:15], v32 offset0:32 offset1:48
	s_wait_dscnt 0x0
	v_fma_f64 v[22:23], v[12:13], v[26:27], v[22:23]
	v_fma_f64 v[20:21], v[14:15], v[26:27], v[20:21]
	v_fma_f64 v[24:25], v[12:13], v[40:41], v[24:25]
	v_fma_f64 v[26:27], v[14:15], v[40:41], v[34:35]
	ds_load_2addr_b64 v[12:15], v32 offset0:64 offset1:80
	s_wait_dscnt 0x0
	v_fma_f64 v[22:23], v[12:13], v[42:43], v[22:23]
	v_fma_f64 v[20:21], v[14:15], v[42:43], v[20:21]
	;; [unrolled: 6-line block ×3, first 2 shown]
	v_fma_f64 v[46:47], v[12:13], v[48:49], v[24:25]
	v_fma_f64 v[48:49], v[14:15], v[48:49], v[26:27]
	ds_load_b128 v[12:15], v33 offset:32
	ds_load_2addr_b64 v[20:23], v32 offset0:128 offset1:144
	ds_load_b128 v[24:27], v33 offset:1056
	ds_load_b128 v[34:37], v33 offset:48
	ds_load_b128 v[38:41], v33 offset:1072
	s_wait_dscnt 0x3
	v_fma_f64 v[42:43], v[20:21], v[12:13], v[42:43]
	v_fma_f64 v[12:13], v[22:23], v[12:13], v[44:45]
	s_wait_dscnt 0x2
	v_fma_f64 v[44:45], v[20:21], v[24:25], v[46:47]
	v_fma_f64 v[24:25], v[22:23], v[24:25], v[48:49]
	ds_load_2addr_b64 v[20:23], v32 offset0:160 offset1:176
	s_wait_dscnt 0x0
	v_fma_f64 v[42:43], v[20:21], v[14:15], v[42:43]
	v_fma_f64 v[46:47], v[22:23], v[14:15], v[12:13]
	;; [unrolled: 1-line block ×4, first 2 shown]
	ds_load_2addr_b64 v[12:15], v32 offset0:192 offset1:208
	ds_load_2addr_b64 v[24:27], v32 offset0:224 offset1:240
	s_wait_loadcnt_dscnt 0x0
	s_barrier_signal -1
	s_barrier_wait -1
	global_inv scope:SCOPE_SE
	v_fma_f64 v[42:43], v[12:13], v[34:35], v[42:43]
	v_fma_f64 v[34:35], v[14:15], v[34:35], v[46:47]
	;; [unrolled: 1-line block ×4, first 2 shown]
	s_delay_alu instid0(VALU_DEP_4) | instskip(NEXT) | instid1(VALU_DEP_4)
	v_fma_f64 v[22:23], v[24:25], v[36:37], v[42:43]
	v_fma_f64 v[20:21], v[26:27], v[36:37], v[34:35]
	s_delay_alu instid0(VALU_DEP_4) | instskip(NEXT) | instid1(VALU_DEP_4)
	v_fma_f64 v[14:15], v[24:25], v[40:41], v[12:13]
	v_fma_f64 v[12:13], v[26:27], v[40:41], v[38:39]
	s_cbranch_scc0 .LBB70_13
.LBB70_9:                               ;   Parent Loop BB70_6 Depth=1
                                        ; =>  This Inner Loop Header: Depth=2
	s_wait_alu 0xfffe
	v_add_nc_u32_e32 v24, s16, v29
	s_delay_alu instid0(VALU_DEP_1)
	v_cmp_gt_i32_e32 vcc_lo, s5, v24
	v_mov_b32_e32 v24, 0
	v_mov_b32_e32 v25, 0
	s_and_b32 s19, s0, vcc_lo
	s_wait_alu 0xfffe
	s_and_saveexec_b32 s17, s19
	s_cbranch_execz .LBB70_11
; %bb.10:                               ;   in Loop: Header=BB70_9 Depth=2
	global_load_b64 v[24:25], v[16:17], off
.LBB70_11:                              ;   in Loop: Header=BB70_9 Depth=2
	s_wait_alu 0xfffe
	s_or_b32 exec_lo, exec_lo, s17
	v_add_nc_u32_e32 v26, s16, v28
	s_wait_loadcnt 0x0
	ds_store_b64 v30, v[24:25]
	v_cmp_gt_i32_e32 vcc_lo, s5, v26
	v_mov_b32_e32 v26, 0
	v_mov_b32_e32 v27, 0
	s_and_b32 s19, vcc_lo, s1
	s_wait_alu 0xfffe
	s_and_saveexec_b32 s17, s19
	s_cbranch_execz .LBB70_8
; %bb.12:                               ;   in Loop: Header=BB70_9 Depth=2
	global_load_b64 v[26:27], v[18:19], off
	s_branch .LBB70_8
.LBB70_13:                              ;   in Loop: Header=BB70_6 Depth=1
	s_mul_u64 s[16:17], s[24:25], s[6:7]
	s_wait_alu 0xfffe
	s_lshl_b64 s[16:17], s[16:17], 3
	s_wait_alu 0xfffe
	s_add_nc_u64 s[16:17], s[20:21], s[16:17]
	s_wait_alu 0xfffe
	v_add_co_u32 v18, vcc_lo, s16, v6
	s_wait_alu 0xfffd
	v_add_co_ci_u32_e64 v19, null, s17, v7, vcc_lo
	s_and_saveexec_b32 s19, s29
	s_cbranch_execz .LBB70_17
; %bb.14:                               ;   in Loop: Header=BB70_6 Depth=1
	v_mul_f64_e32 v[16:17], s[12:13], v[22:23]
	s_and_b32 vcc_lo, exec_lo, s28
	s_wait_alu 0xfffe
	s_cbranch_vccz .LBB70_28
; %bb.15:                               ;   in Loop: Header=BB70_6 Depth=1
	v_add_co_u32 v22, vcc_lo, v18, v10
	s_wait_alu 0xfffd
	v_add_co_ci_u32_e64 v23, null, v19, v11, vcc_lo
	global_load_b64 v[24:25], v[22:23], off
	s_wait_loadcnt 0x0
	v_fma_f64 v[24:25], s[10:11], v[24:25], v[16:17]
	global_store_b64 v[22:23], v[24:25], off
	s_cbranch_execnz .LBB70_17
.LBB70_16:                              ;   in Loop: Header=BB70_6 Depth=1
	v_add_co_u32 v22, vcc_lo, v18, v10
	s_wait_alu 0xfffd
	v_add_co_ci_u32_e64 v23, null, v19, v11, vcc_lo
	global_store_b64 v[22:23], v[16:17], off
.LBB70_17:                              ;   in Loop: Header=BB70_6 Depth=1
	s_wait_alu 0xfffe
	s_or_b32 exec_lo, exec_lo, s19
	s_and_saveexec_b32 s19, s30
	s_cbranch_execz .LBB70_21
; %bb.18:                               ;   in Loop: Header=BB70_6 Depth=1
	v_mul_f64_e32 v[16:17], s[12:13], v[20:21]
	s_and_not1_b32 vcc_lo, exec_lo, s28
	s_wait_alu 0xfffe
	s_cbranch_vccnz .LBB70_29
; %bb.19:                               ;   in Loop: Header=BB70_6 Depth=1
	v_lshlrev_b64_e32 v[20:21], 3, v[0:1]
	s_delay_alu instid0(VALU_DEP_1) | instskip(SKIP_1) | instid1(VALU_DEP_2)
	v_add_co_u32 v20, vcc_lo, v18, v20
	s_wait_alu 0xfffd
	v_add_co_ci_u32_e64 v21, null, v19, v21, vcc_lo
	global_load_b64 v[22:23], v[20:21], off
	s_wait_loadcnt 0x0
	v_fma_f64 v[22:23], s[10:11], v[22:23], v[16:17]
	global_store_b64 v[20:21], v[22:23], off
	s_cbranch_execnz .LBB70_21
.LBB70_20:                              ;   in Loop: Header=BB70_6 Depth=1
	v_lshlrev_b64_e32 v[20:21], 3, v[0:1]
	s_delay_alu instid0(VALU_DEP_1) | instskip(SKIP_1) | instid1(VALU_DEP_2)
	v_add_co_u32 v18, vcc_lo, v18, v20
	s_wait_alu 0xfffd
	v_add_co_ci_u32_e64 v19, null, v19, v21, vcc_lo
	global_store_b64 v[18:19], v[16:17], off
.LBB70_21:                              ;   in Loop: Header=BB70_6 Depth=1
	s_wait_alu 0xfffe
	s_or_b32 exec_lo, exec_lo, s19
	v_add_co_u32 v16, vcc_lo, s16, v8
	s_wait_alu 0xfffd
	v_add_co_ci_u32_e64 v17, null, s17, v9, vcc_lo
	s_and_saveexec_b32 s16, s22
	s_cbranch_execz .LBB70_25
; %bb.22:                               ;   in Loop: Header=BB70_6 Depth=1
	v_mul_f64_e32 v[14:15], s[12:13], v[14:15]
	s_and_not1_b32 vcc_lo, exec_lo, s28
	s_wait_alu 0xfffe
	s_cbranch_vccnz .LBB70_30
; %bb.23:                               ;   in Loop: Header=BB70_6 Depth=1
	v_add_co_u32 v18, vcc_lo, v16, v10
	s_wait_alu 0xfffd
	v_add_co_ci_u32_e64 v19, null, v17, v11, vcc_lo
	global_load_b64 v[20:21], v[18:19], off
	s_wait_loadcnt 0x0
	v_fma_f64 v[20:21], s[10:11], v[20:21], v[14:15]
	global_store_b64 v[18:19], v[20:21], off
	s_cbranch_execnz .LBB70_25
.LBB70_24:                              ;   in Loop: Header=BB70_6 Depth=1
	v_add_co_u32 v18, vcc_lo, v16, v10
	s_wait_alu 0xfffd
	v_add_co_ci_u32_e64 v19, null, v17, v11, vcc_lo
	global_store_b64 v[18:19], v[14:15], off
.LBB70_25:                              ;   in Loop: Header=BB70_6 Depth=1
	s_wait_alu 0xfffe
	s_or_b32 exec_lo, exec_lo, s16
	s_and_saveexec_b32 s16, s4
	s_cbranch_execz .LBB70_5
; %bb.26:                               ;   in Loop: Header=BB70_6 Depth=1
	v_mul_f64_e32 v[12:13], s[12:13], v[12:13]
	v_lshlrev_b64_e32 v[14:15], 3, v[0:1]
	s_and_not1_b32 vcc_lo, exec_lo, s28
	s_wait_alu 0xfffe
	s_cbranch_vccnz .LBB70_31
; %bb.27:                               ;   in Loop: Header=BB70_6 Depth=1
	s_delay_alu instid0(VALU_DEP_1)
	v_add_co_u32 v18, vcc_lo, v16, v14
	s_wait_alu 0xfffd
	v_add_co_ci_u32_e64 v19, null, v17, v15, vcc_lo
	global_load_b64 v[20:21], v[18:19], off
	s_wait_loadcnt 0x0
	v_fma_f64 v[20:21], s[10:11], v[20:21], v[12:13]
	global_store_b64 v[18:19], v[20:21], off
	s_cbranch_execnz .LBB70_5
	s_branch .LBB70_32
.LBB70_28:                              ;   in Loop: Header=BB70_6 Depth=1
	s_branch .LBB70_16
.LBB70_29:                              ;   in Loop: Header=BB70_6 Depth=1
	s_branch .LBB70_20
.LBB70_30:                              ;   in Loop: Header=BB70_6 Depth=1
	s_branch .LBB70_24
.LBB70_31:                              ;   in Loop: Header=BB70_6 Depth=1
.LBB70_32:                              ;   in Loop: Header=BB70_6 Depth=1
	s_delay_alu instid0(VALU_DEP_1)
	v_add_co_u32 v14, vcc_lo, v16, v14
	s_wait_alu 0xfffd
	v_add_co_ci_u32_e64 v15, null, v17, v15, vcc_lo
	global_store_b64 v[14:15], v[12:13], off
	s_branch .LBB70_5
.LBB70_33:
	s_endpgm
	.section	.rodata,"a",@progbits
	.p2align	6, 0x0
	.amdhsa_kernel _ZL29rocblas_internal_gemmt_kernelIiLi16ELi32ELi8ELc67ELc84ELc76ELb0ELb0EddPKdPdEviT_T9_T10_S3_lS5_S3_lS4_T11_S3_li
		.amdhsa_group_segment_fixed_size 4096
		.amdhsa_private_segment_fixed_size 0
		.amdhsa_kernarg_size 100
		.amdhsa_user_sgpr_count 2
		.amdhsa_user_sgpr_dispatch_ptr 0
		.amdhsa_user_sgpr_queue_ptr 0
		.amdhsa_user_sgpr_kernarg_segment_ptr 1
		.amdhsa_user_sgpr_dispatch_id 0
		.amdhsa_user_sgpr_private_segment_size 0
		.amdhsa_wavefront_size32 1
		.amdhsa_uses_dynamic_stack 0
		.amdhsa_enable_private_segment 0
		.amdhsa_system_sgpr_workgroup_id_x 1
		.amdhsa_system_sgpr_workgroup_id_y 1
		.amdhsa_system_sgpr_workgroup_id_z 1
		.amdhsa_system_sgpr_workgroup_info 0
		.amdhsa_system_vgpr_workitem_id 1
		.amdhsa_next_free_vgpr 50
		.amdhsa_next_free_sgpr 35
		.amdhsa_reserve_vcc 1
		.amdhsa_float_round_mode_32 0
		.amdhsa_float_round_mode_16_64 0
		.amdhsa_float_denorm_mode_32 3
		.amdhsa_float_denorm_mode_16_64 3
		.amdhsa_fp16_overflow 0
		.amdhsa_workgroup_processor_mode 1
		.amdhsa_memory_ordered 1
		.amdhsa_forward_progress 1
		.amdhsa_inst_pref_size 16
		.amdhsa_round_robin_scheduling 0
		.amdhsa_exception_fp_ieee_invalid_op 0
		.amdhsa_exception_fp_denorm_src 0
		.amdhsa_exception_fp_ieee_div_zero 0
		.amdhsa_exception_fp_ieee_overflow 0
		.amdhsa_exception_fp_ieee_underflow 0
		.amdhsa_exception_fp_ieee_inexact 0
		.amdhsa_exception_int_div_zero 0
	.end_amdhsa_kernel
	.section	.text._ZL29rocblas_internal_gemmt_kernelIiLi16ELi32ELi8ELc67ELc84ELc76ELb0ELb0EddPKdPdEviT_T9_T10_S3_lS5_S3_lS4_T11_S3_li,"axG",@progbits,_ZL29rocblas_internal_gemmt_kernelIiLi16ELi32ELi8ELc67ELc84ELc76ELb0ELb0EddPKdPdEviT_T9_T10_S3_lS5_S3_lS4_T11_S3_li,comdat
.Lfunc_end70:
	.size	_ZL29rocblas_internal_gemmt_kernelIiLi16ELi32ELi8ELc67ELc84ELc76ELb0ELb0EddPKdPdEviT_T9_T10_S3_lS5_S3_lS4_T11_S3_li, .Lfunc_end70-_ZL29rocblas_internal_gemmt_kernelIiLi16ELi32ELi8ELc67ELc84ELc76ELb0ELb0EddPKdPdEviT_T9_T10_S3_lS5_S3_lS4_T11_S3_li
                                        ; -- End function
	.set _ZL29rocblas_internal_gemmt_kernelIiLi16ELi32ELi8ELc67ELc84ELc76ELb0ELb0EddPKdPdEviT_T9_T10_S3_lS5_S3_lS4_T11_S3_li.num_vgpr, 50
	.set _ZL29rocblas_internal_gemmt_kernelIiLi16ELi32ELi8ELc67ELc84ELc76ELb0ELb0EddPKdPdEviT_T9_T10_S3_lS5_S3_lS4_T11_S3_li.num_agpr, 0
	.set _ZL29rocblas_internal_gemmt_kernelIiLi16ELi32ELi8ELc67ELc84ELc76ELb0ELb0EddPKdPdEviT_T9_T10_S3_lS5_S3_lS4_T11_S3_li.numbered_sgpr, 35
	.set _ZL29rocblas_internal_gemmt_kernelIiLi16ELi32ELi8ELc67ELc84ELc76ELb0ELb0EddPKdPdEviT_T9_T10_S3_lS5_S3_lS4_T11_S3_li.num_named_barrier, 0
	.set _ZL29rocblas_internal_gemmt_kernelIiLi16ELi32ELi8ELc67ELc84ELc76ELb0ELb0EddPKdPdEviT_T9_T10_S3_lS5_S3_lS4_T11_S3_li.private_seg_size, 0
	.set _ZL29rocblas_internal_gemmt_kernelIiLi16ELi32ELi8ELc67ELc84ELc76ELb0ELb0EddPKdPdEviT_T9_T10_S3_lS5_S3_lS4_T11_S3_li.uses_vcc, 1
	.set _ZL29rocblas_internal_gemmt_kernelIiLi16ELi32ELi8ELc67ELc84ELc76ELb0ELb0EddPKdPdEviT_T9_T10_S3_lS5_S3_lS4_T11_S3_li.uses_flat_scratch, 0
	.set _ZL29rocblas_internal_gemmt_kernelIiLi16ELi32ELi8ELc67ELc84ELc76ELb0ELb0EddPKdPdEviT_T9_T10_S3_lS5_S3_lS4_T11_S3_li.has_dyn_sized_stack, 0
	.set _ZL29rocblas_internal_gemmt_kernelIiLi16ELi32ELi8ELc67ELc84ELc76ELb0ELb0EddPKdPdEviT_T9_T10_S3_lS5_S3_lS4_T11_S3_li.has_recursion, 0
	.set _ZL29rocblas_internal_gemmt_kernelIiLi16ELi32ELi8ELc67ELc84ELc76ELb0ELb0EddPKdPdEviT_T9_T10_S3_lS5_S3_lS4_T11_S3_li.has_indirect_call, 0
	.section	.AMDGPU.csdata,"",@progbits
; Kernel info:
; codeLenInByte = 1996
; TotalNumSgprs: 37
; NumVgprs: 50
; ScratchSize: 0
; MemoryBound: 0
; FloatMode: 240
; IeeeMode: 1
; LDSByteSize: 4096 bytes/workgroup (compile time only)
; SGPRBlocks: 0
; VGPRBlocks: 6
; NumSGPRsForWavesPerEU: 37
; NumVGPRsForWavesPerEU: 50
; Occupancy: 16
; WaveLimiterHint : 0
; COMPUTE_PGM_RSRC2:SCRATCH_EN: 0
; COMPUTE_PGM_RSRC2:USER_SGPR: 2
; COMPUTE_PGM_RSRC2:TRAP_HANDLER: 0
; COMPUTE_PGM_RSRC2:TGID_X_EN: 1
; COMPUTE_PGM_RSRC2:TGID_Y_EN: 1
; COMPUTE_PGM_RSRC2:TGID_Z_EN: 1
; COMPUTE_PGM_RSRC2:TIDIG_COMP_CNT: 1
	.section	.text._ZL29rocblas_internal_gemmt_kernelIiLi16ELi32ELi8ELc67ELc67ELc76ELb0ELb0EddPKdPdEviT_T9_T10_S3_lS5_S3_lS4_T11_S3_li,"axG",@progbits,_ZL29rocblas_internal_gemmt_kernelIiLi16ELi32ELi8ELc67ELc67ELc76ELb0ELb0EddPKdPdEviT_T9_T10_S3_lS5_S3_lS4_T11_S3_li,comdat
	.globl	_ZL29rocblas_internal_gemmt_kernelIiLi16ELi32ELi8ELc67ELc67ELc76ELb0ELb0EddPKdPdEviT_T9_T10_S3_lS5_S3_lS4_T11_S3_li ; -- Begin function _ZL29rocblas_internal_gemmt_kernelIiLi16ELi32ELi8ELc67ELc67ELc76ELb0ELb0EddPKdPdEviT_T9_T10_S3_lS5_S3_lS4_T11_S3_li
	.p2align	8
	.type	_ZL29rocblas_internal_gemmt_kernelIiLi16ELi32ELi8ELc67ELc67ELc76ELb0ELb0EddPKdPdEviT_T9_T10_S3_lS5_S3_lS4_T11_S3_li,@function
_ZL29rocblas_internal_gemmt_kernelIiLi16ELi32ELi8ELc67ELc67ELc76ELb0ELb0EddPKdPdEviT_T9_T10_S3_lS5_S3_lS4_T11_S3_li: ; @_ZL29rocblas_internal_gemmt_kernelIiLi16ELi32ELi8ELc67ELc67ELc76ELb0ELb0EddPKdPdEviT_T9_T10_S3_lS5_S3_lS4_T11_S3_li
; %bb.0:
	s_clause 0x2
	s_load_b128 s[8:11], s[0:1], 0x38
	s_load_b64 s[4:5], s[0:1], 0x0
	s_load_b128 s[12:15], s[0:1], 0x8
	s_wait_kmcnt 0x0
	v_cmp_neq_f64_e64 s2, s[10:11], 1.0
	s_and_b32 vcc_lo, exec_lo, s2
	s_cbranch_vccnz .LBB71_2
; %bb.1:
	v_cmp_neq_f64_e64 s2, s[12:13], 0
	s_cmp_lg_u32 s5, 0
	s_cselect_b32 s3, -1, 0
	s_delay_alu instid0(SALU_CYCLE_1)
	s_and_b32 s2, s3, s2
.LBB71_2:
	s_delay_alu instid0(SALU_CYCLE_1)
	s_and_not1_b32 vcc_lo, exec_lo, s2
	s_cbranch_vccnz .LBB71_33
; %bb.3:
	s_load_b32 s23, s[0:1], 0x60
	s_lshr_b32 s6, ttmp7, 16
	s_wait_kmcnt 0x0
	s_cmp_ge_u32 s6, s23
	s_cbranch_scc1 .LBB71_33
; %bb.4:
	v_and_b32_e32 v1, 0x3ff, v0
	v_bfe_u32 v2, v0, 10, 10
	v_and_b32_e32 v28, 7, v0
	s_clause 0x4
	s_load_b32 s31, s[0:1], 0x18
	s_load_b128 s[16:19], s[0:1], 0x20
	s_load_b96 s[20:22], s[0:1], 0x48
	s_load_b64 s[24:25], s[0:1], 0x58
	s_load_b32 s26, s[0:1], 0x30
	v_lshl_add_u32 v0, v2, 4, v1
	v_lshlrev_b32_e32 v4, 3, v28
	s_lshl_b32 s0, ttmp7, 5
	s_lshl_b32 s1, ttmp9, 5
	v_cmp_neq_f64_e64 s33, s[12:13], 0
	v_and_b32_e32 v3, 31, v0
	v_lshrrev_b32_e32 v29, 5, v0
	v_lshrrev_b32_e32 v0, 3, v0
	s_and_b32 s2, s0, 0x1fffe0
	v_add_nc_u32_e32 v10, s1, v1
	v_or_b32_e32 v5, s1, v3
	v_lshlrev_b32_e32 v3, 3, v3
	v_add_nc_u32_e32 v12, s2, v0
	v_lshl_or_b32 v0, v0, 6, v4
	v_cmp_neq_f64_e64 s28, s[10:11], 0
	v_lshl_add_u32 v33, v2, 6, 0x800
	v_lshl_or_b32 v30, v29, 8, v3
	v_add_nc_u32_e32 v3, s2, v2
	v_add_nc_u32_e32 v31, 0x800, v0
	;; [unrolled: 1-line block ×3, first 2 shown]
	v_cmp_gt_i32_e64 s0, s4, v5
	v_cmp_gt_i32_e64 s2, s4, v10
	v_cmp_le_i32_e32 vcc_lo, v3, v10
	s_wait_kmcnt 0x0
	v_mad_co_i64_i32 v[6:7], null, v3, s22, 0
	v_cmp_le_i32_e64 s3, v3, v0
	v_add_nc_u32_e32 v8, 16, v3
	v_mad_co_i64_i32 v[2:3], null, s31, v5, 0
	v_mad_co_i64_i32 v[4:5], null, s26, v28, 0
	s_ashr_i32 s27, s26, 31
	s_cmp_gt_i32 s5, 0
	v_cmp_gt_i32_e64 s1, s4, v12
	s_cselect_b32 s34, -1, 0
	v_lshlrev_b64_e32 v[2:3], 3, v[2:3]
	v_cmp_gt_i32_e64 s4, s4, v0
	s_and_b32 s29, vcc_lo, s2
	v_cmp_le_i32_e32 vcc_lo, v8, v10
	v_lshlrev_b32_e32 v13, 3, v29
	v_lshlrev_b64_e32 v[4:5], 3, v[4:5]
	v_lshlrev_b32_e32 v12, 3, v12
	s_and_b32 s30, s3, s4
	v_cmp_le_i32_e64 s3, v8, v0
	v_mad_co_i64_i32 v[8:9], null, v8, s22, 0
	s_and_b32 s22, vcc_lo, s2
	v_add_co_u32 v2, vcc_lo, v2, v13
	s_delay_alu instid0(VALU_DEP_1)
	v_add_co_ci_u32_e64 v3, null, 0, v3, vcc_lo
	v_add_co_u32 v4, vcc_lo, v4, v12
	v_ashrrev_i32_e32 v11, 31, v10
	s_wait_alu 0xfffd
	v_add_co_ci_u32_e64 v5, null, 0, v5, vcc_lo
	v_add_co_u32 v2, vcc_lo, s14, v2
	s_wait_alu 0xfffd
	v_add_co_ci_u32_e64 v3, null, s15, v3, vcc_lo
	v_add_co_u32 v4, vcc_lo, s18, v4
	v_lshlrev_b64_e32 v[6:7], 3, v[6:7]
	v_lshlrev_b64_e32 v[8:9], 3, v[8:9]
	;; [unrolled: 1-line block ×3, first 2 shown]
	v_lshlrev_b32_e32 v32, 3, v1
	v_ashrrev_i32_e32 v1, 31, v0
	s_wait_alu 0xfffd
	v_add_co_ci_u32_e64 v5, null, s19, v5, vcc_lo
	s_mov_b32 s7, 0
	s_and_b32 s4, s3, s4
	s_and_b32 s18, s33, s34
	s_lshl_b64 s[2:3], s[16:17], 3
	s_lshl_b64 s[8:9], s[8:9], 3
	s_wait_alu 0xfffe
	s_lshl_b64 s[14:15], s[26:27], 6
	s_branch .LBB71_6
.LBB71_5:                               ;   in Loop: Header=BB71_6 Depth=1
	s_wait_alu 0xfffe
	s_or_b32 exec_lo, exec_lo, s16
	s_add_co_i32 s6, s6, 0x10000
	s_wait_alu 0xfffe
	s_cmp_lt_u32 s6, s23
	s_cbranch_scc0 .LBB71_33
.LBB71_6:                               ; =>This Loop Header: Depth=1
                                        ;     Child Loop BB71_9 Depth 2
	v_mov_b32_e32 v22, 0
	v_dual_mov_b32 v14, 0 :: v_dual_mov_b32 v23, 0
	v_dual_mov_b32 v20, 0 :: v_dual_mov_b32 v15, 0
	;; [unrolled: 1-line block ×3, first 2 shown]
	v_mov_b32_e32 v13, 0
	s_and_not1_b32 vcc_lo, exec_lo, s18
	s_wait_alu 0xfffe
	s_cbranch_vccnz .LBB71_13
; %bb.7:                                ;   in Loop: Header=BB71_6 Depth=1
	v_mad_co_u64_u32 v[16:17], null, s2, s6, v[2:3]
	v_mad_co_u64_u32 v[18:19], null, s8, s6, v[4:5]
	s_mov_b32 s16, 0
	v_mov_b32_e32 v22, 0
	v_dual_mov_b32 v23, 0 :: v_dual_mov_b32 v12, v17
	v_mov_b32_e32 v13, v19
	s_delay_alu instid0(VALU_DEP_1)
	v_mad_co_u64_u32 v[19:20], null, s3, s6, v[12:13]
	v_mad_co_u64_u32 v[24:25], null, s9, s6, v[13:14]
	v_mov_b32_e32 v12, 0
	v_dual_mov_b32 v20, 0 :: v_dual_mov_b32 v13, 0
	v_dual_mov_b32 v14, 0 :: v_dual_mov_b32 v21, 0
	v_mov_b32_e32 v15, 0
	v_mov_b32_e32 v17, v19
	;; [unrolled: 1-line block ×3, first 2 shown]
	s_branch .LBB71_9
.LBB71_8:                               ;   in Loop: Header=BB71_9 Depth=2
	s_wait_alu 0xfffe
	s_or_b32 exec_lo, exec_lo, s17
	s_wait_loadcnt 0x0
	ds_store_b64 v31, v[26:27]
	s_wait_dscnt 0x0
	s_barrier_signal -1
	s_barrier_wait -1
	global_inv scope:SCOPE_SE
	ds_load_b128 v[24:27], v33
	ds_load_2addr_b64 v[34:37], v32 offset1:16
	ds_load_b128 v[38:41], v33 offset:1024
	ds_load_b128 v[42:45], v33 offset:16
	ds_load_b128 v[46:49], v33 offset:1040
	v_add_co_u32 v16, vcc_lo, v16, 64
	s_wait_alu 0xfffd
	v_add_co_ci_u32_e64 v17, null, 0, v17, vcc_lo
	v_add_co_u32 v18, vcc_lo, v18, s14
	s_wait_alu 0xfffd
	v_add_co_ci_u32_e64 v19, null, s15, v19, vcc_lo
	s_add_co_i32 s16, s16, 8
	s_wait_alu 0xfffe
	s_cmp_lt_i32 s16, s5
	s_wait_dscnt 0x3
	v_fma_f64 v[22:23], v[34:35], v[24:25], v[22:23]
	v_fma_f64 v[20:21], v[36:37], v[24:25], v[20:21]
	s_wait_dscnt 0x2
	v_fma_f64 v[24:25], v[34:35], v[38:39], v[14:15]
	v_fma_f64 v[34:35], v[36:37], v[38:39], v[12:13]
	ds_load_2addr_b64 v[12:15], v32 offset0:32 offset1:48
	s_wait_dscnt 0x0
	v_fma_f64 v[22:23], v[12:13], v[26:27], v[22:23]
	v_fma_f64 v[20:21], v[14:15], v[26:27], v[20:21]
	v_fma_f64 v[24:25], v[12:13], v[40:41], v[24:25]
	v_fma_f64 v[26:27], v[14:15], v[40:41], v[34:35]
	ds_load_2addr_b64 v[12:15], v32 offset0:64 offset1:80
	s_wait_dscnt 0x0
	v_fma_f64 v[22:23], v[12:13], v[42:43], v[22:23]
	v_fma_f64 v[20:21], v[14:15], v[42:43], v[20:21]
	;; [unrolled: 6-line block ×3, first 2 shown]
	v_fma_f64 v[46:47], v[12:13], v[48:49], v[24:25]
	v_fma_f64 v[48:49], v[14:15], v[48:49], v[26:27]
	ds_load_b128 v[12:15], v33 offset:32
	ds_load_2addr_b64 v[20:23], v32 offset0:128 offset1:144
	ds_load_b128 v[24:27], v33 offset:1056
	ds_load_b128 v[34:37], v33 offset:48
	;; [unrolled: 1-line block ×3, first 2 shown]
	s_wait_dscnt 0x3
	v_fma_f64 v[42:43], v[20:21], v[12:13], v[42:43]
	v_fma_f64 v[12:13], v[22:23], v[12:13], v[44:45]
	s_wait_dscnt 0x2
	v_fma_f64 v[44:45], v[20:21], v[24:25], v[46:47]
	v_fma_f64 v[24:25], v[22:23], v[24:25], v[48:49]
	ds_load_2addr_b64 v[20:23], v32 offset0:160 offset1:176
	s_wait_dscnt 0x0
	v_fma_f64 v[42:43], v[20:21], v[14:15], v[42:43]
	v_fma_f64 v[46:47], v[22:23], v[14:15], v[12:13]
	v_fma_f64 v[20:21], v[20:21], v[26:27], v[44:45]
	v_fma_f64 v[22:23], v[22:23], v[26:27], v[24:25]
	ds_load_2addr_b64 v[12:15], v32 offset0:192 offset1:208
	ds_load_2addr_b64 v[24:27], v32 offset0:224 offset1:240
	s_wait_loadcnt_dscnt 0x0
	s_barrier_signal -1
	s_barrier_wait -1
	global_inv scope:SCOPE_SE
	v_fma_f64 v[42:43], v[12:13], v[34:35], v[42:43]
	v_fma_f64 v[34:35], v[14:15], v[34:35], v[46:47]
	;; [unrolled: 1-line block ×4, first 2 shown]
	s_delay_alu instid0(VALU_DEP_4) | instskip(NEXT) | instid1(VALU_DEP_4)
	v_fma_f64 v[22:23], v[24:25], v[36:37], v[42:43]
	v_fma_f64 v[20:21], v[26:27], v[36:37], v[34:35]
	s_delay_alu instid0(VALU_DEP_4) | instskip(NEXT) | instid1(VALU_DEP_4)
	v_fma_f64 v[14:15], v[24:25], v[40:41], v[12:13]
	v_fma_f64 v[12:13], v[26:27], v[40:41], v[38:39]
	s_cbranch_scc0 .LBB71_13
.LBB71_9:                               ;   Parent Loop BB71_6 Depth=1
                                        ; =>  This Inner Loop Header: Depth=2
	s_wait_alu 0xfffe
	v_add_nc_u32_e32 v24, s16, v29
	s_delay_alu instid0(VALU_DEP_1)
	v_cmp_gt_i32_e32 vcc_lo, s5, v24
	v_mov_b32_e32 v24, 0
	v_mov_b32_e32 v25, 0
	s_and_b32 s19, s0, vcc_lo
	s_wait_alu 0xfffe
	s_and_saveexec_b32 s17, s19
	s_cbranch_execz .LBB71_11
; %bb.10:                               ;   in Loop: Header=BB71_9 Depth=2
	global_load_b64 v[24:25], v[16:17], off
.LBB71_11:                              ;   in Loop: Header=BB71_9 Depth=2
	s_wait_alu 0xfffe
	s_or_b32 exec_lo, exec_lo, s17
	v_add_nc_u32_e32 v26, s16, v28
	s_wait_loadcnt 0x0
	ds_store_b64 v30, v[24:25]
	v_cmp_gt_i32_e32 vcc_lo, s5, v26
	v_mov_b32_e32 v26, 0
	v_mov_b32_e32 v27, 0
	s_and_b32 s19, vcc_lo, s1
	s_wait_alu 0xfffe
	s_and_saveexec_b32 s17, s19
	s_cbranch_execz .LBB71_8
; %bb.12:                               ;   in Loop: Header=BB71_9 Depth=2
	global_load_b64 v[26:27], v[18:19], off
	s_branch .LBB71_8
.LBB71_13:                              ;   in Loop: Header=BB71_6 Depth=1
	s_mul_u64 s[16:17], s[24:25], s[6:7]
	s_wait_alu 0xfffe
	s_lshl_b64 s[16:17], s[16:17], 3
	s_wait_alu 0xfffe
	s_add_nc_u64 s[16:17], s[20:21], s[16:17]
	s_wait_alu 0xfffe
	v_add_co_u32 v18, vcc_lo, s16, v6
	s_wait_alu 0xfffd
	v_add_co_ci_u32_e64 v19, null, s17, v7, vcc_lo
	s_and_saveexec_b32 s19, s29
	s_cbranch_execz .LBB71_17
; %bb.14:                               ;   in Loop: Header=BB71_6 Depth=1
	v_mul_f64_e32 v[16:17], s[12:13], v[22:23]
	s_and_b32 vcc_lo, exec_lo, s28
	s_wait_alu 0xfffe
	s_cbranch_vccz .LBB71_28
; %bb.15:                               ;   in Loop: Header=BB71_6 Depth=1
	v_add_co_u32 v22, vcc_lo, v18, v10
	s_wait_alu 0xfffd
	v_add_co_ci_u32_e64 v23, null, v19, v11, vcc_lo
	global_load_b64 v[24:25], v[22:23], off
	s_wait_loadcnt 0x0
	v_fma_f64 v[24:25], s[10:11], v[24:25], v[16:17]
	global_store_b64 v[22:23], v[24:25], off
	s_cbranch_execnz .LBB71_17
.LBB71_16:                              ;   in Loop: Header=BB71_6 Depth=1
	v_add_co_u32 v22, vcc_lo, v18, v10
	s_wait_alu 0xfffd
	v_add_co_ci_u32_e64 v23, null, v19, v11, vcc_lo
	global_store_b64 v[22:23], v[16:17], off
.LBB71_17:                              ;   in Loop: Header=BB71_6 Depth=1
	s_wait_alu 0xfffe
	s_or_b32 exec_lo, exec_lo, s19
	s_and_saveexec_b32 s19, s30
	s_cbranch_execz .LBB71_21
; %bb.18:                               ;   in Loop: Header=BB71_6 Depth=1
	v_mul_f64_e32 v[16:17], s[12:13], v[20:21]
	s_and_not1_b32 vcc_lo, exec_lo, s28
	s_wait_alu 0xfffe
	s_cbranch_vccnz .LBB71_29
; %bb.19:                               ;   in Loop: Header=BB71_6 Depth=1
	v_lshlrev_b64_e32 v[20:21], 3, v[0:1]
	s_delay_alu instid0(VALU_DEP_1) | instskip(SKIP_1) | instid1(VALU_DEP_2)
	v_add_co_u32 v20, vcc_lo, v18, v20
	s_wait_alu 0xfffd
	v_add_co_ci_u32_e64 v21, null, v19, v21, vcc_lo
	global_load_b64 v[22:23], v[20:21], off
	s_wait_loadcnt 0x0
	v_fma_f64 v[22:23], s[10:11], v[22:23], v[16:17]
	global_store_b64 v[20:21], v[22:23], off
	s_cbranch_execnz .LBB71_21
.LBB71_20:                              ;   in Loop: Header=BB71_6 Depth=1
	v_lshlrev_b64_e32 v[20:21], 3, v[0:1]
	s_delay_alu instid0(VALU_DEP_1) | instskip(SKIP_1) | instid1(VALU_DEP_2)
	v_add_co_u32 v18, vcc_lo, v18, v20
	s_wait_alu 0xfffd
	v_add_co_ci_u32_e64 v19, null, v19, v21, vcc_lo
	global_store_b64 v[18:19], v[16:17], off
.LBB71_21:                              ;   in Loop: Header=BB71_6 Depth=1
	s_wait_alu 0xfffe
	s_or_b32 exec_lo, exec_lo, s19
	v_add_co_u32 v16, vcc_lo, s16, v8
	s_wait_alu 0xfffd
	v_add_co_ci_u32_e64 v17, null, s17, v9, vcc_lo
	s_and_saveexec_b32 s16, s22
	s_cbranch_execz .LBB71_25
; %bb.22:                               ;   in Loop: Header=BB71_6 Depth=1
	v_mul_f64_e32 v[14:15], s[12:13], v[14:15]
	s_and_not1_b32 vcc_lo, exec_lo, s28
	s_wait_alu 0xfffe
	s_cbranch_vccnz .LBB71_30
; %bb.23:                               ;   in Loop: Header=BB71_6 Depth=1
	v_add_co_u32 v18, vcc_lo, v16, v10
	s_wait_alu 0xfffd
	v_add_co_ci_u32_e64 v19, null, v17, v11, vcc_lo
	global_load_b64 v[20:21], v[18:19], off
	s_wait_loadcnt 0x0
	v_fma_f64 v[20:21], s[10:11], v[20:21], v[14:15]
	global_store_b64 v[18:19], v[20:21], off
	s_cbranch_execnz .LBB71_25
.LBB71_24:                              ;   in Loop: Header=BB71_6 Depth=1
	v_add_co_u32 v18, vcc_lo, v16, v10
	s_wait_alu 0xfffd
	v_add_co_ci_u32_e64 v19, null, v17, v11, vcc_lo
	global_store_b64 v[18:19], v[14:15], off
.LBB71_25:                              ;   in Loop: Header=BB71_6 Depth=1
	s_wait_alu 0xfffe
	s_or_b32 exec_lo, exec_lo, s16
	s_and_saveexec_b32 s16, s4
	s_cbranch_execz .LBB71_5
; %bb.26:                               ;   in Loop: Header=BB71_6 Depth=1
	v_mul_f64_e32 v[12:13], s[12:13], v[12:13]
	v_lshlrev_b64_e32 v[14:15], 3, v[0:1]
	s_and_not1_b32 vcc_lo, exec_lo, s28
	s_wait_alu 0xfffe
	s_cbranch_vccnz .LBB71_31
; %bb.27:                               ;   in Loop: Header=BB71_6 Depth=1
	s_delay_alu instid0(VALU_DEP_1)
	v_add_co_u32 v18, vcc_lo, v16, v14
	s_wait_alu 0xfffd
	v_add_co_ci_u32_e64 v19, null, v17, v15, vcc_lo
	global_load_b64 v[20:21], v[18:19], off
	s_wait_loadcnt 0x0
	v_fma_f64 v[20:21], s[10:11], v[20:21], v[12:13]
	global_store_b64 v[18:19], v[20:21], off
	s_cbranch_execnz .LBB71_5
	s_branch .LBB71_32
.LBB71_28:                              ;   in Loop: Header=BB71_6 Depth=1
	s_branch .LBB71_16
.LBB71_29:                              ;   in Loop: Header=BB71_6 Depth=1
	s_branch .LBB71_20
.LBB71_30:                              ;   in Loop: Header=BB71_6 Depth=1
	s_branch .LBB71_24
.LBB71_31:                              ;   in Loop: Header=BB71_6 Depth=1
.LBB71_32:                              ;   in Loop: Header=BB71_6 Depth=1
	s_delay_alu instid0(VALU_DEP_1)
	v_add_co_u32 v14, vcc_lo, v16, v14
	s_wait_alu 0xfffd
	v_add_co_ci_u32_e64 v15, null, v17, v15, vcc_lo
	global_store_b64 v[14:15], v[12:13], off
	s_branch .LBB71_5
.LBB71_33:
	s_endpgm
	.section	.rodata,"a",@progbits
	.p2align	6, 0x0
	.amdhsa_kernel _ZL29rocblas_internal_gemmt_kernelIiLi16ELi32ELi8ELc67ELc67ELc76ELb0ELb0EddPKdPdEviT_T9_T10_S3_lS5_S3_lS4_T11_S3_li
		.amdhsa_group_segment_fixed_size 4096
		.amdhsa_private_segment_fixed_size 0
		.amdhsa_kernarg_size 100
		.amdhsa_user_sgpr_count 2
		.amdhsa_user_sgpr_dispatch_ptr 0
		.amdhsa_user_sgpr_queue_ptr 0
		.amdhsa_user_sgpr_kernarg_segment_ptr 1
		.amdhsa_user_sgpr_dispatch_id 0
		.amdhsa_user_sgpr_private_segment_size 0
		.amdhsa_wavefront_size32 1
		.amdhsa_uses_dynamic_stack 0
		.amdhsa_enable_private_segment 0
		.amdhsa_system_sgpr_workgroup_id_x 1
		.amdhsa_system_sgpr_workgroup_id_y 1
		.amdhsa_system_sgpr_workgroup_id_z 1
		.amdhsa_system_sgpr_workgroup_info 0
		.amdhsa_system_vgpr_workitem_id 1
		.amdhsa_next_free_vgpr 50
		.amdhsa_next_free_sgpr 35
		.amdhsa_reserve_vcc 1
		.amdhsa_float_round_mode_32 0
		.amdhsa_float_round_mode_16_64 0
		.amdhsa_float_denorm_mode_32 3
		.amdhsa_float_denorm_mode_16_64 3
		.amdhsa_fp16_overflow 0
		.amdhsa_workgroup_processor_mode 1
		.amdhsa_memory_ordered 1
		.amdhsa_forward_progress 1
		.amdhsa_inst_pref_size 16
		.amdhsa_round_robin_scheduling 0
		.amdhsa_exception_fp_ieee_invalid_op 0
		.amdhsa_exception_fp_denorm_src 0
		.amdhsa_exception_fp_ieee_div_zero 0
		.amdhsa_exception_fp_ieee_overflow 0
		.amdhsa_exception_fp_ieee_underflow 0
		.amdhsa_exception_fp_ieee_inexact 0
		.amdhsa_exception_int_div_zero 0
	.end_amdhsa_kernel
	.section	.text._ZL29rocblas_internal_gemmt_kernelIiLi16ELi32ELi8ELc67ELc67ELc76ELb0ELb0EddPKdPdEviT_T9_T10_S3_lS5_S3_lS4_T11_S3_li,"axG",@progbits,_ZL29rocblas_internal_gemmt_kernelIiLi16ELi32ELi8ELc67ELc67ELc76ELb0ELb0EddPKdPdEviT_T9_T10_S3_lS5_S3_lS4_T11_S3_li,comdat
.Lfunc_end71:
	.size	_ZL29rocblas_internal_gemmt_kernelIiLi16ELi32ELi8ELc67ELc67ELc76ELb0ELb0EddPKdPdEviT_T9_T10_S3_lS5_S3_lS4_T11_S3_li, .Lfunc_end71-_ZL29rocblas_internal_gemmt_kernelIiLi16ELi32ELi8ELc67ELc67ELc76ELb0ELb0EddPKdPdEviT_T9_T10_S3_lS5_S3_lS4_T11_S3_li
                                        ; -- End function
	.set _ZL29rocblas_internal_gemmt_kernelIiLi16ELi32ELi8ELc67ELc67ELc76ELb0ELb0EddPKdPdEviT_T9_T10_S3_lS5_S3_lS4_T11_S3_li.num_vgpr, 50
	.set _ZL29rocblas_internal_gemmt_kernelIiLi16ELi32ELi8ELc67ELc67ELc76ELb0ELb0EddPKdPdEviT_T9_T10_S3_lS5_S3_lS4_T11_S3_li.num_agpr, 0
	.set _ZL29rocblas_internal_gemmt_kernelIiLi16ELi32ELi8ELc67ELc67ELc76ELb0ELb0EddPKdPdEviT_T9_T10_S3_lS5_S3_lS4_T11_S3_li.numbered_sgpr, 35
	.set _ZL29rocblas_internal_gemmt_kernelIiLi16ELi32ELi8ELc67ELc67ELc76ELb0ELb0EddPKdPdEviT_T9_T10_S3_lS5_S3_lS4_T11_S3_li.num_named_barrier, 0
	.set _ZL29rocblas_internal_gemmt_kernelIiLi16ELi32ELi8ELc67ELc67ELc76ELb0ELb0EddPKdPdEviT_T9_T10_S3_lS5_S3_lS4_T11_S3_li.private_seg_size, 0
	.set _ZL29rocblas_internal_gemmt_kernelIiLi16ELi32ELi8ELc67ELc67ELc76ELb0ELb0EddPKdPdEviT_T9_T10_S3_lS5_S3_lS4_T11_S3_li.uses_vcc, 1
	.set _ZL29rocblas_internal_gemmt_kernelIiLi16ELi32ELi8ELc67ELc67ELc76ELb0ELb0EddPKdPdEviT_T9_T10_S3_lS5_S3_lS4_T11_S3_li.uses_flat_scratch, 0
	.set _ZL29rocblas_internal_gemmt_kernelIiLi16ELi32ELi8ELc67ELc67ELc76ELb0ELb0EddPKdPdEviT_T9_T10_S3_lS5_S3_lS4_T11_S3_li.has_dyn_sized_stack, 0
	.set _ZL29rocblas_internal_gemmt_kernelIiLi16ELi32ELi8ELc67ELc67ELc76ELb0ELb0EddPKdPdEviT_T9_T10_S3_lS5_S3_lS4_T11_S3_li.has_recursion, 0
	.set _ZL29rocblas_internal_gemmt_kernelIiLi16ELi32ELi8ELc67ELc67ELc76ELb0ELb0EddPKdPdEviT_T9_T10_S3_lS5_S3_lS4_T11_S3_li.has_indirect_call, 0
	.section	.AMDGPU.csdata,"",@progbits
; Kernel info:
; codeLenInByte = 1996
; TotalNumSgprs: 37
; NumVgprs: 50
; ScratchSize: 0
; MemoryBound: 0
; FloatMode: 240
; IeeeMode: 1
; LDSByteSize: 4096 bytes/workgroup (compile time only)
; SGPRBlocks: 0
; VGPRBlocks: 6
; NumSGPRsForWavesPerEU: 37
; NumVGPRsForWavesPerEU: 50
; Occupancy: 16
; WaveLimiterHint : 0
; COMPUTE_PGM_RSRC2:SCRATCH_EN: 0
; COMPUTE_PGM_RSRC2:USER_SGPR: 2
; COMPUTE_PGM_RSRC2:TRAP_HANDLER: 0
; COMPUTE_PGM_RSRC2:TGID_X_EN: 1
; COMPUTE_PGM_RSRC2:TGID_Y_EN: 1
; COMPUTE_PGM_RSRC2:TGID_Z_EN: 1
; COMPUTE_PGM_RSRC2:TIDIG_COMP_CNT: 1
	.section	.text._ZL29rocblas_internal_gemmt_kernelIiLi16ELi32ELi8ELc78ELc78ELc85ELb0ELb0E19rocblas_complex_numIfEPKS1_S3_PS1_EviT_T9_T10_S5_lS7_S5_lS6_T11_S5_li,"axG",@progbits,_ZL29rocblas_internal_gemmt_kernelIiLi16ELi32ELi8ELc78ELc78ELc85ELb0ELb0E19rocblas_complex_numIfEPKS1_S3_PS1_EviT_T9_T10_S5_lS7_S5_lS6_T11_S5_li,comdat
	.globl	_ZL29rocblas_internal_gemmt_kernelIiLi16ELi32ELi8ELc78ELc78ELc85ELb0ELb0E19rocblas_complex_numIfEPKS1_S3_PS1_EviT_T9_T10_S5_lS7_S5_lS6_T11_S5_li ; -- Begin function _ZL29rocblas_internal_gemmt_kernelIiLi16ELi32ELi8ELc78ELc78ELc85ELb0ELb0E19rocblas_complex_numIfEPKS1_S3_PS1_EviT_T9_T10_S5_lS7_S5_lS6_T11_S5_li
	.p2align	8
	.type	_ZL29rocblas_internal_gemmt_kernelIiLi16ELi32ELi8ELc78ELc78ELc85ELb0ELb0E19rocblas_complex_numIfEPKS1_S3_PS1_EviT_T9_T10_S5_lS7_S5_lS6_T11_S5_li,@function
_ZL29rocblas_internal_gemmt_kernelIiLi16ELi32ELi8ELc78ELc78ELc85ELb0ELb0E19rocblas_complex_numIfEPKS1_S3_PS1_EviT_T9_T10_S5_lS7_S5_lS6_T11_S5_li: ; @_ZL29rocblas_internal_gemmt_kernelIiLi16ELi32ELi8ELc78ELc78ELc85ELb0ELb0E19rocblas_complex_numIfEPKS1_S3_PS1_EviT_T9_T10_S5_lS7_S5_lS6_T11_S5_li
; %bb.0:
	s_load_b128 s[4:7], s[0:1], 0x38
	s_wait_kmcnt 0x0
	s_load_b64 s[6:7], s[6:7], 0x0
	s_clause 0x1
	s_load_b128 s[8:11], s[0:1], 0x8
	s_load_b64 s[20:21], s[0:1], 0x0
	s_wait_kmcnt 0x0
	s_load_b64 s[8:9], s[8:9], 0x0
	s_cmp_eq_f32 s6, 1.0
	s_cselect_b32 s2, -1, 0
	s_and_b32 s3, s7, 0x7fffffff
	s_delay_alu instid0(SALU_CYCLE_1) | instskip(SKIP_1) | instid1(SALU_CYCLE_1)
	s_cmp_eq_u32 s3, 0
	s_cselect_b32 s3, -1, 0
	s_and_b32 s12, s2, s3
	s_mov_b32 s2, 0
	s_and_not1_b32 vcc_lo, exec_lo, s12
	s_mov_b32 s12, -1
	s_cbranch_vccnz .LBB72_4
; %bb.1:
	s_cmp_lg_u32 s21, 0
	s_cbranch_scc0 .LBB72_3
; %bb.2:
	s_wait_kmcnt 0x0
	s_cmp_neq_f32 s8, 0
	s_cselect_b32 s2, -1, 0
	s_cmp_neq_f32 s9, 0
	s_cselect_b32 s12, -1, 0
	s_delay_alu instid0(SALU_CYCLE_1)
	s_or_b32 s2, s2, s12
.LBB72_3:
	s_delay_alu instid0(SALU_CYCLE_1)
	s_mov_b32 s12, s2
.LBB72_4:
	s_delay_alu instid0(SALU_CYCLE_1)
	s_and_b32 vcc_lo, exec_lo, s12
	s_cbranch_vccz .LBB72_39
; %bb.5:
	s_load_b32 s19, s[0:1], 0x60
	s_lshr_b32 s22, ttmp7, 16
	s_wait_kmcnt 0x0
	s_cmp_ge_u32 s22, s19
	s_cbranch_scc1 .LBB72_39
; %bb.6:
	s_load_b32 s26, s[0:1], 0x18
	v_and_b32_e32 v1, 0x3ff, v0
	v_bfe_u32 v2, v0, 10, 10
	s_clause 0x3
	s_load_b128 s[12:15], s[0:1], 0x20
	s_load_b32 s30, s[0:1], 0x30
	s_load_b96 s[16:18], s[0:1], 0x48
	s_load_b64 s[24:25], s[0:1], 0x58
	s_lshl_b32 s1, ttmp7, 5
	v_and_b32_e32 v18, 7, v0
	s_lshl_b32 s0, ttmp9, 5
	v_lshl_add_u32 v0, v2, 4, v1
	s_and_b32 s1, s1, 0x1fffe0
	v_lshlrev_b32_e32 v19, 3, v1
	v_lshl_add_u32 v20, v2, 6, 0x800
	v_add_nc_u32_e32 v10, s0, v1
	v_add_nc_u32_e32 v1, s1, v2
	v_and_b32_e32 v2, 31, v0
	v_lshlrev_b32_e32 v14, 3, v18
	v_lshrrev_b32_e32 v3, 3, v0
	v_lshrrev_b32_e32 v21, 5, v0
	v_add_nc_u32_e32 v12, 16, v10
	v_or_b32_e32 v0, s0, v2
	v_lshlrev_b32_e32 v2, 3, v2
	s_wait_kmcnt 0x0
	s_ashr_i32 s27, s26, 31
	s_cmp_neq_f32 s8, 0
	v_add_nc_u32_e32 v4, s1, v3
	v_lshl_or_b32 v3, v3, 6, v14
	v_cmp_gt_i32_e64 s1, s20, v1
	s_cselect_b32 s2, -1, 0
	s_cmp_neq_f32 s9, 0
	v_lshl_or_b32 v22, v21, 8, v2
	v_add_nc_u32_e32 v23, 0x800, v3
	v_mad_co_i64_i32 v[2:3], null, v21, s26, 0
	s_cselect_b32 s0, -1, 0
	v_mad_co_i64_i32 v[6:7], null, v1, s18, 0
	s_wait_alu 0xfffe
	s_or_b32 s31, s2, s0
	s_cmp_gt_i32 s21, 0
	v_cmp_le_i32_e64 s2, v10, v1
	s_cselect_b32 s33, -1, 0
	s_cmp_neq_f32 s6, 0
	v_add_nc_u32_e32 v8, 16, v1
	v_cmp_gt_i32_e32 vcc_lo, s20, v0
	v_cmp_gt_i32_e64 s0, s20, v4
	s_cselect_b32 s34, -1, 0
	s_and_b32 s28, s1, s2
	v_cmp_le_i32_e64 s2, v12, v1
	v_ashrrev_i32_e32 v1, 31, v0
	v_lshlrev_b64_e32 v[2:3], 3, v[2:3]
	v_mad_co_i64_i32 v[4:5], null, s30, v4, 0
	s_xor_b32 s35, s3, -1
	v_lshlrev_b64_e32 v[0:1], 3, v[0:1]
	s_and_b32 s29, s1, s2
	v_cmp_gt_i32_e64 s1, s20, v8
	v_cmp_le_i32_e64 s2, v10, v8
	v_cmp_le_i32_e64 s3, v12, v8
	v_mad_co_i64_i32 v[8:9], null, v8, s18, 0
	v_ashrrev_i32_e32 v11, 31, v10
	s_delay_alu instid0(VALU_DEP_4) | instskip(NEXT) | instid1(VALU_DEP_3)
	s_and_b32 s18, s1, s2
	s_and_b32 s20, s1, s3
	v_add_co_u32 v0, s1, v2, v0
	s_wait_alu 0xf1ff
	v_add_co_ci_u32_e64 v1, null, v3, v1, s1
	v_lshlrev_b64_e32 v[2:3], 3, v[4:5]
	s_delay_alu instid0(VALU_DEP_3) | instskip(SKIP_1) | instid1(VALU_DEP_3)
	v_add_co_u32 v0, s1, s10, v0
	s_wait_alu 0xf1ff
	v_add_co_ci_u32_e64 v1, null, s11, v1, s1
	v_ashrrev_i32_e32 v13, 31, v12
	s_delay_alu instid0(VALU_DEP_4) | instskip(SKIP_3) | instid1(VALU_DEP_3)
	v_add_co_u32 v4, s1, v2, v14
	s_wait_alu 0xf1ff
	v_add_co_ci_u32_e64 v3, null, 0, v3, s1
	v_lshlrev_b64_e32 v[6:7], 3, v[6:7]
	v_add_co_u32 v4, s1, s14, v4
	v_lshlrev_b64_e32 v[8:9], 3, v[8:9]
	v_lshlrev_b64_e32 v[10:11], 3, v[10:11]
	;; [unrolled: 1-line block ×3, first 2 shown]
	v_mov_b32_e32 v2, 0
	s_wait_alu 0xf1ff
	v_add_co_ci_u32_e64 v5, null, s15, v3, s1
	s_mov_b32 s23, 0
	s_lshl_b64 s[2:3], s[12:13], 3
	s_lshl_b64 s[10:11], s[26:27], 6
	s_and_b32 s12, s31, s33
	s_or_b32 s13, s34, s35
	s_lshl_b64 s[4:5], s[4:5], 3
	s_xor_b32 s14, vcc_lo, -1
	s_xor_b32 s15, s0, -1
	s_branch .LBB72_8
.LBB72_7:                               ;   in Loop: Header=BB72_8 Depth=1
	s_wait_alu 0xfffe
	s_or_b32 exec_lo, exec_lo, s0
	s_add_co_i32 s22, s22, 0x10000
	s_wait_alu 0xfffe
	s_cmp_lt_u32 s22, s19
	s_cbranch_scc0 .LBB72_39
.LBB72_8:                               ; =>This Loop Header: Depth=1
                                        ;     Child Loop BB72_11 Depth 2
	v_dual_mov_b32 v30, v2 :: v_dual_mov_b32 v31, v2
	v_dual_mov_b32 v28, v2 :: v_dual_mov_b32 v29, v2
	;; [unrolled: 1-line block ×4, first 2 shown]
	s_and_not1_b32 vcc_lo, exec_lo, s12
	s_wait_alu 0xfffe
	s_cbranch_vccnz .LBB72_19
; %bb.9:                                ;   in Loop: Header=BB72_8 Depth=1
	v_mad_co_u64_u32 v[14:15], null, s2, s22, v[0:1]
	v_mad_co_u64_u32 v[16:17], null, s4, s22, v[4:5]
	v_dual_mov_b32 v25, 0 :: v_dual_mov_b32 v28, 0
	v_mov_b32_e32 v27, 0
	v_mov_b32_e32 v29, 0
	v_dual_mov_b32 v3, v15 :: v_dual_mov_b32 v24, 0
	v_dual_mov_b32 v15, v17 :: v_dual_mov_b32 v26, 0
	s_mov_b32 s0, 0
	s_delay_alu instid0(VALU_DEP_2) | instskip(NEXT) | instid1(VALU_DEP_2)
	v_mad_co_u64_u32 v[30:31], null, s3, s22, v[3:4]
	v_mad_co_u64_u32 v[32:33], null, s5, s22, v[15:16]
	v_mov_b32_e32 v31, 0
	s_delay_alu instid0(VALU_DEP_3) | instskip(NEXT) | instid1(VALU_DEP_3)
	v_dual_mov_b32 v15, v30 :: v_dual_mov_b32 v30, 0
	v_mov_b32_e32 v17, v32
	s_branch .LBB72_11
.LBB72_10:                              ;   in Loop: Header=BB72_11 Depth=2
	s_wait_alu 0xfffe
	s_or_b32 exec_lo, exec_lo, s1
	s_wait_dscnt 0x0
	s_barrier_signal -1
	s_barrier_wait -1
	global_inv scope:SCOPE_SE
	ds_load_b128 v[32:35], v20
	ds_load_2addr_b64 v[36:39], v19 offset1:16
	ds_load_b128 v[40:43], v20 offset:1024
	ds_load_b128 v[44:47], v20 offset:16
	;; [unrolled: 1-line block ×4, first 2 shown]
	ds_load_2addr_b64 v[56:59], v19 offset0:32 offset1:48
	ds_load_b128 v[60:63], v20 offset:1040
	v_add_co_u32 v14, vcc_lo, v14, s10
	s_wait_alu 0xfffd
	v_add_co_ci_u32_e64 v15, null, s11, v15, vcc_lo
	v_add_co_u32 v16, vcc_lo, v16, 64
	s_wait_alu 0xfffd
	v_add_co_ci_u32_e64 v17, null, 0, v17, vcc_lo
	s_add_co_i32 s0, s0, 8
	s_wait_alu 0xfffe
	s_cmp_lt_i32 s0, s21
	s_wait_dscnt 0x6
	v_dual_mul_f32 v3, v33, v37 :: v_dual_mul_f32 v66, v32, v39
	v_dual_mul_f32 v64, v32, v37 :: v_dual_mul_f32 v65, v33, v39
	s_wait_dscnt 0x5
	v_mul_f32_e32 v68, v41, v39
	s_delay_alu instid0(VALU_DEP_3) | instskip(SKIP_3) | instid1(VALU_DEP_4)
	v_fma_f32 v3, v32, v36, -v3
	v_dual_mul_f32 v39, v40, v39 :: v_dual_fmac_f32 v66, v33, v38
	v_fmac_f32_e32 v64, v33, v36
	v_fma_f32 v32, v32, v38, -v65
	v_add_f32_e32 v3, v30, v3
	v_mul_f32_e32 v67, v41, v37
	s_delay_alu instid0(VALU_DEP_4) | instskip(NEXT) | instid1(VALU_DEP_4)
	v_dual_mul_f32 v37, v40, v37 :: v_dual_add_f32 v30, v31, v64
	v_add_f32_e32 v31, v28, v32
	v_fmac_f32_e32 v39, v41, v38
	s_delay_alu instid0(VALU_DEP_4) | instskip(NEXT) | instid1(VALU_DEP_4)
	v_fma_f32 v33, v40, v36, -v67
	v_fmac_f32_e32 v37, v41, v36
	v_fma_f32 v36, v40, v38, -v68
	s_wait_dscnt 0x1
	v_dual_mul_f32 v38, v34, v57 :: v_dual_add_f32 v29, v29, v66
	v_mul_f32_e32 v40, v35, v59
	v_add_f32_e32 v32, v26, v33
	v_dual_add_f32 v33, v27, v37 :: v_dual_add_f32 v36, v25, v36
	ds_load_2addr_b64 v[25:28], v19 offset0:64 offset1:80
	v_fmac_f32_e32 v38, v35, v56
	v_dual_mul_f32 v37, v35, v57 :: v_dual_add_f32 v24, v24, v39
	v_mul_f32_e32 v39, v34, v59
	s_delay_alu instid0(VALU_DEP_3) | instskip(NEXT) | instid1(VALU_DEP_3)
	v_add_f32_e32 v38, v30, v38
	v_fma_f32 v37, v34, v56, -v37
	v_fma_f32 v34, v34, v58, -v40
	v_mul_f32_e32 v30, v42, v57
	s_delay_alu instid0(VALU_DEP_3) | instskip(SKIP_1) | instid1(VALU_DEP_4)
	v_add_f32_e32 v3, v3, v37
	v_mul_f32_e32 v37, v43, v57
	v_add_f32_e32 v34, v31, v34
	v_fmac_f32_e32 v39, v35, v58
	v_mul_f32_e32 v35, v43, v59
	v_fmac_f32_e32 v30, v43, v56
	v_fma_f32 v31, v42, v56, -v37
	s_delay_alu instid0(VALU_DEP_4) | instskip(SKIP_4) | instid1(VALU_DEP_3)
	v_add_f32_e32 v37, v29, v39
	v_mul_f32_e32 v39, v42, v59
	v_fma_f32 v29, v42, v58, -v35
	s_wait_dscnt 0x0
	v_dual_add_f32 v40, v32, v31 :: v_dual_mul_f32 v31, v45, v26
	v_dual_mul_f32 v42, v45, v28 :: v_dual_fmac_f32 v39, v43, v58
	v_mul_f32_e32 v35, v44, v26
	v_add_f32_e32 v36, v36, v29
	s_delay_alu instid0(VALU_DEP_3) | instskip(SKIP_3) | instid1(VALU_DEP_2)
	v_add_f32_e32 v39, v24, v39
	v_mul_f32_e32 v24, v44, v28
	v_fma_f32 v41, v44, v25, -v31
	v_fmac_f32_e32 v35, v45, v25
	v_dual_fmac_f32 v24, v45, v27 :: v_dual_add_f32 v3, v3, v41
	v_fma_f32 v41, v44, v27, -v42
	v_add_f32_e32 v33, v33, v30
	ds_load_2addr_b64 v[29:32], v19 offset0:96 offset1:112
	v_dual_add_f32 v35, v38, v35 :: v_dual_mul_f32 v38, v61, v26
	v_mul_f32_e32 v26, v60, v26
	v_dual_add_f32 v34, v34, v41 :: v_dual_mul_f32 v41, v61, v28
	v_mul_f32_e32 v28, v60, v28
	s_delay_alu instid0(VALU_DEP_4) | instskip(NEXT) | instid1(VALU_DEP_4)
	v_fma_f32 v38, v60, v25, -v38
	v_fmac_f32_e32 v26, v61, v25
	v_add_f32_e32 v37, v37, v24
	v_fma_f32 v24, v60, v27, -v41
	v_fmac_f32_e32 v28, v61, v27
	v_add_f32_e32 v38, v40, v38
	s_delay_alu instid0(VALU_DEP_3)
	v_dual_add_f32 v40, v33, v26 :: v_dual_add_f32 v41, v36, v24
	ds_load_2addr_b64 v[24:27], v19 offset0:128 offset1:144
	s_wait_dscnt 0x1
	v_mul_f32_e32 v33, v47, v30
	v_mul_f32_e32 v36, v46, v30
	;; [unrolled: 1-line block ×4, first 2 shown]
	s_delay_alu instid0(VALU_DEP_4) | instskip(NEXT) | instid1(VALU_DEP_4)
	v_fma_f32 v33, v46, v29, -v33
	v_fmac_f32_e32 v36, v47, v29
	s_delay_alu instid0(VALU_DEP_2) | instskip(SKIP_1) | instid1(VALU_DEP_3)
	v_add_f32_e32 v3, v3, v33
	v_mul_f32_e32 v33, v63, v30
	v_dual_mul_f32 v30, v62, v30 :: v_dual_add_f32 v43, v35, v36
	s_delay_alu instid0(VALU_DEP_2) | instskip(NEXT) | instid1(VALU_DEP_2)
	v_fma_f32 v44, v62, v29, -v33
	v_fmac_f32_e32 v30, v63, v29
	s_wait_dscnt 0x0
	v_mul_f32_e32 v29, v49, v25
	v_fma_f32 v42, v46, v31, -v42
	v_add_f32_e32 v39, v39, v28
	v_mul_f32_e32 v28, v46, v32
	v_mul_f32_e32 v56, v48, v27
	s_delay_alu instid0(VALU_DEP_4) | instskip(SKIP_2) | instid1(VALU_DEP_1)
	v_add_f32_e32 v42, v34, v42
	ds_load_b128 v[33:36], v20 offset:1056
	v_dual_fmac_f32 v28, v47, v31 :: v_dual_mul_f32 v47, v48, v25
	v_add_f32_e32 v46, v37, v28
	v_fma_f32 v28, v62, v31, -v45
	v_fma_f32 v37, v48, v24, -v29
	v_mul_f32_e32 v32, v62, v32
	v_fmac_f32_e32 v47, v49, v24
	v_add_f32_e32 v44, v38, v44
	v_add_f32_e32 v41, v41, v28
	;; [unrolled: 1-line block ×4, first 2 shown]
	v_fmac_f32_e32 v32, v63, v31
	ds_load_2addr_b64 v[28:31], v19 offset0:160 offset1:176
	v_mul_f32_e32 v38, v49, v27
	v_add_f32_e32 v43, v43, v47
	v_add_f32_e32 v32, v39, v32
	s_delay_alu instid0(VALU_DEP_3)
	v_fma_f32 v48, v48, v26, -v38
	ds_load_b128 v[37:40], v20 offset:1072
	s_wait_dscnt 0x2
	v_mul_f32_e32 v57, v34, v25
	v_dual_mul_f32 v25, v33, v25 :: v_dual_add_f32 v42, v42, v48
	v_fmac_f32_e32 v56, v49, v26
	v_mul_f32_e32 v48, v34, v27
	s_delay_alu instid0(VALU_DEP_4) | instskip(NEXT) | instid1(VALU_DEP_4)
	v_fma_f32 v47, v33, v24, -v57
	v_fmac_f32_e32 v25, v34, v24
	s_delay_alu instid0(VALU_DEP_4) | instskip(SKIP_1) | instid1(VALU_DEP_3)
	v_dual_mul_f32 v49, v33, v27 :: v_dual_add_f32 v46, v46, v56
	s_wait_dscnt 0x1
	v_dual_add_f32 v44, v44, v47 :: v_dual_mul_f32 v27, v51, v29
	v_fma_f32 v24, v33, v26, -v48
	v_add_f32_e32 v33, v45, v25
	v_fmac_f32_e32 v49, v34, v26
	v_mul_f32_e32 v34, v50, v29
	v_fma_f32 v45, v50, v28, -v27
	v_add_f32_e32 v41, v41, v24
	ds_load_2addr_b64 v[24:27], v19 offset0:192 offset1:208
	v_fmac_f32_e32 v34, v51, v28
	v_dual_mul_f32 v47, v51, v31 :: v_dual_add_f32 v48, v32, v49
	v_dual_add_f32 v3, v3, v45 :: v_dual_mul_f32 v32, v50, v31
	s_delay_alu instid0(VALU_DEP_3) | instskip(NEXT) | instid1(VALU_DEP_3)
	v_dual_add_f32 v43, v43, v34 :: v_dual_mul_f32 v34, v36, v29
	v_fma_f32 v45, v50, v30, -v47
	s_delay_alu instid0(VALU_DEP_3) | instskip(NEXT) | instid1(VALU_DEP_3)
	v_fmac_f32_e32 v32, v51, v30
	v_fma_f32 v34, v35, v28, -v34
	s_delay_alu instid0(VALU_DEP_3) | instskip(SKIP_1) | instid1(VALU_DEP_3)
	v_dual_add_f32 v42, v42, v45 :: v_dual_mul_f32 v45, v36, v31
	v_mul_f32_e32 v29, v35, v29
	v_dual_mul_f32 v31, v35, v31 :: v_dual_add_f32 v44, v44, v34
	s_delay_alu instid0(VALU_DEP_2) | instskip(SKIP_2) | instid1(VALU_DEP_4)
	v_fmac_f32_e32 v29, v36, v28
	v_add_f32_e32 v28, v46, v32
	v_fma_f32 v32, v35, v30, -v45
	v_fmac_f32_e32 v31, v36, v30
	s_wait_dscnt 0x0
	v_mul_f32_e32 v36, v52, v25
	v_dual_add_f32 v29, v33, v29 :: v_dual_mul_f32 v46, v52, v27
	v_add_f32_e32 v30, v41, v32
	ds_load_2addr_b64 v[32:35], v19 offset0:224 offset1:240
	v_dual_add_f32 v31, v48, v31 :: v_dual_fmac_f32 v36, v53, v24
	v_mul_f32_e32 v45, v53, v25
	v_fmac_f32_e32 v46, v53, v26
	s_wait_loadcnt_dscnt 0x0
	s_barrier_signal -1
	v_add_f32_e32 v36, v43, v36
	v_fma_f32 v41, v52, v24, -v45
	v_mul_f32_e32 v45, v53, v27
	v_mul_f32_e32 v43, v38, v27
	;; [unrolled: 1-line block ×3, first 2 shown]
	s_barrier_wait -1
	v_add_f32_e32 v3, v3, v41
	v_fma_f32 v45, v52, v26, -v45
	v_mul_f32_e32 v41, v38, v25
	v_fmac_f32_e32 v27, v38, v26
	global_inv scope:SCOPE_SE
	v_dual_add_f32 v42, v42, v45 :: v_dual_add_f32 v45, v28, v46
	v_fma_f32 v28, v37, v26, -v43
	v_mul_f32_e32 v25, v37, v25
	s_delay_alu instid0(VALU_DEP_1) | instskip(NEXT) | instid1(VALU_DEP_3)
	v_fmac_f32_e32 v25, v38, v24
	v_add_f32_e32 v38, v30, v28
	v_mul_f32_e32 v28, v55, v35
	v_fma_f32 v41, v37, v24, -v41
	v_mul_f32_e32 v37, v55, v33
	s_delay_alu instid0(VALU_DEP_2) | instskip(NEXT) | instid1(VALU_DEP_2)
	v_add_f32_e32 v24, v44, v41
	v_fma_f32 v26, v54, v32, -v37
	v_add_f32_e32 v37, v31, v27
	v_mul_f32_e32 v27, v39, v33
	s_delay_alu instid0(VALU_DEP_3) | instskip(SKIP_4) | instid1(VALU_DEP_4)
	v_add_f32_e32 v30, v3, v26
	v_fma_f32 v3, v54, v34, -v28
	v_mul_f32_e32 v26, v40, v33
	v_add_f32_e32 v25, v29, v25
	v_mul_f32_e32 v29, v54, v35
	v_dual_fmac_f32 v27, v40, v32 :: v_dual_add_f32 v28, v42, v3
	s_delay_alu instid0(VALU_DEP_4) | instskip(SKIP_3) | instid1(VALU_DEP_4)
	v_fma_f32 v3, v39, v32, -v26
	v_mul_f32_e32 v41, v54, v33
	v_mul_f32_e32 v33, v40, v35
	;; [unrolled: 1-line block ×3, first 2 shown]
	v_dual_fmac_f32 v29, v55, v34 :: v_dual_add_f32 v26, v24, v3
	s_delay_alu instid0(VALU_DEP_4) | instskip(NEXT) | instid1(VALU_DEP_4)
	v_fmac_f32_e32 v41, v55, v32
	v_fma_f32 v32, v39, v34, -v33
	s_delay_alu instid0(VALU_DEP_4) | instskip(NEXT) | instid1(VALU_DEP_4)
	v_fmac_f32_e32 v35, v40, v34
	v_add_f32_e32 v29, v45, v29
	v_add_f32_e32 v27, v25, v27
	;; [unrolled: 1-line block ×3, first 2 shown]
	s_delay_alu instid0(VALU_DEP_4)
	v_dual_add_f32 v25, v38, v32 :: v_dual_add_f32 v24, v37, v35
	s_cbranch_scc0 .LBB72_19
.LBB72_11:                              ;   Parent Loop BB72_8 Depth=1
                                        ; =>  This Inner Loop Header: Depth=2
	s_wait_alu 0xfffe
	v_add_nc_u32_e32 v3, s0, v21
	s_delay_alu instid0(VALU_DEP_1)
	v_cmp_le_i32_e32 vcc_lo, s21, v3
	s_or_b32 s1, s14, vcc_lo
	s_wait_alu 0xfffe
	s_and_saveexec_b32 s26, s1
	s_wait_alu 0xfffe
	s_xor_b32 s1, exec_lo, s26
; %bb.12:                               ;   in Loop: Header=BB72_11 Depth=2
	v_mov_b32_e32 v3, v2
	ds_store_b64 v22, v[2:3]
; %bb.13:                               ;   in Loop: Header=BB72_11 Depth=2
	s_wait_alu 0xfffe
	s_and_not1_saveexec_b32 s1, s1
	s_cbranch_execz .LBB72_15
; %bb.14:                               ;   in Loop: Header=BB72_11 Depth=2
	global_load_b64 v[32:33], v[14:15], off
	s_wait_loadcnt 0x0
	ds_store_b64 v22, v[32:33]
.LBB72_15:                              ;   in Loop: Header=BB72_11 Depth=2
	s_wait_alu 0xfffe
	s_or_b32 exec_lo, exec_lo, s1
	v_add_nc_u32_e32 v3, s0, v18
	s_delay_alu instid0(VALU_DEP_1)
	v_cmp_le_i32_e32 vcc_lo, s21, v3
	s_or_b32 s1, vcc_lo, s15
	s_wait_alu 0xfffe
	s_and_saveexec_b32 s26, s1
	s_wait_alu 0xfffe
	s_xor_b32 s1, exec_lo, s26
; %bb.16:                               ;   in Loop: Header=BB72_11 Depth=2
	v_mov_b32_e32 v3, v2
	ds_store_b64 v23, v[2:3]
; %bb.17:                               ;   in Loop: Header=BB72_11 Depth=2
	s_wait_alu 0xfffe
	s_and_not1_saveexec_b32 s1, s1
	s_cbranch_execz .LBB72_10
; %bb.18:                               ;   in Loop: Header=BB72_11 Depth=2
	global_load_b64 v[32:33], v[16:17], off
	s_wait_loadcnt 0x0
	ds_store_b64 v23, v[32:33]
	s_branch .LBB72_10
.LBB72_19:                              ;   in Loop: Header=BB72_8 Depth=1
	s_mul_u64 s[0:1], s[24:25], s[22:23]
	s_wait_alu 0xfffe
	s_lshl_b64 s[0:1], s[0:1], 3
	s_wait_alu 0xfffe
	s_add_nc_u64 s[0:1], s[16:17], s[0:1]
	s_wait_alu 0xfffe
	v_add_co_u32 v3, vcc_lo, s0, v6
	s_wait_alu 0xfffd
	v_add_co_ci_u32_e64 v16, null, s1, v7, vcc_lo
	s_and_saveexec_b32 s26, s28
	s_cbranch_execz .LBB72_24
; %bb.20:                               ;   in Loop: Header=BB72_8 Depth=1
	v_mul_f32_e32 v15, s8, v31
	v_mul_f32_e32 v14, s9, v31
	s_and_b32 vcc_lo, exec_lo, s13
	s_mov_b32 s27, -1
	s_delay_alu instid0(VALU_DEP_2) | instskip(NEXT) | instid1(VALU_DEP_2)
	v_fmac_f32_e32 v15, s9, v30
	v_fma_f32 v14, v30, s8, -v14
	s_wait_alu 0xfffe
	s_cbranch_vccz .LBB72_22
; %bb.21:                               ;   in Loop: Header=BB72_8 Depth=1
	v_add_co_u32 v30, vcc_lo, v3, v10
	s_wait_alu 0xfffd
	v_add_co_ci_u32_e64 v31, null, v16, v11, vcc_lo
	s_mov_b32 s27, 0
	global_load_b64 v[32:33], v[30:31], off
	s_wait_loadcnt 0x0
	v_mul_f32_e32 v17, s7, v33
	v_mul_f32_e32 v33, s6, v33
	s_delay_alu instid0(VALU_DEP_2) | instskip(NEXT) | instid1(VALU_DEP_1)
	v_fma_f32 v17, v32, s6, -v17
	v_dual_fmac_f32 v33, s7, v32 :: v_dual_add_f32 v32, v14, v17
	s_delay_alu instid0(VALU_DEP_1)
	v_add_f32_e32 v33, v15, v33
	global_store_b64 v[30:31], v[32:33], off
.LBB72_22:                              ;   in Loop: Header=BB72_8 Depth=1
	s_wait_alu 0xfffe
	s_and_not1_b32 vcc_lo, exec_lo, s27
	s_wait_alu 0xfffe
	s_cbranch_vccnz .LBB72_24
; %bb.23:                               ;   in Loop: Header=BB72_8 Depth=1
	v_add_co_u32 v30, vcc_lo, v3, v10
	s_wait_alu 0xfffd
	v_add_co_ci_u32_e64 v31, null, v16, v11, vcc_lo
	global_store_b64 v[30:31], v[14:15], off
.LBB72_24:                              ;   in Loop: Header=BB72_8 Depth=1
	s_wait_alu 0xfffe
	s_or_b32 exec_lo, exec_lo, s26
	s_and_saveexec_b32 s26, s29
	s_cbranch_execz .LBB72_29
; %bb.25:                               ;   in Loop: Header=BB72_8 Depth=1
	v_mul_f32_e32 v15, s8, v29
	v_mul_f32_e32 v14, s9, v29
	s_and_not1_b32 vcc_lo, exec_lo, s13
	s_mov_b32 s27, -1
	s_delay_alu instid0(VALU_DEP_2) | instskip(NEXT) | instid1(VALU_DEP_2)
	v_fmac_f32_e32 v15, s9, v28
	v_fma_f32 v14, v28, s8, -v14
	s_wait_alu 0xfffe
	s_cbranch_vccnz .LBB72_27
; %bb.26:                               ;   in Loop: Header=BB72_8 Depth=1
	v_add_co_u32 v28, vcc_lo, v3, v12
	s_wait_alu 0xfffd
	v_add_co_ci_u32_e64 v29, null, v16, v13, vcc_lo
	s_mov_b32 s27, 0
	global_load_b64 v[30:31], v[28:29], off
	s_wait_loadcnt 0x0
	v_mul_f32_e32 v17, s7, v31
	s_delay_alu instid0(VALU_DEP_1) | instskip(SKIP_1) | instid1(VALU_DEP_1)
	v_fma_f32 v17, v30, s6, -v17
	v_mul_f32_e32 v31, s6, v31
	v_dual_fmac_f32 v31, s7, v30 :: v_dual_add_f32 v30, v14, v17
	s_delay_alu instid0(VALU_DEP_1)
	v_add_f32_e32 v31, v15, v31
	global_store_b64 v[28:29], v[30:31], off
.LBB72_27:                              ;   in Loop: Header=BB72_8 Depth=1
	s_wait_alu 0xfffe
	s_and_not1_b32 vcc_lo, exec_lo, s27
	s_wait_alu 0xfffe
	s_cbranch_vccnz .LBB72_29
; %bb.28:                               ;   in Loop: Header=BB72_8 Depth=1
	v_add_co_u32 v28, vcc_lo, v3, v12
	s_wait_alu 0xfffd
	v_add_co_ci_u32_e64 v29, null, v16, v13, vcc_lo
	global_store_b64 v[28:29], v[14:15], off
.LBB72_29:                              ;   in Loop: Header=BB72_8 Depth=1
	s_wait_alu 0xfffe
	s_or_b32 exec_lo, exec_lo, s26
	v_add_co_u32 v3, vcc_lo, s0, v8
	s_wait_alu 0xfffd
	v_add_co_ci_u32_e64 v16, null, s1, v9, vcc_lo
	s_and_saveexec_b32 s0, s18
	s_cbranch_execz .LBB72_34
; %bb.30:                               ;   in Loop: Header=BB72_8 Depth=1
	v_mul_f32_e32 v15, s8, v27
	v_mul_f32_e32 v14, s9, v27
	s_and_not1_b32 vcc_lo, exec_lo, s13
	s_mov_b32 s1, -1
	s_delay_alu instid0(VALU_DEP_2) | instskip(NEXT) | instid1(VALU_DEP_2)
	v_fmac_f32_e32 v15, s9, v26
	v_fma_f32 v14, v26, s8, -v14
	s_wait_alu 0xfffe
	s_cbranch_vccnz .LBB72_32
; %bb.31:                               ;   in Loop: Header=BB72_8 Depth=1
	v_add_co_u32 v26, vcc_lo, v3, v10
	s_wait_alu 0xfffd
	v_add_co_ci_u32_e64 v27, null, v16, v11, vcc_lo
	s_mov_b32 s1, 0
	global_load_b64 v[28:29], v[26:27], off
	s_wait_loadcnt 0x0
	v_mul_f32_e32 v17, s7, v29
	v_mul_f32_e32 v29, s6, v29
	s_delay_alu instid0(VALU_DEP_2) | instskip(NEXT) | instid1(VALU_DEP_1)
	v_fma_f32 v17, v28, s6, -v17
	v_dual_fmac_f32 v29, s7, v28 :: v_dual_add_f32 v28, v14, v17
	s_delay_alu instid0(VALU_DEP_1)
	v_add_f32_e32 v29, v15, v29
	global_store_b64 v[26:27], v[28:29], off
.LBB72_32:                              ;   in Loop: Header=BB72_8 Depth=1
	s_wait_alu 0xfffe
	s_and_not1_b32 vcc_lo, exec_lo, s1
	s_wait_alu 0xfffe
	s_cbranch_vccnz .LBB72_34
; %bb.33:                               ;   in Loop: Header=BB72_8 Depth=1
	v_add_co_u32 v26, vcc_lo, v3, v10
	s_wait_alu 0xfffd
	v_add_co_ci_u32_e64 v27, null, v16, v11, vcc_lo
	global_store_b64 v[26:27], v[14:15], off
.LBB72_34:                              ;   in Loop: Header=BB72_8 Depth=1
	s_wait_alu 0xfffe
	s_or_b32 exec_lo, exec_lo, s0
	s_and_saveexec_b32 s0, s20
	s_cbranch_execz .LBB72_7
; %bb.35:                               ;   in Loop: Header=BB72_8 Depth=1
	v_mul_f32_e32 v15, s8, v24
	v_mul_f32_e32 v14, s9, v24
	s_and_not1_b32 vcc_lo, exec_lo, s13
	s_mov_b32 s1, -1
	s_delay_alu instid0(VALU_DEP_2) | instskip(NEXT) | instid1(VALU_DEP_2)
	v_fmac_f32_e32 v15, s9, v25
	v_fma_f32 v14, v25, s8, -v14
	s_wait_alu 0xfffe
	s_cbranch_vccnz .LBB72_37
; %bb.36:                               ;   in Loop: Header=BB72_8 Depth=1
	v_add_co_u32 v24, vcc_lo, v3, v12
	s_wait_alu 0xfffd
	v_add_co_ci_u32_e64 v25, null, v16, v13, vcc_lo
	s_mov_b32 s1, 0
	global_load_b64 v[26:27], v[24:25], off
	s_wait_loadcnt 0x0
	v_mul_f32_e32 v17, s7, v27
	s_delay_alu instid0(VALU_DEP_1) | instskip(SKIP_1) | instid1(VALU_DEP_1)
	v_fma_f32 v17, v26, s6, -v17
	v_mul_f32_e32 v27, s6, v27
	v_dual_fmac_f32 v27, s7, v26 :: v_dual_add_f32 v26, v14, v17
	s_delay_alu instid0(VALU_DEP_1)
	v_add_f32_e32 v27, v15, v27
	global_store_b64 v[24:25], v[26:27], off
.LBB72_37:                              ;   in Loop: Header=BB72_8 Depth=1
	s_wait_alu 0xfffe
	s_and_not1_b32 vcc_lo, exec_lo, s1
	s_wait_alu 0xfffe
	s_cbranch_vccnz .LBB72_7
; %bb.38:                               ;   in Loop: Header=BB72_8 Depth=1
	v_add_co_u32 v24, vcc_lo, v3, v12
	s_wait_alu 0xfffd
	v_add_co_ci_u32_e64 v25, null, v16, v13, vcc_lo
	global_store_b64 v[24:25], v[14:15], off
	s_branch .LBB72_7
.LBB72_39:
	s_endpgm
	.section	.rodata,"a",@progbits
	.p2align	6, 0x0
	.amdhsa_kernel _ZL29rocblas_internal_gemmt_kernelIiLi16ELi32ELi8ELc78ELc78ELc85ELb0ELb0E19rocblas_complex_numIfEPKS1_S3_PS1_EviT_T9_T10_S5_lS7_S5_lS6_T11_S5_li
		.amdhsa_group_segment_fixed_size 4096
		.amdhsa_private_segment_fixed_size 0
		.amdhsa_kernarg_size 100
		.amdhsa_user_sgpr_count 2
		.amdhsa_user_sgpr_dispatch_ptr 0
		.amdhsa_user_sgpr_queue_ptr 0
		.amdhsa_user_sgpr_kernarg_segment_ptr 1
		.amdhsa_user_sgpr_dispatch_id 0
		.amdhsa_user_sgpr_private_segment_size 0
		.amdhsa_wavefront_size32 1
		.amdhsa_uses_dynamic_stack 0
		.amdhsa_enable_private_segment 0
		.amdhsa_system_sgpr_workgroup_id_x 1
		.amdhsa_system_sgpr_workgroup_id_y 1
		.amdhsa_system_sgpr_workgroup_id_z 1
		.amdhsa_system_sgpr_workgroup_info 0
		.amdhsa_system_vgpr_workitem_id 1
		.amdhsa_next_free_vgpr 69
		.amdhsa_next_free_sgpr 36
		.amdhsa_reserve_vcc 1
		.amdhsa_float_round_mode_32 0
		.amdhsa_float_round_mode_16_64 0
		.amdhsa_float_denorm_mode_32 3
		.amdhsa_float_denorm_mode_16_64 3
		.amdhsa_fp16_overflow 0
		.amdhsa_workgroup_processor_mode 1
		.amdhsa_memory_ordered 1
		.amdhsa_forward_progress 1
		.amdhsa_inst_pref_size 25
		.amdhsa_round_robin_scheduling 0
		.amdhsa_exception_fp_ieee_invalid_op 0
		.amdhsa_exception_fp_denorm_src 0
		.amdhsa_exception_fp_ieee_div_zero 0
		.amdhsa_exception_fp_ieee_overflow 0
		.amdhsa_exception_fp_ieee_underflow 0
		.amdhsa_exception_fp_ieee_inexact 0
		.amdhsa_exception_int_div_zero 0
	.end_amdhsa_kernel
	.section	.text._ZL29rocblas_internal_gemmt_kernelIiLi16ELi32ELi8ELc78ELc78ELc85ELb0ELb0E19rocblas_complex_numIfEPKS1_S3_PS1_EviT_T9_T10_S5_lS7_S5_lS6_T11_S5_li,"axG",@progbits,_ZL29rocblas_internal_gemmt_kernelIiLi16ELi32ELi8ELc78ELc78ELc85ELb0ELb0E19rocblas_complex_numIfEPKS1_S3_PS1_EviT_T9_T10_S5_lS7_S5_lS6_T11_S5_li,comdat
.Lfunc_end72:
	.size	_ZL29rocblas_internal_gemmt_kernelIiLi16ELi32ELi8ELc78ELc78ELc85ELb0ELb0E19rocblas_complex_numIfEPKS1_S3_PS1_EviT_T9_T10_S5_lS7_S5_lS6_T11_S5_li, .Lfunc_end72-_ZL29rocblas_internal_gemmt_kernelIiLi16ELi32ELi8ELc78ELc78ELc85ELb0ELb0E19rocblas_complex_numIfEPKS1_S3_PS1_EviT_T9_T10_S5_lS7_S5_lS6_T11_S5_li
                                        ; -- End function
	.set _ZL29rocblas_internal_gemmt_kernelIiLi16ELi32ELi8ELc78ELc78ELc85ELb0ELb0E19rocblas_complex_numIfEPKS1_S3_PS1_EviT_T9_T10_S5_lS7_S5_lS6_T11_S5_li.num_vgpr, 69
	.set _ZL29rocblas_internal_gemmt_kernelIiLi16ELi32ELi8ELc78ELc78ELc85ELb0ELb0E19rocblas_complex_numIfEPKS1_S3_PS1_EviT_T9_T10_S5_lS7_S5_lS6_T11_S5_li.num_agpr, 0
	.set _ZL29rocblas_internal_gemmt_kernelIiLi16ELi32ELi8ELc78ELc78ELc85ELb0ELb0E19rocblas_complex_numIfEPKS1_S3_PS1_EviT_T9_T10_S5_lS7_S5_lS6_T11_S5_li.numbered_sgpr, 36
	.set _ZL29rocblas_internal_gemmt_kernelIiLi16ELi32ELi8ELc78ELc78ELc85ELb0ELb0E19rocblas_complex_numIfEPKS1_S3_PS1_EviT_T9_T10_S5_lS7_S5_lS6_T11_S5_li.num_named_barrier, 0
	.set _ZL29rocblas_internal_gemmt_kernelIiLi16ELi32ELi8ELc78ELc78ELc85ELb0ELb0E19rocblas_complex_numIfEPKS1_S3_PS1_EviT_T9_T10_S5_lS7_S5_lS6_T11_S5_li.private_seg_size, 0
	.set _ZL29rocblas_internal_gemmt_kernelIiLi16ELi32ELi8ELc78ELc78ELc85ELb0ELb0E19rocblas_complex_numIfEPKS1_S3_PS1_EviT_T9_T10_S5_lS7_S5_lS6_T11_S5_li.uses_vcc, 1
	.set _ZL29rocblas_internal_gemmt_kernelIiLi16ELi32ELi8ELc78ELc78ELc85ELb0ELb0E19rocblas_complex_numIfEPKS1_S3_PS1_EviT_T9_T10_S5_lS7_S5_lS6_T11_S5_li.uses_flat_scratch, 0
	.set _ZL29rocblas_internal_gemmt_kernelIiLi16ELi32ELi8ELc78ELc78ELc85ELb0ELb0E19rocblas_complex_numIfEPKS1_S3_PS1_EviT_T9_T10_S5_lS7_S5_lS6_T11_S5_li.has_dyn_sized_stack, 0
	.set _ZL29rocblas_internal_gemmt_kernelIiLi16ELi32ELi8ELc78ELc78ELc85ELb0ELb0E19rocblas_complex_numIfEPKS1_S3_PS1_EviT_T9_T10_S5_lS7_S5_lS6_T11_S5_li.has_recursion, 0
	.set _ZL29rocblas_internal_gemmt_kernelIiLi16ELi32ELi8ELc78ELc78ELc85ELb0ELb0E19rocblas_complex_numIfEPKS1_S3_PS1_EviT_T9_T10_S5_lS7_S5_lS6_T11_S5_li.has_indirect_call, 0
	.section	.AMDGPU.csdata,"",@progbits
; Kernel info:
; codeLenInByte = 3140
; TotalNumSgprs: 38
; NumVgprs: 69
; ScratchSize: 0
; MemoryBound: 1
; FloatMode: 240
; IeeeMode: 1
; LDSByteSize: 4096 bytes/workgroup (compile time only)
; SGPRBlocks: 0
; VGPRBlocks: 8
; NumSGPRsForWavesPerEU: 38
; NumVGPRsForWavesPerEU: 69
; Occupancy: 16
; WaveLimiterHint : 0
; COMPUTE_PGM_RSRC2:SCRATCH_EN: 0
; COMPUTE_PGM_RSRC2:USER_SGPR: 2
; COMPUTE_PGM_RSRC2:TRAP_HANDLER: 0
; COMPUTE_PGM_RSRC2:TGID_X_EN: 1
; COMPUTE_PGM_RSRC2:TGID_Y_EN: 1
; COMPUTE_PGM_RSRC2:TGID_Z_EN: 1
; COMPUTE_PGM_RSRC2:TIDIG_COMP_CNT: 1
	.section	.text._ZL29rocblas_internal_gemmt_kernelIiLi16ELi32ELi8ELc78ELc84ELc85ELb0ELb0E19rocblas_complex_numIfEPKS1_S3_PS1_EviT_T9_T10_S5_lS7_S5_lS6_T11_S5_li,"axG",@progbits,_ZL29rocblas_internal_gemmt_kernelIiLi16ELi32ELi8ELc78ELc84ELc85ELb0ELb0E19rocblas_complex_numIfEPKS1_S3_PS1_EviT_T9_T10_S5_lS7_S5_lS6_T11_S5_li,comdat
	.globl	_ZL29rocblas_internal_gemmt_kernelIiLi16ELi32ELi8ELc78ELc84ELc85ELb0ELb0E19rocblas_complex_numIfEPKS1_S3_PS1_EviT_T9_T10_S5_lS7_S5_lS6_T11_S5_li ; -- Begin function _ZL29rocblas_internal_gemmt_kernelIiLi16ELi32ELi8ELc78ELc84ELc85ELb0ELb0E19rocblas_complex_numIfEPKS1_S3_PS1_EviT_T9_T10_S5_lS7_S5_lS6_T11_S5_li
	.p2align	8
	.type	_ZL29rocblas_internal_gemmt_kernelIiLi16ELi32ELi8ELc78ELc84ELc85ELb0ELb0E19rocblas_complex_numIfEPKS1_S3_PS1_EviT_T9_T10_S5_lS7_S5_lS6_T11_S5_li,@function
_ZL29rocblas_internal_gemmt_kernelIiLi16ELi32ELi8ELc78ELc84ELc85ELb0ELb0E19rocblas_complex_numIfEPKS1_S3_PS1_EviT_T9_T10_S5_lS7_S5_lS6_T11_S5_li: ; @_ZL29rocblas_internal_gemmt_kernelIiLi16ELi32ELi8ELc78ELc84ELc85ELb0ELb0E19rocblas_complex_numIfEPKS1_S3_PS1_EviT_T9_T10_S5_lS7_S5_lS6_T11_S5_li
; %bb.0:
	s_load_b128 s[4:7], s[0:1], 0x38
	s_wait_kmcnt 0x0
	s_load_b64 s[6:7], s[6:7], 0x0
	s_clause 0x1
	s_load_b128 s[8:11], s[0:1], 0x8
	s_load_b64 s[20:21], s[0:1], 0x0
	s_wait_kmcnt 0x0
	s_load_b64 s[8:9], s[8:9], 0x0
	s_cmp_eq_f32 s6, 1.0
	s_cselect_b32 s2, -1, 0
	s_and_b32 s3, s7, 0x7fffffff
	s_delay_alu instid0(SALU_CYCLE_1) | instskip(SKIP_1) | instid1(SALU_CYCLE_1)
	s_cmp_eq_u32 s3, 0
	s_cselect_b32 s3, -1, 0
	s_and_b32 s12, s2, s3
	s_mov_b32 s2, 0
	s_and_not1_b32 vcc_lo, exec_lo, s12
	s_mov_b32 s12, -1
	s_cbranch_vccnz .LBB73_4
; %bb.1:
	s_cmp_lg_u32 s21, 0
	s_cbranch_scc0 .LBB73_3
; %bb.2:
	s_wait_kmcnt 0x0
	s_cmp_neq_f32 s8, 0
	s_cselect_b32 s2, -1, 0
	s_cmp_neq_f32 s9, 0
	s_cselect_b32 s12, -1, 0
	s_delay_alu instid0(SALU_CYCLE_1)
	s_or_b32 s2, s2, s12
.LBB73_3:
	s_delay_alu instid0(SALU_CYCLE_1)
	s_mov_b32 s12, s2
.LBB73_4:
	s_delay_alu instid0(SALU_CYCLE_1)
	s_and_b32 vcc_lo, exec_lo, s12
	s_cbranch_vccz .LBB73_39
; %bb.5:
	s_load_b32 s19, s[0:1], 0x60
	s_lshr_b32 s22, ttmp7, 16
	s_wait_kmcnt 0x0
	s_cmp_ge_u32 s22, s19
	s_cbranch_scc1 .LBB73_39
; %bb.6:
	s_clause 0x2
	s_load_b32 s28, s[0:1], 0x18
	s_load_b32 s26, s[0:1], 0x30
	s_load_b128 s[12:15], s[0:1], 0x20
	v_and_b32_e32 v1, 0x3ff, v0
	v_bfe_u32 v2, v0, 10, 10
	s_clause 0x1
	s_load_b96 s[16:18], s[0:1], 0x48
	s_load_b64 s[24:25], s[0:1], 0x58
	s_lshl_b32 s0, ttmp7, 5
	v_and_b32_e32 v18, 7, v0
	s_lshl_b32 s1, ttmp9, 5
	v_lshl_add_u32 v0, v2, 4, v1
	s_and_b32 s0, s0, 0x1fffe0
	v_add_nc_u32_e32 v10, s1, v1
	v_lshlrev_b32_e32 v3, 3, v18
	v_add_nc_u32_e32 v4, s0, v2
	v_lshrrev_b32_e32 v6, 3, v0
	v_and_b32_e32 v5, 31, v0
	v_lshrrev_b32_e32 v19, 5, v0
	v_add_nc_u32_e32 v12, 16, v10
	v_lshl_add_u32 v23, v2, 6, 0x800
	v_lshl_or_b32 v3, v6, 6, v3
	s_wait_kmcnt 0x0
	s_ashr_i32 s29, s28, 31
	s_ashr_i32 s27, s26, 31
	s_cmp_neq_f32 s8, 0
	v_or_b32_e32 v0, s1, v5
	v_cmp_gt_i32_e64 s1, s20, v4
	v_add_nc_u32_e32 v21, 0x800, v3
	s_cselect_b32 s2, -1, 0
	s_cmp_neq_f32 s9, 0
	v_mad_co_i64_i32 v[2:3], null, v19, s28, 0
	v_lshlrev_b32_e32 v5, 3, v5
	s_cselect_b32 s30, -1, 0
	v_lshlrev_b32_e32 v22, 3, v1
	s_or_b32 s33, s2, s30
	s_cmp_gt_i32 s21, 0
	v_cmp_le_i32_e64 s2, v10, v4
	s_cselect_b32 s34, -1, 0
	s_cmp_neq_f32 s6, 0
	v_ashrrev_i32_e32 v1, 31, v0
	v_add_nc_u32_e32 v8, 16, v4
	v_add_nc_u32_e32 v14, s0, v6
	s_cselect_b32 s35, -1, 0
	s_and_b32 s30, s1, s2
	v_cmp_le_i32_e64 s2, v12, v4
	v_cmp_gt_i32_e32 vcc_lo, s20, v0
	v_lshl_or_b32 v20, v19, 8, v5
	v_mad_co_i64_i32 v[6:7], null, v4, s18, 0
	v_lshlrev_b64_e32 v[2:3], 3, v[2:3]
	v_lshlrev_b64_e32 v[0:1], 3, v[0:1]
	v_mad_co_i64_i32 v[4:5], null, s26, v18, 0
	s_xor_b32 s36, s3, -1
	s_and_b32 s31, s1, s2
	v_cmp_gt_i32_e64 s1, s20, v8
	v_cmp_le_i32_e64 s2, v10, v8
	v_cmp_le_i32_e64 s3, v12, v8
	v_cmp_gt_i32_e64 s0, s20, v14
	v_mad_co_i64_i32 v[8:9], null, v8, s18, 0
	s_and_b32 s18, s1, s2
	s_and_b32 s20, s1, s3
	v_add_co_u32 v0, s1, v2, v0
	s_wait_alu 0xf1ff
	v_add_co_ci_u32_e64 v1, null, v3, v1, s1
	v_lshlrev_b64_e32 v[2:3], 3, v[4:5]
	v_lshlrev_b32_e32 v4, 3, v14
	v_add_co_u32 v0, s1, s10, v0
	s_wait_alu 0xf1ff
	v_add_co_ci_u32_e64 v1, null, s11, v1, s1
	s_delay_alu instid0(VALU_DEP_3)
	v_add_co_u32 v4, s1, v2, v4
	v_ashrrev_i32_e32 v11, 31, v10
	v_ashrrev_i32_e32 v13, 31, v12
	s_wait_alu 0xf1ff
	v_add_co_ci_u32_e64 v3, null, 0, v3, s1
	v_add_co_u32 v4, s1, s14, v4
	v_lshlrev_b64_e32 v[6:7], 3, v[6:7]
	v_lshlrev_b64_e32 v[8:9], 3, v[8:9]
	;; [unrolled: 1-line block ×4, first 2 shown]
	v_mov_b32_e32 v2, 0
	s_wait_alu 0xf1ff
	v_add_co_ci_u32_e64 v5, null, s15, v3, s1
	s_mov_b32 s23, 0
	s_lshl_b64 s[2:3], s[12:13], 3
	s_lshl_b64 s[10:11], s[28:29], 6
	s_lshl_b64 s[4:5], s[4:5], 3
	s_and_b32 s14, s33, s34
	s_or_b32 s15, s35, s36
	s_lshl_b64 s[12:13], s[26:27], 6
	s_xor_b32 s26, vcc_lo, -1
	s_xor_b32 s27, s0, -1
	s_branch .LBB73_8
.LBB73_7:                               ;   in Loop: Header=BB73_8 Depth=1
	s_wait_alu 0xfffe
	s_or_b32 exec_lo, exec_lo, s0
	s_add_co_i32 s22, s22, 0x10000
	s_wait_alu 0xfffe
	s_cmp_lt_u32 s22, s19
	s_cbranch_scc0 .LBB73_39
.LBB73_8:                               ; =>This Loop Header: Depth=1
                                        ;     Child Loop BB73_11 Depth 2
	v_dual_mov_b32 v30, v2 :: v_dual_mov_b32 v31, v2
	v_dual_mov_b32 v28, v2 :: v_dual_mov_b32 v29, v2
	;; [unrolled: 1-line block ×4, first 2 shown]
	s_wait_alu 0xfffe
	s_and_not1_b32 vcc_lo, exec_lo, s14
	s_wait_alu 0xfffe
	s_cbranch_vccnz .LBB73_19
; %bb.9:                                ;   in Loop: Header=BB73_8 Depth=1
	v_mad_co_u64_u32 v[14:15], null, s2, s22, v[0:1]
	v_mad_co_u64_u32 v[16:17], null, s4, s22, v[4:5]
	v_dual_mov_b32 v25, 0 :: v_dual_mov_b32 v28, 0
	v_mov_b32_e32 v27, 0
	v_mov_b32_e32 v29, 0
	v_dual_mov_b32 v3, v15 :: v_dual_mov_b32 v24, 0
	v_dual_mov_b32 v15, v17 :: v_dual_mov_b32 v26, 0
	s_mov_b32 s0, 0
	s_delay_alu instid0(VALU_DEP_2) | instskip(NEXT) | instid1(VALU_DEP_2)
	v_mad_co_u64_u32 v[30:31], null, s3, s22, v[3:4]
	v_mad_co_u64_u32 v[32:33], null, s5, s22, v[15:16]
	v_mov_b32_e32 v31, 0
	s_delay_alu instid0(VALU_DEP_3) | instskip(NEXT) | instid1(VALU_DEP_3)
	v_dual_mov_b32 v15, v30 :: v_dual_mov_b32 v30, 0
	v_mov_b32_e32 v17, v32
	s_branch .LBB73_11
.LBB73_10:                              ;   in Loop: Header=BB73_11 Depth=2
	s_wait_alu 0xfffe
	s_or_b32 exec_lo, exec_lo, s1
	s_wait_dscnt 0x0
	s_barrier_signal -1
	s_barrier_wait -1
	global_inv scope:SCOPE_SE
	ds_load_b128 v[32:35], v23
	ds_load_2addr_b64 v[36:39], v22 offset1:16
	ds_load_b128 v[40:43], v23 offset:1024
	ds_load_b128 v[44:47], v23 offset:16
	;; [unrolled: 1-line block ×4, first 2 shown]
	ds_load_2addr_b64 v[56:59], v22 offset0:32 offset1:48
	ds_load_b128 v[60:63], v23 offset:1040
	v_add_co_u32 v14, vcc_lo, v14, s10
	s_wait_alu 0xfffd
	v_add_co_ci_u32_e64 v15, null, s11, v15, vcc_lo
	v_add_co_u32 v16, vcc_lo, v16, s12
	s_wait_alu 0xfffd
	v_add_co_ci_u32_e64 v17, null, s13, v17, vcc_lo
	s_add_co_i32 s0, s0, 8
	s_wait_alu 0xfffe
	s_cmp_lt_i32 s0, s21
	s_wait_dscnt 0x6
	v_dual_mul_f32 v3, v33, v37 :: v_dual_mul_f32 v66, v32, v39
	v_dual_mul_f32 v64, v32, v37 :: v_dual_mul_f32 v65, v33, v39
	s_wait_dscnt 0x5
	v_mul_f32_e32 v68, v41, v39
	s_delay_alu instid0(VALU_DEP_3) | instskip(SKIP_3) | instid1(VALU_DEP_4)
	v_fma_f32 v3, v32, v36, -v3
	v_dual_mul_f32 v39, v40, v39 :: v_dual_fmac_f32 v66, v33, v38
	v_fmac_f32_e32 v64, v33, v36
	v_fma_f32 v32, v32, v38, -v65
	v_add_f32_e32 v3, v30, v3
	v_mul_f32_e32 v67, v41, v37
	s_delay_alu instid0(VALU_DEP_4) | instskip(NEXT) | instid1(VALU_DEP_4)
	v_dual_mul_f32 v37, v40, v37 :: v_dual_add_f32 v30, v31, v64
	v_add_f32_e32 v31, v28, v32
	v_fmac_f32_e32 v39, v41, v38
	s_delay_alu instid0(VALU_DEP_4) | instskip(NEXT) | instid1(VALU_DEP_4)
	v_fma_f32 v33, v40, v36, -v67
	v_fmac_f32_e32 v37, v41, v36
	v_fma_f32 v36, v40, v38, -v68
	s_wait_dscnt 0x1
	v_dual_mul_f32 v38, v34, v57 :: v_dual_add_f32 v29, v29, v66
	v_mul_f32_e32 v40, v35, v59
	v_add_f32_e32 v32, v26, v33
	v_dual_add_f32 v33, v27, v37 :: v_dual_add_f32 v36, v25, v36
	ds_load_2addr_b64 v[25:28], v22 offset0:64 offset1:80
	v_fmac_f32_e32 v38, v35, v56
	v_dual_mul_f32 v37, v35, v57 :: v_dual_add_f32 v24, v24, v39
	v_mul_f32_e32 v39, v34, v59
	s_delay_alu instid0(VALU_DEP_3) | instskip(NEXT) | instid1(VALU_DEP_3)
	v_add_f32_e32 v38, v30, v38
	v_fma_f32 v37, v34, v56, -v37
	v_fma_f32 v34, v34, v58, -v40
	v_mul_f32_e32 v30, v42, v57
	s_delay_alu instid0(VALU_DEP_3) | instskip(SKIP_1) | instid1(VALU_DEP_4)
	v_add_f32_e32 v3, v3, v37
	v_mul_f32_e32 v37, v43, v57
	v_add_f32_e32 v34, v31, v34
	v_fmac_f32_e32 v39, v35, v58
	v_mul_f32_e32 v35, v43, v59
	v_fmac_f32_e32 v30, v43, v56
	v_fma_f32 v31, v42, v56, -v37
	s_delay_alu instid0(VALU_DEP_4) | instskip(SKIP_4) | instid1(VALU_DEP_3)
	v_add_f32_e32 v37, v29, v39
	v_mul_f32_e32 v39, v42, v59
	v_fma_f32 v29, v42, v58, -v35
	s_wait_dscnt 0x0
	v_dual_add_f32 v40, v32, v31 :: v_dual_mul_f32 v31, v45, v26
	v_dual_mul_f32 v42, v45, v28 :: v_dual_fmac_f32 v39, v43, v58
	v_mul_f32_e32 v35, v44, v26
	v_add_f32_e32 v36, v36, v29
	s_delay_alu instid0(VALU_DEP_3) | instskip(SKIP_3) | instid1(VALU_DEP_2)
	v_add_f32_e32 v39, v24, v39
	v_mul_f32_e32 v24, v44, v28
	v_fma_f32 v41, v44, v25, -v31
	v_fmac_f32_e32 v35, v45, v25
	v_dual_fmac_f32 v24, v45, v27 :: v_dual_add_f32 v3, v3, v41
	v_fma_f32 v41, v44, v27, -v42
	v_add_f32_e32 v33, v33, v30
	ds_load_2addr_b64 v[29:32], v22 offset0:96 offset1:112
	v_dual_add_f32 v35, v38, v35 :: v_dual_mul_f32 v38, v61, v26
	v_mul_f32_e32 v26, v60, v26
	v_dual_add_f32 v34, v34, v41 :: v_dual_mul_f32 v41, v61, v28
	v_mul_f32_e32 v28, v60, v28
	s_delay_alu instid0(VALU_DEP_4) | instskip(NEXT) | instid1(VALU_DEP_4)
	v_fma_f32 v38, v60, v25, -v38
	v_fmac_f32_e32 v26, v61, v25
	v_add_f32_e32 v37, v37, v24
	v_fma_f32 v24, v60, v27, -v41
	v_fmac_f32_e32 v28, v61, v27
	v_add_f32_e32 v38, v40, v38
	s_delay_alu instid0(VALU_DEP_3)
	v_dual_add_f32 v40, v33, v26 :: v_dual_add_f32 v41, v36, v24
	ds_load_2addr_b64 v[24:27], v22 offset0:128 offset1:144
	s_wait_dscnt 0x1
	v_mul_f32_e32 v33, v47, v30
	v_mul_f32_e32 v36, v46, v30
	;; [unrolled: 1-line block ×4, first 2 shown]
	s_delay_alu instid0(VALU_DEP_4) | instskip(NEXT) | instid1(VALU_DEP_4)
	v_fma_f32 v33, v46, v29, -v33
	v_fmac_f32_e32 v36, v47, v29
	s_delay_alu instid0(VALU_DEP_2) | instskip(SKIP_1) | instid1(VALU_DEP_3)
	v_add_f32_e32 v3, v3, v33
	v_mul_f32_e32 v33, v63, v30
	v_dual_mul_f32 v30, v62, v30 :: v_dual_add_f32 v43, v35, v36
	s_delay_alu instid0(VALU_DEP_2) | instskip(NEXT) | instid1(VALU_DEP_2)
	v_fma_f32 v44, v62, v29, -v33
	v_fmac_f32_e32 v30, v63, v29
	s_wait_dscnt 0x0
	v_mul_f32_e32 v29, v49, v25
	v_fma_f32 v42, v46, v31, -v42
	v_add_f32_e32 v39, v39, v28
	v_mul_f32_e32 v28, v46, v32
	v_mul_f32_e32 v56, v48, v27
	s_delay_alu instid0(VALU_DEP_4) | instskip(SKIP_2) | instid1(VALU_DEP_1)
	v_add_f32_e32 v42, v34, v42
	ds_load_b128 v[33:36], v23 offset:1056
	v_dual_fmac_f32 v28, v47, v31 :: v_dual_mul_f32 v47, v48, v25
	v_add_f32_e32 v46, v37, v28
	v_fma_f32 v28, v62, v31, -v45
	v_fma_f32 v37, v48, v24, -v29
	v_mul_f32_e32 v32, v62, v32
	v_fmac_f32_e32 v47, v49, v24
	v_add_f32_e32 v44, v38, v44
	v_add_f32_e32 v41, v41, v28
	;; [unrolled: 1-line block ×4, first 2 shown]
	v_fmac_f32_e32 v32, v63, v31
	ds_load_2addr_b64 v[28:31], v22 offset0:160 offset1:176
	v_mul_f32_e32 v38, v49, v27
	v_add_f32_e32 v43, v43, v47
	v_add_f32_e32 v32, v39, v32
	s_delay_alu instid0(VALU_DEP_3)
	v_fma_f32 v48, v48, v26, -v38
	ds_load_b128 v[37:40], v23 offset:1072
	s_wait_dscnt 0x2
	v_mul_f32_e32 v57, v34, v25
	v_dual_mul_f32 v25, v33, v25 :: v_dual_add_f32 v42, v42, v48
	v_fmac_f32_e32 v56, v49, v26
	v_mul_f32_e32 v48, v34, v27
	s_delay_alu instid0(VALU_DEP_4) | instskip(NEXT) | instid1(VALU_DEP_4)
	v_fma_f32 v47, v33, v24, -v57
	v_fmac_f32_e32 v25, v34, v24
	s_delay_alu instid0(VALU_DEP_4) | instskip(SKIP_1) | instid1(VALU_DEP_3)
	v_dual_mul_f32 v49, v33, v27 :: v_dual_add_f32 v46, v46, v56
	s_wait_dscnt 0x1
	v_dual_add_f32 v44, v44, v47 :: v_dual_mul_f32 v27, v51, v29
	v_fma_f32 v24, v33, v26, -v48
	v_add_f32_e32 v33, v45, v25
	v_fmac_f32_e32 v49, v34, v26
	v_mul_f32_e32 v34, v50, v29
	v_fma_f32 v45, v50, v28, -v27
	v_add_f32_e32 v41, v41, v24
	ds_load_2addr_b64 v[24:27], v22 offset0:192 offset1:208
	v_fmac_f32_e32 v34, v51, v28
	v_dual_mul_f32 v47, v51, v31 :: v_dual_add_f32 v48, v32, v49
	v_dual_add_f32 v3, v3, v45 :: v_dual_mul_f32 v32, v50, v31
	s_delay_alu instid0(VALU_DEP_3) | instskip(NEXT) | instid1(VALU_DEP_3)
	v_dual_add_f32 v43, v43, v34 :: v_dual_mul_f32 v34, v36, v29
	v_fma_f32 v45, v50, v30, -v47
	s_delay_alu instid0(VALU_DEP_3) | instskip(NEXT) | instid1(VALU_DEP_3)
	v_fmac_f32_e32 v32, v51, v30
	v_fma_f32 v34, v35, v28, -v34
	s_delay_alu instid0(VALU_DEP_3) | instskip(SKIP_1) | instid1(VALU_DEP_3)
	v_dual_add_f32 v42, v42, v45 :: v_dual_mul_f32 v45, v36, v31
	v_mul_f32_e32 v29, v35, v29
	v_dual_mul_f32 v31, v35, v31 :: v_dual_add_f32 v44, v44, v34
	s_delay_alu instid0(VALU_DEP_2) | instskip(SKIP_2) | instid1(VALU_DEP_4)
	v_fmac_f32_e32 v29, v36, v28
	v_add_f32_e32 v28, v46, v32
	v_fma_f32 v32, v35, v30, -v45
	v_fmac_f32_e32 v31, v36, v30
	s_wait_dscnt 0x0
	v_mul_f32_e32 v36, v52, v25
	v_dual_add_f32 v29, v33, v29 :: v_dual_mul_f32 v46, v52, v27
	v_add_f32_e32 v30, v41, v32
	ds_load_2addr_b64 v[32:35], v22 offset0:224 offset1:240
	v_dual_add_f32 v31, v48, v31 :: v_dual_fmac_f32 v36, v53, v24
	v_mul_f32_e32 v45, v53, v25
	v_fmac_f32_e32 v46, v53, v26
	s_wait_loadcnt_dscnt 0x0
	s_barrier_signal -1
	v_add_f32_e32 v36, v43, v36
	v_fma_f32 v41, v52, v24, -v45
	v_mul_f32_e32 v45, v53, v27
	v_mul_f32_e32 v43, v38, v27
	;; [unrolled: 1-line block ×3, first 2 shown]
	s_barrier_wait -1
	v_add_f32_e32 v3, v3, v41
	v_fma_f32 v45, v52, v26, -v45
	v_mul_f32_e32 v41, v38, v25
	v_fmac_f32_e32 v27, v38, v26
	global_inv scope:SCOPE_SE
	v_dual_add_f32 v42, v42, v45 :: v_dual_add_f32 v45, v28, v46
	v_fma_f32 v28, v37, v26, -v43
	v_mul_f32_e32 v25, v37, v25
	s_delay_alu instid0(VALU_DEP_1) | instskip(NEXT) | instid1(VALU_DEP_3)
	v_fmac_f32_e32 v25, v38, v24
	v_add_f32_e32 v38, v30, v28
	v_mul_f32_e32 v28, v55, v35
	v_fma_f32 v41, v37, v24, -v41
	v_mul_f32_e32 v37, v55, v33
	s_delay_alu instid0(VALU_DEP_2) | instskip(NEXT) | instid1(VALU_DEP_2)
	v_add_f32_e32 v24, v44, v41
	v_fma_f32 v26, v54, v32, -v37
	v_add_f32_e32 v37, v31, v27
	v_mul_f32_e32 v27, v39, v33
	s_delay_alu instid0(VALU_DEP_3) | instskip(SKIP_4) | instid1(VALU_DEP_4)
	v_add_f32_e32 v30, v3, v26
	v_fma_f32 v3, v54, v34, -v28
	v_mul_f32_e32 v26, v40, v33
	v_add_f32_e32 v25, v29, v25
	v_mul_f32_e32 v29, v54, v35
	v_dual_fmac_f32 v27, v40, v32 :: v_dual_add_f32 v28, v42, v3
	s_delay_alu instid0(VALU_DEP_4) | instskip(SKIP_3) | instid1(VALU_DEP_4)
	v_fma_f32 v3, v39, v32, -v26
	v_mul_f32_e32 v41, v54, v33
	v_mul_f32_e32 v33, v40, v35
	;; [unrolled: 1-line block ×3, first 2 shown]
	v_dual_fmac_f32 v29, v55, v34 :: v_dual_add_f32 v26, v24, v3
	s_delay_alu instid0(VALU_DEP_4) | instskip(NEXT) | instid1(VALU_DEP_4)
	v_fmac_f32_e32 v41, v55, v32
	v_fma_f32 v32, v39, v34, -v33
	s_delay_alu instid0(VALU_DEP_4) | instskip(NEXT) | instid1(VALU_DEP_4)
	v_fmac_f32_e32 v35, v40, v34
	v_add_f32_e32 v29, v45, v29
	v_add_f32_e32 v27, v25, v27
	;; [unrolled: 1-line block ×3, first 2 shown]
	s_delay_alu instid0(VALU_DEP_4)
	v_dual_add_f32 v25, v38, v32 :: v_dual_add_f32 v24, v37, v35
	s_cbranch_scc0 .LBB73_19
.LBB73_11:                              ;   Parent Loop BB73_8 Depth=1
                                        ; =>  This Inner Loop Header: Depth=2
	s_wait_alu 0xfffe
	v_add_nc_u32_e32 v3, s0, v19
	s_delay_alu instid0(VALU_DEP_1)
	v_cmp_le_i32_e32 vcc_lo, s21, v3
	s_or_b32 s1, s26, vcc_lo
	s_wait_alu 0xfffe
	s_and_saveexec_b32 s28, s1
	s_wait_alu 0xfffe
	s_xor_b32 s1, exec_lo, s28
; %bb.12:                               ;   in Loop: Header=BB73_11 Depth=2
	v_mov_b32_e32 v3, v2
	ds_store_b64 v20, v[2:3]
; %bb.13:                               ;   in Loop: Header=BB73_11 Depth=2
	s_wait_alu 0xfffe
	s_and_not1_saveexec_b32 s1, s1
	s_cbranch_execz .LBB73_15
; %bb.14:                               ;   in Loop: Header=BB73_11 Depth=2
	global_load_b64 v[32:33], v[14:15], off
	s_wait_loadcnt 0x0
	ds_store_b64 v20, v[32:33]
.LBB73_15:                              ;   in Loop: Header=BB73_11 Depth=2
	s_wait_alu 0xfffe
	s_or_b32 exec_lo, exec_lo, s1
	v_add_nc_u32_e32 v3, s0, v18
	s_delay_alu instid0(VALU_DEP_1)
	v_cmp_le_i32_e32 vcc_lo, s21, v3
	s_or_b32 s1, vcc_lo, s27
	s_wait_alu 0xfffe
	s_and_saveexec_b32 s28, s1
	s_wait_alu 0xfffe
	s_xor_b32 s1, exec_lo, s28
; %bb.16:                               ;   in Loop: Header=BB73_11 Depth=2
	v_mov_b32_e32 v3, v2
	ds_store_b64 v21, v[2:3]
; %bb.17:                               ;   in Loop: Header=BB73_11 Depth=2
	s_wait_alu 0xfffe
	s_and_not1_saveexec_b32 s1, s1
	s_cbranch_execz .LBB73_10
; %bb.18:                               ;   in Loop: Header=BB73_11 Depth=2
	global_load_b64 v[32:33], v[16:17], off
	s_wait_loadcnt 0x0
	ds_store_b64 v21, v[32:33]
	s_branch .LBB73_10
.LBB73_19:                              ;   in Loop: Header=BB73_8 Depth=1
	s_mul_u64 s[0:1], s[24:25], s[22:23]
	s_wait_alu 0xfffe
	s_lshl_b64 s[0:1], s[0:1], 3
	s_wait_alu 0xfffe
	s_add_nc_u64 s[0:1], s[16:17], s[0:1]
	s_wait_alu 0xfffe
	v_add_co_u32 v3, vcc_lo, s0, v6
	s_wait_alu 0xfffd
	v_add_co_ci_u32_e64 v16, null, s1, v7, vcc_lo
	s_and_saveexec_b32 s28, s30
	s_cbranch_execz .LBB73_24
; %bb.20:                               ;   in Loop: Header=BB73_8 Depth=1
	v_mul_f32_e32 v15, s8, v31
	v_mul_f32_e32 v14, s9, v31
	s_and_b32 vcc_lo, exec_lo, s15
	s_mov_b32 s29, -1
	s_delay_alu instid0(VALU_DEP_2) | instskip(NEXT) | instid1(VALU_DEP_2)
	v_fmac_f32_e32 v15, s9, v30
	v_fma_f32 v14, v30, s8, -v14
	s_wait_alu 0xfffe
	s_cbranch_vccz .LBB73_22
; %bb.21:                               ;   in Loop: Header=BB73_8 Depth=1
	v_add_co_u32 v30, vcc_lo, v3, v10
	s_wait_alu 0xfffd
	v_add_co_ci_u32_e64 v31, null, v16, v11, vcc_lo
	s_mov_b32 s29, 0
	global_load_b64 v[32:33], v[30:31], off
	s_wait_loadcnt 0x0
	v_mul_f32_e32 v17, s7, v33
	v_mul_f32_e32 v33, s6, v33
	s_delay_alu instid0(VALU_DEP_2) | instskip(NEXT) | instid1(VALU_DEP_1)
	v_fma_f32 v17, v32, s6, -v17
	v_dual_fmac_f32 v33, s7, v32 :: v_dual_add_f32 v32, v14, v17
	s_delay_alu instid0(VALU_DEP_1)
	v_add_f32_e32 v33, v15, v33
	global_store_b64 v[30:31], v[32:33], off
.LBB73_22:                              ;   in Loop: Header=BB73_8 Depth=1
	s_wait_alu 0xfffe
	s_and_not1_b32 vcc_lo, exec_lo, s29
	s_wait_alu 0xfffe
	s_cbranch_vccnz .LBB73_24
; %bb.23:                               ;   in Loop: Header=BB73_8 Depth=1
	v_add_co_u32 v30, vcc_lo, v3, v10
	s_wait_alu 0xfffd
	v_add_co_ci_u32_e64 v31, null, v16, v11, vcc_lo
	global_store_b64 v[30:31], v[14:15], off
.LBB73_24:                              ;   in Loop: Header=BB73_8 Depth=1
	s_wait_alu 0xfffe
	s_or_b32 exec_lo, exec_lo, s28
	s_and_saveexec_b32 s28, s31
	s_cbranch_execz .LBB73_29
; %bb.25:                               ;   in Loop: Header=BB73_8 Depth=1
	v_mul_f32_e32 v15, s8, v29
	v_mul_f32_e32 v14, s9, v29
	s_and_not1_b32 vcc_lo, exec_lo, s15
	s_mov_b32 s29, -1
	s_delay_alu instid0(VALU_DEP_2) | instskip(NEXT) | instid1(VALU_DEP_2)
	v_fmac_f32_e32 v15, s9, v28
	v_fma_f32 v14, v28, s8, -v14
	s_wait_alu 0xfffe
	s_cbranch_vccnz .LBB73_27
; %bb.26:                               ;   in Loop: Header=BB73_8 Depth=1
	v_add_co_u32 v28, vcc_lo, v3, v12
	s_wait_alu 0xfffd
	v_add_co_ci_u32_e64 v29, null, v16, v13, vcc_lo
	s_mov_b32 s29, 0
	global_load_b64 v[30:31], v[28:29], off
	s_wait_loadcnt 0x0
	v_mul_f32_e32 v17, s7, v31
	s_delay_alu instid0(VALU_DEP_1) | instskip(SKIP_1) | instid1(VALU_DEP_1)
	v_fma_f32 v17, v30, s6, -v17
	v_mul_f32_e32 v31, s6, v31
	v_dual_fmac_f32 v31, s7, v30 :: v_dual_add_f32 v30, v14, v17
	s_delay_alu instid0(VALU_DEP_1)
	v_add_f32_e32 v31, v15, v31
	global_store_b64 v[28:29], v[30:31], off
.LBB73_27:                              ;   in Loop: Header=BB73_8 Depth=1
	s_wait_alu 0xfffe
	s_and_not1_b32 vcc_lo, exec_lo, s29
	s_wait_alu 0xfffe
	s_cbranch_vccnz .LBB73_29
; %bb.28:                               ;   in Loop: Header=BB73_8 Depth=1
	v_add_co_u32 v28, vcc_lo, v3, v12
	s_wait_alu 0xfffd
	v_add_co_ci_u32_e64 v29, null, v16, v13, vcc_lo
	global_store_b64 v[28:29], v[14:15], off
.LBB73_29:                              ;   in Loop: Header=BB73_8 Depth=1
	s_wait_alu 0xfffe
	s_or_b32 exec_lo, exec_lo, s28
	v_add_co_u32 v3, vcc_lo, s0, v8
	s_wait_alu 0xfffd
	v_add_co_ci_u32_e64 v16, null, s1, v9, vcc_lo
	s_and_saveexec_b32 s0, s18
	s_cbranch_execz .LBB73_34
; %bb.30:                               ;   in Loop: Header=BB73_8 Depth=1
	v_mul_f32_e32 v15, s8, v27
	v_mul_f32_e32 v14, s9, v27
	s_and_not1_b32 vcc_lo, exec_lo, s15
	s_mov_b32 s1, -1
	s_delay_alu instid0(VALU_DEP_2) | instskip(NEXT) | instid1(VALU_DEP_2)
	v_fmac_f32_e32 v15, s9, v26
	v_fma_f32 v14, v26, s8, -v14
	s_wait_alu 0xfffe
	s_cbranch_vccnz .LBB73_32
; %bb.31:                               ;   in Loop: Header=BB73_8 Depth=1
	v_add_co_u32 v26, vcc_lo, v3, v10
	s_wait_alu 0xfffd
	v_add_co_ci_u32_e64 v27, null, v16, v11, vcc_lo
	s_mov_b32 s1, 0
	global_load_b64 v[28:29], v[26:27], off
	s_wait_loadcnt 0x0
	v_mul_f32_e32 v17, s7, v29
	v_mul_f32_e32 v29, s6, v29
	s_delay_alu instid0(VALU_DEP_2) | instskip(NEXT) | instid1(VALU_DEP_1)
	v_fma_f32 v17, v28, s6, -v17
	v_dual_fmac_f32 v29, s7, v28 :: v_dual_add_f32 v28, v14, v17
	s_delay_alu instid0(VALU_DEP_1)
	v_add_f32_e32 v29, v15, v29
	global_store_b64 v[26:27], v[28:29], off
.LBB73_32:                              ;   in Loop: Header=BB73_8 Depth=1
	s_wait_alu 0xfffe
	s_and_not1_b32 vcc_lo, exec_lo, s1
	s_wait_alu 0xfffe
	s_cbranch_vccnz .LBB73_34
; %bb.33:                               ;   in Loop: Header=BB73_8 Depth=1
	v_add_co_u32 v26, vcc_lo, v3, v10
	s_wait_alu 0xfffd
	v_add_co_ci_u32_e64 v27, null, v16, v11, vcc_lo
	global_store_b64 v[26:27], v[14:15], off
.LBB73_34:                              ;   in Loop: Header=BB73_8 Depth=1
	s_wait_alu 0xfffe
	s_or_b32 exec_lo, exec_lo, s0
	s_and_saveexec_b32 s0, s20
	s_cbranch_execz .LBB73_7
; %bb.35:                               ;   in Loop: Header=BB73_8 Depth=1
	v_mul_f32_e32 v15, s8, v24
	v_mul_f32_e32 v14, s9, v24
	s_and_not1_b32 vcc_lo, exec_lo, s15
	s_mov_b32 s1, -1
	s_delay_alu instid0(VALU_DEP_2) | instskip(NEXT) | instid1(VALU_DEP_2)
	v_fmac_f32_e32 v15, s9, v25
	v_fma_f32 v14, v25, s8, -v14
	s_wait_alu 0xfffe
	s_cbranch_vccnz .LBB73_37
; %bb.36:                               ;   in Loop: Header=BB73_8 Depth=1
	v_add_co_u32 v24, vcc_lo, v3, v12
	s_wait_alu 0xfffd
	v_add_co_ci_u32_e64 v25, null, v16, v13, vcc_lo
	s_mov_b32 s1, 0
	global_load_b64 v[26:27], v[24:25], off
	s_wait_loadcnt 0x0
	v_mul_f32_e32 v17, s7, v27
	s_delay_alu instid0(VALU_DEP_1) | instskip(SKIP_1) | instid1(VALU_DEP_1)
	v_fma_f32 v17, v26, s6, -v17
	v_mul_f32_e32 v27, s6, v27
	v_dual_fmac_f32 v27, s7, v26 :: v_dual_add_f32 v26, v14, v17
	s_delay_alu instid0(VALU_DEP_1)
	v_add_f32_e32 v27, v15, v27
	global_store_b64 v[24:25], v[26:27], off
.LBB73_37:                              ;   in Loop: Header=BB73_8 Depth=1
	s_wait_alu 0xfffe
	s_and_not1_b32 vcc_lo, exec_lo, s1
	s_wait_alu 0xfffe
	s_cbranch_vccnz .LBB73_7
; %bb.38:                               ;   in Loop: Header=BB73_8 Depth=1
	v_add_co_u32 v24, vcc_lo, v3, v12
	s_wait_alu 0xfffd
	v_add_co_ci_u32_e64 v25, null, v16, v13, vcc_lo
	global_store_b64 v[24:25], v[14:15], off
	s_branch .LBB73_7
.LBB73_39:
	s_endpgm
	.section	.rodata,"a",@progbits
	.p2align	6, 0x0
	.amdhsa_kernel _ZL29rocblas_internal_gemmt_kernelIiLi16ELi32ELi8ELc78ELc84ELc85ELb0ELb0E19rocblas_complex_numIfEPKS1_S3_PS1_EviT_T9_T10_S5_lS7_S5_lS6_T11_S5_li
		.amdhsa_group_segment_fixed_size 4096
		.amdhsa_private_segment_fixed_size 0
		.amdhsa_kernarg_size 100
		.amdhsa_user_sgpr_count 2
		.amdhsa_user_sgpr_dispatch_ptr 0
		.amdhsa_user_sgpr_queue_ptr 0
		.amdhsa_user_sgpr_kernarg_segment_ptr 1
		.amdhsa_user_sgpr_dispatch_id 0
		.amdhsa_user_sgpr_private_segment_size 0
		.amdhsa_wavefront_size32 1
		.amdhsa_uses_dynamic_stack 0
		.amdhsa_enable_private_segment 0
		.amdhsa_system_sgpr_workgroup_id_x 1
		.amdhsa_system_sgpr_workgroup_id_y 1
		.amdhsa_system_sgpr_workgroup_id_z 1
		.amdhsa_system_sgpr_workgroup_info 0
		.amdhsa_system_vgpr_workitem_id 1
		.amdhsa_next_free_vgpr 69
		.amdhsa_next_free_sgpr 37
		.amdhsa_reserve_vcc 1
		.amdhsa_float_round_mode_32 0
		.amdhsa_float_round_mode_16_64 0
		.amdhsa_float_denorm_mode_32 3
		.amdhsa_float_denorm_mode_16_64 3
		.amdhsa_fp16_overflow 0
		.amdhsa_workgroup_processor_mode 1
		.amdhsa_memory_ordered 1
		.amdhsa_forward_progress 1
		.amdhsa_inst_pref_size 25
		.amdhsa_round_robin_scheduling 0
		.amdhsa_exception_fp_ieee_invalid_op 0
		.amdhsa_exception_fp_denorm_src 0
		.amdhsa_exception_fp_ieee_div_zero 0
		.amdhsa_exception_fp_ieee_overflow 0
		.amdhsa_exception_fp_ieee_underflow 0
		.amdhsa_exception_fp_ieee_inexact 0
		.amdhsa_exception_int_div_zero 0
	.end_amdhsa_kernel
	.section	.text._ZL29rocblas_internal_gemmt_kernelIiLi16ELi32ELi8ELc78ELc84ELc85ELb0ELb0E19rocblas_complex_numIfEPKS1_S3_PS1_EviT_T9_T10_S5_lS7_S5_lS6_T11_S5_li,"axG",@progbits,_ZL29rocblas_internal_gemmt_kernelIiLi16ELi32ELi8ELc78ELc84ELc85ELb0ELb0E19rocblas_complex_numIfEPKS1_S3_PS1_EviT_T9_T10_S5_lS7_S5_lS6_T11_S5_li,comdat
.Lfunc_end73:
	.size	_ZL29rocblas_internal_gemmt_kernelIiLi16ELi32ELi8ELc78ELc84ELc85ELb0ELb0E19rocblas_complex_numIfEPKS1_S3_PS1_EviT_T9_T10_S5_lS7_S5_lS6_T11_S5_li, .Lfunc_end73-_ZL29rocblas_internal_gemmt_kernelIiLi16ELi32ELi8ELc78ELc84ELc85ELb0ELb0E19rocblas_complex_numIfEPKS1_S3_PS1_EviT_T9_T10_S5_lS7_S5_lS6_T11_S5_li
                                        ; -- End function
	.set _ZL29rocblas_internal_gemmt_kernelIiLi16ELi32ELi8ELc78ELc84ELc85ELb0ELb0E19rocblas_complex_numIfEPKS1_S3_PS1_EviT_T9_T10_S5_lS7_S5_lS6_T11_S5_li.num_vgpr, 69
	.set _ZL29rocblas_internal_gemmt_kernelIiLi16ELi32ELi8ELc78ELc84ELc85ELb0ELb0E19rocblas_complex_numIfEPKS1_S3_PS1_EviT_T9_T10_S5_lS7_S5_lS6_T11_S5_li.num_agpr, 0
	.set _ZL29rocblas_internal_gemmt_kernelIiLi16ELi32ELi8ELc78ELc84ELc85ELb0ELb0E19rocblas_complex_numIfEPKS1_S3_PS1_EviT_T9_T10_S5_lS7_S5_lS6_T11_S5_li.numbered_sgpr, 37
	.set _ZL29rocblas_internal_gemmt_kernelIiLi16ELi32ELi8ELc78ELc84ELc85ELb0ELb0E19rocblas_complex_numIfEPKS1_S3_PS1_EviT_T9_T10_S5_lS7_S5_lS6_T11_S5_li.num_named_barrier, 0
	.set _ZL29rocblas_internal_gemmt_kernelIiLi16ELi32ELi8ELc78ELc84ELc85ELb0ELb0E19rocblas_complex_numIfEPKS1_S3_PS1_EviT_T9_T10_S5_lS7_S5_lS6_T11_S5_li.private_seg_size, 0
	.set _ZL29rocblas_internal_gemmt_kernelIiLi16ELi32ELi8ELc78ELc84ELc85ELb0ELb0E19rocblas_complex_numIfEPKS1_S3_PS1_EviT_T9_T10_S5_lS7_S5_lS6_T11_S5_li.uses_vcc, 1
	.set _ZL29rocblas_internal_gemmt_kernelIiLi16ELi32ELi8ELc78ELc84ELc85ELb0ELb0E19rocblas_complex_numIfEPKS1_S3_PS1_EviT_T9_T10_S5_lS7_S5_lS6_T11_S5_li.uses_flat_scratch, 0
	.set _ZL29rocblas_internal_gemmt_kernelIiLi16ELi32ELi8ELc78ELc84ELc85ELb0ELb0E19rocblas_complex_numIfEPKS1_S3_PS1_EviT_T9_T10_S5_lS7_S5_lS6_T11_S5_li.has_dyn_sized_stack, 0
	.set _ZL29rocblas_internal_gemmt_kernelIiLi16ELi32ELi8ELc78ELc84ELc85ELb0ELb0E19rocblas_complex_numIfEPKS1_S3_PS1_EviT_T9_T10_S5_lS7_S5_lS6_T11_S5_li.has_recursion, 0
	.set _ZL29rocblas_internal_gemmt_kernelIiLi16ELi32ELi8ELc78ELc84ELc85ELb0ELb0E19rocblas_complex_numIfEPKS1_S3_PS1_EviT_T9_T10_S5_lS7_S5_lS6_T11_S5_li.has_indirect_call, 0
	.section	.AMDGPU.csdata,"",@progbits
; Kernel info:
; codeLenInByte = 3148
; TotalNumSgprs: 39
; NumVgprs: 69
; ScratchSize: 0
; MemoryBound: 1
; FloatMode: 240
; IeeeMode: 1
; LDSByteSize: 4096 bytes/workgroup (compile time only)
; SGPRBlocks: 0
; VGPRBlocks: 8
; NumSGPRsForWavesPerEU: 39
; NumVGPRsForWavesPerEU: 69
; Occupancy: 16
; WaveLimiterHint : 0
; COMPUTE_PGM_RSRC2:SCRATCH_EN: 0
; COMPUTE_PGM_RSRC2:USER_SGPR: 2
; COMPUTE_PGM_RSRC2:TRAP_HANDLER: 0
; COMPUTE_PGM_RSRC2:TGID_X_EN: 1
; COMPUTE_PGM_RSRC2:TGID_Y_EN: 1
; COMPUTE_PGM_RSRC2:TGID_Z_EN: 1
; COMPUTE_PGM_RSRC2:TIDIG_COMP_CNT: 1
	.section	.text._ZL29rocblas_internal_gemmt_kernelIiLi16ELi32ELi8ELc78ELc67ELc85ELb0ELb1E19rocblas_complex_numIfEPKS1_S3_PS1_EviT_T9_T10_S5_lS7_S5_lS6_T11_S5_li,"axG",@progbits,_ZL29rocblas_internal_gemmt_kernelIiLi16ELi32ELi8ELc78ELc67ELc85ELb0ELb1E19rocblas_complex_numIfEPKS1_S3_PS1_EviT_T9_T10_S5_lS7_S5_lS6_T11_S5_li,comdat
	.globl	_ZL29rocblas_internal_gemmt_kernelIiLi16ELi32ELi8ELc78ELc67ELc85ELb0ELb1E19rocblas_complex_numIfEPKS1_S3_PS1_EviT_T9_T10_S5_lS7_S5_lS6_T11_S5_li ; -- Begin function _ZL29rocblas_internal_gemmt_kernelIiLi16ELi32ELi8ELc78ELc67ELc85ELb0ELb1E19rocblas_complex_numIfEPKS1_S3_PS1_EviT_T9_T10_S5_lS7_S5_lS6_T11_S5_li
	.p2align	8
	.type	_ZL29rocblas_internal_gemmt_kernelIiLi16ELi32ELi8ELc78ELc67ELc85ELb0ELb1E19rocblas_complex_numIfEPKS1_S3_PS1_EviT_T9_T10_S5_lS7_S5_lS6_T11_S5_li,@function
_ZL29rocblas_internal_gemmt_kernelIiLi16ELi32ELi8ELc78ELc67ELc85ELb0ELb1E19rocblas_complex_numIfEPKS1_S3_PS1_EviT_T9_T10_S5_lS7_S5_lS6_T11_S5_li: ; @_ZL29rocblas_internal_gemmt_kernelIiLi16ELi32ELi8ELc78ELc67ELc85ELb0ELb1E19rocblas_complex_numIfEPKS1_S3_PS1_EviT_T9_T10_S5_lS7_S5_lS6_T11_S5_li
; %bb.0:
	s_load_b128 s[4:7], s[0:1], 0x38
	s_wait_kmcnt 0x0
	s_load_b64 s[6:7], s[6:7], 0x0
	s_clause 0x1
	s_load_b128 s[8:11], s[0:1], 0x8
	s_load_b64 s[20:21], s[0:1], 0x0
	s_wait_kmcnt 0x0
	s_load_b64 s[8:9], s[8:9], 0x0
	s_cmp_eq_f32 s6, 1.0
	s_cselect_b32 s2, -1, 0
	s_and_b32 s3, s7, 0x7fffffff
	s_delay_alu instid0(SALU_CYCLE_1) | instskip(SKIP_1) | instid1(SALU_CYCLE_1)
	s_cmp_eq_u32 s3, 0
	s_cselect_b32 s3, -1, 0
	s_and_b32 s12, s2, s3
	s_mov_b32 s2, 0
	s_and_not1_b32 vcc_lo, exec_lo, s12
	s_mov_b32 s12, -1
	s_cbranch_vccnz .LBB74_4
; %bb.1:
	s_cmp_lg_u32 s21, 0
	s_cbranch_scc0 .LBB74_3
; %bb.2:
	s_wait_kmcnt 0x0
	s_cmp_neq_f32 s8, 0
	s_cselect_b32 s2, -1, 0
	s_cmp_neq_f32 s9, 0
	s_cselect_b32 s12, -1, 0
	s_delay_alu instid0(SALU_CYCLE_1)
	s_or_b32 s2, s2, s12
.LBB74_3:
	s_delay_alu instid0(SALU_CYCLE_1)
	s_mov_b32 s12, s2
.LBB74_4:
	s_delay_alu instid0(SALU_CYCLE_1)
	s_and_b32 vcc_lo, exec_lo, s12
	s_cbranch_vccz .LBB74_39
; %bb.5:
	s_load_b32 s19, s[0:1], 0x60
	s_lshr_b32 s22, ttmp7, 16
	s_wait_kmcnt 0x0
	s_cmp_ge_u32 s22, s19
	s_cbranch_scc1 .LBB74_39
; %bb.6:
	s_clause 0x2
	s_load_b32 s28, s[0:1], 0x18
	s_load_b32 s26, s[0:1], 0x30
	s_load_b128 s[12:15], s[0:1], 0x20
	v_and_b32_e32 v1, 0x3ff, v0
	v_bfe_u32 v2, v0, 10, 10
	s_clause 0x1
	s_load_b96 s[16:18], s[0:1], 0x48
	s_load_b64 s[24:25], s[0:1], 0x58
	s_lshl_b32 s0, ttmp7, 5
	v_and_b32_e32 v18, 7, v0
	s_lshl_b32 s1, ttmp9, 5
	v_lshl_add_u32 v0, v2, 4, v1
	s_and_b32 s0, s0, 0x1fffe0
	v_add_nc_u32_e32 v10, s1, v1
	v_lshlrev_b32_e32 v3, 3, v18
	v_add_nc_u32_e32 v4, s0, v2
	v_lshrrev_b32_e32 v6, 3, v0
	v_and_b32_e32 v5, 31, v0
	v_lshrrev_b32_e32 v19, 5, v0
	v_add_nc_u32_e32 v12, 16, v10
	v_lshl_add_u32 v23, v2, 6, 0x800
	v_lshl_or_b32 v3, v6, 6, v3
	s_wait_kmcnt 0x0
	s_ashr_i32 s29, s28, 31
	s_ashr_i32 s27, s26, 31
	s_cmp_neq_f32 s8, 0
	v_or_b32_e32 v0, s1, v5
	v_cmp_gt_i32_e64 s1, s20, v4
	v_add_nc_u32_e32 v21, 0x800, v3
	s_cselect_b32 s2, -1, 0
	s_cmp_neq_f32 s9, 0
	v_mad_co_i64_i32 v[2:3], null, v19, s28, 0
	v_lshlrev_b32_e32 v5, 3, v5
	s_cselect_b32 s30, -1, 0
	v_lshlrev_b32_e32 v22, 3, v1
	s_or_b32 s33, s2, s30
	s_cmp_gt_i32 s21, 0
	v_cmp_le_i32_e64 s2, v10, v4
	s_cselect_b32 s34, -1, 0
	s_cmp_neq_f32 s6, 0
	v_ashrrev_i32_e32 v1, 31, v0
	v_add_nc_u32_e32 v8, 16, v4
	v_add_nc_u32_e32 v14, s0, v6
	s_cselect_b32 s35, -1, 0
	s_and_b32 s30, s1, s2
	v_cmp_le_i32_e64 s2, v12, v4
	v_cmp_gt_i32_e32 vcc_lo, s20, v0
	v_lshl_or_b32 v20, v19, 8, v5
	v_mad_co_i64_i32 v[6:7], null, v4, s18, 0
	v_lshlrev_b64_e32 v[2:3], 3, v[2:3]
	v_lshlrev_b64_e32 v[0:1], 3, v[0:1]
	v_mad_co_i64_i32 v[4:5], null, s26, v18, 0
	s_xor_b32 s36, s3, -1
	s_and_b32 s31, s1, s2
	v_cmp_gt_i32_e64 s1, s20, v8
	v_cmp_le_i32_e64 s2, v10, v8
	v_cmp_le_i32_e64 s3, v12, v8
	v_cmp_gt_i32_e64 s0, s20, v14
	v_mad_co_i64_i32 v[8:9], null, v8, s18, 0
	s_and_b32 s18, s1, s2
	s_and_b32 s20, s1, s3
	v_add_co_u32 v0, s1, v2, v0
	s_wait_alu 0xf1ff
	v_add_co_ci_u32_e64 v1, null, v3, v1, s1
	v_lshlrev_b64_e32 v[2:3], 3, v[4:5]
	v_lshlrev_b32_e32 v4, 3, v14
	v_add_co_u32 v0, s1, s10, v0
	s_wait_alu 0xf1ff
	v_add_co_ci_u32_e64 v1, null, s11, v1, s1
	s_delay_alu instid0(VALU_DEP_3) | instskip(SKIP_3) | instid1(VALU_DEP_3)
	v_add_co_u32 v2, s1, v2, v4
	s_wait_alu 0xf1ff
	v_add_co_ci_u32_e64 v3, null, 0, v3, s1
	v_ashrrev_i32_e32 v11, 31, v10
	v_add_co_u32 v4, s1, s14, v2
	v_ashrrev_i32_e32 v13, 31, v12
	s_wait_alu 0xf1ff
	v_add_co_ci_u32_e64 v3, null, s15, v3, s1
	s_delay_alu instid0(VALU_DEP_3)
	v_add_co_u32 v4, s1, v4, 4
	v_lshlrev_b64_e32 v[6:7], 3, v[6:7]
	v_lshlrev_b64_e32 v[8:9], 3, v[8:9]
	;; [unrolled: 1-line block ×4, first 2 shown]
	v_mov_b32_e32 v2, 0
	s_wait_alu 0xf1ff
	v_add_co_ci_u32_e64 v5, null, 0, v3, s1
	s_mov_b32 s23, 0
	s_lshl_b64 s[2:3], s[12:13], 3
	s_lshl_b64 s[10:11], s[28:29], 6
	;; [unrolled: 1-line block ×3, first 2 shown]
	s_and_b32 s14, s33, s34
	s_or_b32 s15, s35, s36
	s_lshl_b64 s[12:13], s[26:27], 6
	s_xor_b32 s26, vcc_lo, -1
	s_xor_b32 s27, s0, -1
	s_branch .LBB74_8
.LBB74_7:                               ;   in Loop: Header=BB74_8 Depth=1
	s_wait_alu 0xfffe
	s_or_b32 exec_lo, exec_lo, s0
	s_add_co_i32 s22, s22, 0x10000
	s_wait_alu 0xfffe
	s_cmp_lt_u32 s22, s19
	s_cbranch_scc0 .LBB74_39
.LBB74_8:                               ; =>This Loop Header: Depth=1
                                        ;     Child Loop BB74_11 Depth 2
	v_dual_mov_b32 v30, v2 :: v_dual_mov_b32 v31, v2
	v_dual_mov_b32 v28, v2 :: v_dual_mov_b32 v29, v2
	;; [unrolled: 1-line block ×4, first 2 shown]
	s_wait_alu 0xfffe
	s_and_not1_b32 vcc_lo, exec_lo, s14
	s_wait_alu 0xfffe
	s_cbranch_vccnz .LBB74_19
; %bb.9:                                ;   in Loop: Header=BB74_8 Depth=1
	v_mad_co_u64_u32 v[14:15], null, s2, s22, v[0:1]
	v_mad_co_u64_u32 v[16:17], null, s4, s22, v[4:5]
	v_dual_mov_b32 v25, 0 :: v_dual_mov_b32 v28, 0
	v_mov_b32_e32 v27, 0
	v_mov_b32_e32 v29, 0
	v_dual_mov_b32 v3, v15 :: v_dual_mov_b32 v24, 0
	v_dual_mov_b32 v15, v17 :: v_dual_mov_b32 v26, 0
	s_mov_b32 s0, 0
	s_delay_alu instid0(VALU_DEP_2) | instskip(NEXT) | instid1(VALU_DEP_2)
	v_mad_co_u64_u32 v[30:31], null, s3, s22, v[3:4]
	v_mad_co_u64_u32 v[32:33], null, s5, s22, v[15:16]
	v_mov_b32_e32 v31, 0
	s_delay_alu instid0(VALU_DEP_3) | instskip(NEXT) | instid1(VALU_DEP_3)
	v_dual_mov_b32 v15, v30 :: v_dual_mov_b32 v30, 0
	v_mov_b32_e32 v17, v32
	s_branch .LBB74_11
.LBB74_10:                              ;   in Loop: Header=BB74_11 Depth=2
	s_or_b32 exec_lo, exec_lo, s1
	ds_store_b32 v21, v3 offset:4
	s_wait_dscnt 0x0
	s_barrier_signal -1
	s_barrier_wait -1
	global_inv scope:SCOPE_SE
	ds_load_b128 v[32:35], v23
	ds_load_2addr_b64 v[36:39], v22 offset1:16
	ds_load_b128 v[40:43], v23 offset:1024
	ds_load_b128 v[44:47], v23 offset:16
	;; [unrolled: 1-line block ×4, first 2 shown]
	ds_load_2addr_b64 v[56:59], v22 offset0:32 offset1:48
	ds_load_b128 v[60:63], v23 offset:1040
	v_add_co_u32 v14, vcc_lo, v14, s10
	s_wait_alu 0xfffd
	v_add_co_ci_u32_e64 v15, null, s11, v15, vcc_lo
	v_add_co_u32 v16, vcc_lo, v16, s12
	s_wait_alu 0xfffd
	v_add_co_ci_u32_e64 v17, null, s13, v17, vcc_lo
	s_add_co_i32 s0, s0, 8
	s_wait_alu 0xfffe
	s_cmp_lt_i32 s0, s21
	s_wait_dscnt 0x6
	v_dual_mul_f32 v3, v33, v37 :: v_dual_mul_f32 v66, v32, v39
	v_dual_mul_f32 v64, v32, v37 :: v_dual_mul_f32 v65, v33, v39
	s_wait_dscnt 0x5
	v_mul_f32_e32 v68, v41, v39
	s_delay_alu instid0(VALU_DEP_3) | instskip(SKIP_3) | instid1(VALU_DEP_4)
	v_fma_f32 v3, v32, v36, -v3
	v_dual_mul_f32 v39, v40, v39 :: v_dual_fmac_f32 v66, v33, v38
	v_fmac_f32_e32 v64, v33, v36
	v_fma_f32 v32, v32, v38, -v65
	v_add_f32_e32 v3, v30, v3
	v_mul_f32_e32 v67, v41, v37
	s_delay_alu instid0(VALU_DEP_4) | instskip(NEXT) | instid1(VALU_DEP_4)
	v_dual_mul_f32 v37, v40, v37 :: v_dual_add_f32 v30, v31, v64
	v_add_f32_e32 v31, v28, v32
	v_fma_f32 v28, v40, v38, -v68
	s_delay_alu instid0(VALU_DEP_4) | instskip(NEXT) | instid1(VALU_DEP_4)
	v_fma_f32 v33, v40, v36, -v67
	v_fmac_f32_e32 v37, v41, v36
	s_wait_dscnt 0x1
	v_dual_add_f32 v29, v29, v66 :: v_dual_mul_f32 v36, v35, v57
	v_dual_fmac_f32 v39, v41, v38 :: v_dual_mul_f32 v40, v35, v59
	v_add_f32_e32 v32, v26, v33
	v_add_f32_e32 v33, v27, v37
	v_dual_add_f32 v37, v25, v28 :: v_dual_mul_f32 v38, v34, v57
	ds_load_2addr_b64 v[25:28], v22 offset0:64 offset1:80
	v_fma_f32 v36, v34, v56, -v36
	v_add_f32_e32 v24, v24, v39
	v_dual_mul_f32 v39, v34, v59 :: v_dual_fmac_f32 v38, v35, v56
	v_fma_f32 v34, v34, v58, -v40
	s_delay_alu instid0(VALU_DEP_4) | instskip(SKIP_1) | instid1(VALU_DEP_4)
	v_add_f32_e32 v3, v3, v36
	v_mul_f32_e32 v36, v43, v57
	v_fmac_f32_e32 v39, v35, v58
	v_add_f32_e32 v38, v30, v38
	v_mul_f32_e32 v30, v42, v57
	v_add_f32_e32 v34, v31, v34
	v_fma_f32 v31, v42, v56, -v36
	v_mul_f32_e32 v35, v43, v59
	v_add_f32_e32 v36, v29, v39
	v_dual_mul_f32 v39, v42, v59 :: v_dual_fmac_f32 v30, v43, v56
	s_delay_alu instid0(VALU_DEP_4) | instskip(NEXT) | instid1(VALU_DEP_4)
	v_add_f32_e32 v40, v32, v31
	v_fma_f32 v29, v42, v58, -v35
	s_wait_dscnt 0x0
	v_mul_f32_e32 v31, v45, v26
	v_fmac_f32_e32 v39, v43, v58
	v_add_f32_e32 v33, v33, v30
	v_add_f32_e32 v37, v37, v29
	v_mul_f32_e32 v42, v45, v28
	v_fma_f32 v41, v44, v25, -v31
	ds_load_2addr_b64 v[29:32], v22 offset0:96 offset1:112
	v_add_f32_e32 v39, v24, v39
	v_mul_f32_e32 v24, v44, v28
	v_mul_f32_e32 v35, v44, v26
	v_add_f32_e32 v3, v3, v41
	v_fma_f32 v41, v44, v27, -v42
	s_delay_alu instid0(VALU_DEP_4) | instskip(NEXT) | instid1(VALU_DEP_4)
	v_fmac_f32_e32 v24, v45, v27
	v_fmac_f32_e32 v35, v45, v25
	s_delay_alu instid0(VALU_DEP_3) | instskip(NEXT) | instid1(VALU_DEP_2)
	v_dual_add_f32 v34, v34, v41 :: v_dual_mul_f32 v41, v61, v28
	v_dual_mul_f32 v28, v60, v28 :: v_dual_add_f32 v35, v38, v35
	v_mul_f32_e32 v38, v61, v26
	v_mul_f32_e32 v26, v60, v26
	v_add_f32_e32 v42, v36, v24
	v_fma_f32 v24, v60, v27, -v41
	s_delay_alu instid0(VALU_DEP_4) | instskip(SKIP_2) | instid1(VALU_DEP_3)
	v_fma_f32 v38, v60, v25, -v38
	s_wait_dscnt 0x0
	v_dual_fmac_f32 v26, v61, v25 :: v_dual_mul_f32 v41, v47, v32
	v_add_f32_e32 v37, v37, v24
	s_delay_alu instid0(VALU_DEP_3) | instskip(NEXT) | instid1(VALU_DEP_3)
	v_dual_mul_f32 v45, v63, v32 :: v_dual_add_f32 v38, v40, v38
	v_add_f32_e32 v40, v33, v26
	v_mul_f32_e32 v33, v47, v30
	v_fma_f32 v41, v46, v31, -v41
	s_delay_alu instid0(VALU_DEP_2)
	v_fma_f32 v33, v46, v29, -v33
	v_fmac_f32_e32 v28, v61, v27
	ds_load_2addr_b64 v[24:27], v22 offset0:128 offset1:144
	v_add_f32_e32 v41, v34, v41
	v_dual_add_f32 v3, v3, v33 :: v_dual_mul_f32 v36, v46, v30
	v_add_f32_e32 v39, v39, v28
	v_dual_mul_f32 v28, v46, v32 :: v_dual_mul_f32 v33, v63, v30
	v_mul_f32_e32 v30, v62, v30
	v_mul_f32_e32 v32, v62, v32
	s_delay_alu instid0(VALU_DEP_3) | instskip(NEXT) | instid1(VALU_DEP_4)
	v_fmac_f32_e32 v28, v47, v31
	v_fma_f32 v44, v62, v29, -v33
	s_delay_alu instid0(VALU_DEP_4) | instskip(SKIP_1) | instid1(VALU_DEP_4)
	v_fmac_f32_e32 v30, v63, v29
	v_fmac_f32_e32 v36, v47, v29
	v_add_f32_e32 v42, v42, v28
	v_fma_f32 v28, v62, v31, -v45
	s_wait_dscnt 0x0
	v_mul_f32_e32 v47, v48, v25
	v_dual_mul_f32 v29, v49, v25 :: v_dual_mul_f32 v56, v48, v27
	s_delay_alu instid0(VALU_DEP_2)
	v_fmac_f32_e32 v47, v49, v24
	v_add_f32_e32 v45, v40, v30
	v_add_f32_e32 v43, v35, v36
	ds_load_b128 v[33:36], v23 offset:1056
	v_fmac_f32_e32 v32, v63, v31
	v_add_f32_e32 v46, v37, v28
	v_fma_f32 v37, v48, v24, -v29
	v_add_f32_e32 v44, v38, v44
	ds_load_2addr_b64 v[28:31], v22 offset0:160 offset1:176
	v_mul_f32_e32 v38, v49, v27
	v_add_f32_e32 v32, v39, v32
	v_add_f32_e32 v3, v3, v37
	;; [unrolled: 1-line block ×3, first 2 shown]
	s_delay_alu instid0(VALU_DEP_4)
	v_fma_f32 v48, v48, v26, -v38
	ds_load_b128 v[37:40], v23 offset:1072
	v_add_f32_e32 v41, v41, v48
	s_wait_dscnt 0x2
	v_mul_f32_e32 v57, v34, v25
	v_mul_f32_e32 v25, v33, v25
	v_fmac_f32_e32 v56, v49, v26
	v_mul_f32_e32 v48, v34, v27
	v_mul_f32_e32 v49, v33, v27
	v_fma_f32 v47, v33, v24, -v57
	v_fmac_f32_e32 v25, v34, v24
	s_wait_dscnt 0x1
	v_dual_add_f32 v42, v42, v56 :: v_dual_mul_f32 v27, v51, v29
	v_fma_f32 v24, v33, v26, -v48
	v_fmac_f32_e32 v49, v34, v26
	v_mul_f32_e32 v34, v50, v29
	v_dual_add_f32 v44, v44, v47 :: v_dual_add_f32 v33, v45, v25
	v_mul_f32_e32 v47, v51, v31
	s_delay_alu instid0(VALU_DEP_3)
	v_fmac_f32_e32 v34, v51, v28
	v_dual_add_f32 v45, v46, v24 :: v_dual_add_f32 v48, v32, v49
	v_fma_f32 v46, v50, v28, -v27
	ds_load_2addr_b64 v[24:27], v22 offset0:192 offset1:208
	v_dual_mul_f32 v32, v50, v31 :: v_dual_add_f32 v43, v43, v34
	v_dual_mul_f32 v34, v36, v29 :: v_dual_add_f32 v3, v3, v46
	v_fma_f32 v46, v50, v30, -v47
	v_mul_f32_e32 v29, v35, v29
	s_delay_alu instid0(VALU_DEP_3) | instskip(NEXT) | instid1(VALU_DEP_3)
	v_fma_f32 v34, v35, v28, -v34
	v_dual_add_f32 v41, v41, v46 :: v_dual_mul_f32 v46, v36, v31
	s_delay_alu instid0(VALU_DEP_3) | instskip(NEXT) | instid1(VALU_DEP_1)
	v_dual_fmac_f32 v32, v51, v30 :: v_dual_fmac_f32 v29, v36, v28
	v_dual_mul_f32 v31, v35, v31 :: v_dual_add_f32 v28, v42, v32
	s_delay_alu instid0(VALU_DEP_3) | instskip(NEXT) | instid1(VALU_DEP_3)
	v_fma_f32 v32, v35, v30, -v46
	v_dual_add_f32 v42, v44, v34 :: v_dual_add_f32 v29, v33, v29
	s_wait_dscnt 0x0
	v_mul_f32_e32 v46, v52, v27
	v_dual_mul_f32 v44, v53, v25 :: v_dual_fmac_f32 v31, v36, v30
	v_add_f32_e32 v30, v45, v32
	ds_load_2addr_b64 v[32:35], v22 offset0:224 offset1:240
	v_dual_mul_f32 v36, v52, v25 :: v_dual_mul_f32 v45, v53, v27
	v_fma_f32 v44, v52, v24, -v44
	v_dual_fmac_f32 v46, v53, v26 :: v_dual_add_f32 v31, v48, v31
	s_delay_alu instid0(VALU_DEP_3) | instskip(NEXT) | instid1(VALU_DEP_4)
	v_fmac_f32_e32 v36, v53, v24
	v_fma_f32 v45, v52, v26, -v45
	s_delay_alu instid0(VALU_DEP_4) | instskip(SKIP_2) | instid1(VALU_DEP_3)
	v_dual_add_f32 v3, v3, v44 :: v_dual_mul_f32 v44, v38, v25
	v_mul_f32_e32 v25, v37, v25
	s_wait_loadcnt_dscnt 0x0
	v_add_f32_e32 v41, v41, v45
	v_dual_add_f32 v45, v28, v46 :: v_dual_add_f32 v36, v43, v36
	v_fma_f32 v43, v37, v24, -v44
	v_mul_f32_e32 v44, v38, v27
	v_fmac_f32_e32 v25, v38, v24
	v_mul_f32_e32 v27, v37, v27
	s_barrier_signal -1
	v_add_f32_e32 v24, v42, v43
	v_fma_f32 v28, v37, v26, -v44
	v_mul_f32_e32 v37, v55, v33
	v_mul_f32_e32 v42, v54, v33
	v_add_f32_e32 v25, v29, v25
	v_fmac_f32_e32 v27, v38, v26
	v_add_f32_e32 v38, v30, v28
	v_fma_f32 v26, v54, v32, -v37
	v_fmac_f32_e32 v42, v55, v32
	v_mul_f32_e32 v28, v55, v35
	v_mul_f32_e32 v29, v54, v35
	v_add_f32_e32 v37, v31, v27
	v_add_f32_e32 v30, v3, v26
	;; [unrolled: 1-line block ×3, first 2 shown]
	v_fma_f32 v3, v54, v34, -v28
	v_dual_mul_f32 v26, v40, v33 :: v_dual_fmac_f32 v29, v55, v34
	s_barrier_wait -1
	global_inv scope:SCOPE_SE
	v_add_f32_e32 v28, v41, v3
	v_fma_f32 v3, v39, v32, -v26
	v_mul_f32_e32 v27, v39, v33
	v_mul_f32_e32 v33, v40, v35
	;; [unrolled: 1-line block ×3, first 2 shown]
	s_delay_alu instid0(VALU_DEP_4) | instskip(NEXT) | instid1(VALU_DEP_2)
	v_dual_add_f32 v29, v45, v29 :: v_dual_add_f32 v26, v24, v3
	v_fmac_f32_e32 v35, v40, v34
	v_fmac_f32_e32 v27, v40, v32
	v_fma_f32 v32, v39, v34, -v33
	s_delay_alu instid0(VALU_DEP_3) | instskip(NEXT) | instid1(VALU_DEP_3)
	v_add_f32_e32 v24, v37, v35
	v_add_f32_e32 v27, v25, v27
	s_delay_alu instid0(VALU_DEP_3)
	v_add_f32_e32 v25, v38, v32
	s_cbranch_scc0 .LBB74_19
.LBB74_11:                              ;   Parent Loop BB74_8 Depth=1
                                        ; =>  This Inner Loop Header: Depth=2
	s_wait_alu 0xfffe
	v_add_nc_u32_e32 v3, s0, v19
	s_delay_alu instid0(VALU_DEP_1)
	v_cmp_le_i32_e32 vcc_lo, s21, v3
	s_or_b32 s1, s26, vcc_lo
	s_wait_alu 0xfffe
	s_and_saveexec_b32 s28, s1
	s_wait_alu 0xfffe
	s_xor_b32 s1, exec_lo, s28
; %bb.12:                               ;   in Loop: Header=BB74_11 Depth=2
	v_mov_b32_e32 v3, v2
	ds_store_b64 v20, v[2:3]
; %bb.13:                               ;   in Loop: Header=BB74_11 Depth=2
	s_wait_alu 0xfffe
	s_and_not1_saveexec_b32 s1, s1
	s_cbranch_execz .LBB74_15
; %bb.14:                               ;   in Loop: Header=BB74_11 Depth=2
	global_load_b64 v[32:33], v[14:15], off
	s_wait_loadcnt 0x0
	ds_store_b64 v20, v[32:33]
.LBB74_15:                              ;   in Loop: Header=BB74_11 Depth=2
	s_wait_alu 0xfffe
	s_or_b32 exec_lo, exec_lo, s1
	v_add_nc_u32_e32 v3, s0, v18
	s_delay_alu instid0(VALU_DEP_1)
	v_cmp_le_i32_e32 vcc_lo, s21, v3
	s_or_b32 s1, vcc_lo, s27
	s_wait_alu 0xfffe
	s_and_saveexec_b32 s28, s1
	s_wait_alu 0xfffe
	s_xor_b32 s1, exec_lo, s28
; %bb.16:                               ;   in Loop: Header=BB74_11 Depth=2
	ds_store_b32 v21, v2
; %bb.17:                               ;   in Loop: Header=BB74_11 Depth=2
	s_wait_alu 0xfffe
	s_or_saveexec_b32 s1, s1
	v_mov_b32_e32 v3, 0
	s_wait_alu 0xfffe
	s_xor_b32 exec_lo, exec_lo, s1
	s_cbranch_execz .LBB74_10
; %bb.18:                               ;   in Loop: Header=BB74_11 Depth=2
	global_load_b64 v[32:33], v[16:17], off offset:-4
	s_wait_loadcnt 0x0
	v_xor_b32_e32 v3, 0x80000000, v33
	ds_store_b32 v21, v32
	s_branch .LBB74_10
.LBB74_19:                              ;   in Loop: Header=BB74_8 Depth=1
	s_mul_u64 s[0:1], s[24:25], s[22:23]
	s_wait_alu 0xfffe
	s_lshl_b64 s[0:1], s[0:1], 3
	s_wait_alu 0xfffe
	s_add_nc_u64 s[0:1], s[16:17], s[0:1]
	s_wait_alu 0xfffe
	v_add_co_u32 v3, vcc_lo, s0, v6
	s_wait_alu 0xfffd
	v_add_co_ci_u32_e64 v16, null, s1, v7, vcc_lo
	s_and_saveexec_b32 s28, s30
	s_cbranch_execz .LBB74_24
; %bb.20:                               ;   in Loop: Header=BB74_8 Depth=1
	v_mul_f32_e32 v15, s8, v31
	v_mul_f32_e32 v14, s9, v31
	s_and_b32 vcc_lo, exec_lo, s15
	s_mov_b32 s29, -1
	s_delay_alu instid0(VALU_DEP_2) | instskip(NEXT) | instid1(VALU_DEP_2)
	v_fmac_f32_e32 v15, s9, v30
	v_fma_f32 v14, v30, s8, -v14
	s_wait_alu 0xfffe
	s_cbranch_vccz .LBB74_22
; %bb.21:                               ;   in Loop: Header=BB74_8 Depth=1
	v_add_co_u32 v30, vcc_lo, v3, v10
	s_wait_alu 0xfffd
	v_add_co_ci_u32_e64 v31, null, v16, v11, vcc_lo
	s_mov_b32 s29, 0
	global_load_b64 v[32:33], v[30:31], off
	s_wait_loadcnt 0x0
	v_mul_f32_e32 v17, s7, v33
	v_mul_f32_e32 v33, s6, v33
	s_delay_alu instid0(VALU_DEP_2) | instskip(NEXT) | instid1(VALU_DEP_1)
	v_fma_f32 v17, v32, s6, -v17
	v_dual_fmac_f32 v33, s7, v32 :: v_dual_add_f32 v32, v14, v17
	s_delay_alu instid0(VALU_DEP_1)
	v_add_f32_e32 v33, v15, v33
	global_store_b64 v[30:31], v[32:33], off
.LBB74_22:                              ;   in Loop: Header=BB74_8 Depth=1
	s_wait_alu 0xfffe
	s_and_not1_b32 vcc_lo, exec_lo, s29
	s_wait_alu 0xfffe
	s_cbranch_vccnz .LBB74_24
; %bb.23:                               ;   in Loop: Header=BB74_8 Depth=1
	v_add_co_u32 v30, vcc_lo, v3, v10
	s_wait_alu 0xfffd
	v_add_co_ci_u32_e64 v31, null, v16, v11, vcc_lo
	global_store_b64 v[30:31], v[14:15], off
.LBB74_24:                              ;   in Loop: Header=BB74_8 Depth=1
	s_wait_alu 0xfffe
	s_or_b32 exec_lo, exec_lo, s28
	s_and_saveexec_b32 s28, s31
	s_cbranch_execz .LBB74_29
; %bb.25:                               ;   in Loop: Header=BB74_8 Depth=1
	v_mul_f32_e32 v15, s8, v29
	v_mul_f32_e32 v14, s9, v29
	s_and_not1_b32 vcc_lo, exec_lo, s15
	s_mov_b32 s29, -1
	s_delay_alu instid0(VALU_DEP_2) | instskip(NEXT) | instid1(VALU_DEP_2)
	v_fmac_f32_e32 v15, s9, v28
	v_fma_f32 v14, v28, s8, -v14
	s_wait_alu 0xfffe
	s_cbranch_vccnz .LBB74_27
; %bb.26:                               ;   in Loop: Header=BB74_8 Depth=1
	v_add_co_u32 v28, vcc_lo, v3, v12
	s_wait_alu 0xfffd
	v_add_co_ci_u32_e64 v29, null, v16, v13, vcc_lo
	s_mov_b32 s29, 0
	global_load_b64 v[30:31], v[28:29], off
	s_wait_loadcnt 0x0
	v_mul_f32_e32 v17, s7, v31
	s_delay_alu instid0(VALU_DEP_1) | instskip(SKIP_1) | instid1(VALU_DEP_1)
	v_fma_f32 v17, v30, s6, -v17
	v_mul_f32_e32 v31, s6, v31
	v_dual_fmac_f32 v31, s7, v30 :: v_dual_add_f32 v30, v14, v17
	s_delay_alu instid0(VALU_DEP_1)
	v_add_f32_e32 v31, v15, v31
	global_store_b64 v[28:29], v[30:31], off
.LBB74_27:                              ;   in Loop: Header=BB74_8 Depth=1
	s_wait_alu 0xfffe
	s_and_not1_b32 vcc_lo, exec_lo, s29
	s_wait_alu 0xfffe
	s_cbranch_vccnz .LBB74_29
; %bb.28:                               ;   in Loop: Header=BB74_8 Depth=1
	v_add_co_u32 v28, vcc_lo, v3, v12
	s_wait_alu 0xfffd
	v_add_co_ci_u32_e64 v29, null, v16, v13, vcc_lo
	global_store_b64 v[28:29], v[14:15], off
.LBB74_29:                              ;   in Loop: Header=BB74_8 Depth=1
	s_wait_alu 0xfffe
	s_or_b32 exec_lo, exec_lo, s28
	v_add_co_u32 v3, vcc_lo, s0, v8
	s_wait_alu 0xfffd
	v_add_co_ci_u32_e64 v16, null, s1, v9, vcc_lo
	s_and_saveexec_b32 s0, s18
	s_cbranch_execz .LBB74_34
; %bb.30:                               ;   in Loop: Header=BB74_8 Depth=1
	v_mul_f32_e32 v15, s8, v27
	v_mul_f32_e32 v14, s9, v27
	s_and_not1_b32 vcc_lo, exec_lo, s15
	s_mov_b32 s1, -1
	s_delay_alu instid0(VALU_DEP_2) | instskip(NEXT) | instid1(VALU_DEP_2)
	v_fmac_f32_e32 v15, s9, v26
	v_fma_f32 v14, v26, s8, -v14
	s_wait_alu 0xfffe
	s_cbranch_vccnz .LBB74_32
; %bb.31:                               ;   in Loop: Header=BB74_8 Depth=1
	v_add_co_u32 v26, vcc_lo, v3, v10
	s_wait_alu 0xfffd
	v_add_co_ci_u32_e64 v27, null, v16, v11, vcc_lo
	s_mov_b32 s1, 0
	global_load_b64 v[28:29], v[26:27], off
	s_wait_loadcnt 0x0
	v_mul_f32_e32 v17, s7, v29
	v_mul_f32_e32 v29, s6, v29
	s_delay_alu instid0(VALU_DEP_2) | instskip(NEXT) | instid1(VALU_DEP_1)
	v_fma_f32 v17, v28, s6, -v17
	v_dual_fmac_f32 v29, s7, v28 :: v_dual_add_f32 v28, v14, v17
	s_delay_alu instid0(VALU_DEP_1)
	v_add_f32_e32 v29, v15, v29
	global_store_b64 v[26:27], v[28:29], off
.LBB74_32:                              ;   in Loop: Header=BB74_8 Depth=1
	s_wait_alu 0xfffe
	s_and_not1_b32 vcc_lo, exec_lo, s1
	s_wait_alu 0xfffe
	s_cbranch_vccnz .LBB74_34
; %bb.33:                               ;   in Loop: Header=BB74_8 Depth=1
	v_add_co_u32 v26, vcc_lo, v3, v10
	s_wait_alu 0xfffd
	v_add_co_ci_u32_e64 v27, null, v16, v11, vcc_lo
	global_store_b64 v[26:27], v[14:15], off
.LBB74_34:                              ;   in Loop: Header=BB74_8 Depth=1
	s_wait_alu 0xfffe
	s_or_b32 exec_lo, exec_lo, s0
	s_and_saveexec_b32 s0, s20
	s_cbranch_execz .LBB74_7
; %bb.35:                               ;   in Loop: Header=BB74_8 Depth=1
	v_mul_f32_e32 v15, s8, v24
	v_mul_f32_e32 v14, s9, v24
	s_and_not1_b32 vcc_lo, exec_lo, s15
	s_mov_b32 s1, -1
	s_delay_alu instid0(VALU_DEP_2) | instskip(NEXT) | instid1(VALU_DEP_2)
	v_fmac_f32_e32 v15, s9, v25
	v_fma_f32 v14, v25, s8, -v14
	s_wait_alu 0xfffe
	s_cbranch_vccnz .LBB74_37
; %bb.36:                               ;   in Loop: Header=BB74_8 Depth=1
	v_add_co_u32 v24, vcc_lo, v3, v12
	s_wait_alu 0xfffd
	v_add_co_ci_u32_e64 v25, null, v16, v13, vcc_lo
	s_mov_b32 s1, 0
	global_load_b64 v[26:27], v[24:25], off
	s_wait_loadcnt 0x0
	v_mul_f32_e32 v17, s7, v27
	s_delay_alu instid0(VALU_DEP_1) | instskip(SKIP_1) | instid1(VALU_DEP_1)
	v_fma_f32 v17, v26, s6, -v17
	v_mul_f32_e32 v27, s6, v27
	v_dual_fmac_f32 v27, s7, v26 :: v_dual_add_f32 v26, v14, v17
	s_delay_alu instid0(VALU_DEP_1)
	v_add_f32_e32 v27, v15, v27
	global_store_b64 v[24:25], v[26:27], off
.LBB74_37:                              ;   in Loop: Header=BB74_8 Depth=1
	s_wait_alu 0xfffe
	s_and_not1_b32 vcc_lo, exec_lo, s1
	s_wait_alu 0xfffe
	s_cbranch_vccnz .LBB74_7
; %bb.38:                               ;   in Loop: Header=BB74_8 Depth=1
	v_add_co_u32 v24, vcc_lo, v3, v12
	s_wait_alu 0xfffd
	v_add_co_ci_u32_e64 v25, null, v16, v13, vcc_lo
	global_store_b64 v[24:25], v[14:15], off
	s_branch .LBB74_7
.LBB74_39:
	s_endpgm
	.section	.rodata,"a",@progbits
	.p2align	6, 0x0
	.amdhsa_kernel _ZL29rocblas_internal_gemmt_kernelIiLi16ELi32ELi8ELc78ELc67ELc85ELb0ELb1E19rocblas_complex_numIfEPKS1_S3_PS1_EviT_T9_T10_S5_lS7_S5_lS6_T11_S5_li
		.amdhsa_group_segment_fixed_size 4096
		.amdhsa_private_segment_fixed_size 0
		.amdhsa_kernarg_size 100
		.amdhsa_user_sgpr_count 2
		.amdhsa_user_sgpr_dispatch_ptr 0
		.amdhsa_user_sgpr_queue_ptr 0
		.amdhsa_user_sgpr_kernarg_segment_ptr 1
		.amdhsa_user_sgpr_dispatch_id 0
		.amdhsa_user_sgpr_private_segment_size 0
		.amdhsa_wavefront_size32 1
		.amdhsa_uses_dynamic_stack 0
		.amdhsa_enable_private_segment 0
		.amdhsa_system_sgpr_workgroup_id_x 1
		.amdhsa_system_sgpr_workgroup_id_y 1
		.amdhsa_system_sgpr_workgroup_id_z 1
		.amdhsa_system_sgpr_workgroup_info 0
		.amdhsa_system_vgpr_workitem_id 1
		.amdhsa_next_free_vgpr 69
		.amdhsa_next_free_sgpr 37
		.amdhsa_reserve_vcc 1
		.amdhsa_float_round_mode_32 0
		.amdhsa_float_round_mode_16_64 0
		.amdhsa_float_denorm_mode_32 3
		.amdhsa_float_denorm_mode_16_64 3
		.amdhsa_fp16_overflow 0
		.amdhsa_workgroup_processor_mode 1
		.amdhsa_memory_ordered 1
		.amdhsa_forward_progress 1
		.amdhsa_inst_pref_size 25
		.amdhsa_round_robin_scheduling 0
		.amdhsa_exception_fp_ieee_invalid_op 0
		.amdhsa_exception_fp_denorm_src 0
		.amdhsa_exception_fp_ieee_div_zero 0
		.amdhsa_exception_fp_ieee_overflow 0
		.amdhsa_exception_fp_ieee_underflow 0
		.amdhsa_exception_fp_ieee_inexact 0
		.amdhsa_exception_int_div_zero 0
	.end_amdhsa_kernel
	.section	.text._ZL29rocblas_internal_gemmt_kernelIiLi16ELi32ELi8ELc78ELc67ELc85ELb0ELb1E19rocblas_complex_numIfEPKS1_S3_PS1_EviT_T9_T10_S5_lS7_S5_lS6_T11_S5_li,"axG",@progbits,_ZL29rocblas_internal_gemmt_kernelIiLi16ELi32ELi8ELc78ELc67ELc85ELb0ELb1E19rocblas_complex_numIfEPKS1_S3_PS1_EviT_T9_T10_S5_lS7_S5_lS6_T11_S5_li,comdat
.Lfunc_end74:
	.size	_ZL29rocblas_internal_gemmt_kernelIiLi16ELi32ELi8ELc78ELc67ELc85ELb0ELb1E19rocblas_complex_numIfEPKS1_S3_PS1_EviT_T9_T10_S5_lS7_S5_lS6_T11_S5_li, .Lfunc_end74-_ZL29rocblas_internal_gemmt_kernelIiLi16ELi32ELi8ELc78ELc67ELc85ELb0ELb1E19rocblas_complex_numIfEPKS1_S3_PS1_EviT_T9_T10_S5_lS7_S5_lS6_T11_S5_li
                                        ; -- End function
	.set _ZL29rocblas_internal_gemmt_kernelIiLi16ELi32ELi8ELc78ELc67ELc85ELb0ELb1E19rocblas_complex_numIfEPKS1_S3_PS1_EviT_T9_T10_S5_lS7_S5_lS6_T11_S5_li.num_vgpr, 69
	.set _ZL29rocblas_internal_gemmt_kernelIiLi16ELi32ELi8ELc78ELc67ELc85ELb0ELb1E19rocblas_complex_numIfEPKS1_S3_PS1_EviT_T9_T10_S5_lS7_S5_lS6_T11_S5_li.num_agpr, 0
	.set _ZL29rocblas_internal_gemmt_kernelIiLi16ELi32ELi8ELc78ELc67ELc85ELb0ELb1E19rocblas_complex_numIfEPKS1_S3_PS1_EviT_T9_T10_S5_lS7_S5_lS6_T11_S5_li.numbered_sgpr, 37
	.set _ZL29rocblas_internal_gemmt_kernelIiLi16ELi32ELi8ELc78ELc67ELc85ELb0ELb1E19rocblas_complex_numIfEPKS1_S3_PS1_EviT_T9_T10_S5_lS7_S5_lS6_T11_S5_li.num_named_barrier, 0
	.set _ZL29rocblas_internal_gemmt_kernelIiLi16ELi32ELi8ELc78ELc67ELc85ELb0ELb1E19rocblas_complex_numIfEPKS1_S3_PS1_EviT_T9_T10_S5_lS7_S5_lS6_T11_S5_li.private_seg_size, 0
	.set _ZL29rocblas_internal_gemmt_kernelIiLi16ELi32ELi8ELc78ELc67ELc85ELb0ELb1E19rocblas_complex_numIfEPKS1_S3_PS1_EviT_T9_T10_S5_lS7_S5_lS6_T11_S5_li.uses_vcc, 1
	.set _ZL29rocblas_internal_gemmt_kernelIiLi16ELi32ELi8ELc78ELc67ELc85ELb0ELb1E19rocblas_complex_numIfEPKS1_S3_PS1_EviT_T9_T10_S5_lS7_S5_lS6_T11_S5_li.uses_flat_scratch, 0
	.set _ZL29rocblas_internal_gemmt_kernelIiLi16ELi32ELi8ELc78ELc67ELc85ELb0ELb1E19rocblas_complex_numIfEPKS1_S3_PS1_EviT_T9_T10_S5_lS7_S5_lS6_T11_S5_li.has_dyn_sized_stack, 0
	.set _ZL29rocblas_internal_gemmt_kernelIiLi16ELi32ELi8ELc78ELc67ELc85ELb0ELb1E19rocblas_complex_numIfEPKS1_S3_PS1_EviT_T9_T10_S5_lS7_S5_lS6_T11_S5_li.has_recursion, 0
	.set _ZL29rocblas_internal_gemmt_kernelIiLi16ELi32ELi8ELc78ELc67ELc85ELb0ELb1E19rocblas_complex_numIfEPKS1_S3_PS1_EviT_T9_T10_S5_lS7_S5_lS6_T11_S5_li.has_indirect_call, 0
	.section	.AMDGPU.csdata,"",@progbits
; Kernel info:
; codeLenInByte = 3176
; TotalNumSgprs: 39
; NumVgprs: 69
; ScratchSize: 0
; MemoryBound: 1
; FloatMode: 240
; IeeeMode: 1
; LDSByteSize: 4096 bytes/workgroup (compile time only)
; SGPRBlocks: 0
; VGPRBlocks: 8
; NumSGPRsForWavesPerEU: 39
; NumVGPRsForWavesPerEU: 69
; Occupancy: 16
; WaveLimiterHint : 0
; COMPUTE_PGM_RSRC2:SCRATCH_EN: 0
; COMPUTE_PGM_RSRC2:USER_SGPR: 2
; COMPUTE_PGM_RSRC2:TRAP_HANDLER: 0
; COMPUTE_PGM_RSRC2:TGID_X_EN: 1
; COMPUTE_PGM_RSRC2:TGID_Y_EN: 1
; COMPUTE_PGM_RSRC2:TGID_Z_EN: 1
; COMPUTE_PGM_RSRC2:TIDIG_COMP_CNT: 1
	.section	.text._ZL29rocblas_internal_gemmt_kernelIiLi16ELi32ELi8ELc84ELc78ELc85ELb0ELb0E19rocblas_complex_numIfEPKS1_S3_PS1_EviT_T9_T10_S5_lS7_S5_lS6_T11_S5_li,"axG",@progbits,_ZL29rocblas_internal_gemmt_kernelIiLi16ELi32ELi8ELc84ELc78ELc85ELb0ELb0E19rocblas_complex_numIfEPKS1_S3_PS1_EviT_T9_T10_S5_lS7_S5_lS6_T11_S5_li,comdat
	.globl	_ZL29rocblas_internal_gemmt_kernelIiLi16ELi32ELi8ELc84ELc78ELc85ELb0ELb0E19rocblas_complex_numIfEPKS1_S3_PS1_EviT_T9_T10_S5_lS7_S5_lS6_T11_S5_li ; -- Begin function _ZL29rocblas_internal_gemmt_kernelIiLi16ELi32ELi8ELc84ELc78ELc85ELb0ELb0E19rocblas_complex_numIfEPKS1_S3_PS1_EviT_T9_T10_S5_lS7_S5_lS6_T11_S5_li
	.p2align	8
	.type	_ZL29rocblas_internal_gemmt_kernelIiLi16ELi32ELi8ELc84ELc78ELc85ELb0ELb0E19rocblas_complex_numIfEPKS1_S3_PS1_EviT_T9_T10_S5_lS7_S5_lS6_T11_S5_li,@function
_ZL29rocblas_internal_gemmt_kernelIiLi16ELi32ELi8ELc84ELc78ELc85ELb0ELb0E19rocblas_complex_numIfEPKS1_S3_PS1_EviT_T9_T10_S5_lS7_S5_lS6_T11_S5_li: ; @_ZL29rocblas_internal_gemmt_kernelIiLi16ELi32ELi8ELc84ELc78ELc85ELb0ELb0E19rocblas_complex_numIfEPKS1_S3_PS1_EviT_T9_T10_S5_lS7_S5_lS6_T11_S5_li
; %bb.0:
	s_load_b128 s[4:7], s[0:1], 0x38
	s_wait_kmcnt 0x0
	s_load_b64 s[6:7], s[6:7], 0x0
	s_clause 0x1
	s_load_b128 s[8:11], s[0:1], 0x8
	s_load_b64 s[20:21], s[0:1], 0x0
	s_wait_kmcnt 0x0
	s_load_b64 s[8:9], s[8:9], 0x0
	s_cmp_eq_f32 s6, 1.0
	s_cselect_b32 s2, -1, 0
	s_and_b32 s3, s7, 0x7fffffff
	s_delay_alu instid0(SALU_CYCLE_1) | instskip(SKIP_1) | instid1(SALU_CYCLE_1)
	s_cmp_eq_u32 s3, 0
	s_cselect_b32 s3, -1, 0
	s_and_b32 s12, s2, s3
	s_mov_b32 s2, 0
	s_and_not1_b32 vcc_lo, exec_lo, s12
	s_mov_b32 s12, -1
	s_cbranch_vccnz .LBB75_4
; %bb.1:
	s_cmp_lg_u32 s21, 0
	s_cbranch_scc0 .LBB75_3
; %bb.2:
	s_wait_kmcnt 0x0
	s_cmp_neq_f32 s8, 0
	s_cselect_b32 s2, -1, 0
	s_cmp_neq_f32 s9, 0
	s_cselect_b32 s12, -1, 0
	s_delay_alu instid0(SALU_CYCLE_1)
	s_or_b32 s2, s2, s12
.LBB75_3:
	s_delay_alu instid0(SALU_CYCLE_1)
	s_mov_b32 s12, s2
.LBB75_4:
	s_delay_alu instid0(SALU_CYCLE_1)
	s_and_b32 vcc_lo, exec_lo, s12
	s_cbranch_vccz .LBB75_39
; %bb.5:
	s_load_b32 s19, s[0:1], 0x60
	s_lshr_b32 s22, ttmp7, 16
	s_wait_kmcnt 0x0
	s_cmp_ge_u32 s22, s19
	s_cbranch_scc1 .LBB75_39
; %bb.6:
	v_and_b32_e32 v1, 0x3ff, v0
	v_bfe_u32 v2, v0, 10, 10
	v_and_b32_e32 v18, 7, v0
	s_lshl_b32 s2, ttmp7, 5
	s_clause 0x4
	s_load_b32 s27, s[0:1], 0x18
	s_load_b128 s[12:15], s[0:1], 0x20
	s_load_b32 s28, s[0:1], 0x30
	s_load_b96 s[16:18], s[0:1], 0x48
	s_load_b64 s[24:25], s[0:1], 0x58
	v_lshl_add_u32 v0, v2, 4, v1
	s_lshl_b32 s26, ttmp9, 5
	s_and_b32 s2, s2, 0x1fffe0
	s_cmp_neq_f32 s8, 0
	v_add_nc_u32_e32 v10, s26, v1
	v_lshrrev_b32_e32 v19, 5, v0
	v_lshrrev_b32_e32 v3, 3, v0
	v_and_b32_e32 v0, 31, v0
	s_cselect_b32 s29, -1, 0
	s_cmp_neq_f32 s9, 0
	v_add_nc_u32_e32 v12, 16, v10
	v_add_nc_u32_e32 v5, s2, v3
	v_or_b32_e32 v4, s26, v0
	v_lshlrev_b32_e32 v0, 3, v0
	s_cselect_b32 s0, -1, 0
	v_lshlrev_b32_e32 v14, 3, v18
	s_or_b32 s29, s29, s0
	s_cmp_gt_i32 s21, 0
	v_lshl_or_b32 v20, v19, 8, v0
	v_add_nc_u32_e32 v0, s2, v2
	s_cselect_b32 s30, -1, 0
	s_cmp_neq_f32 s6, 0
	v_lshlrev_b32_e32 v22, 3, v1
	v_lshl_add_u32 v23, v2, 6, 0x800
	v_cmp_gt_i32_e64 s1, s20, v0
	v_cmp_le_i32_e64 s2, v10, v0
	s_cselect_b32 s31, -1, 0
	s_wait_kmcnt 0x0
	v_mad_co_i64_i32 v[6:7], null, v0, s18, 0
	v_add_nc_u32_e32 v2, 16, v0
	s_and_b32 s26, s1, s2
	v_cmp_le_i32_e64 s2, v12, v0
	v_mad_co_i64_i32 v[0:1], null, s27, v4, 0
	v_lshl_or_b32 v3, v3, 6, v14
	v_cmp_gt_i32_e32 vcc_lo, s20, v4
	s_xor_b32 s33, s3, -1
	s_and_b32 s27, s1, s2
	v_cmp_gt_i32_e64 s1, s20, v2
	v_add_nc_u32_e32 v21, 0x800, v3
	v_mad_co_i64_i32 v[3:4], null, s28, v5, 0
	v_mad_co_i64_i32 v[8:9], null, v2, s18, 0
	v_cmp_le_i32_e64 s2, v10, v2
	v_cmp_le_i32_e64 s3, v12, v2
	v_lshlrev_b64_e32 v[1:2], 3, v[0:1]
	v_lshlrev_b32_e32 v15, 3, v19
	v_cmp_gt_i32_e64 s0, s20, v5
	s_and_b32 s18, s1, s2
	s_and_b32 s20, s1, s3
	v_lshlrev_b64_e32 v[4:5], 3, v[3:4]
	v_add_co_u32 v1, s1, v1, v15
	s_delay_alu instid0(VALU_DEP_1) | instskip(SKIP_1) | instid1(VALU_DEP_3)
	v_add_co_ci_u32_e64 v15, null, 0, v2, s1
	v_ashrrev_i32_e32 v11, 31, v10
	v_add_co_u32 v2, s1, s10, v1
	s_wait_alu 0xf1ff
	s_delay_alu instid0(VALU_DEP_3) | instskip(SKIP_4) | instid1(VALU_DEP_3)
	v_add_co_ci_u32_e64 v3, null, s11, v15, s1
	v_add_co_u32 v1, s1, v4, v14
	v_ashrrev_i32_e32 v13, 31, v12
	s_wait_alu 0xf1ff
	v_add_co_ci_u32_e64 v5, null, 0, v5, s1
	v_add_co_u32 v4, s1, s14, v1
	v_lshlrev_b64_e32 v[6:7], 3, v[6:7]
	v_lshlrev_b64_e32 v[8:9], 3, v[8:9]
	;; [unrolled: 1-line block ×4, first 2 shown]
	v_mov_b32_e32 v0, 0
	s_wait_alu 0xf1ff
	v_add_co_ci_u32_e64 v5, null, s15, v5, s1
	s_mov_b32 s23, 0
	s_lshl_b64 s[2:3], s[12:13], 3
	s_and_b32 s10, s29, s30
	s_or_b32 s11, s31, s33
	s_lshl_b64 s[4:5], s[4:5], 3
	s_xor_b32 s12, vcc_lo, -1
	s_xor_b32 s13, s0, -1
	s_branch .LBB75_8
.LBB75_7:                               ;   in Loop: Header=BB75_8 Depth=1
	s_wait_alu 0xfffe
	s_or_b32 exec_lo, exec_lo, s0
	s_add_co_i32 s22, s22, 0x10000
	s_wait_alu 0xfffe
	s_cmp_lt_u32 s22, s19
	s_cbranch_scc0 .LBB75_39
.LBB75_8:                               ; =>This Loop Header: Depth=1
                                        ;     Child Loop BB75_11 Depth 2
	v_dual_mov_b32 v30, v0 :: v_dual_mov_b32 v31, v0
	v_dual_mov_b32 v28, v0 :: v_dual_mov_b32 v29, v0
	;; [unrolled: 1-line block ×4, first 2 shown]
	s_wait_alu 0xfffe
	s_and_not1_b32 vcc_lo, exec_lo, s10
	s_wait_alu 0xfffe
	s_cbranch_vccnz .LBB75_19
; %bb.9:                                ;   in Loop: Header=BB75_8 Depth=1
	v_mad_co_u64_u32 v[14:15], null, s2, s22, v[2:3]
	v_mad_co_u64_u32 v[16:17], null, s4, s22, v[4:5]
	v_dual_mov_b32 v25, 0 :: v_dual_mov_b32 v28, 0
	v_mov_b32_e32 v27, 0
	v_mov_b32_e32 v29, 0
	v_dual_mov_b32 v1, v15 :: v_dual_mov_b32 v24, 0
	v_dual_mov_b32 v15, v17 :: v_dual_mov_b32 v26, 0
	s_mov_b32 s0, 0
	s_delay_alu instid0(VALU_DEP_2) | instskip(NEXT) | instid1(VALU_DEP_2)
	v_mad_co_u64_u32 v[30:31], null, s3, s22, v[1:2]
	v_mad_co_u64_u32 v[32:33], null, s5, s22, v[15:16]
	v_mov_b32_e32 v31, 0
	s_delay_alu instid0(VALU_DEP_3) | instskip(NEXT) | instid1(VALU_DEP_3)
	v_dual_mov_b32 v15, v30 :: v_dual_mov_b32 v30, 0
	v_mov_b32_e32 v17, v32
	s_branch .LBB75_11
.LBB75_10:                              ;   in Loop: Header=BB75_11 Depth=2
	s_wait_alu 0xfffe
	s_or_b32 exec_lo, exec_lo, s1
	s_wait_dscnt 0x0
	s_barrier_signal -1
	s_barrier_wait -1
	global_inv scope:SCOPE_SE
	ds_load_b128 v[32:35], v23
	ds_load_2addr_b64 v[36:39], v22 offset1:16
	ds_load_b128 v[40:43], v23 offset:1024
	ds_load_b128 v[44:47], v23 offset:16
	;; [unrolled: 1-line block ×4, first 2 shown]
	ds_load_2addr_b64 v[56:59], v22 offset0:32 offset1:48
	ds_load_b128 v[60:63], v23 offset:1040
	v_add_co_u32 v14, vcc_lo, v14, 64
	s_wait_alu 0xfffd
	v_add_co_ci_u32_e64 v15, null, 0, v15, vcc_lo
	v_add_co_u32 v16, vcc_lo, v16, 64
	s_wait_alu 0xfffd
	v_add_co_ci_u32_e64 v17, null, 0, v17, vcc_lo
	s_add_co_i32 s0, s0, 8
	s_wait_alu 0xfffe
	s_cmp_lt_i32 s0, s21
	s_wait_dscnt 0x6
	v_dual_mul_f32 v1, v33, v37 :: v_dual_mul_f32 v66, v32, v39
	v_dual_mul_f32 v64, v32, v37 :: v_dual_mul_f32 v65, v33, v39
	s_wait_dscnt 0x5
	v_mul_f32_e32 v68, v41, v39
	s_delay_alu instid0(VALU_DEP_3) | instskip(SKIP_3) | instid1(VALU_DEP_4)
	v_fma_f32 v1, v32, v36, -v1
	v_dual_mul_f32 v39, v40, v39 :: v_dual_fmac_f32 v66, v33, v38
	v_fmac_f32_e32 v64, v33, v36
	v_fma_f32 v32, v32, v38, -v65
	v_add_f32_e32 v1, v30, v1
	v_mul_f32_e32 v67, v41, v37
	s_delay_alu instid0(VALU_DEP_4) | instskip(NEXT) | instid1(VALU_DEP_4)
	v_dual_mul_f32 v37, v40, v37 :: v_dual_add_f32 v30, v31, v64
	v_add_f32_e32 v31, v28, v32
	v_fmac_f32_e32 v39, v41, v38
	s_delay_alu instid0(VALU_DEP_4) | instskip(NEXT) | instid1(VALU_DEP_4)
	v_fma_f32 v33, v40, v36, -v67
	v_fmac_f32_e32 v37, v41, v36
	v_fma_f32 v36, v40, v38, -v68
	s_wait_dscnt 0x1
	v_dual_mul_f32 v38, v34, v57 :: v_dual_add_f32 v29, v29, v66
	v_mul_f32_e32 v40, v35, v59
	v_add_f32_e32 v32, v26, v33
	v_dual_add_f32 v33, v27, v37 :: v_dual_add_f32 v36, v25, v36
	ds_load_2addr_b64 v[25:28], v22 offset0:64 offset1:80
	v_fmac_f32_e32 v38, v35, v56
	v_dual_mul_f32 v37, v35, v57 :: v_dual_add_f32 v24, v24, v39
	v_mul_f32_e32 v39, v34, v59
	s_delay_alu instid0(VALU_DEP_3) | instskip(NEXT) | instid1(VALU_DEP_3)
	v_add_f32_e32 v38, v30, v38
	v_fma_f32 v37, v34, v56, -v37
	v_fma_f32 v34, v34, v58, -v40
	v_mul_f32_e32 v30, v42, v57
	s_delay_alu instid0(VALU_DEP_3) | instskip(SKIP_1) | instid1(VALU_DEP_4)
	v_add_f32_e32 v1, v1, v37
	v_mul_f32_e32 v37, v43, v57
	v_add_f32_e32 v34, v31, v34
	v_fmac_f32_e32 v39, v35, v58
	v_mul_f32_e32 v35, v43, v59
	v_fmac_f32_e32 v30, v43, v56
	v_fma_f32 v31, v42, v56, -v37
	s_delay_alu instid0(VALU_DEP_4) | instskip(SKIP_4) | instid1(VALU_DEP_3)
	v_add_f32_e32 v37, v29, v39
	v_mul_f32_e32 v39, v42, v59
	v_fma_f32 v29, v42, v58, -v35
	s_wait_dscnt 0x0
	v_dual_add_f32 v40, v32, v31 :: v_dual_mul_f32 v31, v45, v26
	v_dual_mul_f32 v42, v45, v28 :: v_dual_fmac_f32 v39, v43, v58
	v_mul_f32_e32 v35, v44, v26
	v_add_f32_e32 v36, v36, v29
	s_delay_alu instid0(VALU_DEP_3) | instskip(SKIP_3) | instid1(VALU_DEP_3)
	v_add_f32_e32 v39, v24, v39
	v_mul_f32_e32 v24, v44, v28
	v_fma_f32 v41, v44, v25, -v31
	v_fmac_f32_e32 v35, v45, v25
	v_fmac_f32_e32 v24, v45, v27
	s_delay_alu instid0(VALU_DEP_3)
	v_add_f32_e32 v1, v1, v41
	v_fma_f32 v41, v44, v27, -v42
	v_add_f32_e32 v33, v33, v30
	ds_load_2addr_b64 v[29:32], v22 offset0:96 offset1:112
	v_dual_add_f32 v35, v38, v35 :: v_dual_mul_f32 v38, v61, v26
	v_mul_f32_e32 v26, v60, v26
	v_dual_add_f32 v34, v34, v41 :: v_dual_mul_f32 v41, v61, v28
	v_mul_f32_e32 v28, v60, v28
	s_delay_alu instid0(VALU_DEP_4) | instskip(NEXT) | instid1(VALU_DEP_4)
	v_fma_f32 v38, v60, v25, -v38
	v_fmac_f32_e32 v26, v61, v25
	v_add_f32_e32 v37, v37, v24
	v_fma_f32 v24, v60, v27, -v41
	v_fmac_f32_e32 v28, v61, v27
	v_add_f32_e32 v38, v40, v38
	s_delay_alu instid0(VALU_DEP_3) | instskip(SKIP_4) | instid1(VALU_DEP_2)
	v_dual_add_f32 v40, v33, v26 :: v_dual_add_f32 v41, v36, v24
	ds_load_2addr_b64 v[24:27], v22 offset0:128 offset1:144
	s_wait_dscnt 0x1
	v_mul_f32_e32 v33, v47, v30
	v_dual_mul_f32 v36, v46, v30 :: v_dual_mul_f32 v45, v63, v32
	v_fma_f32 v33, v46, v29, -v33
	v_mul_f32_e32 v42, v47, v32
	s_delay_alu instid0(VALU_DEP_3) | instskip(NEXT) | instid1(VALU_DEP_3)
	v_fmac_f32_e32 v36, v47, v29
	v_add_f32_e32 v1, v1, v33
	s_delay_alu instid0(VALU_DEP_3) | instskip(SKIP_3) | instid1(VALU_DEP_4)
	v_fma_f32 v42, v46, v31, -v42
	v_add_f32_e32 v39, v39, v28
	v_dual_mul_f32 v28, v46, v32 :: v_dual_mul_f32 v33, v63, v30
	v_dual_add_f32 v43, v35, v36 :: v_dual_mul_f32 v30, v62, v30
	v_add_f32_e32 v42, v34, v42
	s_delay_alu instid0(VALU_DEP_3) | instskip(NEXT) | instid1(VALU_DEP_4)
	v_fmac_f32_e32 v28, v47, v31
	v_fma_f32 v44, v62, v29, -v33
	ds_load_b128 v[33:36], v23 offset:1056
	v_fmac_f32_e32 v30, v63, v29
	s_wait_dscnt 0x1
	v_mul_f32_e32 v29, v49, v25
	v_add_f32_e32 v46, v37, v28
	v_dual_mul_f32 v32, v62, v32 :: v_dual_mul_f32 v47, v48, v25
	v_mul_f32_e32 v56, v48, v27
	s_delay_alu instid0(VALU_DEP_4)
	v_fma_f32 v37, v48, v24, -v29
	v_add_f32_e32 v44, v38, v44
	v_mul_f32_e32 v38, v49, v27
	v_fma_f32 v28, v62, v31, -v45
	v_dual_fmac_f32 v32, v63, v31 :: v_dual_fmac_f32 v47, v49, v24
	v_add_f32_e32 v1, v1, v37
	s_delay_alu instid0(VALU_DEP_4) | instskip(NEXT) | instid1(VALU_DEP_4)
	v_fma_f32 v48, v48, v26, -v38
	v_add_f32_e32 v41, v41, v28
	v_add_f32_e32 v45, v40, v30
	ds_load_2addr_b64 v[28:31], v22 offset0:160 offset1:176
	v_add_f32_e32 v32, v39, v32
	ds_load_b128 v[37:40], v23 offset:1072
	s_wait_dscnt 0x2
	v_mul_f32_e32 v57, v34, v25
	v_dual_mul_f32 v25, v33, v25 :: v_dual_add_f32 v42, v42, v48
	v_mul_f32_e32 v48, v34, v27
	v_dual_add_f32 v43, v43, v47 :: v_dual_fmac_f32 v56, v49, v26
	s_delay_alu instid0(VALU_DEP_4) | instskip(NEXT) | instid1(VALU_DEP_4)
	v_fma_f32 v47, v33, v24, -v57
	v_fmac_f32_e32 v25, v34, v24
	v_mul_f32_e32 v49, v33, v27
	s_delay_alu instid0(VALU_DEP_3) | instskip(SKIP_1) | instid1(VALU_DEP_3)
	v_add_f32_e32 v44, v44, v47
	v_add_f32_e32 v46, v46, v56
	v_fmac_f32_e32 v49, v34, v26
	s_wait_dscnt 0x1
	v_mul_f32_e32 v27, v51, v29
	v_fma_f32 v24, v33, v26, -v48
	v_add_f32_e32 v33, v45, v25
	v_mul_f32_e32 v34, v50, v29
	s_delay_alu instid0(VALU_DEP_4) | instskip(NEXT) | instid1(VALU_DEP_4)
	v_fma_f32 v45, v50, v28, -v27
	v_add_f32_e32 v41, v41, v24
	ds_load_2addr_b64 v[24:27], v22 offset0:192 offset1:208
	v_fmac_f32_e32 v34, v51, v28
	v_dual_mul_f32 v47, v51, v31 :: v_dual_add_f32 v48, v32, v49
	v_dual_add_f32 v1, v1, v45 :: v_dual_mul_f32 v32, v50, v31
	s_delay_alu instid0(VALU_DEP_3) | instskip(NEXT) | instid1(VALU_DEP_3)
	v_dual_add_f32 v43, v43, v34 :: v_dual_mul_f32 v34, v36, v29
	v_fma_f32 v45, v50, v30, -v47
	s_delay_alu instid0(VALU_DEP_3) | instskip(NEXT) | instid1(VALU_DEP_3)
	v_fmac_f32_e32 v32, v51, v30
	v_fma_f32 v34, v35, v28, -v34
	s_delay_alu instid0(VALU_DEP_3) | instskip(SKIP_1) | instid1(VALU_DEP_3)
	v_dual_add_f32 v42, v42, v45 :: v_dual_mul_f32 v45, v36, v31
	v_mul_f32_e32 v29, v35, v29
	v_dual_mul_f32 v31, v35, v31 :: v_dual_add_f32 v44, v44, v34
	s_delay_alu instid0(VALU_DEP_2) | instskip(SKIP_2) | instid1(VALU_DEP_4)
	v_fmac_f32_e32 v29, v36, v28
	v_add_f32_e32 v28, v46, v32
	v_fma_f32 v32, v35, v30, -v45
	v_fmac_f32_e32 v31, v36, v30
	s_wait_dscnt 0x0
	v_mul_f32_e32 v36, v52, v25
	v_dual_add_f32 v29, v33, v29 :: v_dual_mul_f32 v46, v52, v27
	v_add_f32_e32 v30, v41, v32
	ds_load_2addr_b64 v[32:35], v22 offset0:224 offset1:240
	v_dual_add_f32 v31, v48, v31 :: v_dual_fmac_f32 v36, v53, v24
	v_mul_f32_e32 v45, v53, v25
	v_fmac_f32_e32 v46, v53, v26
	s_wait_loadcnt_dscnt 0x0
	s_barrier_signal -1
	v_add_f32_e32 v36, v43, v36
	v_fma_f32 v41, v52, v24, -v45
	v_mul_f32_e32 v45, v53, v27
	v_mul_f32_e32 v43, v38, v27
	;; [unrolled: 1-line block ×3, first 2 shown]
	s_barrier_wait -1
	global_inv scope:SCOPE_SE
	v_fma_f32 v45, v52, v26, -v45
	v_fmac_f32_e32 v27, v38, v26
	s_delay_alu instid0(VALU_DEP_2) | instskip(SKIP_4) | instid1(VALU_DEP_1)
	v_dual_add_f32 v42, v42, v45 :: v_dual_add_f32 v45, v28, v46
	v_fma_f32 v28, v37, v26, -v43
	v_add_f32_e32 v1, v1, v41
	v_mul_f32_e32 v41, v38, v25
	v_mul_f32_e32 v25, v37, v25
	v_fmac_f32_e32 v25, v38, v24
	v_add_f32_e32 v38, v30, v28
	v_mul_f32_e32 v28, v55, v35
	v_fma_f32 v41, v37, v24, -v41
	v_mul_f32_e32 v37, v55, v33
	s_delay_alu instid0(VALU_DEP_2) | instskip(NEXT) | instid1(VALU_DEP_2)
	v_add_f32_e32 v24, v44, v41
	v_fma_f32 v26, v54, v32, -v37
	v_add_f32_e32 v25, v29, v25
	s_delay_alu instid0(VALU_DEP_2) | instskip(SKIP_1) | instid1(VALU_DEP_2)
	v_dual_mul_f32 v29, v54, v35 :: v_dual_add_f32 v30, v1, v26
	v_fma_f32 v1, v54, v34, -v28
	v_dual_mul_f32 v26, v40, v33 :: v_dual_fmac_f32 v29, v55, v34
	s_delay_alu instid0(VALU_DEP_2) | instskip(NEXT) | instid1(VALU_DEP_2)
	v_add_f32_e32 v28, v42, v1
	v_fma_f32 v1, v39, v32, -v26
	s_delay_alu instid0(VALU_DEP_3) | instskip(NEXT) | instid1(VALU_DEP_2)
	v_add_f32_e32 v29, v45, v29
	v_dual_add_f32 v26, v24, v1 :: v_dual_add_f32 v37, v31, v27
	v_mul_f32_e32 v41, v54, v33
	v_mul_f32_e32 v27, v39, v33
	v_mul_f32_e32 v33, v40, v35
	v_mul_f32_e32 v35, v39, v35
	s_delay_alu instid0(VALU_DEP_3) | instskip(NEXT) | instid1(VALU_DEP_2)
	v_fmac_f32_e32 v27, v40, v32
	v_fmac_f32_e32 v35, v40, v34
	s_delay_alu instid0(VALU_DEP_2) | instskip(NEXT) | instid1(VALU_DEP_2)
	v_add_f32_e32 v27, v25, v27
	v_dual_add_f32 v24, v37, v35 :: v_dual_fmac_f32 v41, v55, v32
	v_fma_f32 v32, v39, v34, -v33
	s_delay_alu instid0(VALU_DEP_2) | instskip(NEXT) | instid1(VALU_DEP_2)
	v_add_f32_e32 v31, v36, v41
	v_add_f32_e32 v25, v38, v32
	s_cbranch_scc0 .LBB75_19
.LBB75_11:                              ;   Parent Loop BB75_8 Depth=1
                                        ; =>  This Inner Loop Header: Depth=2
	s_wait_alu 0xfffe
	v_add_nc_u32_e32 v1, s0, v19
	s_delay_alu instid0(VALU_DEP_1)
	v_cmp_le_i32_e32 vcc_lo, s21, v1
	s_or_b32 s1, s12, vcc_lo
	s_wait_alu 0xfffe
	s_and_saveexec_b32 s14, s1
	s_wait_alu 0xfffe
	s_xor_b32 s1, exec_lo, s14
; %bb.12:                               ;   in Loop: Header=BB75_11 Depth=2
	v_mov_b32_e32 v1, v0
	ds_store_b64 v20, v[0:1]
; %bb.13:                               ;   in Loop: Header=BB75_11 Depth=2
	s_wait_alu 0xfffe
	s_and_not1_saveexec_b32 s1, s1
	s_cbranch_execz .LBB75_15
; %bb.14:                               ;   in Loop: Header=BB75_11 Depth=2
	global_load_b64 v[32:33], v[14:15], off
	s_wait_loadcnt 0x0
	ds_store_b64 v20, v[32:33]
.LBB75_15:                              ;   in Loop: Header=BB75_11 Depth=2
	s_wait_alu 0xfffe
	s_or_b32 exec_lo, exec_lo, s1
	v_add_nc_u32_e32 v1, s0, v18
	s_delay_alu instid0(VALU_DEP_1)
	v_cmp_le_i32_e32 vcc_lo, s21, v1
	s_or_b32 s1, vcc_lo, s13
	s_wait_alu 0xfffe
	s_and_saveexec_b32 s14, s1
	s_wait_alu 0xfffe
	s_xor_b32 s1, exec_lo, s14
; %bb.16:                               ;   in Loop: Header=BB75_11 Depth=2
	v_mov_b32_e32 v1, v0
	ds_store_b64 v21, v[0:1]
; %bb.17:                               ;   in Loop: Header=BB75_11 Depth=2
	s_wait_alu 0xfffe
	s_and_not1_saveexec_b32 s1, s1
	s_cbranch_execz .LBB75_10
; %bb.18:                               ;   in Loop: Header=BB75_11 Depth=2
	global_load_b64 v[32:33], v[16:17], off
	s_wait_loadcnt 0x0
	ds_store_b64 v21, v[32:33]
	s_branch .LBB75_10
.LBB75_19:                              ;   in Loop: Header=BB75_8 Depth=1
	s_mul_u64 s[0:1], s[24:25], s[22:23]
	s_wait_alu 0xfffe
	s_lshl_b64 s[0:1], s[0:1], 3
	s_wait_alu 0xfffe
	s_add_nc_u64 s[0:1], s[16:17], s[0:1]
	s_wait_alu 0xfffe
	v_add_co_u32 v1, vcc_lo, s0, v6
	s_wait_alu 0xfffd
	v_add_co_ci_u32_e64 v16, null, s1, v7, vcc_lo
	s_and_saveexec_b32 s14, s26
	s_cbranch_execz .LBB75_24
; %bb.20:                               ;   in Loop: Header=BB75_8 Depth=1
	v_mul_f32_e32 v15, s8, v31
	v_mul_f32_e32 v14, s9, v31
	s_and_b32 vcc_lo, exec_lo, s11
	s_mov_b32 s15, -1
	s_delay_alu instid0(VALU_DEP_2) | instskip(NEXT) | instid1(VALU_DEP_2)
	v_fmac_f32_e32 v15, s9, v30
	v_fma_f32 v14, v30, s8, -v14
	s_wait_alu 0xfffe
	s_cbranch_vccz .LBB75_22
; %bb.21:                               ;   in Loop: Header=BB75_8 Depth=1
	v_add_co_u32 v30, vcc_lo, v1, v10
	s_wait_alu 0xfffd
	v_add_co_ci_u32_e64 v31, null, v16, v11, vcc_lo
	s_mov_b32 s15, 0
	global_load_b64 v[32:33], v[30:31], off
	s_wait_loadcnt 0x0
	v_mul_f32_e32 v17, s7, v33
	v_mul_f32_e32 v33, s6, v33
	s_delay_alu instid0(VALU_DEP_2) | instskip(NEXT) | instid1(VALU_DEP_1)
	v_fma_f32 v17, v32, s6, -v17
	v_dual_fmac_f32 v33, s7, v32 :: v_dual_add_f32 v32, v14, v17
	s_delay_alu instid0(VALU_DEP_1)
	v_add_f32_e32 v33, v15, v33
	global_store_b64 v[30:31], v[32:33], off
.LBB75_22:                              ;   in Loop: Header=BB75_8 Depth=1
	s_wait_alu 0xfffe
	s_and_not1_b32 vcc_lo, exec_lo, s15
	s_wait_alu 0xfffe
	s_cbranch_vccnz .LBB75_24
; %bb.23:                               ;   in Loop: Header=BB75_8 Depth=1
	v_add_co_u32 v30, vcc_lo, v1, v10
	s_wait_alu 0xfffd
	v_add_co_ci_u32_e64 v31, null, v16, v11, vcc_lo
	global_store_b64 v[30:31], v[14:15], off
.LBB75_24:                              ;   in Loop: Header=BB75_8 Depth=1
	s_wait_alu 0xfffe
	s_or_b32 exec_lo, exec_lo, s14
	s_and_saveexec_b32 s14, s27
	s_cbranch_execz .LBB75_29
; %bb.25:                               ;   in Loop: Header=BB75_8 Depth=1
	v_mul_f32_e32 v15, s8, v29
	v_mul_f32_e32 v14, s9, v29
	s_and_not1_b32 vcc_lo, exec_lo, s11
	s_mov_b32 s15, -1
	s_delay_alu instid0(VALU_DEP_2) | instskip(NEXT) | instid1(VALU_DEP_2)
	v_fmac_f32_e32 v15, s9, v28
	v_fma_f32 v14, v28, s8, -v14
	s_wait_alu 0xfffe
	s_cbranch_vccnz .LBB75_27
; %bb.26:                               ;   in Loop: Header=BB75_8 Depth=1
	v_add_co_u32 v28, vcc_lo, v1, v12
	s_wait_alu 0xfffd
	v_add_co_ci_u32_e64 v29, null, v16, v13, vcc_lo
	s_mov_b32 s15, 0
	global_load_b64 v[30:31], v[28:29], off
	s_wait_loadcnt 0x0
	v_mul_f32_e32 v17, s7, v31
	s_delay_alu instid0(VALU_DEP_1) | instskip(SKIP_1) | instid1(VALU_DEP_1)
	v_fma_f32 v17, v30, s6, -v17
	v_mul_f32_e32 v31, s6, v31
	v_dual_fmac_f32 v31, s7, v30 :: v_dual_add_f32 v30, v14, v17
	s_delay_alu instid0(VALU_DEP_1)
	v_add_f32_e32 v31, v15, v31
	global_store_b64 v[28:29], v[30:31], off
.LBB75_27:                              ;   in Loop: Header=BB75_8 Depth=1
	s_wait_alu 0xfffe
	s_and_not1_b32 vcc_lo, exec_lo, s15
	s_wait_alu 0xfffe
	s_cbranch_vccnz .LBB75_29
; %bb.28:                               ;   in Loop: Header=BB75_8 Depth=1
	v_add_co_u32 v28, vcc_lo, v1, v12
	s_wait_alu 0xfffd
	v_add_co_ci_u32_e64 v29, null, v16, v13, vcc_lo
	global_store_b64 v[28:29], v[14:15], off
.LBB75_29:                              ;   in Loop: Header=BB75_8 Depth=1
	s_wait_alu 0xfffe
	s_or_b32 exec_lo, exec_lo, s14
	v_add_co_u32 v1, vcc_lo, s0, v8
	s_wait_alu 0xfffd
	v_add_co_ci_u32_e64 v16, null, s1, v9, vcc_lo
	s_and_saveexec_b32 s0, s18
	s_cbranch_execz .LBB75_34
; %bb.30:                               ;   in Loop: Header=BB75_8 Depth=1
	v_mul_f32_e32 v15, s8, v27
	v_mul_f32_e32 v14, s9, v27
	s_and_not1_b32 vcc_lo, exec_lo, s11
	s_mov_b32 s1, -1
	s_delay_alu instid0(VALU_DEP_2) | instskip(NEXT) | instid1(VALU_DEP_2)
	v_fmac_f32_e32 v15, s9, v26
	v_fma_f32 v14, v26, s8, -v14
	s_wait_alu 0xfffe
	s_cbranch_vccnz .LBB75_32
; %bb.31:                               ;   in Loop: Header=BB75_8 Depth=1
	v_add_co_u32 v26, vcc_lo, v1, v10
	s_wait_alu 0xfffd
	v_add_co_ci_u32_e64 v27, null, v16, v11, vcc_lo
	s_mov_b32 s1, 0
	global_load_b64 v[28:29], v[26:27], off
	s_wait_loadcnt 0x0
	v_mul_f32_e32 v17, s7, v29
	v_mul_f32_e32 v29, s6, v29
	s_delay_alu instid0(VALU_DEP_2) | instskip(NEXT) | instid1(VALU_DEP_1)
	v_fma_f32 v17, v28, s6, -v17
	v_dual_fmac_f32 v29, s7, v28 :: v_dual_add_f32 v28, v14, v17
	s_delay_alu instid0(VALU_DEP_1)
	v_add_f32_e32 v29, v15, v29
	global_store_b64 v[26:27], v[28:29], off
.LBB75_32:                              ;   in Loop: Header=BB75_8 Depth=1
	s_wait_alu 0xfffe
	s_and_not1_b32 vcc_lo, exec_lo, s1
	s_wait_alu 0xfffe
	s_cbranch_vccnz .LBB75_34
; %bb.33:                               ;   in Loop: Header=BB75_8 Depth=1
	v_add_co_u32 v26, vcc_lo, v1, v10
	s_wait_alu 0xfffd
	v_add_co_ci_u32_e64 v27, null, v16, v11, vcc_lo
	global_store_b64 v[26:27], v[14:15], off
.LBB75_34:                              ;   in Loop: Header=BB75_8 Depth=1
	s_wait_alu 0xfffe
	s_or_b32 exec_lo, exec_lo, s0
	s_and_saveexec_b32 s0, s20
	s_cbranch_execz .LBB75_7
; %bb.35:                               ;   in Loop: Header=BB75_8 Depth=1
	v_mul_f32_e32 v15, s8, v24
	v_mul_f32_e32 v14, s9, v24
	s_and_not1_b32 vcc_lo, exec_lo, s11
	s_mov_b32 s1, -1
	s_delay_alu instid0(VALU_DEP_2) | instskip(NEXT) | instid1(VALU_DEP_2)
	v_fmac_f32_e32 v15, s9, v25
	v_fma_f32 v14, v25, s8, -v14
	s_wait_alu 0xfffe
	s_cbranch_vccnz .LBB75_37
; %bb.36:                               ;   in Loop: Header=BB75_8 Depth=1
	v_add_co_u32 v24, vcc_lo, v1, v12
	s_wait_alu 0xfffd
	v_add_co_ci_u32_e64 v25, null, v16, v13, vcc_lo
	s_mov_b32 s1, 0
	global_load_b64 v[26:27], v[24:25], off
	s_wait_loadcnt 0x0
	v_mul_f32_e32 v17, s7, v27
	s_delay_alu instid0(VALU_DEP_1) | instskip(SKIP_1) | instid1(VALU_DEP_1)
	v_fma_f32 v17, v26, s6, -v17
	v_mul_f32_e32 v27, s6, v27
	v_dual_fmac_f32 v27, s7, v26 :: v_dual_add_f32 v26, v14, v17
	s_delay_alu instid0(VALU_DEP_1)
	v_add_f32_e32 v27, v15, v27
	global_store_b64 v[24:25], v[26:27], off
.LBB75_37:                              ;   in Loop: Header=BB75_8 Depth=1
	s_wait_alu 0xfffe
	s_and_not1_b32 vcc_lo, exec_lo, s1
	s_wait_alu 0xfffe
	s_cbranch_vccnz .LBB75_7
; %bb.38:                               ;   in Loop: Header=BB75_8 Depth=1
	v_add_co_u32 v24, vcc_lo, v1, v12
	s_wait_alu 0xfffd
	v_add_co_ci_u32_e64 v25, null, v16, v13, vcc_lo
	global_store_b64 v[24:25], v[14:15], off
	s_branch .LBB75_7
.LBB75_39:
	s_endpgm
	.section	.rodata,"a",@progbits
	.p2align	6, 0x0
	.amdhsa_kernel _ZL29rocblas_internal_gemmt_kernelIiLi16ELi32ELi8ELc84ELc78ELc85ELb0ELb0E19rocblas_complex_numIfEPKS1_S3_PS1_EviT_T9_T10_S5_lS7_S5_lS6_T11_S5_li
		.amdhsa_group_segment_fixed_size 4096
		.amdhsa_private_segment_fixed_size 0
		.amdhsa_kernarg_size 100
		.amdhsa_user_sgpr_count 2
		.amdhsa_user_sgpr_dispatch_ptr 0
		.amdhsa_user_sgpr_queue_ptr 0
		.amdhsa_user_sgpr_kernarg_segment_ptr 1
		.amdhsa_user_sgpr_dispatch_id 0
		.amdhsa_user_sgpr_private_segment_size 0
		.amdhsa_wavefront_size32 1
		.amdhsa_uses_dynamic_stack 0
		.amdhsa_enable_private_segment 0
		.amdhsa_system_sgpr_workgroup_id_x 1
		.amdhsa_system_sgpr_workgroup_id_y 1
		.amdhsa_system_sgpr_workgroup_id_z 1
		.amdhsa_system_sgpr_workgroup_info 0
		.amdhsa_system_vgpr_workitem_id 1
		.amdhsa_next_free_vgpr 69
		.amdhsa_next_free_sgpr 34
		.amdhsa_reserve_vcc 1
		.amdhsa_float_round_mode_32 0
		.amdhsa_float_round_mode_16_64 0
		.amdhsa_float_denorm_mode_32 3
		.amdhsa_float_denorm_mode_16_64 3
		.amdhsa_fp16_overflow 0
		.amdhsa_workgroup_processor_mode 1
		.amdhsa_memory_ordered 1
		.amdhsa_forward_progress 1
		.amdhsa_inst_pref_size 25
		.amdhsa_round_robin_scheduling 0
		.amdhsa_exception_fp_ieee_invalid_op 0
		.amdhsa_exception_fp_denorm_src 0
		.amdhsa_exception_fp_ieee_div_zero 0
		.amdhsa_exception_fp_ieee_overflow 0
		.amdhsa_exception_fp_ieee_underflow 0
		.amdhsa_exception_fp_ieee_inexact 0
		.amdhsa_exception_int_div_zero 0
	.end_amdhsa_kernel
	.section	.text._ZL29rocblas_internal_gemmt_kernelIiLi16ELi32ELi8ELc84ELc78ELc85ELb0ELb0E19rocblas_complex_numIfEPKS1_S3_PS1_EviT_T9_T10_S5_lS7_S5_lS6_T11_S5_li,"axG",@progbits,_ZL29rocblas_internal_gemmt_kernelIiLi16ELi32ELi8ELc84ELc78ELc85ELb0ELb0E19rocblas_complex_numIfEPKS1_S3_PS1_EviT_T9_T10_S5_lS7_S5_lS6_T11_S5_li,comdat
.Lfunc_end75:
	.size	_ZL29rocblas_internal_gemmt_kernelIiLi16ELi32ELi8ELc84ELc78ELc85ELb0ELb0E19rocblas_complex_numIfEPKS1_S3_PS1_EviT_T9_T10_S5_lS7_S5_lS6_T11_S5_li, .Lfunc_end75-_ZL29rocblas_internal_gemmt_kernelIiLi16ELi32ELi8ELc84ELc78ELc85ELb0ELb0E19rocblas_complex_numIfEPKS1_S3_PS1_EviT_T9_T10_S5_lS7_S5_lS6_T11_S5_li
                                        ; -- End function
	.set _ZL29rocblas_internal_gemmt_kernelIiLi16ELi32ELi8ELc84ELc78ELc85ELb0ELb0E19rocblas_complex_numIfEPKS1_S3_PS1_EviT_T9_T10_S5_lS7_S5_lS6_T11_S5_li.num_vgpr, 69
	.set _ZL29rocblas_internal_gemmt_kernelIiLi16ELi32ELi8ELc84ELc78ELc85ELb0ELb0E19rocblas_complex_numIfEPKS1_S3_PS1_EviT_T9_T10_S5_lS7_S5_lS6_T11_S5_li.num_agpr, 0
	.set _ZL29rocblas_internal_gemmt_kernelIiLi16ELi32ELi8ELc84ELc78ELc85ELb0ELb0E19rocblas_complex_numIfEPKS1_S3_PS1_EviT_T9_T10_S5_lS7_S5_lS6_T11_S5_li.numbered_sgpr, 34
	.set _ZL29rocblas_internal_gemmt_kernelIiLi16ELi32ELi8ELc84ELc78ELc85ELb0ELb0E19rocblas_complex_numIfEPKS1_S3_PS1_EviT_T9_T10_S5_lS7_S5_lS6_T11_S5_li.num_named_barrier, 0
	.set _ZL29rocblas_internal_gemmt_kernelIiLi16ELi32ELi8ELc84ELc78ELc85ELb0ELb0E19rocblas_complex_numIfEPKS1_S3_PS1_EviT_T9_T10_S5_lS7_S5_lS6_T11_S5_li.private_seg_size, 0
	.set _ZL29rocblas_internal_gemmt_kernelIiLi16ELi32ELi8ELc84ELc78ELc85ELb0ELb0E19rocblas_complex_numIfEPKS1_S3_PS1_EviT_T9_T10_S5_lS7_S5_lS6_T11_S5_li.uses_vcc, 1
	.set _ZL29rocblas_internal_gemmt_kernelIiLi16ELi32ELi8ELc84ELc78ELc85ELb0ELb0E19rocblas_complex_numIfEPKS1_S3_PS1_EviT_T9_T10_S5_lS7_S5_lS6_T11_S5_li.uses_flat_scratch, 0
	.set _ZL29rocblas_internal_gemmt_kernelIiLi16ELi32ELi8ELc84ELc78ELc85ELb0ELb0E19rocblas_complex_numIfEPKS1_S3_PS1_EviT_T9_T10_S5_lS7_S5_lS6_T11_S5_li.has_dyn_sized_stack, 0
	.set _ZL29rocblas_internal_gemmt_kernelIiLi16ELi32ELi8ELc84ELc78ELc85ELb0ELb0E19rocblas_complex_numIfEPKS1_S3_PS1_EviT_T9_T10_S5_lS7_S5_lS6_T11_S5_li.has_recursion, 0
	.set _ZL29rocblas_internal_gemmt_kernelIiLi16ELi32ELi8ELc84ELc78ELc85ELb0ELb0E19rocblas_complex_numIfEPKS1_S3_PS1_EviT_T9_T10_S5_lS7_S5_lS6_T11_S5_li.has_indirect_call, 0
	.section	.AMDGPU.csdata,"",@progbits
; Kernel info:
; codeLenInByte = 3132
; TotalNumSgprs: 36
; NumVgprs: 69
; ScratchSize: 0
; MemoryBound: 1
; FloatMode: 240
; IeeeMode: 1
; LDSByteSize: 4096 bytes/workgroup (compile time only)
; SGPRBlocks: 0
; VGPRBlocks: 8
; NumSGPRsForWavesPerEU: 36
; NumVGPRsForWavesPerEU: 69
; Occupancy: 16
; WaveLimiterHint : 0
; COMPUTE_PGM_RSRC2:SCRATCH_EN: 0
; COMPUTE_PGM_RSRC2:USER_SGPR: 2
; COMPUTE_PGM_RSRC2:TRAP_HANDLER: 0
; COMPUTE_PGM_RSRC2:TGID_X_EN: 1
; COMPUTE_PGM_RSRC2:TGID_Y_EN: 1
; COMPUTE_PGM_RSRC2:TGID_Z_EN: 1
; COMPUTE_PGM_RSRC2:TIDIG_COMP_CNT: 1
	.section	.text._ZL29rocblas_internal_gemmt_kernelIiLi16ELi32ELi8ELc84ELc84ELc85ELb0ELb0E19rocblas_complex_numIfEPKS1_S3_PS1_EviT_T9_T10_S5_lS7_S5_lS6_T11_S5_li,"axG",@progbits,_ZL29rocblas_internal_gemmt_kernelIiLi16ELi32ELi8ELc84ELc84ELc85ELb0ELb0E19rocblas_complex_numIfEPKS1_S3_PS1_EviT_T9_T10_S5_lS7_S5_lS6_T11_S5_li,comdat
	.globl	_ZL29rocblas_internal_gemmt_kernelIiLi16ELi32ELi8ELc84ELc84ELc85ELb0ELb0E19rocblas_complex_numIfEPKS1_S3_PS1_EviT_T9_T10_S5_lS7_S5_lS6_T11_S5_li ; -- Begin function _ZL29rocblas_internal_gemmt_kernelIiLi16ELi32ELi8ELc84ELc84ELc85ELb0ELb0E19rocblas_complex_numIfEPKS1_S3_PS1_EviT_T9_T10_S5_lS7_S5_lS6_T11_S5_li
	.p2align	8
	.type	_ZL29rocblas_internal_gemmt_kernelIiLi16ELi32ELi8ELc84ELc84ELc85ELb0ELb0E19rocblas_complex_numIfEPKS1_S3_PS1_EviT_T9_T10_S5_lS7_S5_lS6_T11_S5_li,@function
_ZL29rocblas_internal_gemmt_kernelIiLi16ELi32ELi8ELc84ELc84ELc85ELb0ELb0E19rocblas_complex_numIfEPKS1_S3_PS1_EviT_T9_T10_S5_lS7_S5_lS6_T11_S5_li: ; @_ZL29rocblas_internal_gemmt_kernelIiLi16ELi32ELi8ELc84ELc84ELc85ELb0ELb0E19rocblas_complex_numIfEPKS1_S3_PS1_EviT_T9_T10_S5_lS7_S5_lS6_T11_S5_li
; %bb.0:
	s_load_b128 s[4:7], s[0:1], 0x38
	s_wait_kmcnt 0x0
	s_load_b64 s[6:7], s[6:7], 0x0
	s_clause 0x1
	s_load_b128 s[8:11], s[0:1], 0x8
	s_load_b64 s[20:21], s[0:1], 0x0
	s_wait_kmcnt 0x0
	s_load_b64 s[8:9], s[8:9], 0x0
	s_cmp_eq_f32 s6, 1.0
	s_cselect_b32 s2, -1, 0
	s_and_b32 s3, s7, 0x7fffffff
	s_delay_alu instid0(SALU_CYCLE_1) | instskip(SKIP_1) | instid1(SALU_CYCLE_1)
	s_cmp_eq_u32 s3, 0
	s_cselect_b32 s3, -1, 0
	s_and_b32 s12, s2, s3
	s_mov_b32 s2, 0
	s_and_not1_b32 vcc_lo, exec_lo, s12
	s_mov_b32 s12, -1
	s_cbranch_vccnz .LBB76_4
; %bb.1:
	s_cmp_lg_u32 s21, 0
	s_cbranch_scc0 .LBB76_3
; %bb.2:
	s_wait_kmcnt 0x0
	s_cmp_neq_f32 s8, 0
	s_cselect_b32 s2, -1, 0
	s_cmp_neq_f32 s9, 0
	s_cselect_b32 s12, -1, 0
	s_delay_alu instid0(SALU_CYCLE_1)
	s_or_b32 s2, s2, s12
.LBB76_3:
	s_delay_alu instid0(SALU_CYCLE_1)
	s_mov_b32 s12, s2
.LBB76_4:
	s_delay_alu instid0(SALU_CYCLE_1)
	s_and_b32 vcc_lo, exec_lo, s12
	s_cbranch_vccz .LBB76_39
; %bb.5:
	s_load_b32 s19, s[0:1], 0x60
	s_lshr_b32 s22, ttmp7, 16
	s_wait_kmcnt 0x0
	s_cmp_ge_u32 s22, s19
	s_cbranch_scc1 .LBB76_39
; %bb.6:
	s_clause 0x2
	s_load_b32 s26, s[0:1], 0x30
	s_load_b32 s29, s[0:1], 0x18
	s_load_b128 s[12:15], s[0:1], 0x20
	v_and_b32_e32 v1, 0x3ff, v0
	v_bfe_u32 v2, v0, 10, 10
	s_clause 0x1
	s_load_b96 s[16:18], s[0:1], 0x48
	s_load_b64 s[24:25], s[0:1], 0x58
	s_lshl_b32 s1, ttmp7, 5
	v_and_b32_e32 v18, 7, v0
	s_lshl_b32 s0, ttmp9, 5
	v_lshl_add_u32 v0, v2, 4, v1
	s_and_b32 s1, s1, 0x1fffe0
	v_lshlrev_b32_e32 v19, 3, v1
	v_lshl_add_u32 v20, v2, 6, 0x800
	v_add_nc_u32_e32 v10, s0, v1
	v_add_nc_u32_e32 v1, s1, v2
	v_and_b32_e32 v2, 31, v0
	v_lshrrev_b32_e32 v4, 3, v0
	v_lshrrev_b32_e32 v21, 5, v0
	v_add_nc_u32_e32 v12, 16, v10
	v_lshlrev_b32_e32 v3, 3, v18
	s_wait_kmcnt 0x0
	s_ashr_i32 s27, s26, 31
	s_cmp_neq_f32 s8, 0
	v_or_b32_e32 v0, s0, v2
	v_add_nc_u32_e32 v14, s1, v4
	v_lshlrev_b32_e32 v2, 3, v2
	s_cselect_b32 s2, -1, 0
	s_cmp_neq_f32 s9, 0
	v_cmp_gt_i32_e64 s1, s20, v1
	v_cmp_gt_i32_e32 vcc_lo, s20, v0
	v_lshl_or_b32 v22, v21, 8, v2
	s_cselect_b32 s0, -1, 0
	v_mad_co_i64_i32 v[6:7], null, v1, s18, 0
	s_wait_alu 0xfffe
	s_or_b32 s30, s2, s0
	s_cmp_gt_i32 s21, 0
	v_cmp_le_i32_e64 s2, v10, v1
	s_cselect_b32 s31, -1, 0
	s_cmp_neq_f32 s6, 0
	v_add_nc_u32_e32 v2, 16, v1
	v_lshl_or_b32 v3, v4, 6, v3
	v_lshlrev_b32_e32 v5, 3, v21
	s_cselect_b32 s33, -1, 0
	s_and_b32 s28, s1, s2
	v_cmp_le_i32_e64 s2, v12, v1
	v_mad_co_i64_i32 v[0:1], null, s29, v0, 0
	v_add_nc_u32_e32 v23, 0x800, v3
	v_mad_co_i64_i32 v[3:4], null, s26, v18, 0
	s_xor_b32 s34, s3, -1
	s_and_b32 s29, s1, s2
	v_cmp_gt_i32_e64 s1, s20, v2
	v_mad_co_i64_i32 v[8:9], null, v2, s18, 0
	v_cmp_le_i32_e64 s2, v10, v2
	v_cmp_le_i32_e64 s3, v12, v2
	v_lshlrev_b64_e32 v[1:2], 3, v[0:1]
	v_cmp_gt_i32_e64 s0, s20, v14
	v_lshlrev_b32_e32 v14, 3, v14
	s_and_b32 s18, s1, s2
	s_and_b32 s20, s1, s3
	v_ashrrev_i32_e32 v11, 31, v10
	v_add_co_u32 v1, s1, v1, v5
	v_lshlrev_b64_e32 v[4:5], 3, v[3:4]
	s_wait_alu 0xf1ff
	v_add_co_ci_u32_e64 v15, null, 0, v2, s1
	s_delay_alu instid0(VALU_DEP_3) | instskip(SKIP_2) | instid1(VALU_DEP_3)
	v_add_co_u32 v2, s1, s10, v1
	v_ashrrev_i32_e32 v13, 31, v12
	s_wait_alu 0xf1ff
	v_add_co_ci_u32_e64 v3, null, s11, v15, s1
	v_add_co_u32 v1, s1, v4, v14
	s_wait_alu 0xf1ff
	v_add_co_ci_u32_e64 v5, null, 0, v5, s1
	v_lshlrev_b64_e32 v[6:7], 3, v[6:7]
	s_delay_alu instid0(VALU_DEP_3)
	v_add_co_u32 v4, s1, s14, v1
	v_lshlrev_b64_e32 v[8:9], 3, v[8:9]
	v_lshlrev_b64_e32 v[10:11], 3, v[10:11]
	;; [unrolled: 1-line block ×3, first 2 shown]
	v_mov_b32_e32 v0, 0
	s_wait_alu 0xf1ff
	v_add_co_ci_u32_e64 v5, null, s15, v5, s1
	s_mov_b32 s23, 0
	s_lshl_b64 s[2:3], s[12:13], 3
	s_lshl_b64 s[4:5], s[4:5], 3
	s_and_b32 s12, s30, s31
	s_or_b32 s13, s33, s34
	s_lshl_b64 s[10:11], s[26:27], 6
	s_xor_b32 s14, vcc_lo, -1
	s_xor_b32 s15, s0, -1
	s_branch .LBB76_8
.LBB76_7:                               ;   in Loop: Header=BB76_8 Depth=1
	s_wait_alu 0xfffe
	s_or_b32 exec_lo, exec_lo, s0
	s_add_co_i32 s22, s22, 0x10000
	s_wait_alu 0xfffe
	s_cmp_lt_u32 s22, s19
	s_cbranch_scc0 .LBB76_39
.LBB76_8:                               ; =>This Loop Header: Depth=1
                                        ;     Child Loop BB76_11 Depth 2
	v_dual_mov_b32 v30, v0 :: v_dual_mov_b32 v31, v0
	v_dual_mov_b32 v28, v0 :: v_dual_mov_b32 v29, v0
	;; [unrolled: 1-line block ×4, first 2 shown]
	s_and_not1_b32 vcc_lo, exec_lo, s12
	s_wait_alu 0xfffe
	s_cbranch_vccnz .LBB76_19
; %bb.9:                                ;   in Loop: Header=BB76_8 Depth=1
	v_mad_co_u64_u32 v[14:15], null, s2, s22, v[2:3]
	v_mad_co_u64_u32 v[16:17], null, s4, s22, v[4:5]
	v_dual_mov_b32 v25, 0 :: v_dual_mov_b32 v28, 0
	v_mov_b32_e32 v27, 0
	v_mov_b32_e32 v29, 0
	v_dual_mov_b32 v1, v15 :: v_dual_mov_b32 v24, 0
	v_dual_mov_b32 v15, v17 :: v_dual_mov_b32 v26, 0
	s_mov_b32 s0, 0
	s_delay_alu instid0(VALU_DEP_2) | instskip(NEXT) | instid1(VALU_DEP_2)
	v_mad_co_u64_u32 v[30:31], null, s3, s22, v[1:2]
	v_mad_co_u64_u32 v[32:33], null, s5, s22, v[15:16]
	v_mov_b32_e32 v31, 0
	s_delay_alu instid0(VALU_DEP_3) | instskip(NEXT) | instid1(VALU_DEP_3)
	v_dual_mov_b32 v15, v30 :: v_dual_mov_b32 v30, 0
	v_mov_b32_e32 v17, v32
	s_branch .LBB76_11
.LBB76_10:                              ;   in Loop: Header=BB76_11 Depth=2
	s_wait_alu 0xfffe
	s_or_b32 exec_lo, exec_lo, s1
	s_wait_dscnt 0x0
	s_barrier_signal -1
	s_barrier_wait -1
	global_inv scope:SCOPE_SE
	ds_load_b128 v[32:35], v20
	ds_load_2addr_b64 v[36:39], v19 offset1:16
	ds_load_b128 v[40:43], v20 offset:1024
	ds_load_b128 v[44:47], v20 offset:16
	;; [unrolled: 1-line block ×4, first 2 shown]
	ds_load_2addr_b64 v[56:59], v19 offset0:32 offset1:48
	ds_load_b128 v[60:63], v20 offset:1040
	v_add_co_u32 v14, vcc_lo, v14, 64
	s_wait_alu 0xfffd
	v_add_co_ci_u32_e64 v15, null, 0, v15, vcc_lo
	v_add_co_u32 v16, vcc_lo, v16, s10
	s_wait_alu 0xfffd
	v_add_co_ci_u32_e64 v17, null, s11, v17, vcc_lo
	s_add_co_i32 s0, s0, 8
	s_wait_alu 0xfffe
	s_cmp_lt_i32 s0, s21
	s_wait_dscnt 0x6
	v_dual_mul_f32 v1, v33, v37 :: v_dual_mul_f32 v66, v32, v39
	v_dual_mul_f32 v64, v32, v37 :: v_dual_mul_f32 v65, v33, v39
	s_wait_dscnt 0x5
	v_mul_f32_e32 v68, v41, v39
	s_delay_alu instid0(VALU_DEP_3) | instskip(SKIP_3) | instid1(VALU_DEP_4)
	v_fma_f32 v1, v32, v36, -v1
	v_dual_mul_f32 v39, v40, v39 :: v_dual_fmac_f32 v66, v33, v38
	v_fmac_f32_e32 v64, v33, v36
	v_fma_f32 v32, v32, v38, -v65
	v_add_f32_e32 v1, v30, v1
	v_mul_f32_e32 v67, v41, v37
	s_delay_alu instid0(VALU_DEP_4) | instskip(NEXT) | instid1(VALU_DEP_4)
	v_dual_mul_f32 v37, v40, v37 :: v_dual_add_f32 v30, v31, v64
	v_add_f32_e32 v31, v28, v32
	v_fmac_f32_e32 v39, v41, v38
	s_delay_alu instid0(VALU_DEP_4) | instskip(NEXT) | instid1(VALU_DEP_4)
	v_fma_f32 v33, v40, v36, -v67
	v_fmac_f32_e32 v37, v41, v36
	v_fma_f32 v36, v40, v38, -v68
	s_wait_dscnt 0x1
	v_dual_mul_f32 v38, v34, v57 :: v_dual_add_f32 v29, v29, v66
	v_mul_f32_e32 v40, v35, v59
	v_add_f32_e32 v32, v26, v33
	v_dual_add_f32 v33, v27, v37 :: v_dual_add_f32 v36, v25, v36
	ds_load_2addr_b64 v[25:28], v19 offset0:64 offset1:80
	v_fmac_f32_e32 v38, v35, v56
	v_dual_mul_f32 v37, v35, v57 :: v_dual_add_f32 v24, v24, v39
	v_mul_f32_e32 v39, v34, v59
	s_delay_alu instid0(VALU_DEP_3) | instskip(NEXT) | instid1(VALU_DEP_3)
	v_add_f32_e32 v38, v30, v38
	v_fma_f32 v37, v34, v56, -v37
	v_fma_f32 v34, v34, v58, -v40
	v_mul_f32_e32 v30, v42, v57
	s_delay_alu instid0(VALU_DEP_3) | instskip(SKIP_1) | instid1(VALU_DEP_4)
	v_add_f32_e32 v1, v1, v37
	v_mul_f32_e32 v37, v43, v57
	v_add_f32_e32 v34, v31, v34
	v_fmac_f32_e32 v39, v35, v58
	v_mul_f32_e32 v35, v43, v59
	v_fmac_f32_e32 v30, v43, v56
	v_fma_f32 v31, v42, v56, -v37
	s_delay_alu instid0(VALU_DEP_4) | instskip(SKIP_4) | instid1(VALU_DEP_3)
	v_add_f32_e32 v37, v29, v39
	v_mul_f32_e32 v39, v42, v59
	v_fma_f32 v29, v42, v58, -v35
	s_wait_dscnt 0x0
	v_dual_add_f32 v40, v32, v31 :: v_dual_mul_f32 v31, v45, v26
	v_dual_mul_f32 v42, v45, v28 :: v_dual_fmac_f32 v39, v43, v58
	v_mul_f32_e32 v35, v44, v26
	v_add_f32_e32 v36, v36, v29
	s_delay_alu instid0(VALU_DEP_3) | instskip(SKIP_3) | instid1(VALU_DEP_3)
	v_add_f32_e32 v39, v24, v39
	v_mul_f32_e32 v24, v44, v28
	v_fma_f32 v41, v44, v25, -v31
	v_fmac_f32_e32 v35, v45, v25
	v_fmac_f32_e32 v24, v45, v27
	s_delay_alu instid0(VALU_DEP_3)
	v_add_f32_e32 v1, v1, v41
	v_fma_f32 v41, v44, v27, -v42
	v_add_f32_e32 v33, v33, v30
	ds_load_2addr_b64 v[29:32], v19 offset0:96 offset1:112
	v_dual_add_f32 v35, v38, v35 :: v_dual_mul_f32 v38, v61, v26
	v_mul_f32_e32 v26, v60, v26
	v_dual_add_f32 v34, v34, v41 :: v_dual_mul_f32 v41, v61, v28
	v_mul_f32_e32 v28, v60, v28
	s_delay_alu instid0(VALU_DEP_4) | instskip(NEXT) | instid1(VALU_DEP_4)
	v_fma_f32 v38, v60, v25, -v38
	v_fmac_f32_e32 v26, v61, v25
	v_add_f32_e32 v37, v37, v24
	v_fma_f32 v24, v60, v27, -v41
	v_fmac_f32_e32 v28, v61, v27
	v_add_f32_e32 v38, v40, v38
	s_delay_alu instid0(VALU_DEP_3) | instskip(SKIP_4) | instid1(VALU_DEP_2)
	v_dual_add_f32 v40, v33, v26 :: v_dual_add_f32 v41, v36, v24
	ds_load_2addr_b64 v[24:27], v19 offset0:128 offset1:144
	s_wait_dscnt 0x1
	v_mul_f32_e32 v33, v47, v30
	v_dual_mul_f32 v36, v46, v30 :: v_dual_mul_f32 v45, v63, v32
	v_fma_f32 v33, v46, v29, -v33
	v_mul_f32_e32 v42, v47, v32
	s_delay_alu instid0(VALU_DEP_3) | instskip(NEXT) | instid1(VALU_DEP_3)
	v_fmac_f32_e32 v36, v47, v29
	v_add_f32_e32 v1, v1, v33
	s_delay_alu instid0(VALU_DEP_3) | instskip(SKIP_3) | instid1(VALU_DEP_4)
	v_fma_f32 v42, v46, v31, -v42
	v_add_f32_e32 v39, v39, v28
	v_dual_mul_f32 v28, v46, v32 :: v_dual_mul_f32 v33, v63, v30
	v_dual_add_f32 v43, v35, v36 :: v_dual_mul_f32 v30, v62, v30
	v_add_f32_e32 v42, v34, v42
	s_delay_alu instid0(VALU_DEP_3) | instskip(NEXT) | instid1(VALU_DEP_4)
	v_fmac_f32_e32 v28, v47, v31
	v_fma_f32 v44, v62, v29, -v33
	ds_load_b128 v[33:36], v20 offset:1056
	v_fmac_f32_e32 v30, v63, v29
	s_wait_dscnt 0x1
	v_mul_f32_e32 v29, v49, v25
	v_add_f32_e32 v46, v37, v28
	v_dual_mul_f32 v32, v62, v32 :: v_dual_mul_f32 v47, v48, v25
	v_mul_f32_e32 v56, v48, v27
	s_delay_alu instid0(VALU_DEP_4)
	v_fma_f32 v37, v48, v24, -v29
	v_add_f32_e32 v44, v38, v44
	v_mul_f32_e32 v38, v49, v27
	v_fma_f32 v28, v62, v31, -v45
	v_dual_fmac_f32 v32, v63, v31 :: v_dual_fmac_f32 v47, v49, v24
	v_add_f32_e32 v1, v1, v37
	s_delay_alu instid0(VALU_DEP_4) | instskip(NEXT) | instid1(VALU_DEP_4)
	v_fma_f32 v48, v48, v26, -v38
	v_add_f32_e32 v41, v41, v28
	v_add_f32_e32 v45, v40, v30
	ds_load_2addr_b64 v[28:31], v19 offset0:160 offset1:176
	v_add_f32_e32 v32, v39, v32
	ds_load_b128 v[37:40], v20 offset:1072
	s_wait_dscnt 0x2
	v_mul_f32_e32 v57, v34, v25
	v_dual_mul_f32 v25, v33, v25 :: v_dual_add_f32 v42, v42, v48
	v_mul_f32_e32 v48, v34, v27
	v_dual_add_f32 v43, v43, v47 :: v_dual_fmac_f32 v56, v49, v26
	s_delay_alu instid0(VALU_DEP_4) | instskip(NEXT) | instid1(VALU_DEP_4)
	v_fma_f32 v47, v33, v24, -v57
	v_fmac_f32_e32 v25, v34, v24
	v_mul_f32_e32 v49, v33, v27
	s_delay_alu instid0(VALU_DEP_3) | instskip(SKIP_1) | instid1(VALU_DEP_3)
	v_add_f32_e32 v44, v44, v47
	v_add_f32_e32 v46, v46, v56
	v_fmac_f32_e32 v49, v34, v26
	s_wait_dscnt 0x1
	v_mul_f32_e32 v27, v51, v29
	v_fma_f32 v24, v33, v26, -v48
	v_add_f32_e32 v33, v45, v25
	v_mul_f32_e32 v34, v50, v29
	s_delay_alu instid0(VALU_DEP_4) | instskip(NEXT) | instid1(VALU_DEP_4)
	v_fma_f32 v45, v50, v28, -v27
	v_add_f32_e32 v41, v41, v24
	ds_load_2addr_b64 v[24:27], v19 offset0:192 offset1:208
	v_fmac_f32_e32 v34, v51, v28
	v_dual_mul_f32 v47, v51, v31 :: v_dual_add_f32 v48, v32, v49
	v_dual_add_f32 v1, v1, v45 :: v_dual_mul_f32 v32, v50, v31
	s_delay_alu instid0(VALU_DEP_3) | instskip(NEXT) | instid1(VALU_DEP_3)
	v_dual_add_f32 v43, v43, v34 :: v_dual_mul_f32 v34, v36, v29
	v_fma_f32 v45, v50, v30, -v47
	s_delay_alu instid0(VALU_DEP_3) | instskip(NEXT) | instid1(VALU_DEP_3)
	v_fmac_f32_e32 v32, v51, v30
	v_fma_f32 v34, v35, v28, -v34
	s_delay_alu instid0(VALU_DEP_3) | instskip(SKIP_1) | instid1(VALU_DEP_3)
	v_dual_add_f32 v42, v42, v45 :: v_dual_mul_f32 v45, v36, v31
	v_mul_f32_e32 v29, v35, v29
	v_dual_mul_f32 v31, v35, v31 :: v_dual_add_f32 v44, v44, v34
	s_delay_alu instid0(VALU_DEP_2) | instskip(SKIP_2) | instid1(VALU_DEP_4)
	v_fmac_f32_e32 v29, v36, v28
	v_add_f32_e32 v28, v46, v32
	v_fma_f32 v32, v35, v30, -v45
	v_fmac_f32_e32 v31, v36, v30
	s_wait_dscnt 0x0
	v_mul_f32_e32 v36, v52, v25
	v_dual_add_f32 v29, v33, v29 :: v_dual_mul_f32 v46, v52, v27
	v_add_f32_e32 v30, v41, v32
	ds_load_2addr_b64 v[32:35], v19 offset0:224 offset1:240
	v_dual_add_f32 v31, v48, v31 :: v_dual_fmac_f32 v36, v53, v24
	v_mul_f32_e32 v45, v53, v25
	v_fmac_f32_e32 v46, v53, v26
	s_wait_loadcnt_dscnt 0x0
	s_barrier_signal -1
	v_add_f32_e32 v36, v43, v36
	v_fma_f32 v41, v52, v24, -v45
	v_mul_f32_e32 v45, v53, v27
	v_mul_f32_e32 v43, v38, v27
	;; [unrolled: 1-line block ×3, first 2 shown]
	s_barrier_wait -1
	global_inv scope:SCOPE_SE
	v_fma_f32 v45, v52, v26, -v45
	v_fmac_f32_e32 v27, v38, v26
	s_delay_alu instid0(VALU_DEP_2) | instskip(SKIP_4) | instid1(VALU_DEP_1)
	v_dual_add_f32 v42, v42, v45 :: v_dual_add_f32 v45, v28, v46
	v_fma_f32 v28, v37, v26, -v43
	v_add_f32_e32 v1, v1, v41
	v_mul_f32_e32 v41, v38, v25
	v_mul_f32_e32 v25, v37, v25
	v_fmac_f32_e32 v25, v38, v24
	v_add_f32_e32 v38, v30, v28
	v_mul_f32_e32 v28, v55, v35
	v_fma_f32 v41, v37, v24, -v41
	v_mul_f32_e32 v37, v55, v33
	s_delay_alu instid0(VALU_DEP_2) | instskip(NEXT) | instid1(VALU_DEP_2)
	v_add_f32_e32 v24, v44, v41
	v_fma_f32 v26, v54, v32, -v37
	v_add_f32_e32 v25, v29, v25
	s_delay_alu instid0(VALU_DEP_2) | instskip(SKIP_1) | instid1(VALU_DEP_2)
	v_dual_mul_f32 v29, v54, v35 :: v_dual_add_f32 v30, v1, v26
	v_fma_f32 v1, v54, v34, -v28
	v_dual_mul_f32 v26, v40, v33 :: v_dual_fmac_f32 v29, v55, v34
	s_delay_alu instid0(VALU_DEP_2) | instskip(NEXT) | instid1(VALU_DEP_2)
	v_add_f32_e32 v28, v42, v1
	v_fma_f32 v1, v39, v32, -v26
	s_delay_alu instid0(VALU_DEP_3) | instskip(NEXT) | instid1(VALU_DEP_2)
	v_add_f32_e32 v29, v45, v29
	v_dual_add_f32 v26, v24, v1 :: v_dual_add_f32 v37, v31, v27
	v_mul_f32_e32 v41, v54, v33
	v_mul_f32_e32 v27, v39, v33
	;; [unrolled: 1-line block ×4, first 2 shown]
	s_delay_alu instid0(VALU_DEP_3) | instskip(NEXT) | instid1(VALU_DEP_2)
	v_fmac_f32_e32 v27, v40, v32
	v_fmac_f32_e32 v35, v40, v34
	s_delay_alu instid0(VALU_DEP_2) | instskip(NEXT) | instid1(VALU_DEP_2)
	v_add_f32_e32 v27, v25, v27
	v_dual_add_f32 v24, v37, v35 :: v_dual_fmac_f32 v41, v55, v32
	v_fma_f32 v32, v39, v34, -v33
	s_delay_alu instid0(VALU_DEP_2) | instskip(NEXT) | instid1(VALU_DEP_2)
	v_add_f32_e32 v31, v36, v41
	v_add_f32_e32 v25, v38, v32
	s_cbranch_scc0 .LBB76_19
.LBB76_11:                              ;   Parent Loop BB76_8 Depth=1
                                        ; =>  This Inner Loop Header: Depth=2
	s_wait_alu 0xfffe
	v_add_nc_u32_e32 v1, s0, v21
	s_delay_alu instid0(VALU_DEP_1)
	v_cmp_le_i32_e32 vcc_lo, s21, v1
	s_or_b32 s1, s14, vcc_lo
	s_wait_alu 0xfffe
	s_and_saveexec_b32 s26, s1
	s_wait_alu 0xfffe
	s_xor_b32 s1, exec_lo, s26
; %bb.12:                               ;   in Loop: Header=BB76_11 Depth=2
	v_mov_b32_e32 v1, v0
	ds_store_b64 v22, v[0:1]
; %bb.13:                               ;   in Loop: Header=BB76_11 Depth=2
	s_wait_alu 0xfffe
	s_and_not1_saveexec_b32 s1, s1
	s_cbranch_execz .LBB76_15
; %bb.14:                               ;   in Loop: Header=BB76_11 Depth=2
	global_load_b64 v[32:33], v[14:15], off
	s_wait_loadcnt 0x0
	ds_store_b64 v22, v[32:33]
.LBB76_15:                              ;   in Loop: Header=BB76_11 Depth=2
	s_wait_alu 0xfffe
	s_or_b32 exec_lo, exec_lo, s1
	v_add_nc_u32_e32 v1, s0, v18
	s_delay_alu instid0(VALU_DEP_1)
	v_cmp_le_i32_e32 vcc_lo, s21, v1
	s_or_b32 s1, vcc_lo, s15
	s_wait_alu 0xfffe
	s_and_saveexec_b32 s26, s1
	s_wait_alu 0xfffe
	s_xor_b32 s1, exec_lo, s26
; %bb.16:                               ;   in Loop: Header=BB76_11 Depth=2
	v_mov_b32_e32 v1, v0
	ds_store_b64 v23, v[0:1]
; %bb.17:                               ;   in Loop: Header=BB76_11 Depth=2
	s_wait_alu 0xfffe
	s_and_not1_saveexec_b32 s1, s1
	s_cbranch_execz .LBB76_10
; %bb.18:                               ;   in Loop: Header=BB76_11 Depth=2
	global_load_b64 v[32:33], v[16:17], off
	s_wait_loadcnt 0x0
	ds_store_b64 v23, v[32:33]
	s_branch .LBB76_10
.LBB76_19:                              ;   in Loop: Header=BB76_8 Depth=1
	s_mul_u64 s[0:1], s[24:25], s[22:23]
	s_wait_alu 0xfffe
	s_lshl_b64 s[0:1], s[0:1], 3
	s_wait_alu 0xfffe
	s_add_nc_u64 s[0:1], s[16:17], s[0:1]
	s_wait_alu 0xfffe
	v_add_co_u32 v1, vcc_lo, s0, v6
	s_wait_alu 0xfffd
	v_add_co_ci_u32_e64 v16, null, s1, v7, vcc_lo
	s_and_saveexec_b32 s26, s28
	s_cbranch_execz .LBB76_24
; %bb.20:                               ;   in Loop: Header=BB76_8 Depth=1
	v_mul_f32_e32 v15, s8, v31
	v_mul_f32_e32 v14, s9, v31
	s_and_b32 vcc_lo, exec_lo, s13
	s_mov_b32 s27, -1
	s_delay_alu instid0(VALU_DEP_2) | instskip(NEXT) | instid1(VALU_DEP_2)
	v_fmac_f32_e32 v15, s9, v30
	v_fma_f32 v14, v30, s8, -v14
	s_wait_alu 0xfffe
	s_cbranch_vccz .LBB76_22
; %bb.21:                               ;   in Loop: Header=BB76_8 Depth=1
	v_add_co_u32 v30, vcc_lo, v1, v10
	s_wait_alu 0xfffd
	v_add_co_ci_u32_e64 v31, null, v16, v11, vcc_lo
	s_mov_b32 s27, 0
	global_load_b64 v[32:33], v[30:31], off
	s_wait_loadcnt 0x0
	v_mul_f32_e32 v17, s7, v33
	v_mul_f32_e32 v33, s6, v33
	s_delay_alu instid0(VALU_DEP_2) | instskip(NEXT) | instid1(VALU_DEP_1)
	v_fma_f32 v17, v32, s6, -v17
	v_dual_fmac_f32 v33, s7, v32 :: v_dual_add_f32 v32, v14, v17
	s_delay_alu instid0(VALU_DEP_1)
	v_add_f32_e32 v33, v15, v33
	global_store_b64 v[30:31], v[32:33], off
.LBB76_22:                              ;   in Loop: Header=BB76_8 Depth=1
	s_wait_alu 0xfffe
	s_and_not1_b32 vcc_lo, exec_lo, s27
	s_wait_alu 0xfffe
	s_cbranch_vccnz .LBB76_24
; %bb.23:                               ;   in Loop: Header=BB76_8 Depth=1
	v_add_co_u32 v30, vcc_lo, v1, v10
	s_wait_alu 0xfffd
	v_add_co_ci_u32_e64 v31, null, v16, v11, vcc_lo
	global_store_b64 v[30:31], v[14:15], off
.LBB76_24:                              ;   in Loop: Header=BB76_8 Depth=1
	s_wait_alu 0xfffe
	s_or_b32 exec_lo, exec_lo, s26
	s_and_saveexec_b32 s26, s29
	s_cbranch_execz .LBB76_29
; %bb.25:                               ;   in Loop: Header=BB76_8 Depth=1
	v_mul_f32_e32 v15, s8, v29
	v_mul_f32_e32 v14, s9, v29
	s_and_not1_b32 vcc_lo, exec_lo, s13
	s_mov_b32 s27, -1
	s_delay_alu instid0(VALU_DEP_2) | instskip(NEXT) | instid1(VALU_DEP_2)
	v_fmac_f32_e32 v15, s9, v28
	v_fma_f32 v14, v28, s8, -v14
	s_wait_alu 0xfffe
	s_cbranch_vccnz .LBB76_27
; %bb.26:                               ;   in Loop: Header=BB76_8 Depth=1
	v_add_co_u32 v28, vcc_lo, v1, v12
	s_wait_alu 0xfffd
	v_add_co_ci_u32_e64 v29, null, v16, v13, vcc_lo
	s_mov_b32 s27, 0
	global_load_b64 v[30:31], v[28:29], off
	s_wait_loadcnt 0x0
	v_mul_f32_e32 v17, s7, v31
	s_delay_alu instid0(VALU_DEP_1) | instskip(SKIP_1) | instid1(VALU_DEP_1)
	v_fma_f32 v17, v30, s6, -v17
	v_mul_f32_e32 v31, s6, v31
	v_dual_fmac_f32 v31, s7, v30 :: v_dual_add_f32 v30, v14, v17
	s_delay_alu instid0(VALU_DEP_1)
	v_add_f32_e32 v31, v15, v31
	global_store_b64 v[28:29], v[30:31], off
.LBB76_27:                              ;   in Loop: Header=BB76_8 Depth=1
	s_wait_alu 0xfffe
	s_and_not1_b32 vcc_lo, exec_lo, s27
	s_wait_alu 0xfffe
	s_cbranch_vccnz .LBB76_29
; %bb.28:                               ;   in Loop: Header=BB76_8 Depth=1
	v_add_co_u32 v28, vcc_lo, v1, v12
	s_wait_alu 0xfffd
	v_add_co_ci_u32_e64 v29, null, v16, v13, vcc_lo
	global_store_b64 v[28:29], v[14:15], off
.LBB76_29:                              ;   in Loop: Header=BB76_8 Depth=1
	s_wait_alu 0xfffe
	s_or_b32 exec_lo, exec_lo, s26
	v_add_co_u32 v1, vcc_lo, s0, v8
	s_wait_alu 0xfffd
	v_add_co_ci_u32_e64 v16, null, s1, v9, vcc_lo
	s_and_saveexec_b32 s0, s18
	s_cbranch_execz .LBB76_34
; %bb.30:                               ;   in Loop: Header=BB76_8 Depth=1
	v_mul_f32_e32 v15, s8, v27
	v_mul_f32_e32 v14, s9, v27
	s_and_not1_b32 vcc_lo, exec_lo, s13
	s_mov_b32 s1, -1
	s_delay_alu instid0(VALU_DEP_2) | instskip(NEXT) | instid1(VALU_DEP_2)
	v_fmac_f32_e32 v15, s9, v26
	v_fma_f32 v14, v26, s8, -v14
	s_wait_alu 0xfffe
	s_cbranch_vccnz .LBB76_32
; %bb.31:                               ;   in Loop: Header=BB76_8 Depth=1
	v_add_co_u32 v26, vcc_lo, v1, v10
	s_wait_alu 0xfffd
	v_add_co_ci_u32_e64 v27, null, v16, v11, vcc_lo
	s_mov_b32 s1, 0
	global_load_b64 v[28:29], v[26:27], off
	s_wait_loadcnt 0x0
	v_mul_f32_e32 v17, s7, v29
	v_mul_f32_e32 v29, s6, v29
	s_delay_alu instid0(VALU_DEP_2) | instskip(NEXT) | instid1(VALU_DEP_1)
	v_fma_f32 v17, v28, s6, -v17
	v_dual_fmac_f32 v29, s7, v28 :: v_dual_add_f32 v28, v14, v17
	s_delay_alu instid0(VALU_DEP_1)
	v_add_f32_e32 v29, v15, v29
	global_store_b64 v[26:27], v[28:29], off
.LBB76_32:                              ;   in Loop: Header=BB76_8 Depth=1
	s_wait_alu 0xfffe
	s_and_not1_b32 vcc_lo, exec_lo, s1
	s_wait_alu 0xfffe
	s_cbranch_vccnz .LBB76_34
; %bb.33:                               ;   in Loop: Header=BB76_8 Depth=1
	v_add_co_u32 v26, vcc_lo, v1, v10
	s_wait_alu 0xfffd
	v_add_co_ci_u32_e64 v27, null, v16, v11, vcc_lo
	global_store_b64 v[26:27], v[14:15], off
.LBB76_34:                              ;   in Loop: Header=BB76_8 Depth=1
	s_wait_alu 0xfffe
	s_or_b32 exec_lo, exec_lo, s0
	s_and_saveexec_b32 s0, s20
	s_cbranch_execz .LBB76_7
; %bb.35:                               ;   in Loop: Header=BB76_8 Depth=1
	v_mul_f32_e32 v15, s8, v24
	v_mul_f32_e32 v14, s9, v24
	s_and_not1_b32 vcc_lo, exec_lo, s13
	s_mov_b32 s1, -1
	s_delay_alu instid0(VALU_DEP_2) | instskip(NEXT) | instid1(VALU_DEP_2)
	v_fmac_f32_e32 v15, s9, v25
	v_fma_f32 v14, v25, s8, -v14
	s_wait_alu 0xfffe
	s_cbranch_vccnz .LBB76_37
; %bb.36:                               ;   in Loop: Header=BB76_8 Depth=1
	v_add_co_u32 v24, vcc_lo, v1, v12
	s_wait_alu 0xfffd
	v_add_co_ci_u32_e64 v25, null, v16, v13, vcc_lo
	s_mov_b32 s1, 0
	global_load_b64 v[26:27], v[24:25], off
	s_wait_loadcnt 0x0
	v_mul_f32_e32 v17, s7, v27
	s_delay_alu instid0(VALU_DEP_1) | instskip(SKIP_1) | instid1(VALU_DEP_1)
	v_fma_f32 v17, v26, s6, -v17
	v_mul_f32_e32 v27, s6, v27
	v_dual_fmac_f32 v27, s7, v26 :: v_dual_add_f32 v26, v14, v17
	s_delay_alu instid0(VALU_DEP_1)
	v_add_f32_e32 v27, v15, v27
	global_store_b64 v[24:25], v[26:27], off
.LBB76_37:                              ;   in Loop: Header=BB76_8 Depth=1
	s_wait_alu 0xfffe
	s_and_not1_b32 vcc_lo, exec_lo, s1
	s_wait_alu 0xfffe
	s_cbranch_vccnz .LBB76_7
; %bb.38:                               ;   in Loop: Header=BB76_8 Depth=1
	v_add_co_u32 v24, vcc_lo, v1, v12
	s_wait_alu 0xfffd
	v_add_co_ci_u32_e64 v25, null, v16, v13, vcc_lo
	global_store_b64 v[24:25], v[14:15], off
	s_branch .LBB76_7
.LBB76_39:
	s_endpgm
	.section	.rodata,"a",@progbits
	.p2align	6, 0x0
	.amdhsa_kernel _ZL29rocblas_internal_gemmt_kernelIiLi16ELi32ELi8ELc84ELc84ELc85ELb0ELb0E19rocblas_complex_numIfEPKS1_S3_PS1_EviT_T9_T10_S5_lS7_S5_lS6_T11_S5_li
		.amdhsa_group_segment_fixed_size 4096
		.amdhsa_private_segment_fixed_size 0
		.amdhsa_kernarg_size 100
		.amdhsa_user_sgpr_count 2
		.amdhsa_user_sgpr_dispatch_ptr 0
		.amdhsa_user_sgpr_queue_ptr 0
		.amdhsa_user_sgpr_kernarg_segment_ptr 1
		.amdhsa_user_sgpr_dispatch_id 0
		.amdhsa_user_sgpr_private_segment_size 0
		.amdhsa_wavefront_size32 1
		.amdhsa_uses_dynamic_stack 0
		.amdhsa_enable_private_segment 0
		.amdhsa_system_sgpr_workgroup_id_x 1
		.amdhsa_system_sgpr_workgroup_id_y 1
		.amdhsa_system_sgpr_workgroup_id_z 1
		.amdhsa_system_sgpr_workgroup_info 0
		.amdhsa_system_vgpr_workitem_id 1
		.amdhsa_next_free_vgpr 69
		.amdhsa_next_free_sgpr 35
		.amdhsa_reserve_vcc 1
		.amdhsa_float_round_mode_32 0
		.amdhsa_float_round_mode_16_64 0
		.amdhsa_float_denorm_mode_32 3
		.amdhsa_float_denorm_mode_16_64 3
		.amdhsa_fp16_overflow 0
		.amdhsa_workgroup_processor_mode 1
		.amdhsa_memory_ordered 1
		.amdhsa_forward_progress 1
		.amdhsa_inst_pref_size 25
		.amdhsa_round_robin_scheduling 0
		.amdhsa_exception_fp_ieee_invalid_op 0
		.amdhsa_exception_fp_denorm_src 0
		.amdhsa_exception_fp_ieee_div_zero 0
		.amdhsa_exception_fp_ieee_overflow 0
		.amdhsa_exception_fp_ieee_underflow 0
		.amdhsa_exception_fp_ieee_inexact 0
		.amdhsa_exception_int_div_zero 0
	.end_amdhsa_kernel
	.section	.text._ZL29rocblas_internal_gemmt_kernelIiLi16ELi32ELi8ELc84ELc84ELc85ELb0ELb0E19rocblas_complex_numIfEPKS1_S3_PS1_EviT_T9_T10_S5_lS7_S5_lS6_T11_S5_li,"axG",@progbits,_ZL29rocblas_internal_gemmt_kernelIiLi16ELi32ELi8ELc84ELc84ELc85ELb0ELb0E19rocblas_complex_numIfEPKS1_S3_PS1_EviT_T9_T10_S5_lS7_S5_lS6_T11_S5_li,comdat
.Lfunc_end76:
	.size	_ZL29rocblas_internal_gemmt_kernelIiLi16ELi32ELi8ELc84ELc84ELc85ELb0ELb0E19rocblas_complex_numIfEPKS1_S3_PS1_EviT_T9_T10_S5_lS7_S5_lS6_T11_S5_li, .Lfunc_end76-_ZL29rocblas_internal_gemmt_kernelIiLi16ELi32ELi8ELc84ELc84ELc85ELb0ELb0E19rocblas_complex_numIfEPKS1_S3_PS1_EviT_T9_T10_S5_lS7_S5_lS6_T11_S5_li
                                        ; -- End function
	.set _ZL29rocblas_internal_gemmt_kernelIiLi16ELi32ELi8ELc84ELc84ELc85ELb0ELb0E19rocblas_complex_numIfEPKS1_S3_PS1_EviT_T9_T10_S5_lS7_S5_lS6_T11_S5_li.num_vgpr, 69
	.set _ZL29rocblas_internal_gemmt_kernelIiLi16ELi32ELi8ELc84ELc84ELc85ELb0ELb0E19rocblas_complex_numIfEPKS1_S3_PS1_EviT_T9_T10_S5_lS7_S5_lS6_T11_S5_li.num_agpr, 0
	.set _ZL29rocblas_internal_gemmt_kernelIiLi16ELi32ELi8ELc84ELc84ELc85ELb0ELb0E19rocblas_complex_numIfEPKS1_S3_PS1_EviT_T9_T10_S5_lS7_S5_lS6_T11_S5_li.numbered_sgpr, 35
	.set _ZL29rocblas_internal_gemmt_kernelIiLi16ELi32ELi8ELc84ELc84ELc85ELb0ELb0E19rocblas_complex_numIfEPKS1_S3_PS1_EviT_T9_T10_S5_lS7_S5_lS6_T11_S5_li.num_named_barrier, 0
	.set _ZL29rocblas_internal_gemmt_kernelIiLi16ELi32ELi8ELc84ELc84ELc85ELb0ELb0E19rocblas_complex_numIfEPKS1_S3_PS1_EviT_T9_T10_S5_lS7_S5_lS6_T11_S5_li.private_seg_size, 0
	.set _ZL29rocblas_internal_gemmt_kernelIiLi16ELi32ELi8ELc84ELc84ELc85ELb0ELb0E19rocblas_complex_numIfEPKS1_S3_PS1_EviT_T9_T10_S5_lS7_S5_lS6_T11_S5_li.uses_vcc, 1
	.set _ZL29rocblas_internal_gemmt_kernelIiLi16ELi32ELi8ELc84ELc84ELc85ELb0ELb0E19rocblas_complex_numIfEPKS1_S3_PS1_EviT_T9_T10_S5_lS7_S5_lS6_T11_S5_li.uses_flat_scratch, 0
	.set _ZL29rocblas_internal_gemmt_kernelIiLi16ELi32ELi8ELc84ELc84ELc85ELb0ELb0E19rocblas_complex_numIfEPKS1_S3_PS1_EviT_T9_T10_S5_lS7_S5_lS6_T11_S5_li.has_dyn_sized_stack, 0
	.set _ZL29rocblas_internal_gemmt_kernelIiLi16ELi32ELi8ELc84ELc84ELc85ELb0ELb0E19rocblas_complex_numIfEPKS1_S3_PS1_EviT_T9_T10_S5_lS7_S5_lS6_T11_S5_li.has_recursion, 0
	.set _ZL29rocblas_internal_gemmt_kernelIiLi16ELi32ELi8ELc84ELc84ELc85ELb0ELb0E19rocblas_complex_numIfEPKS1_S3_PS1_EviT_T9_T10_S5_lS7_S5_lS6_T11_S5_li.has_indirect_call, 0
	.section	.AMDGPU.csdata,"",@progbits
; Kernel info:
; codeLenInByte = 3152
; TotalNumSgprs: 37
; NumVgprs: 69
; ScratchSize: 0
; MemoryBound: 1
; FloatMode: 240
; IeeeMode: 1
; LDSByteSize: 4096 bytes/workgroup (compile time only)
; SGPRBlocks: 0
; VGPRBlocks: 8
; NumSGPRsForWavesPerEU: 37
; NumVGPRsForWavesPerEU: 69
; Occupancy: 16
; WaveLimiterHint : 0
; COMPUTE_PGM_RSRC2:SCRATCH_EN: 0
; COMPUTE_PGM_RSRC2:USER_SGPR: 2
; COMPUTE_PGM_RSRC2:TRAP_HANDLER: 0
; COMPUTE_PGM_RSRC2:TGID_X_EN: 1
; COMPUTE_PGM_RSRC2:TGID_Y_EN: 1
; COMPUTE_PGM_RSRC2:TGID_Z_EN: 1
; COMPUTE_PGM_RSRC2:TIDIG_COMP_CNT: 1
	.section	.text._ZL29rocblas_internal_gemmt_kernelIiLi16ELi32ELi8ELc84ELc67ELc85ELb0ELb1E19rocblas_complex_numIfEPKS1_S3_PS1_EviT_T9_T10_S5_lS7_S5_lS6_T11_S5_li,"axG",@progbits,_ZL29rocblas_internal_gemmt_kernelIiLi16ELi32ELi8ELc84ELc67ELc85ELb0ELb1E19rocblas_complex_numIfEPKS1_S3_PS1_EviT_T9_T10_S5_lS7_S5_lS6_T11_S5_li,comdat
	.globl	_ZL29rocblas_internal_gemmt_kernelIiLi16ELi32ELi8ELc84ELc67ELc85ELb0ELb1E19rocblas_complex_numIfEPKS1_S3_PS1_EviT_T9_T10_S5_lS7_S5_lS6_T11_S5_li ; -- Begin function _ZL29rocblas_internal_gemmt_kernelIiLi16ELi32ELi8ELc84ELc67ELc85ELb0ELb1E19rocblas_complex_numIfEPKS1_S3_PS1_EviT_T9_T10_S5_lS7_S5_lS6_T11_S5_li
	.p2align	8
	.type	_ZL29rocblas_internal_gemmt_kernelIiLi16ELi32ELi8ELc84ELc67ELc85ELb0ELb1E19rocblas_complex_numIfEPKS1_S3_PS1_EviT_T9_T10_S5_lS7_S5_lS6_T11_S5_li,@function
_ZL29rocblas_internal_gemmt_kernelIiLi16ELi32ELi8ELc84ELc67ELc85ELb0ELb1E19rocblas_complex_numIfEPKS1_S3_PS1_EviT_T9_T10_S5_lS7_S5_lS6_T11_S5_li: ; @_ZL29rocblas_internal_gemmt_kernelIiLi16ELi32ELi8ELc84ELc67ELc85ELb0ELb1E19rocblas_complex_numIfEPKS1_S3_PS1_EviT_T9_T10_S5_lS7_S5_lS6_T11_S5_li
; %bb.0:
	s_load_b128 s[4:7], s[0:1], 0x38
	s_wait_kmcnt 0x0
	s_load_b64 s[6:7], s[6:7], 0x0
	s_clause 0x1
	s_load_b128 s[8:11], s[0:1], 0x8
	s_load_b64 s[20:21], s[0:1], 0x0
	s_wait_kmcnt 0x0
	s_load_b64 s[8:9], s[8:9], 0x0
	s_cmp_eq_f32 s6, 1.0
	s_cselect_b32 s3, -1, 0
	s_and_b32 s2, s7, 0x7fffffff
	s_delay_alu instid0(SALU_CYCLE_1) | instskip(SKIP_1) | instid1(SALU_CYCLE_1)
	s_cmp_eq_u32 s2, 0
	s_cselect_b32 s2, -1, 0
	s_and_b32 s12, s3, s2
	s_mov_b32 s3, 0
	s_and_not1_b32 vcc_lo, exec_lo, s12
	s_mov_b32 s12, -1
	s_cbranch_vccnz .LBB77_4
; %bb.1:
	s_cmp_lg_u32 s21, 0
	s_cbranch_scc0 .LBB77_3
; %bb.2:
	s_wait_kmcnt 0x0
	s_cmp_neq_f32 s8, 0
	s_cselect_b32 s3, -1, 0
	s_cmp_neq_f32 s9, 0
	s_cselect_b32 s12, -1, 0
	s_delay_alu instid0(SALU_CYCLE_1)
	s_or_b32 s3, s3, s12
.LBB77_3:
	s_delay_alu instid0(SALU_CYCLE_1)
	s_mov_b32 s12, s3
.LBB77_4:
	s_delay_alu instid0(SALU_CYCLE_1)
	s_and_b32 vcc_lo, exec_lo, s12
	s_cbranch_vccz .LBB77_39
; %bb.5:
	s_load_b32 s19, s[0:1], 0x60
	s_lshr_b32 s22, ttmp7, 16
	s_wait_kmcnt 0x0
	s_cmp_ge_u32 s22, s19
	s_cbranch_scc1 .LBB77_39
; %bb.6:
	s_clause 0x2
	s_load_b32 s26, s[0:1], 0x30
	s_load_b32 s30, s[0:1], 0x18
	s_load_b128 s[12:15], s[0:1], 0x20
	v_and_b32_e32 v1, 0x3ff, v0
	v_bfe_u32 v2, v0, 10, 10
	v_and_b32_e32 v18, 7, v0
	s_clause 0x1
	s_load_b96 s[16:18], s[0:1], 0x48
	s_load_b64 s[24:25], s[0:1], 0x58
	s_lshl_b32 s1, ttmp7, 5
	s_lshl_b32 s0, ttmp9, 5
	v_lshl_add_u32 v0, v2, 4, v1
	s_and_b32 s1, s1, 0x1fffe0
	v_lshlrev_b32_e32 v19, 3, v1
	v_add_nc_u32_e32 v10, s0, v1
	v_lshlrev_b32_e32 v3, 3, v18
	v_and_b32_e32 v1, 31, v0
	v_lshrrev_b32_e32 v4, 3, v0
	v_lshrrev_b32_e32 v20, 5, v0
	v_add_nc_u32_e32 v12, 16, v10
	v_lshl_add_u32 v23, v2, 6, 0x800
	v_or_b32_e32 v0, s0, v1
	s_wait_kmcnt 0x0
	s_ashr_i32 s27, s26, 31
	s_cmp_neq_f32 s8, 0
	v_lshlrev_b32_e32 v1, 3, v1
	v_lshl_or_b32 v3, v4, 6, v3
	v_add_nc_u32_e32 v14, s1, v4
	s_cselect_b32 s3, -1, 0
	s_cmp_neq_f32 s9, 0
	v_lshl_or_b32 v21, v20, 8, v1
	v_add_nc_u32_e32 v1, s1, v2
	v_cmp_gt_i32_e32 vcc_lo, s20, v0
	s_cselect_b32 s28, -1, 0
	v_add_nc_u32_e32 v22, 0x800, v3
	s_or_b32 s31, s3, s28
	s_cmp_gt_i32 s21, 0
	v_cmp_gt_i32_e64 s1, s20, v1
	s_cselect_b32 s33, -1, 0
	s_cmp_neq_f32 s6, 0
	v_cmp_le_i32_e64 s3, v12, v1
	v_mad_co_i64_i32 v[6:7], null, v1, s18, 0
	s_cselect_b32 s34, -1, 0
	s_xor_b32 s35, s2, -1
	v_cmp_le_i32_e64 s2, v10, v1
	v_add_nc_u32_e32 v4, 16, v1
	v_mad_co_i64_i32 v[0:1], null, s30, v0, 0
	v_mad_co_i64_i32 v[2:3], null, s26, v18, 0
	s_and_b32 s28, s1, s2
	s_and_b32 s29, s1, s3
	v_cmp_gt_i32_e64 s1, s20, v4
	v_cmp_le_i32_e64 s2, v10, v4
	v_cmp_le_i32_e64 s3, v12, v4
	v_mad_co_i64_i32 v[8:9], null, v4, s18, 0
	v_lshlrev_b64_e32 v[4:5], 3, v[0:1]
	v_lshlrev_b32_e32 v15, 3, v20
	v_lshlrev_b64_e32 v[1:2], 3, v[2:3]
	v_lshlrev_b32_e32 v3, 3, v14
	v_cmp_gt_i32_e64 s0, s20, v14
	s_and_b32 s18, s1, s2
	s_and_b32 s20, s1, s3
	v_add_co_u32 v4, s1, v4, v15
	s_wait_alu 0xf1ff
	v_add_co_ci_u32_e64 v5, null, 0, v5, s1
	v_add_co_u32 v1, s1, v1, v3
	s_wait_alu 0xf1ff
	v_add_co_ci_u32_e64 v14, null, 0, v2, s1
	;; [unrolled: 3-line block ×3, first 2 shown]
	v_add_co_u32 v1, s1, s14, v1
	v_ashrrev_i32_e32 v11, 31, v10
	v_ashrrev_i32_e32 v13, 31, v12
	s_wait_alu 0xf1ff
	v_add_co_ci_u32_e64 v5, null, s15, v14, s1
	v_add_co_u32 v4, s1, v1, 4
	v_lshlrev_b64_e32 v[6:7], 3, v[6:7]
	v_lshlrev_b64_e32 v[8:9], 3, v[8:9]
	;; [unrolled: 1-line block ×4, first 2 shown]
	v_mov_b32_e32 v0, 0
	s_wait_alu 0xf1ff
	v_add_co_ci_u32_e64 v5, null, 0, v5, s1
	s_mov_b32 s23, 0
	s_lshl_b64 s[2:3], s[12:13], 3
	s_lshl_b64 s[4:5], s[4:5], 3
	s_and_b32 s12, s31, s33
	s_or_b32 s13, s34, s35
	s_lshl_b64 s[10:11], s[26:27], 6
	s_xor_b32 s14, vcc_lo, -1
	s_xor_b32 s15, s0, -1
	s_branch .LBB77_8
.LBB77_7:                               ;   in Loop: Header=BB77_8 Depth=1
	s_wait_alu 0xfffe
	s_or_b32 exec_lo, exec_lo, s0
	s_add_co_i32 s22, s22, 0x10000
	s_wait_alu 0xfffe
	s_cmp_lt_u32 s22, s19
	s_cbranch_scc0 .LBB77_39
.LBB77_8:                               ; =>This Loop Header: Depth=1
                                        ;     Child Loop BB77_11 Depth 2
	v_dual_mov_b32 v30, v0 :: v_dual_mov_b32 v31, v0
	v_dual_mov_b32 v28, v0 :: v_dual_mov_b32 v29, v0
	;; [unrolled: 1-line block ×4, first 2 shown]
	s_and_not1_b32 vcc_lo, exec_lo, s12
	s_wait_alu 0xfffe
	s_cbranch_vccnz .LBB77_19
; %bb.9:                                ;   in Loop: Header=BB77_8 Depth=1
	v_mad_co_u64_u32 v[14:15], null, s2, s22, v[2:3]
	v_mad_co_u64_u32 v[16:17], null, s4, s22, v[4:5]
	v_dual_mov_b32 v25, 0 :: v_dual_mov_b32 v28, 0
	v_mov_b32_e32 v27, 0
	v_mov_b32_e32 v29, 0
	v_dual_mov_b32 v1, v15 :: v_dual_mov_b32 v24, 0
	v_dual_mov_b32 v15, v17 :: v_dual_mov_b32 v26, 0
	s_mov_b32 s0, 0
	s_delay_alu instid0(VALU_DEP_2) | instskip(NEXT) | instid1(VALU_DEP_2)
	v_mad_co_u64_u32 v[30:31], null, s3, s22, v[1:2]
	v_mad_co_u64_u32 v[32:33], null, s5, s22, v[15:16]
	v_mov_b32_e32 v31, 0
	s_delay_alu instid0(VALU_DEP_3) | instskip(NEXT) | instid1(VALU_DEP_3)
	v_dual_mov_b32 v15, v30 :: v_dual_mov_b32 v30, 0
	v_mov_b32_e32 v17, v32
	s_branch .LBB77_11
.LBB77_10:                              ;   in Loop: Header=BB77_11 Depth=2
	s_or_b32 exec_lo, exec_lo, s1
	ds_store_b32 v22, v1 offset:4
	s_wait_dscnt 0x0
	s_barrier_signal -1
	s_barrier_wait -1
	global_inv scope:SCOPE_SE
	ds_load_b128 v[32:35], v23
	ds_load_2addr_b64 v[36:39], v19 offset1:16
	ds_load_b128 v[40:43], v23 offset:1024
	ds_load_b128 v[44:47], v23 offset:16
	;; [unrolled: 1-line block ×4, first 2 shown]
	ds_load_2addr_b64 v[56:59], v19 offset0:32 offset1:48
	ds_load_b128 v[60:63], v23 offset:1040
	v_add_co_u32 v14, vcc_lo, v14, 64
	s_wait_alu 0xfffd
	v_add_co_ci_u32_e64 v15, null, 0, v15, vcc_lo
	v_add_co_u32 v16, vcc_lo, v16, s10
	s_wait_alu 0xfffd
	v_add_co_ci_u32_e64 v17, null, s11, v17, vcc_lo
	s_add_co_i32 s0, s0, 8
	s_wait_alu 0xfffe
	s_cmp_lt_i32 s0, s21
	s_wait_dscnt 0x6
	v_dual_mul_f32 v1, v33, v37 :: v_dual_mul_f32 v66, v32, v39
	v_dual_mul_f32 v64, v32, v37 :: v_dual_mul_f32 v65, v33, v39
	s_wait_dscnt 0x5
	v_mul_f32_e32 v68, v41, v39
	s_delay_alu instid0(VALU_DEP_3) | instskip(SKIP_3) | instid1(VALU_DEP_4)
	v_fma_f32 v1, v32, v36, -v1
	v_dual_mul_f32 v39, v40, v39 :: v_dual_fmac_f32 v66, v33, v38
	v_fmac_f32_e32 v64, v33, v36
	v_fma_f32 v32, v32, v38, -v65
	v_add_f32_e32 v1, v30, v1
	v_mul_f32_e32 v67, v41, v37
	s_delay_alu instid0(VALU_DEP_4) | instskip(NEXT) | instid1(VALU_DEP_4)
	v_dual_mul_f32 v37, v40, v37 :: v_dual_add_f32 v30, v31, v64
	v_add_f32_e32 v31, v28, v32
	v_fma_f32 v28, v40, v38, -v68
	s_delay_alu instid0(VALU_DEP_4) | instskip(NEXT) | instid1(VALU_DEP_4)
	v_fma_f32 v33, v40, v36, -v67
	v_fmac_f32_e32 v37, v41, v36
	s_wait_dscnt 0x1
	v_dual_add_f32 v29, v29, v66 :: v_dual_mul_f32 v36, v35, v57
	v_dual_fmac_f32 v39, v41, v38 :: v_dual_mul_f32 v40, v35, v59
	v_add_f32_e32 v32, v26, v33
	v_add_f32_e32 v33, v27, v37
	v_dual_add_f32 v37, v25, v28 :: v_dual_mul_f32 v38, v34, v57
	ds_load_2addr_b64 v[25:28], v19 offset0:64 offset1:80
	v_fma_f32 v36, v34, v56, -v36
	v_add_f32_e32 v24, v24, v39
	v_dual_mul_f32 v39, v34, v59 :: v_dual_fmac_f32 v38, v35, v56
	v_fma_f32 v34, v34, v58, -v40
	s_delay_alu instid0(VALU_DEP_4) | instskip(NEXT) | instid1(VALU_DEP_3)
	v_dual_add_f32 v1, v1, v36 :: v_dual_mul_f32 v36, v43, v57
	v_fmac_f32_e32 v39, v35, v58
	s_delay_alu instid0(VALU_DEP_4)
	v_add_f32_e32 v38, v30, v38
	v_mul_f32_e32 v30, v42, v57
	v_add_f32_e32 v34, v31, v34
	v_fma_f32 v31, v42, v56, -v36
	v_mul_f32_e32 v35, v43, v59
	v_add_f32_e32 v36, v29, v39
	v_dual_mul_f32 v39, v42, v59 :: v_dual_fmac_f32 v30, v43, v56
	s_delay_alu instid0(VALU_DEP_4) | instskip(NEXT) | instid1(VALU_DEP_4)
	v_add_f32_e32 v40, v32, v31
	v_fma_f32 v29, v42, v58, -v35
	s_wait_dscnt 0x0
	v_mul_f32_e32 v31, v45, v26
	v_dual_fmac_f32 v39, v43, v58 :: v_dual_mul_f32 v42, v45, v28
	s_delay_alu instid0(VALU_DEP_3) | instskip(SKIP_1) | instid1(VALU_DEP_4)
	v_add_f32_e32 v37, v37, v29
	v_add_f32_e32 v33, v33, v30
	v_fma_f32 v41, v44, v25, -v31
	s_delay_alu instid0(VALU_DEP_4)
	v_add_f32_e32 v39, v24, v39
	v_mul_f32_e32 v24, v44, v28
	v_mul_f32_e32 v35, v44, v26
	ds_load_2addr_b64 v[29:32], v19 offset0:96 offset1:112
	v_add_f32_e32 v1, v1, v41
	v_fma_f32 v41, v44, v27, -v42
	v_fmac_f32_e32 v24, v45, v27
	v_fmac_f32_e32 v35, v45, v25
	s_delay_alu instid0(VALU_DEP_3) | instskip(NEXT) | instid1(VALU_DEP_2)
	v_dual_add_f32 v34, v34, v41 :: v_dual_mul_f32 v41, v61, v28
	v_dual_add_f32 v35, v38, v35 :: v_dual_mul_f32 v38, v61, v26
	v_mul_f32_e32 v26, v60, v26
	v_mul_f32_e32 v28, v60, v28
	v_add_f32_e32 v42, v36, v24
	v_fma_f32 v24, v60, v27, -v41
	v_fma_f32 v38, v60, v25, -v38
	v_fmac_f32_e32 v26, v61, v25
	v_fmac_f32_e32 v28, v61, v27
	s_delay_alu instid0(VALU_DEP_3) | instskip(SKIP_1) | instid1(VALU_DEP_3)
	v_dual_add_f32 v37, v37, v24 :: v_dual_add_f32 v38, v40, v38
	s_wait_dscnt 0x0
	v_dual_add_f32 v40, v33, v26 :: v_dual_mul_f32 v41, v47, v32
	ds_load_2addr_b64 v[24:27], v19 offset0:128 offset1:144
	v_mul_f32_e32 v33, v47, v30
	v_mul_f32_e32 v45, v63, v32
	v_fma_f32 v41, v46, v31, -v41
	s_delay_alu instid0(VALU_DEP_3) | instskip(NEXT) | instid1(VALU_DEP_1)
	v_fma_f32 v33, v46, v29, -v33
	v_add_f32_e32 v1, v1, v33
	v_mul_f32_e32 v33, v63, v30
	v_dual_mul_f32 v36, v46, v30 :: v_dual_add_f32 v39, v39, v28
	v_mul_f32_e32 v28, v46, v32
	v_mul_f32_e32 v30, v62, v30
	s_delay_alu instid0(VALU_DEP_4) | instskip(NEXT) | instid1(VALU_DEP_2)
	v_fma_f32 v44, v62, v29, -v33
	v_fmac_f32_e32 v30, v63, v29
	v_fmac_f32_e32 v36, v47, v29
	s_wait_dscnt 0x0
	v_dual_mul_f32 v29, v49, v25 :: v_dual_fmac_f32 v28, v47, v31
	s_delay_alu instid0(VALU_DEP_1) | instskip(SKIP_1) | instid1(VALU_DEP_2)
	v_dual_mul_f32 v47, v48, v25 :: v_dual_add_f32 v42, v42, v28
	v_fma_f32 v28, v62, v31, -v45
	v_fmac_f32_e32 v47, v49, v24
	v_add_f32_e32 v45, v40, v30
	v_add_f32_e32 v43, v35, v36
	;; [unrolled: 1-line block ×4, first 2 shown]
	v_fma_f32 v37, v48, v24, -v29
	v_mul_f32_e32 v32, v62, v32
	v_mul_f32_e32 v38, v49, v27
	v_add_f32_e32 v43, v43, v47
	s_delay_alu instid0(VALU_DEP_4) | instskip(NEXT) | instid1(VALU_DEP_4)
	v_add_f32_e32 v1, v1, v37
	v_dual_add_f32 v41, v34, v41 :: v_dual_fmac_f32 v32, v63, v31
	ds_load_b128 v[33:36], v23 offset:1056
	ds_load_2addr_b64 v[28:31], v19 offset0:160 offset1:176
	v_mul_f32_e32 v56, v48, v27
	v_fma_f32 v48, v48, v26, -v38
	v_add_f32_e32 v32, v39, v32
	ds_load_b128 v[37:40], v23 offset:1072
	v_add_f32_e32 v41, v41, v48
	s_wait_dscnt 0x2
	v_mul_f32_e32 v57, v34, v25
	v_mul_f32_e32 v25, v33, v25
	v_fmac_f32_e32 v56, v49, v26
	v_mul_f32_e32 v48, v34, v27
	v_mul_f32_e32 v49, v33, v27
	v_fma_f32 v47, v33, v24, -v57
	v_fmac_f32_e32 v25, v34, v24
	s_wait_dscnt 0x1
	v_dual_add_f32 v42, v42, v56 :: v_dual_mul_f32 v27, v51, v29
	v_fma_f32 v24, v33, v26, -v48
	v_fmac_f32_e32 v49, v34, v26
	v_mul_f32_e32 v34, v50, v29
	v_dual_add_f32 v44, v44, v47 :: v_dual_add_f32 v33, v45, v25
	v_mul_f32_e32 v47, v51, v31
	s_delay_alu instid0(VALU_DEP_3)
	v_fmac_f32_e32 v34, v51, v28
	v_dual_add_f32 v45, v46, v24 :: v_dual_add_f32 v48, v32, v49
	v_fma_f32 v46, v50, v28, -v27
	ds_load_2addr_b64 v[24:27], v19 offset0:192 offset1:208
	v_dual_mul_f32 v32, v50, v31 :: v_dual_add_f32 v43, v43, v34
	v_dual_mul_f32 v34, v36, v29 :: v_dual_add_f32 v1, v1, v46
	v_fma_f32 v46, v50, v30, -v47
	v_mul_f32_e32 v29, v35, v29
	s_delay_alu instid0(VALU_DEP_3) | instskip(NEXT) | instid1(VALU_DEP_3)
	v_fma_f32 v34, v35, v28, -v34
	v_dual_add_f32 v41, v41, v46 :: v_dual_mul_f32 v46, v36, v31
	s_delay_alu instid0(VALU_DEP_3) | instskip(NEXT) | instid1(VALU_DEP_1)
	v_dual_fmac_f32 v32, v51, v30 :: v_dual_fmac_f32 v29, v36, v28
	v_dual_mul_f32 v31, v35, v31 :: v_dual_add_f32 v28, v42, v32
	s_delay_alu instid0(VALU_DEP_3) | instskip(NEXT) | instid1(VALU_DEP_3)
	v_fma_f32 v32, v35, v30, -v46
	v_dual_add_f32 v42, v44, v34 :: v_dual_add_f32 v29, v33, v29
	s_wait_dscnt 0x0
	v_mul_f32_e32 v46, v52, v27
	v_dual_mul_f32 v44, v53, v25 :: v_dual_fmac_f32 v31, v36, v30
	v_add_f32_e32 v30, v45, v32
	ds_load_2addr_b64 v[32:35], v19 offset0:224 offset1:240
	v_dual_mul_f32 v36, v52, v25 :: v_dual_mul_f32 v45, v53, v27
	v_fma_f32 v44, v52, v24, -v44
	v_dual_fmac_f32 v46, v53, v26 :: v_dual_add_f32 v31, v48, v31
	s_delay_alu instid0(VALU_DEP_3) | instskip(NEXT) | instid1(VALU_DEP_4)
	v_fmac_f32_e32 v36, v53, v24
	v_fma_f32 v45, v52, v26, -v45
	s_delay_alu instid0(VALU_DEP_4) | instskip(SKIP_2) | instid1(VALU_DEP_3)
	v_dual_add_f32 v1, v1, v44 :: v_dual_mul_f32 v44, v38, v25
	v_mul_f32_e32 v25, v37, v25
	s_wait_loadcnt_dscnt 0x0
	v_add_f32_e32 v41, v41, v45
	v_dual_add_f32 v45, v28, v46 :: v_dual_add_f32 v36, v43, v36
	v_fma_f32 v43, v37, v24, -v44
	v_mul_f32_e32 v44, v38, v27
	v_fmac_f32_e32 v25, v38, v24
	v_mul_f32_e32 v27, v37, v27
	s_barrier_signal -1
	v_add_f32_e32 v24, v42, v43
	v_fma_f32 v28, v37, v26, -v44
	v_mul_f32_e32 v37, v55, v33
	v_mul_f32_e32 v42, v54, v33
	v_add_f32_e32 v25, v29, v25
	v_fmac_f32_e32 v27, v38, v26
	v_add_f32_e32 v38, v30, v28
	v_fma_f32 v26, v54, v32, -v37
	v_fmac_f32_e32 v42, v55, v32
	v_mul_f32_e32 v28, v55, v35
	v_mul_f32_e32 v29, v54, v35
	s_delay_alu instid0(VALU_DEP_4) | instskip(NEXT) | instid1(VALU_DEP_4)
	v_dual_add_f32 v37, v31, v27 :: v_dual_add_f32 v30, v1, v26
	v_add_f32_e32 v31, v36, v42
	s_delay_alu instid0(VALU_DEP_4) | instskip(NEXT) | instid1(VALU_DEP_4)
	v_fma_f32 v1, v54, v34, -v28
	v_dual_mul_f32 v26, v40, v33 :: v_dual_fmac_f32 v29, v55, v34
	v_mul_f32_e32 v27, v39, v33
	s_delay_alu instid0(VALU_DEP_3) | instskip(NEXT) | instid1(VALU_DEP_3)
	v_dual_mul_f32 v33, v40, v35 :: v_dual_add_f32 v28, v41, v1
	v_fma_f32 v1, v39, v32, -v26
	v_mul_f32_e32 v35, v39, v35
	v_add_f32_e32 v29, v45, v29
	s_barrier_wait -1
	global_inv scope:SCOPE_SE
	v_add_f32_e32 v26, v24, v1
	v_fmac_f32_e32 v35, v40, v34
	s_delay_alu instid0(VALU_DEP_1) | instskip(SKIP_1) | instid1(VALU_DEP_2)
	v_dual_add_f32 v24, v37, v35 :: v_dual_fmac_f32 v27, v40, v32
	v_fma_f32 v32, v39, v34, -v33
	v_add_f32_e32 v27, v25, v27
	s_delay_alu instid0(VALU_DEP_2)
	v_add_f32_e32 v25, v38, v32
	s_cbranch_scc0 .LBB77_19
.LBB77_11:                              ;   Parent Loop BB77_8 Depth=1
                                        ; =>  This Inner Loop Header: Depth=2
	s_wait_alu 0xfffe
	v_add_nc_u32_e32 v1, s0, v20
	s_delay_alu instid0(VALU_DEP_1)
	v_cmp_le_i32_e32 vcc_lo, s21, v1
	s_or_b32 s1, s14, vcc_lo
	s_wait_alu 0xfffe
	s_and_saveexec_b32 s26, s1
	s_wait_alu 0xfffe
	s_xor_b32 s1, exec_lo, s26
; %bb.12:                               ;   in Loop: Header=BB77_11 Depth=2
	v_mov_b32_e32 v1, v0
	ds_store_b64 v21, v[0:1]
; %bb.13:                               ;   in Loop: Header=BB77_11 Depth=2
	s_wait_alu 0xfffe
	s_and_not1_saveexec_b32 s1, s1
	s_cbranch_execz .LBB77_15
; %bb.14:                               ;   in Loop: Header=BB77_11 Depth=2
	global_load_b64 v[32:33], v[14:15], off
	s_wait_loadcnt 0x0
	ds_store_b64 v21, v[32:33]
.LBB77_15:                              ;   in Loop: Header=BB77_11 Depth=2
	s_wait_alu 0xfffe
	s_or_b32 exec_lo, exec_lo, s1
	v_add_nc_u32_e32 v1, s0, v18
	s_delay_alu instid0(VALU_DEP_1)
	v_cmp_le_i32_e32 vcc_lo, s21, v1
	s_or_b32 s1, vcc_lo, s15
	s_wait_alu 0xfffe
	s_and_saveexec_b32 s26, s1
	s_wait_alu 0xfffe
	s_xor_b32 s1, exec_lo, s26
; %bb.16:                               ;   in Loop: Header=BB77_11 Depth=2
	ds_store_b32 v22, v0
; %bb.17:                               ;   in Loop: Header=BB77_11 Depth=2
	s_wait_alu 0xfffe
	s_or_saveexec_b32 s1, s1
	v_mov_b32_e32 v1, 0
	s_wait_alu 0xfffe
	s_xor_b32 exec_lo, exec_lo, s1
	s_cbranch_execz .LBB77_10
; %bb.18:                               ;   in Loop: Header=BB77_11 Depth=2
	global_load_b64 v[32:33], v[16:17], off offset:-4
	s_wait_loadcnt 0x0
	v_xor_b32_e32 v1, 0x80000000, v33
	ds_store_b32 v22, v32
	s_branch .LBB77_10
.LBB77_19:                              ;   in Loop: Header=BB77_8 Depth=1
	s_mul_u64 s[0:1], s[24:25], s[22:23]
	s_wait_alu 0xfffe
	s_lshl_b64 s[0:1], s[0:1], 3
	s_wait_alu 0xfffe
	s_add_nc_u64 s[0:1], s[16:17], s[0:1]
	s_wait_alu 0xfffe
	v_add_co_u32 v1, vcc_lo, s0, v6
	s_wait_alu 0xfffd
	v_add_co_ci_u32_e64 v16, null, s1, v7, vcc_lo
	s_and_saveexec_b32 s26, s28
	s_cbranch_execz .LBB77_24
; %bb.20:                               ;   in Loop: Header=BB77_8 Depth=1
	v_mul_f32_e32 v15, s8, v31
	v_mul_f32_e32 v14, s9, v31
	s_and_b32 vcc_lo, exec_lo, s13
	s_mov_b32 s27, -1
	s_delay_alu instid0(VALU_DEP_2) | instskip(NEXT) | instid1(VALU_DEP_2)
	v_fmac_f32_e32 v15, s9, v30
	v_fma_f32 v14, v30, s8, -v14
	s_wait_alu 0xfffe
	s_cbranch_vccz .LBB77_22
; %bb.21:                               ;   in Loop: Header=BB77_8 Depth=1
	v_add_co_u32 v30, vcc_lo, v1, v10
	s_wait_alu 0xfffd
	v_add_co_ci_u32_e64 v31, null, v16, v11, vcc_lo
	s_mov_b32 s27, 0
	global_load_b64 v[32:33], v[30:31], off
	s_wait_loadcnt 0x0
	v_mul_f32_e32 v17, s7, v33
	v_mul_f32_e32 v33, s6, v33
	s_delay_alu instid0(VALU_DEP_2) | instskip(NEXT) | instid1(VALU_DEP_1)
	v_fma_f32 v17, v32, s6, -v17
	v_dual_fmac_f32 v33, s7, v32 :: v_dual_add_f32 v32, v14, v17
	s_delay_alu instid0(VALU_DEP_1)
	v_add_f32_e32 v33, v15, v33
	global_store_b64 v[30:31], v[32:33], off
.LBB77_22:                              ;   in Loop: Header=BB77_8 Depth=1
	s_wait_alu 0xfffe
	s_and_not1_b32 vcc_lo, exec_lo, s27
	s_wait_alu 0xfffe
	s_cbranch_vccnz .LBB77_24
; %bb.23:                               ;   in Loop: Header=BB77_8 Depth=1
	v_add_co_u32 v30, vcc_lo, v1, v10
	s_wait_alu 0xfffd
	v_add_co_ci_u32_e64 v31, null, v16, v11, vcc_lo
	global_store_b64 v[30:31], v[14:15], off
.LBB77_24:                              ;   in Loop: Header=BB77_8 Depth=1
	s_wait_alu 0xfffe
	s_or_b32 exec_lo, exec_lo, s26
	s_and_saveexec_b32 s26, s29
	s_cbranch_execz .LBB77_29
; %bb.25:                               ;   in Loop: Header=BB77_8 Depth=1
	v_mul_f32_e32 v15, s8, v29
	v_mul_f32_e32 v14, s9, v29
	s_and_not1_b32 vcc_lo, exec_lo, s13
	s_mov_b32 s27, -1
	s_delay_alu instid0(VALU_DEP_2) | instskip(NEXT) | instid1(VALU_DEP_2)
	v_fmac_f32_e32 v15, s9, v28
	v_fma_f32 v14, v28, s8, -v14
	s_wait_alu 0xfffe
	s_cbranch_vccnz .LBB77_27
; %bb.26:                               ;   in Loop: Header=BB77_8 Depth=1
	v_add_co_u32 v28, vcc_lo, v1, v12
	s_wait_alu 0xfffd
	v_add_co_ci_u32_e64 v29, null, v16, v13, vcc_lo
	s_mov_b32 s27, 0
	global_load_b64 v[30:31], v[28:29], off
	s_wait_loadcnt 0x0
	v_mul_f32_e32 v17, s7, v31
	s_delay_alu instid0(VALU_DEP_1) | instskip(SKIP_1) | instid1(VALU_DEP_1)
	v_fma_f32 v17, v30, s6, -v17
	v_mul_f32_e32 v31, s6, v31
	v_dual_fmac_f32 v31, s7, v30 :: v_dual_add_f32 v30, v14, v17
	s_delay_alu instid0(VALU_DEP_1)
	v_add_f32_e32 v31, v15, v31
	global_store_b64 v[28:29], v[30:31], off
.LBB77_27:                              ;   in Loop: Header=BB77_8 Depth=1
	s_wait_alu 0xfffe
	s_and_not1_b32 vcc_lo, exec_lo, s27
	s_wait_alu 0xfffe
	s_cbranch_vccnz .LBB77_29
; %bb.28:                               ;   in Loop: Header=BB77_8 Depth=1
	v_add_co_u32 v28, vcc_lo, v1, v12
	s_wait_alu 0xfffd
	v_add_co_ci_u32_e64 v29, null, v16, v13, vcc_lo
	global_store_b64 v[28:29], v[14:15], off
.LBB77_29:                              ;   in Loop: Header=BB77_8 Depth=1
	s_wait_alu 0xfffe
	s_or_b32 exec_lo, exec_lo, s26
	v_add_co_u32 v1, vcc_lo, s0, v8
	s_wait_alu 0xfffd
	v_add_co_ci_u32_e64 v16, null, s1, v9, vcc_lo
	s_and_saveexec_b32 s0, s18
	s_cbranch_execz .LBB77_34
; %bb.30:                               ;   in Loop: Header=BB77_8 Depth=1
	v_mul_f32_e32 v15, s8, v27
	v_mul_f32_e32 v14, s9, v27
	s_and_not1_b32 vcc_lo, exec_lo, s13
	s_mov_b32 s1, -1
	s_delay_alu instid0(VALU_DEP_2) | instskip(NEXT) | instid1(VALU_DEP_2)
	v_fmac_f32_e32 v15, s9, v26
	v_fma_f32 v14, v26, s8, -v14
	s_wait_alu 0xfffe
	s_cbranch_vccnz .LBB77_32
; %bb.31:                               ;   in Loop: Header=BB77_8 Depth=1
	v_add_co_u32 v26, vcc_lo, v1, v10
	s_wait_alu 0xfffd
	v_add_co_ci_u32_e64 v27, null, v16, v11, vcc_lo
	s_mov_b32 s1, 0
	global_load_b64 v[28:29], v[26:27], off
	s_wait_loadcnt 0x0
	v_mul_f32_e32 v17, s7, v29
	v_mul_f32_e32 v29, s6, v29
	s_delay_alu instid0(VALU_DEP_2) | instskip(NEXT) | instid1(VALU_DEP_1)
	v_fma_f32 v17, v28, s6, -v17
	v_dual_fmac_f32 v29, s7, v28 :: v_dual_add_f32 v28, v14, v17
	s_delay_alu instid0(VALU_DEP_1)
	v_add_f32_e32 v29, v15, v29
	global_store_b64 v[26:27], v[28:29], off
.LBB77_32:                              ;   in Loop: Header=BB77_8 Depth=1
	s_wait_alu 0xfffe
	s_and_not1_b32 vcc_lo, exec_lo, s1
	s_wait_alu 0xfffe
	s_cbranch_vccnz .LBB77_34
; %bb.33:                               ;   in Loop: Header=BB77_8 Depth=1
	v_add_co_u32 v26, vcc_lo, v1, v10
	s_wait_alu 0xfffd
	v_add_co_ci_u32_e64 v27, null, v16, v11, vcc_lo
	global_store_b64 v[26:27], v[14:15], off
.LBB77_34:                              ;   in Loop: Header=BB77_8 Depth=1
	s_wait_alu 0xfffe
	s_or_b32 exec_lo, exec_lo, s0
	s_and_saveexec_b32 s0, s20
	s_cbranch_execz .LBB77_7
; %bb.35:                               ;   in Loop: Header=BB77_8 Depth=1
	v_mul_f32_e32 v15, s8, v24
	v_mul_f32_e32 v14, s9, v24
	s_and_not1_b32 vcc_lo, exec_lo, s13
	s_mov_b32 s1, -1
	s_delay_alu instid0(VALU_DEP_2) | instskip(NEXT) | instid1(VALU_DEP_2)
	v_fmac_f32_e32 v15, s9, v25
	v_fma_f32 v14, v25, s8, -v14
	s_wait_alu 0xfffe
	s_cbranch_vccnz .LBB77_37
; %bb.36:                               ;   in Loop: Header=BB77_8 Depth=1
	v_add_co_u32 v24, vcc_lo, v1, v12
	s_wait_alu 0xfffd
	v_add_co_ci_u32_e64 v25, null, v16, v13, vcc_lo
	s_mov_b32 s1, 0
	global_load_b64 v[26:27], v[24:25], off
	s_wait_loadcnt 0x0
	v_mul_f32_e32 v17, s7, v27
	s_delay_alu instid0(VALU_DEP_1) | instskip(SKIP_1) | instid1(VALU_DEP_1)
	v_fma_f32 v17, v26, s6, -v17
	v_mul_f32_e32 v27, s6, v27
	v_dual_fmac_f32 v27, s7, v26 :: v_dual_add_f32 v26, v14, v17
	s_delay_alu instid0(VALU_DEP_1)
	v_add_f32_e32 v27, v15, v27
	global_store_b64 v[24:25], v[26:27], off
.LBB77_37:                              ;   in Loop: Header=BB77_8 Depth=1
	s_wait_alu 0xfffe
	s_and_not1_b32 vcc_lo, exec_lo, s1
	s_wait_alu 0xfffe
	s_cbranch_vccnz .LBB77_7
; %bb.38:                               ;   in Loop: Header=BB77_8 Depth=1
	v_add_co_u32 v24, vcc_lo, v1, v12
	s_wait_alu 0xfffd
	v_add_co_ci_u32_e64 v25, null, v16, v13, vcc_lo
	global_store_b64 v[24:25], v[14:15], off
	s_branch .LBB77_7
.LBB77_39:
	s_endpgm
	.section	.rodata,"a",@progbits
	.p2align	6, 0x0
	.amdhsa_kernel _ZL29rocblas_internal_gemmt_kernelIiLi16ELi32ELi8ELc84ELc67ELc85ELb0ELb1E19rocblas_complex_numIfEPKS1_S3_PS1_EviT_T9_T10_S5_lS7_S5_lS6_T11_S5_li
		.amdhsa_group_segment_fixed_size 4096
		.amdhsa_private_segment_fixed_size 0
		.amdhsa_kernarg_size 100
		.amdhsa_user_sgpr_count 2
		.amdhsa_user_sgpr_dispatch_ptr 0
		.amdhsa_user_sgpr_queue_ptr 0
		.amdhsa_user_sgpr_kernarg_segment_ptr 1
		.amdhsa_user_sgpr_dispatch_id 0
		.amdhsa_user_sgpr_private_segment_size 0
		.amdhsa_wavefront_size32 1
		.amdhsa_uses_dynamic_stack 0
		.amdhsa_enable_private_segment 0
		.amdhsa_system_sgpr_workgroup_id_x 1
		.amdhsa_system_sgpr_workgroup_id_y 1
		.amdhsa_system_sgpr_workgroup_id_z 1
		.amdhsa_system_sgpr_workgroup_info 0
		.amdhsa_system_vgpr_workitem_id 1
		.amdhsa_next_free_vgpr 69
		.amdhsa_next_free_sgpr 36
		.amdhsa_reserve_vcc 1
		.amdhsa_float_round_mode_32 0
		.amdhsa_float_round_mode_16_64 0
		.amdhsa_float_denorm_mode_32 3
		.amdhsa_float_denorm_mode_16_64 3
		.amdhsa_fp16_overflow 0
		.amdhsa_workgroup_processor_mode 1
		.amdhsa_memory_ordered 1
		.amdhsa_forward_progress 1
		.amdhsa_inst_pref_size 25
		.amdhsa_round_robin_scheduling 0
		.amdhsa_exception_fp_ieee_invalid_op 0
		.amdhsa_exception_fp_denorm_src 0
		.amdhsa_exception_fp_ieee_div_zero 0
		.amdhsa_exception_fp_ieee_overflow 0
		.amdhsa_exception_fp_ieee_underflow 0
		.amdhsa_exception_fp_ieee_inexact 0
		.amdhsa_exception_int_div_zero 0
	.end_amdhsa_kernel
	.section	.text._ZL29rocblas_internal_gemmt_kernelIiLi16ELi32ELi8ELc84ELc67ELc85ELb0ELb1E19rocblas_complex_numIfEPKS1_S3_PS1_EviT_T9_T10_S5_lS7_S5_lS6_T11_S5_li,"axG",@progbits,_ZL29rocblas_internal_gemmt_kernelIiLi16ELi32ELi8ELc84ELc67ELc85ELb0ELb1E19rocblas_complex_numIfEPKS1_S3_PS1_EviT_T9_T10_S5_lS7_S5_lS6_T11_S5_li,comdat
.Lfunc_end77:
	.size	_ZL29rocblas_internal_gemmt_kernelIiLi16ELi32ELi8ELc84ELc67ELc85ELb0ELb1E19rocblas_complex_numIfEPKS1_S3_PS1_EviT_T9_T10_S5_lS7_S5_lS6_T11_S5_li, .Lfunc_end77-_ZL29rocblas_internal_gemmt_kernelIiLi16ELi32ELi8ELc84ELc67ELc85ELb0ELb1E19rocblas_complex_numIfEPKS1_S3_PS1_EviT_T9_T10_S5_lS7_S5_lS6_T11_S5_li
                                        ; -- End function
	.set _ZL29rocblas_internal_gemmt_kernelIiLi16ELi32ELi8ELc84ELc67ELc85ELb0ELb1E19rocblas_complex_numIfEPKS1_S3_PS1_EviT_T9_T10_S5_lS7_S5_lS6_T11_S5_li.num_vgpr, 69
	.set _ZL29rocblas_internal_gemmt_kernelIiLi16ELi32ELi8ELc84ELc67ELc85ELb0ELb1E19rocblas_complex_numIfEPKS1_S3_PS1_EviT_T9_T10_S5_lS7_S5_lS6_T11_S5_li.num_agpr, 0
	.set _ZL29rocblas_internal_gemmt_kernelIiLi16ELi32ELi8ELc84ELc67ELc85ELb0ELb1E19rocblas_complex_numIfEPKS1_S3_PS1_EviT_T9_T10_S5_lS7_S5_lS6_T11_S5_li.numbered_sgpr, 36
	.set _ZL29rocblas_internal_gemmt_kernelIiLi16ELi32ELi8ELc84ELc67ELc85ELb0ELb1E19rocblas_complex_numIfEPKS1_S3_PS1_EviT_T9_T10_S5_lS7_S5_lS6_T11_S5_li.num_named_barrier, 0
	.set _ZL29rocblas_internal_gemmt_kernelIiLi16ELi32ELi8ELc84ELc67ELc85ELb0ELb1E19rocblas_complex_numIfEPKS1_S3_PS1_EviT_T9_T10_S5_lS7_S5_lS6_T11_S5_li.private_seg_size, 0
	.set _ZL29rocblas_internal_gemmt_kernelIiLi16ELi32ELi8ELc84ELc67ELc85ELb0ELb1E19rocblas_complex_numIfEPKS1_S3_PS1_EviT_T9_T10_S5_lS7_S5_lS6_T11_S5_li.uses_vcc, 1
	.set _ZL29rocblas_internal_gemmt_kernelIiLi16ELi32ELi8ELc84ELc67ELc85ELb0ELb1E19rocblas_complex_numIfEPKS1_S3_PS1_EviT_T9_T10_S5_lS7_S5_lS6_T11_S5_li.uses_flat_scratch, 0
	.set _ZL29rocblas_internal_gemmt_kernelIiLi16ELi32ELi8ELc84ELc67ELc85ELb0ELb1E19rocblas_complex_numIfEPKS1_S3_PS1_EviT_T9_T10_S5_lS7_S5_lS6_T11_S5_li.has_dyn_sized_stack, 0
	.set _ZL29rocblas_internal_gemmt_kernelIiLi16ELi32ELi8ELc84ELc67ELc85ELb0ELb1E19rocblas_complex_numIfEPKS1_S3_PS1_EviT_T9_T10_S5_lS7_S5_lS6_T11_S5_li.has_recursion, 0
	.set _ZL29rocblas_internal_gemmt_kernelIiLi16ELi32ELi8ELc84ELc67ELc85ELb0ELb1E19rocblas_complex_numIfEPKS1_S3_PS1_EviT_T9_T10_S5_lS7_S5_lS6_T11_S5_li.has_indirect_call, 0
	.section	.AMDGPU.csdata,"",@progbits
; Kernel info:
; codeLenInByte = 3160
; TotalNumSgprs: 38
; NumVgprs: 69
; ScratchSize: 0
; MemoryBound: 1
; FloatMode: 240
; IeeeMode: 1
; LDSByteSize: 4096 bytes/workgroup (compile time only)
; SGPRBlocks: 0
; VGPRBlocks: 8
; NumSGPRsForWavesPerEU: 38
; NumVGPRsForWavesPerEU: 69
; Occupancy: 16
; WaveLimiterHint : 0
; COMPUTE_PGM_RSRC2:SCRATCH_EN: 0
; COMPUTE_PGM_RSRC2:USER_SGPR: 2
; COMPUTE_PGM_RSRC2:TRAP_HANDLER: 0
; COMPUTE_PGM_RSRC2:TGID_X_EN: 1
; COMPUTE_PGM_RSRC2:TGID_Y_EN: 1
; COMPUTE_PGM_RSRC2:TGID_Z_EN: 1
; COMPUTE_PGM_RSRC2:TIDIG_COMP_CNT: 1
	.section	.text._ZL29rocblas_internal_gemmt_kernelIiLi16ELi32ELi8ELc67ELc78ELc85ELb1ELb0E19rocblas_complex_numIfEPKS1_S3_PS1_EviT_T9_T10_S5_lS7_S5_lS6_T11_S5_li,"axG",@progbits,_ZL29rocblas_internal_gemmt_kernelIiLi16ELi32ELi8ELc67ELc78ELc85ELb1ELb0E19rocblas_complex_numIfEPKS1_S3_PS1_EviT_T9_T10_S5_lS7_S5_lS6_T11_S5_li,comdat
	.globl	_ZL29rocblas_internal_gemmt_kernelIiLi16ELi32ELi8ELc67ELc78ELc85ELb1ELb0E19rocblas_complex_numIfEPKS1_S3_PS1_EviT_T9_T10_S5_lS7_S5_lS6_T11_S5_li ; -- Begin function _ZL29rocblas_internal_gemmt_kernelIiLi16ELi32ELi8ELc67ELc78ELc85ELb1ELb0E19rocblas_complex_numIfEPKS1_S3_PS1_EviT_T9_T10_S5_lS7_S5_lS6_T11_S5_li
	.p2align	8
	.type	_ZL29rocblas_internal_gemmt_kernelIiLi16ELi32ELi8ELc67ELc78ELc85ELb1ELb0E19rocblas_complex_numIfEPKS1_S3_PS1_EviT_T9_T10_S5_lS7_S5_lS6_T11_S5_li,@function
_ZL29rocblas_internal_gemmt_kernelIiLi16ELi32ELi8ELc67ELc78ELc85ELb1ELb0E19rocblas_complex_numIfEPKS1_S3_PS1_EviT_T9_T10_S5_lS7_S5_lS6_T11_S5_li: ; @_ZL29rocblas_internal_gemmt_kernelIiLi16ELi32ELi8ELc67ELc78ELc85ELb1ELb0E19rocblas_complex_numIfEPKS1_S3_PS1_EviT_T9_T10_S5_lS7_S5_lS6_T11_S5_li
; %bb.0:
	s_load_b128 s[4:7], s[0:1], 0x38
	s_wait_kmcnt 0x0
	s_load_b64 s[6:7], s[6:7], 0x0
	s_clause 0x1
	s_load_b128 s[8:11], s[0:1], 0x8
	s_load_b64 s[20:21], s[0:1], 0x0
	s_wait_kmcnt 0x0
	s_load_b64 s[8:9], s[8:9], 0x0
	s_cmp_eq_f32 s6, 1.0
	s_cselect_b32 s2, -1, 0
	s_and_b32 s3, s7, 0x7fffffff
	s_delay_alu instid0(SALU_CYCLE_1) | instskip(SKIP_1) | instid1(SALU_CYCLE_1)
	s_cmp_eq_u32 s3, 0
	s_cselect_b32 s3, -1, 0
	s_and_b32 s12, s2, s3
	s_mov_b32 s2, 0
	s_and_not1_b32 vcc_lo, exec_lo, s12
	s_mov_b32 s12, -1
	s_cbranch_vccnz .LBB78_4
; %bb.1:
	s_cmp_lg_u32 s21, 0
	s_cbranch_scc0 .LBB78_3
; %bb.2:
	s_wait_kmcnt 0x0
	s_cmp_neq_f32 s8, 0
	s_cselect_b32 s2, -1, 0
	s_cmp_neq_f32 s9, 0
	s_cselect_b32 s12, -1, 0
	s_delay_alu instid0(SALU_CYCLE_1)
	s_or_b32 s2, s2, s12
.LBB78_3:
	s_delay_alu instid0(SALU_CYCLE_1)
	s_mov_b32 s12, s2
.LBB78_4:
	s_delay_alu instid0(SALU_CYCLE_1)
	s_and_b32 vcc_lo, exec_lo, s12
	s_cbranch_vccz .LBB78_39
; %bb.5:
	s_load_b32 s19, s[0:1], 0x60
	s_lshr_b32 s22, ttmp7, 16
	s_wait_kmcnt 0x0
	s_cmp_ge_u32 s22, s19
	s_cbranch_scc1 .LBB78_39
; %bb.6:
	v_and_b32_e32 v1, 0x3ff, v0
	v_bfe_u32 v2, v0, 10, 10
	v_and_b32_e32 v18, 7, v0
	s_lshl_b32 s2, ttmp7, 5
	s_clause 0x4
	s_load_b32 s28, s[0:1], 0x18
	s_load_b128 s[12:15], s[0:1], 0x20
	s_load_b32 s29, s[0:1], 0x30
	s_load_b96 s[16:18], s[0:1], 0x48
	s_load_b64 s[24:25], s[0:1], 0x58
	v_lshl_add_u32 v0, v2, 4, v1
	s_lshl_b32 s26, ttmp9, 5
	s_and_b32 s2, s2, 0x1fffe0
	s_cmp_neq_f32 s8, 0
	v_add_nc_u32_e32 v10, s26, v1
	v_lshrrev_b32_e32 v19, 5, v0
	v_lshrrev_b32_e32 v3, 3, v0
	v_and_b32_e32 v0, 31, v0
	s_cselect_b32 s27, -1, 0
	s_cmp_neq_f32 s9, 0
	v_add_nc_u32_e32 v12, 16, v10
	v_add_nc_u32_e32 v5, s2, v3
	v_or_b32_e32 v4, s26, v0
	v_lshlrev_b32_e32 v0, 3, v0
	s_cselect_b32 s0, -1, 0
	v_lshlrev_b32_e32 v22, 3, v1
	s_wait_alu 0xfffe
	s_or_b32 s30, s27, s0
	s_cmp_gt_i32 s21, 0
	v_lshl_or_b32 v20, v19, 8, v0
	v_add_nc_u32_e32 v0, s2, v2
	s_cselect_b32 s31, -1, 0
	s_cmp_neq_f32 s6, 0
	v_lshl_add_u32 v23, v2, 6, 0x800
	v_lshlrev_b32_e32 v14, 3, v18
	v_cmp_gt_i32_e64 s1, s20, v0
	s_cselect_b32 s33, -1, 0
	v_cmp_le_i32_e64 s2, v10, v0
	s_xor_b32 s34, s3, -1
	v_cmp_le_i32_e64 s3, v12, v0
	s_wait_kmcnt 0x0
	v_mad_co_i64_i32 v[6:7], null, v0, s18, 0
	v_add_nc_u32_e32 v2, 16, v0
	v_mad_co_i64_i32 v[0:1], null, s28, v4, 0
	v_lshl_or_b32 v3, v3, 6, v14
	v_cmp_gt_i32_e32 vcc_lo, s20, v4
	s_and_b32 s26, s1, s2
	s_and_b32 s27, s1, s3
	v_cmp_gt_i32_e64 s1, s20, v2
	v_cmp_le_i32_e64 s2, v10, v2
	v_lshlrev_b64_e32 v[0:1], 3, v[0:1]
	v_cmp_le_i32_e64 s3, v12, v2
	v_lshlrev_b32_e32 v4, 3, v19
	v_add_nc_u32_e32 v21, 0x800, v3
	v_mad_co_i64_i32 v[8:9], null, v2, s18, 0
	v_mad_co_i64_i32 v[2:3], null, s29, v5, 0
	v_cmp_gt_i32_e64 s0, s20, v5
	s_and_b32 s18, s1, s2
	s_and_b32 s20, s1, s3
	v_add_co_u32 v4, s1, v0, v4
	s_delay_alu instid0(VALU_DEP_1) | instskip(SKIP_1) | instid1(VALU_DEP_3)
	v_add_co_ci_u32_e64 v1, null, 0, v1, s1
	v_ashrrev_i32_e32 v11, 31, v10
	v_add_co_u32 v15, s1, s10, v4
	v_lshlrev_b64_e32 v[4:5], 3, v[2:3]
	s_wait_alu 0xf1ff
	v_add_co_ci_u32_e64 v1, null, s11, v1, s1
	s_delay_alu instid0(VALU_DEP_3) | instskip(SKIP_2) | instid1(VALU_DEP_3)
	v_add_co_u32 v2, s1, v15, 4
	v_ashrrev_i32_e32 v13, 31, v12
	s_wait_alu 0xf1ff
	v_add_co_ci_u32_e64 v3, null, 0, v1, s1
	v_add_co_u32 v1, s1, v4, v14
	s_wait_alu 0xf1ff
	v_add_co_ci_u32_e64 v5, null, 0, v5, s1
	v_lshlrev_b64_e32 v[6:7], 3, v[6:7]
	s_delay_alu instid0(VALU_DEP_3)
	v_add_co_u32 v4, s1, s14, v1
	v_lshlrev_b64_e32 v[8:9], 3, v[8:9]
	v_lshlrev_b64_e32 v[10:11], 3, v[10:11]
	;; [unrolled: 1-line block ×3, first 2 shown]
	v_mov_b32_e32 v0, 0
	s_wait_alu 0xf1ff
	v_add_co_ci_u32_e64 v5, null, s15, v5, s1
	s_mov_b32 s23, 0
	s_lshl_b64 s[2:3], s[12:13], 3
	s_and_b32 s10, s30, s31
	s_or_b32 s11, s33, s34
	s_lshl_b64 s[4:5], s[4:5], 3
	s_xor_b32 s12, vcc_lo, -1
	s_xor_b32 s13, s0, -1
	s_branch .LBB78_8
.LBB78_7:                               ;   in Loop: Header=BB78_8 Depth=1
	s_wait_alu 0xfffe
	s_or_b32 exec_lo, exec_lo, s0
	s_add_co_i32 s22, s22, 0x10000
	s_wait_alu 0xfffe
	s_cmp_lt_u32 s22, s19
	s_cbranch_scc0 .LBB78_39
.LBB78_8:                               ; =>This Loop Header: Depth=1
                                        ;     Child Loop BB78_11 Depth 2
	v_dual_mov_b32 v30, v0 :: v_dual_mov_b32 v31, v0
	v_dual_mov_b32 v28, v0 :: v_dual_mov_b32 v29, v0
	;; [unrolled: 1-line block ×4, first 2 shown]
	s_wait_alu 0xfffe
	s_and_not1_b32 vcc_lo, exec_lo, s10
	s_wait_alu 0xfffe
	s_cbranch_vccnz .LBB78_19
; %bb.9:                                ;   in Loop: Header=BB78_8 Depth=1
	v_mad_co_u64_u32 v[14:15], null, s2, s22, v[2:3]
	v_mad_co_u64_u32 v[16:17], null, s4, s22, v[4:5]
	v_dual_mov_b32 v25, 0 :: v_dual_mov_b32 v28, 0
	v_mov_b32_e32 v27, 0
	v_mov_b32_e32 v29, 0
	v_dual_mov_b32 v1, v15 :: v_dual_mov_b32 v24, 0
	v_dual_mov_b32 v15, v17 :: v_dual_mov_b32 v26, 0
	s_mov_b32 s0, 0
	s_delay_alu instid0(VALU_DEP_2) | instskip(NEXT) | instid1(VALU_DEP_2)
	v_mad_co_u64_u32 v[30:31], null, s3, s22, v[1:2]
	v_mad_co_u64_u32 v[32:33], null, s5, s22, v[15:16]
	v_mov_b32_e32 v31, 0
	s_delay_alu instid0(VALU_DEP_3) | instskip(NEXT) | instid1(VALU_DEP_3)
	v_dual_mov_b32 v15, v30 :: v_dual_mov_b32 v30, 0
	v_mov_b32_e32 v17, v32
	s_branch .LBB78_11
.LBB78_10:                              ;   in Loop: Header=BB78_11 Depth=2
	s_wait_alu 0xfffe
	s_or_b32 exec_lo, exec_lo, s1
	s_wait_dscnt 0x0
	s_barrier_signal -1
	s_barrier_wait -1
	global_inv scope:SCOPE_SE
	ds_load_b128 v[32:35], v23
	ds_load_2addr_b64 v[36:39], v22 offset1:16
	ds_load_b128 v[40:43], v23 offset:1024
	ds_load_b128 v[44:47], v23 offset:16
	;; [unrolled: 1-line block ×4, first 2 shown]
	ds_load_2addr_b64 v[56:59], v22 offset0:32 offset1:48
	ds_load_b128 v[60:63], v23 offset:1040
	v_add_co_u32 v14, vcc_lo, v14, 64
	s_wait_alu 0xfffd
	v_add_co_ci_u32_e64 v15, null, 0, v15, vcc_lo
	v_add_co_u32 v16, vcc_lo, v16, 64
	s_wait_alu 0xfffd
	v_add_co_ci_u32_e64 v17, null, 0, v17, vcc_lo
	s_add_co_i32 s0, s0, 8
	s_wait_alu 0xfffe
	s_cmp_lt_i32 s0, s21
	s_wait_dscnt 0x6
	v_dual_mul_f32 v1, v33, v37 :: v_dual_mul_f32 v66, v32, v39
	v_dual_mul_f32 v64, v32, v37 :: v_dual_mul_f32 v65, v33, v39
	s_wait_dscnt 0x5
	v_mul_f32_e32 v68, v41, v39
	s_delay_alu instid0(VALU_DEP_3) | instskip(SKIP_3) | instid1(VALU_DEP_4)
	v_fma_f32 v1, v32, v36, -v1
	v_dual_mul_f32 v39, v40, v39 :: v_dual_fmac_f32 v66, v33, v38
	v_fmac_f32_e32 v64, v33, v36
	v_fma_f32 v32, v32, v38, -v65
	v_add_f32_e32 v1, v30, v1
	v_mul_f32_e32 v67, v41, v37
	s_delay_alu instid0(VALU_DEP_4) | instskip(NEXT) | instid1(VALU_DEP_4)
	v_dual_mul_f32 v37, v40, v37 :: v_dual_add_f32 v30, v31, v64
	v_add_f32_e32 v31, v28, v32
	v_fmac_f32_e32 v39, v41, v38
	s_delay_alu instid0(VALU_DEP_4) | instskip(NEXT) | instid1(VALU_DEP_4)
	v_fma_f32 v33, v40, v36, -v67
	v_fmac_f32_e32 v37, v41, v36
	v_fma_f32 v36, v40, v38, -v68
	s_wait_dscnt 0x1
	v_dual_mul_f32 v38, v34, v57 :: v_dual_add_f32 v29, v29, v66
	v_mul_f32_e32 v40, v35, v59
	v_add_f32_e32 v32, v26, v33
	v_dual_add_f32 v33, v27, v37 :: v_dual_add_f32 v36, v25, v36
	ds_load_2addr_b64 v[25:28], v22 offset0:64 offset1:80
	v_fmac_f32_e32 v38, v35, v56
	v_dual_mul_f32 v37, v35, v57 :: v_dual_add_f32 v24, v24, v39
	v_mul_f32_e32 v39, v34, v59
	s_delay_alu instid0(VALU_DEP_3) | instskip(NEXT) | instid1(VALU_DEP_3)
	v_add_f32_e32 v38, v30, v38
	v_fma_f32 v37, v34, v56, -v37
	v_fma_f32 v34, v34, v58, -v40
	v_mul_f32_e32 v30, v42, v57
	s_delay_alu instid0(VALU_DEP_3) | instskip(SKIP_1) | instid1(VALU_DEP_4)
	v_add_f32_e32 v1, v1, v37
	v_mul_f32_e32 v37, v43, v57
	v_add_f32_e32 v34, v31, v34
	v_fmac_f32_e32 v39, v35, v58
	v_mul_f32_e32 v35, v43, v59
	v_fmac_f32_e32 v30, v43, v56
	v_fma_f32 v31, v42, v56, -v37
	s_delay_alu instid0(VALU_DEP_4) | instskip(SKIP_4) | instid1(VALU_DEP_3)
	v_add_f32_e32 v37, v29, v39
	v_mul_f32_e32 v39, v42, v59
	v_fma_f32 v29, v42, v58, -v35
	s_wait_dscnt 0x0
	v_dual_add_f32 v40, v32, v31 :: v_dual_mul_f32 v31, v45, v26
	v_dual_mul_f32 v42, v45, v28 :: v_dual_fmac_f32 v39, v43, v58
	v_mul_f32_e32 v35, v44, v26
	v_add_f32_e32 v36, v36, v29
	s_delay_alu instid0(VALU_DEP_3) | instskip(SKIP_3) | instid1(VALU_DEP_3)
	v_add_f32_e32 v39, v24, v39
	v_mul_f32_e32 v24, v44, v28
	v_fma_f32 v41, v44, v25, -v31
	v_fmac_f32_e32 v35, v45, v25
	v_fmac_f32_e32 v24, v45, v27
	s_delay_alu instid0(VALU_DEP_3)
	v_add_f32_e32 v1, v1, v41
	v_fma_f32 v41, v44, v27, -v42
	v_add_f32_e32 v33, v33, v30
	ds_load_2addr_b64 v[29:32], v22 offset0:96 offset1:112
	v_dual_add_f32 v35, v38, v35 :: v_dual_mul_f32 v38, v61, v26
	v_mul_f32_e32 v26, v60, v26
	v_dual_add_f32 v34, v34, v41 :: v_dual_mul_f32 v41, v61, v28
	v_mul_f32_e32 v28, v60, v28
	s_delay_alu instid0(VALU_DEP_4) | instskip(NEXT) | instid1(VALU_DEP_4)
	v_fma_f32 v38, v60, v25, -v38
	v_fmac_f32_e32 v26, v61, v25
	v_add_f32_e32 v37, v37, v24
	v_fma_f32 v24, v60, v27, -v41
	v_fmac_f32_e32 v28, v61, v27
	v_add_f32_e32 v38, v40, v38
	s_delay_alu instid0(VALU_DEP_3) | instskip(SKIP_4) | instid1(VALU_DEP_2)
	v_dual_add_f32 v40, v33, v26 :: v_dual_add_f32 v41, v36, v24
	ds_load_2addr_b64 v[24:27], v22 offset0:128 offset1:144
	s_wait_dscnt 0x1
	v_mul_f32_e32 v33, v47, v30
	v_dual_mul_f32 v36, v46, v30 :: v_dual_mul_f32 v45, v63, v32
	v_fma_f32 v33, v46, v29, -v33
	v_mul_f32_e32 v42, v47, v32
	s_delay_alu instid0(VALU_DEP_3) | instskip(NEXT) | instid1(VALU_DEP_3)
	v_fmac_f32_e32 v36, v47, v29
	v_add_f32_e32 v1, v1, v33
	s_delay_alu instid0(VALU_DEP_3) | instskip(SKIP_3) | instid1(VALU_DEP_4)
	v_fma_f32 v42, v46, v31, -v42
	v_add_f32_e32 v39, v39, v28
	v_dual_mul_f32 v28, v46, v32 :: v_dual_mul_f32 v33, v63, v30
	v_dual_add_f32 v43, v35, v36 :: v_dual_mul_f32 v30, v62, v30
	v_add_f32_e32 v42, v34, v42
	s_delay_alu instid0(VALU_DEP_3) | instskip(NEXT) | instid1(VALU_DEP_4)
	v_fmac_f32_e32 v28, v47, v31
	v_fma_f32 v44, v62, v29, -v33
	ds_load_b128 v[33:36], v23 offset:1056
	v_fmac_f32_e32 v30, v63, v29
	s_wait_dscnt 0x1
	v_mul_f32_e32 v29, v49, v25
	v_add_f32_e32 v46, v37, v28
	v_dual_mul_f32 v32, v62, v32 :: v_dual_mul_f32 v47, v48, v25
	v_mul_f32_e32 v56, v48, v27
	s_delay_alu instid0(VALU_DEP_4)
	v_fma_f32 v37, v48, v24, -v29
	v_add_f32_e32 v44, v38, v44
	v_mul_f32_e32 v38, v49, v27
	v_fma_f32 v28, v62, v31, -v45
	v_dual_fmac_f32 v32, v63, v31 :: v_dual_fmac_f32 v47, v49, v24
	v_add_f32_e32 v1, v1, v37
	s_delay_alu instid0(VALU_DEP_4) | instskip(NEXT) | instid1(VALU_DEP_4)
	v_fma_f32 v48, v48, v26, -v38
	v_add_f32_e32 v41, v41, v28
	v_add_f32_e32 v45, v40, v30
	ds_load_2addr_b64 v[28:31], v22 offset0:160 offset1:176
	v_add_f32_e32 v32, v39, v32
	ds_load_b128 v[37:40], v23 offset:1072
	s_wait_dscnt 0x2
	v_mul_f32_e32 v57, v34, v25
	v_dual_mul_f32 v25, v33, v25 :: v_dual_add_f32 v42, v42, v48
	v_mul_f32_e32 v48, v34, v27
	v_dual_add_f32 v43, v43, v47 :: v_dual_fmac_f32 v56, v49, v26
	s_delay_alu instid0(VALU_DEP_4) | instskip(NEXT) | instid1(VALU_DEP_4)
	v_fma_f32 v47, v33, v24, -v57
	v_fmac_f32_e32 v25, v34, v24
	v_mul_f32_e32 v49, v33, v27
	s_delay_alu instid0(VALU_DEP_3) | instskip(SKIP_1) | instid1(VALU_DEP_3)
	v_add_f32_e32 v44, v44, v47
	v_add_f32_e32 v46, v46, v56
	v_fmac_f32_e32 v49, v34, v26
	s_wait_dscnt 0x1
	v_mul_f32_e32 v27, v51, v29
	v_fma_f32 v24, v33, v26, -v48
	v_add_f32_e32 v33, v45, v25
	v_mul_f32_e32 v34, v50, v29
	s_delay_alu instid0(VALU_DEP_4) | instskip(NEXT) | instid1(VALU_DEP_4)
	v_fma_f32 v45, v50, v28, -v27
	v_add_f32_e32 v41, v41, v24
	ds_load_2addr_b64 v[24:27], v22 offset0:192 offset1:208
	v_fmac_f32_e32 v34, v51, v28
	v_dual_mul_f32 v47, v51, v31 :: v_dual_add_f32 v48, v32, v49
	v_dual_add_f32 v1, v1, v45 :: v_dual_mul_f32 v32, v50, v31
	s_delay_alu instid0(VALU_DEP_3) | instskip(NEXT) | instid1(VALU_DEP_3)
	v_dual_add_f32 v43, v43, v34 :: v_dual_mul_f32 v34, v36, v29
	v_fma_f32 v45, v50, v30, -v47
	s_delay_alu instid0(VALU_DEP_3) | instskip(NEXT) | instid1(VALU_DEP_3)
	v_fmac_f32_e32 v32, v51, v30
	v_fma_f32 v34, v35, v28, -v34
	s_delay_alu instid0(VALU_DEP_3) | instskip(SKIP_1) | instid1(VALU_DEP_3)
	v_dual_add_f32 v42, v42, v45 :: v_dual_mul_f32 v45, v36, v31
	v_mul_f32_e32 v29, v35, v29
	v_dual_mul_f32 v31, v35, v31 :: v_dual_add_f32 v44, v44, v34
	s_delay_alu instid0(VALU_DEP_2) | instskip(SKIP_2) | instid1(VALU_DEP_4)
	v_fmac_f32_e32 v29, v36, v28
	v_add_f32_e32 v28, v46, v32
	v_fma_f32 v32, v35, v30, -v45
	v_fmac_f32_e32 v31, v36, v30
	s_wait_dscnt 0x0
	v_mul_f32_e32 v36, v52, v25
	v_dual_add_f32 v29, v33, v29 :: v_dual_mul_f32 v46, v52, v27
	v_add_f32_e32 v30, v41, v32
	ds_load_2addr_b64 v[32:35], v22 offset0:224 offset1:240
	v_dual_add_f32 v31, v48, v31 :: v_dual_fmac_f32 v36, v53, v24
	v_mul_f32_e32 v45, v53, v25
	v_fmac_f32_e32 v46, v53, v26
	s_wait_loadcnt_dscnt 0x0
	s_barrier_signal -1
	v_add_f32_e32 v36, v43, v36
	v_fma_f32 v41, v52, v24, -v45
	v_mul_f32_e32 v45, v53, v27
	v_mul_f32_e32 v43, v38, v27
	;; [unrolled: 1-line block ×3, first 2 shown]
	s_barrier_wait -1
	global_inv scope:SCOPE_SE
	v_fma_f32 v45, v52, v26, -v45
	v_fmac_f32_e32 v27, v38, v26
	s_delay_alu instid0(VALU_DEP_2) | instskip(SKIP_4) | instid1(VALU_DEP_1)
	v_dual_add_f32 v42, v42, v45 :: v_dual_add_f32 v45, v28, v46
	v_fma_f32 v28, v37, v26, -v43
	v_add_f32_e32 v1, v1, v41
	v_mul_f32_e32 v41, v38, v25
	v_mul_f32_e32 v25, v37, v25
	v_fmac_f32_e32 v25, v38, v24
	v_add_f32_e32 v38, v30, v28
	v_mul_f32_e32 v28, v55, v35
	v_fma_f32 v41, v37, v24, -v41
	v_mul_f32_e32 v37, v55, v33
	s_delay_alu instid0(VALU_DEP_2) | instskip(NEXT) | instid1(VALU_DEP_2)
	v_add_f32_e32 v24, v44, v41
	v_fma_f32 v26, v54, v32, -v37
	v_add_f32_e32 v25, v29, v25
	s_delay_alu instid0(VALU_DEP_2) | instskip(SKIP_1) | instid1(VALU_DEP_2)
	v_dual_mul_f32 v29, v54, v35 :: v_dual_add_f32 v30, v1, v26
	v_fma_f32 v1, v54, v34, -v28
	v_dual_mul_f32 v26, v40, v33 :: v_dual_fmac_f32 v29, v55, v34
	s_delay_alu instid0(VALU_DEP_2) | instskip(NEXT) | instid1(VALU_DEP_2)
	v_add_f32_e32 v28, v42, v1
	v_fma_f32 v1, v39, v32, -v26
	s_delay_alu instid0(VALU_DEP_3) | instskip(NEXT) | instid1(VALU_DEP_2)
	v_add_f32_e32 v29, v45, v29
	v_dual_add_f32 v26, v24, v1 :: v_dual_add_f32 v37, v31, v27
	v_mul_f32_e32 v41, v54, v33
	v_mul_f32_e32 v27, v39, v33
	;; [unrolled: 1-line block ×4, first 2 shown]
	s_delay_alu instid0(VALU_DEP_3) | instskip(NEXT) | instid1(VALU_DEP_2)
	v_fmac_f32_e32 v27, v40, v32
	v_fmac_f32_e32 v35, v40, v34
	s_delay_alu instid0(VALU_DEP_2) | instskip(NEXT) | instid1(VALU_DEP_2)
	v_add_f32_e32 v27, v25, v27
	v_dual_add_f32 v24, v37, v35 :: v_dual_fmac_f32 v41, v55, v32
	v_fma_f32 v32, v39, v34, -v33
	s_delay_alu instid0(VALU_DEP_2) | instskip(NEXT) | instid1(VALU_DEP_2)
	v_add_f32_e32 v31, v36, v41
	v_add_f32_e32 v25, v38, v32
	s_cbranch_scc0 .LBB78_19
.LBB78_11:                              ;   Parent Loop BB78_8 Depth=1
                                        ; =>  This Inner Loop Header: Depth=2
	s_wait_alu 0xfffe
	v_add_nc_u32_e32 v1, s0, v19
	s_delay_alu instid0(VALU_DEP_1)
	v_cmp_le_i32_e32 vcc_lo, s21, v1
	s_or_b32 s1, s12, vcc_lo
	s_wait_alu 0xfffe
	s_and_saveexec_b32 s14, s1
	s_wait_alu 0xfffe
	s_xor_b32 s1, exec_lo, s14
; %bb.12:                               ;   in Loop: Header=BB78_11 Depth=2
	ds_store_b32 v20, v0
; %bb.13:                               ;   in Loop: Header=BB78_11 Depth=2
	s_wait_alu 0xfffe
	s_or_saveexec_b32 s1, s1
	v_mov_b32_e32 v1, 0
	s_wait_alu 0xfffe
	s_xor_b32 exec_lo, exec_lo, s1
	s_cbranch_execz .LBB78_15
; %bb.14:                               ;   in Loop: Header=BB78_11 Depth=2
	global_load_b64 v[32:33], v[14:15], off offset:-4
	s_wait_loadcnt 0x0
	v_xor_b32_e32 v1, 0x80000000, v33
	ds_store_b32 v20, v32
.LBB78_15:                              ;   in Loop: Header=BB78_11 Depth=2
	s_or_b32 exec_lo, exec_lo, s1
	v_add_nc_u32_e32 v32, s0, v18
	ds_store_b32 v20, v1 offset:4
	v_cmp_le_i32_e32 vcc_lo, s21, v32
	s_or_b32 s1, vcc_lo, s13
	s_wait_alu 0xfffe
	s_and_saveexec_b32 s14, s1
	s_wait_alu 0xfffe
	s_xor_b32 s1, exec_lo, s14
; %bb.16:                               ;   in Loop: Header=BB78_11 Depth=2
	v_mov_b32_e32 v1, v0
	ds_store_b64 v21, v[0:1]
; %bb.17:                               ;   in Loop: Header=BB78_11 Depth=2
	s_wait_alu 0xfffe
	s_and_not1_saveexec_b32 s1, s1
	s_cbranch_execz .LBB78_10
; %bb.18:                               ;   in Loop: Header=BB78_11 Depth=2
	global_load_b64 v[32:33], v[16:17], off
	s_wait_loadcnt 0x0
	ds_store_b64 v21, v[32:33]
	s_branch .LBB78_10
.LBB78_19:                              ;   in Loop: Header=BB78_8 Depth=1
	s_mul_u64 s[0:1], s[24:25], s[22:23]
	s_wait_alu 0xfffe
	s_lshl_b64 s[0:1], s[0:1], 3
	s_wait_alu 0xfffe
	s_add_nc_u64 s[0:1], s[16:17], s[0:1]
	s_wait_alu 0xfffe
	v_add_co_u32 v1, vcc_lo, s0, v6
	s_wait_alu 0xfffd
	v_add_co_ci_u32_e64 v16, null, s1, v7, vcc_lo
	s_and_saveexec_b32 s14, s26
	s_cbranch_execz .LBB78_24
; %bb.20:                               ;   in Loop: Header=BB78_8 Depth=1
	v_mul_f32_e32 v15, s8, v31
	v_mul_f32_e32 v14, s9, v31
	s_and_b32 vcc_lo, exec_lo, s11
	s_mov_b32 s15, -1
	s_delay_alu instid0(VALU_DEP_2) | instskip(NEXT) | instid1(VALU_DEP_2)
	v_fmac_f32_e32 v15, s9, v30
	v_fma_f32 v14, v30, s8, -v14
	s_wait_alu 0xfffe
	s_cbranch_vccz .LBB78_22
; %bb.21:                               ;   in Loop: Header=BB78_8 Depth=1
	v_add_co_u32 v30, vcc_lo, v1, v10
	s_wait_alu 0xfffd
	v_add_co_ci_u32_e64 v31, null, v16, v11, vcc_lo
	s_mov_b32 s15, 0
	global_load_b64 v[32:33], v[30:31], off
	s_wait_loadcnt 0x0
	v_mul_f32_e32 v17, s7, v33
	v_mul_f32_e32 v33, s6, v33
	s_delay_alu instid0(VALU_DEP_2) | instskip(NEXT) | instid1(VALU_DEP_1)
	v_fma_f32 v17, v32, s6, -v17
	v_dual_fmac_f32 v33, s7, v32 :: v_dual_add_f32 v32, v14, v17
	s_delay_alu instid0(VALU_DEP_1)
	v_add_f32_e32 v33, v15, v33
	global_store_b64 v[30:31], v[32:33], off
.LBB78_22:                              ;   in Loop: Header=BB78_8 Depth=1
	s_wait_alu 0xfffe
	s_and_not1_b32 vcc_lo, exec_lo, s15
	s_wait_alu 0xfffe
	s_cbranch_vccnz .LBB78_24
; %bb.23:                               ;   in Loop: Header=BB78_8 Depth=1
	v_add_co_u32 v30, vcc_lo, v1, v10
	s_wait_alu 0xfffd
	v_add_co_ci_u32_e64 v31, null, v16, v11, vcc_lo
	global_store_b64 v[30:31], v[14:15], off
.LBB78_24:                              ;   in Loop: Header=BB78_8 Depth=1
	s_wait_alu 0xfffe
	s_or_b32 exec_lo, exec_lo, s14
	s_and_saveexec_b32 s14, s27
	s_cbranch_execz .LBB78_29
; %bb.25:                               ;   in Loop: Header=BB78_8 Depth=1
	v_mul_f32_e32 v15, s8, v29
	v_mul_f32_e32 v14, s9, v29
	s_and_not1_b32 vcc_lo, exec_lo, s11
	s_mov_b32 s15, -1
	s_delay_alu instid0(VALU_DEP_2) | instskip(NEXT) | instid1(VALU_DEP_2)
	v_fmac_f32_e32 v15, s9, v28
	v_fma_f32 v14, v28, s8, -v14
	s_wait_alu 0xfffe
	s_cbranch_vccnz .LBB78_27
; %bb.26:                               ;   in Loop: Header=BB78_8 Depth=1
	v_add_co_u32 v28, vcc_lo, v1, v12
	s_wait_alu 0xfffd
	v_add_co_ci_u32_e64 v29, null, v16, v13, vcc_lo
	s_mov_b32 s15, 0
	global_load_b64 v[30:31], v[28:29], off
	s_wait_loadcnt 0x0
	v_mul_f32_e32 v17, s7, v31
	s_delay_alu instid0(VALU_DEP_1) | instskip(SKIP_1) | instid1(VALU_DEP_1)
	v_fma_f32 v17, v30, s6, -v17
	v_mul_f32_e32 v31, s6, v31
	v_dual_fmac_f32 v31, s7, v30 :: v_dual_add_f32 v30, v14, v17
	s_delay_alu instid0(VALU_DEP_1)
	v_add_f32_e32 v31, v15, v31
	global_store_b64 v[28:29], v[30:31], off
.LBB78_27:                              ;   in Loop: Header=BB78_8 Depth=1
	s_wait_alu 0xfffe
	s_and_not1_b32 vcc_lo, exec_lo, s15
	s_wait_alu 0xfffe
	s_cbranch_vccnz .LBB78_29
; %bb.28:                               ;   in Loop: Header=BB78_8 Depth=1
	v_add_co_u32 v28, vcc_lo, v1, v12
	s_wait_alu 0xfffd
	v_add_co_ci_u32_e64 v29, null, v16, v13, vcc_lo
	global_store_b64 v[28:29], v[14:15], off
.LBB78_29:                              ;   in Loop: Header=BB78_8 Depth=1
	s_wait_alu 0xfffe
	s_or_b32 exec_lo, exec_lo, s14
	v_add_co_u32 v1, vcc_lo, s0, v8
	s_wait_alu 0xfffd
	v_add_co_ci_u32_e64 v16, null, s1, v9, vcc_lo
	s_and_saveexec_b32 s0, s18
	s_cbranch_execz .LBB78_34
; %bb.30:                               ;   in Loop: Header=BB78_8 Depth=1
	v_mul_f32_e32 v15, s8, v27
	v_mul_f32_e32 v14, s9, v27
	s_and_not1_b32 vcc_lo, exec_lo, s11
	s_mov_b32 s1, -1
	s_delay_alu instid0(VALU_DEP_2) | instskip(NEXT) | instid1(VALU_DEP_2)
	v_fmac_f32_e32 v15, s9, v26
	v_fma_f32 v14, v26, s8, -v14
	s_wait_alu 0xfffe
	s_cbranch_vccnz .LBB78_32
; %bb.31:                               ;   in Loop: Header=BB78_8 Depth=1
	v_add_co_u32 v26, vcc_lo, v1, v10
	s_wait_alu 0xfffd
	v_add_co_ci_u32_e64 v27, null, v16, v11, vcc_lo
	s_mov_b32 s1, 0
	global_load_b64 v[28:29], v[26:27], off
	s_wait_loadcnt 0x0
	v_mul_f32_e32 v17, s7, v29
	v_mul_f32_e32 v29, s6, v29
	s_delay_alu instid0(VALU_DEP_2) | instskip(NEXT) | instid1(VALU_DEP_1)
	v_fma_f32 v17, v28, s6, -v17
	v_dual_fmac_f32 v29, s7, v28 :: v_dual_add_f32 v28, v14, v17
	s_delay_alu instid0(VALU_DEP_1)
	v_add_f32_e32 v29, v15, v29
	global_store_b64 v[26:27], v[28:29], off
.LBB78_32:                              ;   in Loop: Header=BB78_8 Depth=1
	s_wait_alu 0xfffe
	s_and_not1_b32 vcc_lo, exec_lo, s1
	s_wait_alu 0xfffe
	s_cbranch_vccnz .LBB78_34
; %bb.33:                               ;   in Loop: Header=BB78_8 Depth=1
	v_add_co_u32 v26, vcc_lo, v1, v10
	s_wait_alu 0xfffd
	v_add_co_ci_u32_e64 v27, null, v16, v11, vcc_lo
	global_store_b64 v[26:27], v[14:15], off
.LBB78_34:                              ;   in Loop: Header=BB78_8 Depth=1
	s_wait_alu 0xfffe
	s_or_b32 exec_lo, exec_lo, s0
	s_and_saveexec_b32 s0, s20
	s_cbranch_execz .LBB78_7
; %bb.35:                               ;   in Loop: Header=BB78_8 Depth=1
	v_mul_f32_e32 v15, s8, v24
	v_mul_f32_e32 v14, s9, v24
	s_and_not1_b32 vcc_lo, exec_lo, s11
	s_mov_b32 s1, -1
	s_delay_alu instid0(VALU_DEP_2) | instskip(NEXT) | instid1(VALU_DEP_2)
	v_fmac_f32_e32 v15, s9, v25
	v_fma_f32 v14, v25, s8, -v14
	s_wait_alu 0xfffe
	s_cbranch_vccnz .LBB78_37
; %bb.36:                               ;   in Loop: Header=BB78_8 Depth=1
	v_add_co_u32 v24, vcc_lo, v1, v12
	s_wait_alu 0xfffd
	v_add_co_ci_u32_e64 v25, null, v16, v13, vcc_lo
	s_mov_b32 s1, 0
	global_load_b64 v[26:27], v[24:25], off
	s_wait_loadcnt 0x0
	v_mul_f32_e32 v17, s7, v27
	s_delay_alu instid0(VALU_DEP_1) | instskip(SKIP_1) | instid1(VALU_DEP_1)
	v_fma_f32 v17, v26, s6, -v17
	v_mul_f32_e32 v27, s6, v27
	v_dual_fmac_f32 v27, s7, v26 :: v_dual_add_f32 v26, v14, v17
	s_delay_alu instid0(VALU_DEP_1)
	v_add_f32_e32 v27, v15, v27
	global_store_b64 v[24:25], v[26:27], off
.LBB78_37:                              ;   in Loop: Header=BB78_8 Depth=1
	s_wait_alu 0xfffe
	s_and_not1_b32 vcc_lo, exec_lo, s1
	s_wait_alu 0xfffe
	s_cbranch_vccnz .LBB78_7
; %bb.38:                               ;   in Loop: Header=BB78_8 Depth=1
	v_add_co_u32 v24, vcc_lo, v1, v12
	s_wait_alu 0xfffd
	v_add_co_ci_u32_e64 v25, null, v16, v13, vcc_lo
	global_store_b64 v[24:25], v[14:15], off
	s_branch .LBB78_7
.LBB78_39:
	s_endpgm
	.section	.rodata,"a",@progbits
	.p2align	6, 0x0
	.amdhsa_kernel _ZL29rocblas_internal_gemmt_kernelIiLi16ELi32ELi8ELc67ELc78ELc85ELb1ELb0E19rocblas_complex_numIfEPKS1_S3_PS1_EviT_T9_T10_S5_lS7_S5_lS6_T11_S5_li
		.amdhsa_group_segment_fixed_size 4096
		.amdhsa_private_segment_fixed_size 0
		.amdhsa_kernarg_size 100
		.amdhsa_user_sgpr_count 2
		.amdhsa_user_sgpr_dispatch_ptr 0
		.amdhsa_user_sgpr_queue_ptr 0
		.amdhsa_user_sgpr_kernarg_segment_ptr 1
		.amdhsa_user_sgpr_dispatch_id 0
		.amdhsa_user_sgpr_private_segment_size 0
		.amdhsa_wavefront_size32 1
		.amdhsa_uses_dynamic_stack 0
		.amdhsa_enable_private_segment 0
		.amdhsa_system_sgpr_workgroup_id_x 1
		.amdhsa_system_sgpr_workgroup_id_y 1
		.amdhsa_system_sgpr_workgroup_id_z 1
		.amdhsa_system_sgpr_workgroup_info 0
		.amdhsa_system_vgpr_workitem_id 1
		.amdhsa_next_free_vgpr 69
		.amdhsa_next_free_sgpr 35
		.amdhsa_reserve_vcc 1
		.amdhsa_float_round_mode_32 0
		.amdhsa_float_round_mode_16_64 0
		.amdhsa_float_denorm_mode_32 3
		.amdhsa_float_denorm_mode_16_64 3
		.amdhsa_fp16_overflow 0
		.amdhsa_workgroup_processor_mode 1
		.amdhsa_memory_ordered 1
		.amdhsa_forward_progress 1
		.amdhsa_inst_pref_size 25
		.amdhsa_round_robin_scheduling 0
		.amdhsa_exception_fp_ieee_invalid_op 0
		.amdhsa_exception_fp_denorm_src 0
		.amdhsa_exception_fp_ieee_div_zero 0
		.amdhsa_exception_fp_ieee_overflow 0
		.amdhsa_exception_fp_ieee_underflow 0
		.amdhsa_exception_fp_ieee_inexact 0
		.amdhsa_exception_int_div_zero 0
	.end_amdhsa_kernel
	.section	.text._ZL29rocblas_internal_gemmt_kernelIiLi16ELi32ELi8ELc67ELc78ELc85ELb1ELb0E19rocblas_complex_numIfEPKS1_S3_PS1_EviT_T9_T10_S5_lS7_S5_lS6_T11_S5_li,"axG",@progbits,_ZL29rocblas_internal_gemmt_kernelIiLi16ELi32ELi8ELc67ELc78ELc85ELb1ELb0E19rocblas_complex_numIfEPKS1_S3_PS1_EviT_T9_T10_S5_lS7_S5_lS6_T11_S5_li,comdat
.Lfunc_end78:
	.size	_ZL29rocblas_internal_gemmt_kernelIiLi16ELi32ELi8ELc67ELc78ELc85ELb1ELb0E19rocblas_complex_numIfEPKS1_S3_PS1_EviT_T9_T10_S5_lS7_S5_lS6_T11_S5_li, .Lfunc_end78-_ZL29rocblas_internal_gemmt_kernelIiLi16ELi32ELi8ELc67ELc78ELc85ELb1ELb0E19rocblas_complex_numIfEPKS1_S3_PS1_EviT_T9_T10_S5_lS7_S5_lS6_T11_S5_li
                                        ; -- End function
	.set _ZL29rocblas_internal_gemmt_kernelIiLi16ELi32ELi8ELc67ELc78ELc85ELb1ELb0E19rocblas_complex_numIfEPKS1_S3_PS1_EviT_T9_T10_S5_lS7_S5_lS6_T11_S5_li.num_vgpr, 69
	.set _ZL29rocblas_internal_gemmt_kernelIiLi16ELi32ELi8ELc67ELc78ELc85ELb1ELb0E19rocblas_complex_numIfEPKS1_S3_PS1_EviT_T9_T10_S5_lS7_S5_lS6_T11_S5_li.num_agpr, 0
	.set _ZL29rocblas_internal_gemmt_kernelIiLi16ELi32ELi8ELc67ELc78ELc85ELb1ELb0E19rocblas_complex_numIfEPKS1_S3_PS1_EviT_T9_T10_S5_lS7_S5_lS6_T11_S5_li.numbered_sgpr, 35
	.set _ZL29rocblas_internal_gemmt_kernelIiLi16ELi32ELi8ELc67ELc78ELc85ELb1ELb0E19rocblas_complex_numIfEPKS1_S3_PS1_EviT_T9_T10_S5_lS7_S5_lS6_T11_S5_li.num_named_barrier, 0
	.set _ZL29rocblas_internal_gemmt_kernelIiLi16ELi32ELi8ELc67ELc78ELc85ELb1ELb0E19rocblas_complex_numIfEPKS1_S3_PS1_EviT_T9_T10_S5_lS7_S5_lS6_T11_S5_li.private_seg_size, 0
	.set _ZL29rocblas_internal_gemmt_kernelIiLi16ELi32ELi8ELc67ELc78ELc85ELb1ELb0E19rocblas_complex_numIfEPKS1_S3_PS1_EviT_T9_T10_S5_lS7_S5_lS6_T11_S5_li.uses_vcc, 1
	.set _ZL29rocblas_internal_gemmt_kernelIiLi16ELi32ELi8ELc67ELc78ELc85ELb1ELb0E19rocblas_complex_numIfEPKS1_S3_PS1_EviT_T9_T10_S5_lS7_S5_lS6_T11_S5_li.uses_flat_scratch, 0
	.set _ZL29rocblas_internal_gemmt_kernelIiLi16ELi32ELi8ELc67ELc78ELc85ELb1ELb0E19rocblas_complex_numIfEPKS1_S3_PS1_EviT_T9_T10_S5_lS7_S5_lS6_T11_S5_li.has_dyn_sized_stack, 0
	.set _ZL29rocblas_internal_gemmt_kernelIiLi16ELi32ELi8ELc67ELc78ELc85ELb1ELb0E19rocblas_complex_numIfEPKS1_S3_PS1_EviT_T9_T10_S5_lS7_S5_lS6_T11_S5_li.has_recursion, 0
	.set _ZL29rocblas_internal_gemmt_kernelIiLi16ELi32ELi8ELc67ELc78ELc85ELb1ELb0E19rocblas_complex_numIfEPKS1_S3_PS1_EviT_T9_T10_S5_lS7_S5_lS6_T11_S5_li.has_indirect_call, 0
	.section	.AMDGPU.csdata,"",@progbits
; Kernel info:
; codeLenInByte = 3176
; TotalNumSgprs: 37
; NumVgprs: 69
; ScratchSize: 0
; MemoryBound: 1
; FloatMode: 240
; IeeeMode: 1
; LDSByteSize: 4096 bytes/workgroup (compile time only)
; SGPRBlocks: 0
; VGPRBlocks: 8
; NumSGPRsForWavesPerEU: 37
; NumVGPRsForWavesPerEU: 69
; Occupancy: 16
; WaveLimiterHint : 0
; COMPUTE_PGM_RSRC2:SCRATCH_EN: 0
; COMPUTE_PGM_RSRC2:USER_SGPR: 2
; COMPUTE_PGM_RSRC2:TRAP_HANDLER: 0
; COMPUTE_PGM_RSRC2:TGID_X_EN: 1
; COMPUTE_PGM_RSRC2:TGID_Y_EN: 1
; COMPUTE_PGM_RSRC2:TGID_Z_EN: 1
; COMPUTE_PGM_RSRC2:TIDIG_COMP_CNT: 1
	.section	.text._ZL29rocblas_internal_gemmt_kernelIiLi16ELi32ELi8ELc67ELc84ELc85ELb1ELb0E19rocblas_complex_numIfEPKS1_S3_PS1_EviT_T9_T10_S5_lS7_S5_lS6_T11_S5_li,"axG",@progbits,_ZL29rocblas_internal_gemmt_kernelIiLi16ELi32ELi8ELc67ELc84ELc85ELb1ELb0E19rocblas_complex_numIfEPKS1_S3_PS1_EviT_T9_T10_S5_lS7_S5_lS6_T11_S5_li,comdat
	.globl	_ZL29rocblas_internal_gemmt_kernelIiLi16ELi32ELi8ELc67ELc84ELc85ELb1ELb0E19rocblas_complex_numIfEPKS1_S3_PS1_EviT_T9_T10_S5_lS7_S5_lS6_T11_S5_li ; -- Begin function _ZL29rocblas_internal_gemmt_kernelIiLi16ELi32ELi8ELc67ELc84ELc85ELb1ELb0E19rocblas_complex_numIfEPKS1_S3_PS1_EviT_T9_T10_S5_lS7_S5_lS6_T11_S5_li
	.p2align	8
	.type	_ZL29rocblas_internal_gemmt_kernelIiLi16ELi32ELi8ELc67ELc84ELc85ELb1ELb0E19rocblas_complex_numIfEPKS1_S3_PS1_EviT_T9_T10_S5_lS7_S5_lS6_T11_S5_li,@function
_ZL29rocblas_internal_gemmt_kernelIiLi16ELi32ELi8ELc67ELc84ELc85ELb1ELb0E19rocblas_complex_numIfEPKS1_S3_PS1_EviT_T9_T10_S5_lS7_S5_lS6_T11_S5_li: ; @_ZL29rocblas_internal_gemmt_kernelIiLi16ELi32ELi8ELc67ELc84ELc85ELb1ELb0E19rocblas_complex_numIfEPKS1_S3_PS1_EviT_T9_T10_S5_lS7_S5_lS6_T11_S5_li
; %bb.0:
	s_load_b128 s[4:7], s[0:1], 0x38
	s_wait_kmcnt 0x0
	s_load_b64 s[6:7], s[6:7], 0x0
	s_clause 0x1
	s_load_b128 s[8:11], s[0:1], 0x8
	s_load_b64 s[20:21], s[0:1], 0x0
	s_wait_kmcnt 0x0
	s_load_b64 s[8:9], s[8:9], 0x0
	s_cmp_eq_f32 s6, 1.0
	s_cselect_b32 s2, -1, 0
	s_and_b32 s3, s7, 0x7fffffff
	s_delay_alu instid0(SALU_CYCLE_1) | instskip(SKIP_1) | instid1(SALU_CYCLE_1)
	s_cmp_eq_u32 s3, 0
	s_cselect_b32 s3, -1, 0
	s_and_b32 s12, s2, s3
	s_mov_b32 s2, 0
	s_and_not1_b32 vcc_lo, exec_lo, s12
	s_mov_b32 s12, -1
	s_cbranch_vccnz .LBB79_4
; %bb.1:
	s_cmp_lg_u32 s21, 0
	s_cbranch_scc0 .LBB79_3
; %bb.2:
	s_wait_kmcnt 0x0
	s_cmp_neq_f32 s8, 0
	s_cselect_b32 s2, -1, 0
	s_cmp_neq_f32 s9, 0
	s_cselect_b32 s12, -1, 0
	s_delay_alu instid0(SALU_CYCLE_1)
	s_or_b32 s2, s2, s12
.LBB79_3:
	s_delay_alu instid0(SALU_CYCLE_1)
	s_mov_b32 s12, s2
.LBB79_4:
	s_delay_alu instid0(SALU_CYCLE_1)
	s_and_b32 vcc_lo, exec_lo, s12
	s_cbranch_vccz .LBB79_39
; %bb.5:
	s_load_b32 s19, s[0:1], 0x60
	s_lshr_b32 s22, ttmp7, 16
	s_wait_kmcnt 0x0
	s_cmp_ge_u32 s22, s19
	s_cbranch_scc1 .LBB79_39
; %bb.6:
	s_clause 0x2
	s_load_b32 s26, s[0:1], 0x30
	s_load_b32 s30, s[0:1], 0x18
	s_load_b128 s[12:15], s[0:1], 0x20
	v_and_b32_e32 v1, 0x3ff, v0
	v_bfe_u32 v2, v0, 10, 10
	v_and_b32_e32 v18, 7, v0
	s_clause 0x1
	s_load_b96 s[16:18], s[0:1], 0x48
	s_load_b64 s[24:25], s[0:1], 0x58
	s_lshl_b32 s1, ttmp7, 5
	s_lshl_b32 s0, ttmp9, 5
	v_lshl_add_u32 v0, v2, 4, v1
	s_and_b32 s1, s1, 0x1fffe0
	v_add_nc_u32_e32 v10, s0, v1
	v_add_nc_u32_e32 v4, s1, v2
	v_lshlrev_b32_e32 v22, 3, v1
	v_lshrrev_b32_e32 v6, 3, v0
	v_and_b32_e32 v5, 31, v0
	v_lshrrev_b32_e32 v19, 5, v0
	v_add_nc_u32_e32 v12, 16, v10
	v_lshlrev_b32_e32 v3, 3, v18
	v_add_nc_u32_e32 v14, s1, v6
	s_wait_kmcnt 0x0
	s_ashr_i32 s27, s26, 31
	s_cmp_neq_f32 s8, 0
	v_or_b32_e32 v0, s0, v5
	v_lshl_add_u32 v23, v2, 6, 0x800
	v_add_nc_u32_e32 v2, 16, v4
	s_cselect_b32 s1, -1, 0
	s_cmp_neq_f32 s9, 0
	v_cmp_gt_i32_e32 vcc_lo, s20, v0
	v_mad_co_i64_i32 v[0:1], null, s30, v0, 0
	s_cselect_b32 s2, -1, 0
	v_lshl_or_b32 v3, v6, 6, v3
	s_wait_alu 0xfffe
	s_or_b32 s31, s1, s2
	s_cmp_gt_i32 s21, 0
	v_cmp_gt_i32_e64 s1, s20, v4
	s_cselect_b32 s33, -1, 0
	s_cmp_neq_f32 s6, 0
	v_cmp_le_i32_e64 s2, v10, v4
	v_lshlrev_b64_e32 v[0:1], 3, v[0:1]
	v_mad_co_i64_i32 v[6:7], null, v4, s18, 0
	s_cselect_b32 s34, -1, 0
	s_xor_b32 s35, s3, -1
	v_cmp_le_i32_e64 s3, v12, v4
	s_and_b32 s28, s1, s2
	v_cmp_le_i32_e64 s2, v10, v2
	v_lshlrev_b32_e32 v4, 3, v19
	v_add_nc_u32_e32 v21, 0x800, v3
	s_and_b32 s29, s1, s3
	v_cmp_gt_i32_e64 s1, s20, v2
	v_cmp_le_i32_e64 s3, v12, v2
	v_mad_co_i64_i32 v[8:9], null, v2, s18, 0
	v_mad_co_i64_i32 v[2:3], null, s26, v18, 0
	v_cmp_gt_i32_e64 s0, s20, v14
	s_and_b32 s18, s1, s2
	s_and_b32 s20, s1, s3
	v_add_co_u32 v4, s1, v0, v4
	v_lshlrev_b32_e32 v5, 3, v5
	s_wait_alu 0xf1ff
	v_add_co_ci_u32_e64 v1, null, 0, v1, s1
	s_delay_alu instid0(VALU_DEP_3) | instskip(NEXT) | instid1(VALU_DEP_3)
	v_add_co_u32 v15, s1, s10, v4
	v_lshl_or_b32 v20, v19, 8, v5
	v_lshlrev_b64_e32 v[4:5], 3, v[2:3]
	s_wait_alu 0xf1ff
	v_add_co_ci_u32_e64 v1, null, s11, v1, s1
	v_lshlrev_b32_e32 v14, 3, v14
	v_add_co_u32 v2, s1, v15, 4
	s_wait_alu 0xf1ff
	s_delay_alu instid0(VALU_DEP_3) | instskip(NEXT) | instid1(VALU_DEP_3)
	v_add_co_ci_u32_e64 v3, null, 0, v1, s1
	v_add_co_u32 v1, s1, v4, v14
	v_ashrrev_i32_e32 v11, 31, v10
	v_ashrrev_i32_e32 v13, 31, v12
	s_wait_alu 0xf1ff
	v_add_co_ci_u32_e64 v5, null, 0, v5, s1
	v_add_co_u32 v4, s1, s14, v1
	v_lshlrev_b64_e32 v[6:7], 3, v[6:7]
	v_lshlrev_b64_e32 v[8:9], 3, v[8:9]
	;; [unrolled: 1-line block ×4, first 2 shown]
	v_mov_b32_e32 v0, 0
	s_wait_alu 0xf1ff
	v_add_co_ci_u32_e64 v5, null, s15, v5, s1
	s_mov_b32 s23, 0
	s_lshl_b64 s[2:3], s[12:13], 3
	s_lshl_b64 s[4:5], s[4:5], 3
	s_wait_alu 0xfffe
	s_and_b32 s12, s31, s33
	s_or_b32 s13, s34, s35
	s_lshl_b64 s[10:11], s[26:27], 6
	s_xor_b32 s14, vcc_lo, -1
	s_xor_b32 s15, s0, -1
	s_branch .LBB79_8
.LBB79_7:                               ;   in Loop: Header=BB79_8 Depth=1
	s_wait_alu 0xfffe
	s_or_b32 exec_lo, exec_lo, s0
	s_add_co_i32 s22, s22, 0x10000
	s_wait_alu 0xfffe
	s_cmp_lt_u32 s22, s19
	s_cbranch_scc0 .LBB79_39
.LBB79_8:                               ; =>This Loop Header: Depth=1
                                        ;     Child Loop BB79_11 Depth 2
	v_dual_mov_b32 v30, v0 :: v_dual_mov_b32 v31, v0
	v_dual_mov_b32 v28, v0 :: v_dual_mov_b32 v29, v0
	;; [unrolled: 1-line block ×4, first 2 shown]
	s_and_not1_b32 vcc_lo, exec_lo, s12
	s_wait_alu 0xfffe
	s_cbranch_vccnz .LBB79_19
; %bb.9:                                ;   in Loop: Header=BB79_8 Depth=1
	v_mad_co_u64_u32 v[14:15], null, s2, s22, v[2:3]
	v_mad_co_u64_u32 v[16:17], null, s4, s22, v[4:5]
	v_dual_mov_b32 v25, 0 :: v_dual_mov_b32 v28, 0
	v_mov_b32_e32 v27, 0
	v_mov_b32_e32 v29, 0
	v_dual_mov_b32 v1, v15 :: v_dual_mov_b32 v24, 0
	v_dual_mov_b32 v15, v17 :: v_dual_mov_b32 v26, 0
	s_mov_b32 s0, 0
	s_delay_alu instid0(VALU_DEP_2) | instskip(NEXT) | instid1(VALU_DEP_2)
	v_mad_co_u64_u32 v[30:31], null, s3, s22, v[1:2]
	v_mad_co_u64_u32 v[32:33], null, s5, s22, v[15:16]
	v_mov_b32_e32 v31, 0
	s_delay_alu instid0(VALU_DEP_3) | instskip(NEXT) | instid1(VALU_DEP_3)
	v_dual_mov_b32 v15, v30 :: v_dual_mov_b32 v30, 0
	v_mov_b32_e32 v17, v32
	s_branch .LBB79_11
.LBB79_10:                              ;   in Loop: Header=BB79_11 Depth=2
	s_wait_alu 0xfffe
	s_or_b32 exec_lo, exec_lo, s1
	s_wait_dscnt 0x0
	s_barrier_signal -1
	s_barrier_wait -1
	global_inv scope:SCOPE_SE
	ds_load_b128 v[32:35], v23
	ds_load_2addr_b64 v[36:39], v22 offset1:16
	ds_load_b128 v[40:43], v23 offset:1024
	ds_load_b128 v[44:47], v23 offset:16
	;; [unrolled: 1-line block ×4, first 2 shown]
	ds_load_2addr_b64 v[56:59], v22 offset0:32 offset1:48
	ds_load_b128 v[60:63], v23 offset:1040
	v_add_co_u32 v14, vcc_lo, v14, 64
	s_wait_alu 0xfffd
	v_add_co_ci_u32_e64 v15, null, 0, v15, vcc_lo
	v_add_co_u32 v16, vcc_lo, v16, s10
	s_wait_alu 0xfffd
	v_add_co_ci_u32_e64 v17, null, s11, v17, vcc_lo
	s_add_co_i32 s0, s0, 8
	s_wait_alu 0xfffe
	s_cmp_lt_i32 s0, s21
	s_wait_dscnt 0x6
	v_dual_mul_f32 v1, v33, v37 :: v_dual_mul_f32 v66, v32, v39
	v_dual_mul_f32 v64, v32, v37 :: v_dual_mul_f32 v65, v33, v39
	s_wait_dscnt 0x5
	v_mul_f32_e32 v68, v41, v39
	s_delay_alu instid0(VALU_DEP_3) | instskip(SKIP_3) | instid1(VALU_DEP_4)
	v_fma_f32 v1, v32, v36, -v1
	v_dual_mul_f32 v39, v40, v39 :: v_dual_fmac_f32 v66, v33, v38
	v_fmac_f32_e32 v64, v33, v36
	v_fma_f32 v32, v32, v38, -v65
	v_add_f32_e32 v1, v30, v1
	v_mul_f32_e32 v67, v41, v37
	s_delay_alu instid0(VALU_DEP_4) | instskip(NEXT) | instid1(VALU_DEP_4)
	v_dual_mul_f32 v37, v40, v37 :: v_dual_add_f32 v30, v31, v64
	v_add_f32_e32 v31, v28, v32
	v_fmac_f32_e32 v39, v41, v38
	s_delay_alu instid0(VALU_DEP_4) | instskip(NEXT) | instid1(VALU_DEP_4)
	v_fma_f32 v33, v40, v36, -v67
	v_fmac_f32_e32 v37, v41, v36
	v_fma_f32 v36, v40, v38, -v68
	s_wait_dscnt 0x1
	v_dual_mul_f32 v38, v34, v57 :: v_dual_add_f32 v29, v29, v66
	v_mul_f32_e32 v40, v35, v59
	v_add_f32_e32 v32, v26, v33
	v_dual_add_f32 v33, v27, v37 :: v_dual_add_f32 v36, v25, v36
	ds_load_2addr_b64 v[25:28], v22 offset0:64 offset1:80
	v_fmac_f32_e32 v38, v35, v56
	v_dual_mul_f32 v37, v35, v57 :: v_dual_add_f32 v24, v24, v39
	v_mul_f32_e32 v39, v34, v59
	s_delay_alu instid0(VALU_DEP_3) | instskip(NEXT) | instid1(VALU_DEP_3)
	v_add_f32_e32 v38, v30, v38
	v_fma_f32 v37, v34, v56, -v37
	v_fma_f32 v34, v34, v58, -v40
	v_mul_f32_e32 v30, v42, v57
	s_delay_alu instid0(VALU_DEP_3) | instskip(SKIP_1) | instid1(VALU_DEP_4)
	v_add_f32_e32 v1, v1, v37
	v_mul_f32_e32 v37, v43, v57
	v_add_f32_e32 v34, v31, v34
	v_fmac_f32_e32 v39, v35, v58
	v_mul_f32_e32 v35, v43, v59
	v_fmac_f32_e32 v30, v43, v56
	v_fma_f32 v31, v42, v56, -v37
	s_delay_alu instid0(VALU_DEP_4) | instskip(SKIP_4) | instid1(VALU_DEP_3)
	v_add_f32_e32 v37, v29, v39
	v_mul_f32_e32 v39, v42, v59
	v_fma_f32 v29, v42, v58, -v35
	s_wait_dscnt 0x0
	v_dual_add_f32 v40, v32, v31 :: v_dual_mul_f32 v31, v45, v26
	v_dual_mul_f32 v42, v45, v28 :: v_dual_fmac_f32 v39, v43, v58
	v_mul_f32_e32 v35, v44, v26
	v_add_f32_e32 v36, v36, v29
	s_delay_alu instid0(VALU_DEP_3) | instskip(SKIP_3) | instid1(VALU_DEP_3)
	v_add_f32_e32 v39, v24, v39
	v_mul_f32_e32 v24, v44, v28
	v_fma_f32 v41, v44, v25, -v31
	v_fmac_f32_e32 v35, v45, v25
	v_fmac_f32_e32 v24, v45, v27
	s_delay_alu instid0(VALU_DEP_3)
	v_add_f32_e32 v1, v1, v41
	v_fma_f32 v41, v44, v27, -v42
	v_add_f32_e32 v33, v33, v30
	ds_load_2addr_b64 v[29:32], v22 offset0:96 offset1:112
	v_dual_add_f32 v35, v38, v35 :: v_dual_mul_f32 v38, v61, v26
	v_mul_f32_e32 v26, v60, v26
	v_dual_add_f32 v34, v34, v41 :: v_dual_mul_f32 v41, v61, v28
	v_mul_f32_e32 v28, v60, v28
	s_delay_alu instid0(VALU_DEP_4) | instskip(NEXT) | instid1(VALU_DEP_4)
	v_fma_f32 v38, v60, v25, -v38
	v_fmac_f32_e32 v26, v61, v25
	v_add_f32_e32 v37, v37, v24
	v_fma_f32 v24, v60, v27, -v41
	v_fmac_f32_e32 v28, v61, v27
	v_add_f32_e32 v38, v40, v38
	s_delay_alu instid0(VALU_DEP_3) | instskip(SKIP_4) | instid1(VALU_DEP_2)
	v_dual_add_f32 v40, v33, v26 :: v_dual_add_f32 v41, v36, v24
	ds_load_2addr_b64 v[24:27], v22 offset0:128 offset1:144
	s_wait_dscnt 0x1
	v_mul_f32_e32 v33, v47, v30
	v_dual_mul_f32 v36, v46, v30 :: v_dual_mul_f32 v45, v63, v32
	v_fma_f32 v33, v46, v29, -v33
	v_mul_f32_e32 v42, v47, v32
	s_delay_alu instid0(VALU_DEP_3) | instskip(NEXT) | instid1(VALU_DEP_3)
	v_fmac_f32_e32 v36, v47, v29
	v_add_f32_e32 v1, v1, v33
	s_delay_alu instid0(VALU_DEP_3) | instskip(SKIP_3) | instid1(VALU_DEP_4)
	v_fma_f32 v42, v46, v31, -v42
	v_add_f32_e32 v39, v39, v28
	v_dual_mul_f32 v28, v46, v32 :: v_dual_mul_f32 v33, v63, v30
	v_dual_add_f32 v43, v35, v36 :: v_dual_mul_f32 v30, v62, v30
	v_add_f32_e32 v42, v34, v42
	s_delay_alu instid0(VALU_DEP_3) | instskip(NEXT) | instid1(VALU_DEP_4)
	v_fmac_f32_e32 v28, v47, v31
	v_fma_f32 v44, v62, v29, -v33
	ds_load_b128 v[33:36], v23 offset:1056
	v_fmac_f32_e32 v30, v63, v29
	s_wait_dscnt 0x1
	v_mul_f32_e32 v29, v49, v25
	v_add_f32_e32 v46, v37, v28
	v_dual_mul_f32 v32, v62, v32 :: v_dual_mul_f32 v47, v48, v25
	v_mul_f32_e32 v56, v48, v27
	s_delay_alu instid0(VALU_DEP_4)
	v_fma_f32 v37, v48, v24, -v29
	v_add_f32_e32 v44, v38, v44
	v_mul_f32_e32 v38, v49, v27
	v_fma_f32 v28, v62, v31, -v45
	v_dual_fmac_f32 v32, v63, v31 :: v_dual_fmac_f32 v47, v49, v24
	v_add_f32_e32 v1, v1, v37
	s_delay_alu instid0(VALU_DEP_4) | instskip(NEXT) | instid1(VALU_DEP_4)
	v_fma_f32 v48, v48, v26, -v38
	v_add_f32_e32 v41, v41, v28
	v_add_f32_e32 v45, v40, v30
	ds_load_2addr_b64 v[28:31], v22 offset0:160 offset1:176
	v_add_f32_e32 v32, v39, v32
	ds_load_b128 v[37:40], v23 offset:1072
	s_wait_dscnt 0x2
	v_mul_f32_e32 v57, v34, v25
	v_dual_mul_f32 v25, v33, v25 :: v_dual_add_f32 v42, v42, v48
	v_mul_f32_e32 v48, v34, v27
	v_dual_add_f32 v43, v43, v47 :: v_dual_fmac_f32 v56, v49, v26
	s_delay_alu instid0(VALU_DEP_4) | instskip(NEXT) | instid1(VALU_DEP_4)
	v_fma_f32 v47, v33, v24, -v57
	v_fmac_f32_e32 v25, v34, v24
	v_mul_f32_e32 v49, v33, v27
	s_delay_alu instid0(VALU_DEP_3) | instskip(SKIP_1) | instid1(VALU_DEP_3)
	v_add_f32_e32 v44, v44, v47
	v_add_f32_e32 v46, v46, v56
	v_fmac_f32_e32 v49, v34, v26
	s_wait_dscnt 0x1
	v_mul_f32_e32 v27, v51, v29
	v_fma_f32 v24, v33, v26, -v48
	v_add_f32_e32 v33, v45, v25
	v_mul_f32_e32 v34, v50, v29
	s_delay_alu instid0(VALU_DEP_4) | instskip(NEXT) | instid1(VALU_DEP_4)
	v_fma_f32 v45, v50, v28, -v27
	v_add_f32_e32 v41, v41, v24
	ds_load_2addr_b64 v[24:27], v22 offset0:192 offset1:208
	v_fmac_f32_e32 v34, v51, v28
	v_dual_mul_f32 v47, v51, v31 :: v_dual_add_f32 v48, v32, v49
	v_dual_add_f32 v1, v1, v45 :: v_dual_mul_f32 v32, v50, v31
	s_delay_alu instid0(VALU_DEP_3) | instskip(NEXT) | instid1(VALU_DEP_3)
	v_dual_add_f32 v43, v43, v34 :: v_dual_mul_f32 v34, v36, v29
	v_fma_f32 v45, v50, v30, -v47
	s_delay_alu instid0(VALU_DEP_3) | instskip(NEXT) | instid1(VALU_DEP_3)
	v_fmac_f32_e32 v32, v51, v30
	v_fma_f32 v34, v35, v28, -v34
	s_delay_alu instid0(VALU_DEP_3) | instskip(SKIP_1) | instid1(VALU_DEP_3)
	v_dual_add_f32 v42, v42, v45 :: v_dual_mul_f32 v45, v36, v31
	v_mul_f32_e32 v29, v35, v29
	v_dual_mul_f32 v31, v35, v31 :: v_dual_add_f32 v44, v44, v34
	s_delay_alu instid0(VALU_DEP_2) | instskip(SKIP_2) | instid1(VALU_DEP_4)
	v_fmac_f32_e32 v29, v36, v28
	v_add_f32_e32 v28, v46, v32
	v_fma_f32 v32, v35, v30, -v45
	v_fmac_f32_e32 v31, v36, v30
	s_wait_dscnt 0x0
	v_mul_f32_e32 v36, v52, v25
	v_dual_add_f32 v29, v33, v29 :: v_dual_mul_f32 v46, v52, v27
	v_add_f32_e32 v30, v41, v32
	ds_load_2addr_b64 v[32:35], v22 offset0:224 offset1:240
	v_dual_add_f32 v31, v48, v31 :: v_dual_fmac_f32 v36, v53, v24
	v_mul_f32_e32 v45, v53, v25
	v_fmac_f32_e32 v46, v53, v26
	s_wait_loadcnt_dscnt 0x0
	s_barrier_signal -1
	v_add_f32_e32 v36, v43, v36
	v_fma_f32 v41, v52, v24, -v45
	v_mul_f32_e32 v45, v53, v27
	v_mul_f32_e32 v43, v38, v27
	;; [unrolled: 1-line block ×3, first 2 shown]
	s_barrier_wait -1
	global_inv scope:SCOPE_SE
	v_fma_f32 v45, v52, v26, -v45
	v_fmac_f32_e32 v27, v38, v26
	s_delay_alu instid0(VALU_DEP_2) | instskip(SKIP_4) | instid1(VALU_DEP_1)
	v_dual_add_f32 v42, v42, v45 :: v_dual_add_f32 v45, v28, v46
	v_fma_f32 v28, v37, v26, -v43
	v_add_f32_e32 v1, v1, v41
	v_mul_f32_e32 v41, v38, v25
	v_mul_f32_e32 v25, v37, v25
	v_fmac_f32_e32 v25, v38, v24
	v_add_f32_e32 v38, v30, v28
	v_mul_f32_e32 v28, v55, v35
	v_fma_f32 v41, v37, v24, -v41
	v_mul_f32_e32 v37, v55, v33
	s_delay_alu instid0(VALU_DEP_2) | instskip(NEXT) | instid1(VALU_DEP_2)
	v_add_f32_e32 v24, v44, v41
	v_fma_f32 v26, v54, v32, -v37
	v_add_f32_e32 v25, v29, v25
	s_delay_alu instid0(VALU_DEP_2) | instskip(SKIP_1) | instid1(VALU_DEP_2)
	v_dual_mul_f32 v29, v54, v35 :: v_dual_add_f32 v30, v1, v26
	v_fma_f32 v1, v54, v34, -v28
	v_dual_mul_f32 v26, v40, v33 :: v_dual_fmac_f32 v29, v55, v34
	s_delay_alu instid0(VALU_DEP_2) | instskip(NEXT) | instid1(VALU_DEP_2)
	v_add_f32_e32 v28, v42, v1
	v_fma_f32 v1, v39, v32, -v26
	s_delay_alu instid0(VALU_DEP_3) | instskip(NEXT) | instid1(VALU_DEP_2)
	v_add_f32_e32 v29, v45, v29
	v_dual_add_f32 v26, v24, v1 :: v_dual_add_f32 v37, v31, v27
	v_mul_f32_e32 v41, v54, v33
	v_mul_f32_e32 v27, v39, v33
	v_mul_f32_e32 v33, v40, v35
	v_mul_f32_e32 v35, v39, v35
	s_delay_alu instid0(VALU_DEP_3) | instskip(NEXT) | instid1(VALU_DEP_2)
	v_fmac_f32_e32 v27, v40, v32
	v_fmac_f32_e32 v35, v40, v34
	s_delay_alu instid0(VALU_DEP_2) | instskip(NEXT) | instid1(VALU_DEP_2)
	v_add_f32_e32 v27, v25, v27
	v_dual_add_f32 v24, v37, v35 :: v_dual_fmac_f32 v41, v55, v32
	v_fma_f32 v32, v39, v34, -v33
	s_delay_alu instid0(VALU_DEP_2) | instskip(NEXT) | instid1(VALU_DEP_2)
	v_add_f32_e32 v31, v36, v41
	v_add_f32_e32 v25, v38, v32
	s_cbranch_scc0 .LBB79_19
.LBB79_11:                              ;   Parent Loop BB79_8 Depth=1
                                        ; =>  This Inner Loop Header: Depth=2
	s_wait_alu 0xfffe
	v_add_nc_u32_e32 v1, s0, v19
	s_delay_alu instid0(VALU_DEP_1)
	v_cmp_le_i32_e32 vcc_lo, s21, v1
	s_or_b32 s1, s14, vcc_lo
	s_wait_alu 0xfffe
	s_and_saveexec_b32 s26, s1
	s_wait_alu 0xfffe
	s_xor_b32 s1, exec_lo, s26
; %bb.12:                               ;   in Loop: Header=BB79_11 Depth=2
	ds_store_b32 v20, v0
; %bb.13:                               ;   in Loop: Header=BB79_11 Depth=2
	s_wait_alu 0xfffe
	s_or_saveexec_b32 s1, s1
	v_mov_b32_e32 v1, 0
	s_wait_alu 0xfffe
	s_xor_b32 exec_lo, exec_lo, s1
	s_cbranch_execz .LBB79_15
; %bb.14:                               ;   in Loop: Header=BB79_11 Depth=2
	global_load_b64 v[32:33], v[14:15], off offset:-4
	s_wait_loadcnt 0x0
	v_xor_b32_e32 v1, 0x80000000, v33
	ds_store_b32 v20, v32
.LBB79_15:                              ;   in Loop: Header=BB79_11 Depth=2
	s_or_b32 exec_lo, exec_lo, s1
	v_add_nc_u32_e32 v32, s0, v18
	ds_store_b32 v20, v1 offset:4
	v_cmp_le_i32_e32 vcc_lo, s21, v32
	s_or_b32 s1, vcc_lo, s15
	s_wait_alu 0xfffe
	s_and_saveexec_b32 s26, s1
	s_wait_alu 0xfffe
	s_xor_b32 s1, exec_lo, s26
; %bb.16:                               ;   in Loop: Header=BB79_11 Depth=2
	v_mov_b32_e32 v1, v0
	ds_store_b64 v21, v[0:1]
; %bb.17:                               ;   in Loop: Header=BB79_11 Depth=2
	s_wait_alu 0xfffe
	s_and_not1_saveexec_b32 s1, s1
	s_cbranch_execz .LBB79_10
; %bb.18:                               ;   in Loop: Header=BB79_11 Depth=2
	global_load_b64 v[32:33], v[16:17], off
	s_wait_loadcnt 0x0
	ds_store_b64 v21, v[32:33]
	s_branch .LBB79_10
.LBB79_19:                              ;   in Loop: Header=BB79_8 Depth=1
	s_mul_u64 s[0:1], s[24:25], s[22:23]
	s_wait_alu 0xfffe
	s_lshl_b64 s[0:1], s[0:1], 3
	s_wait_alu 0xfffe
	s_add_nc_u64 s[0:1], s[16:17], s[0:1]
	s_wait_alu 0xfffe
	v_add_co_u32 v1, vcc_lo, s0, v6
	s_wait_alu 0xfffd
	v_add_co_ci_u32_e64 v16, null, s1, v7, vcc_lo
	s_and_saveexec_b32 s26, s28
	s_cbranch_execz .LBB79_24
; %bb.20:                               ;   in Loop: Header=BB79_8 Depth=1
	v_mul_f32_e32 v15, s8, v31
	v_mul_f32_e32 v14, s9, v31
	s_and_b32 vcc_lo, exec_lo, s13
	s_mov_b32 s27, -1
	s_delay_alu instid0(VALU_DEP_2) | instskip(NEXT) | instid1(VALU_DEP_2)
	v_fmac_f32_e32 v15, s9, v30
	v_fma_f32 v14, v30, s8, -v14
	s_wait_alu 0xfffe
	s_cbranch_vccz .LBB79_22
; %bb.21:                               ;   in Loop: Header=BB79_8 Depth=1
	v_add_co_u32 v30, vcc_lo, v1, v10
	s_wait_alu 0xfffd
	v_add_co_ci_u32_e64 v31, null, v16, v11, vcc_lo
	s_mov_b32 s27, 0
	global_load_b64 v[32:33], v[30:31], off
	s_wait_loadcnt 0x0
	v_mul_f32_e32 v17, s7, v33
	v_mul_f32_e32 v33, s6, v33
	s_delay_alu instid0(VALU_DEP_2) | instskip(NEXT) | instid1(VALU_DEP_1)
	v_fma_f32 v17, v32, s6, -v17
	v_dual_fmac_f32 v33, s7, v32 :: v_dual_add_f32 v32, v14, v17
	s_delay_alu instid0(VALU_DEP_1)
	v_add_f32_e32 v33, v15, v33
	global_store_b64 v[30:31], v[32:33], off
.LBB79_22:                              ;   in Loop: Header=BB79_8 Depth=1
	s_wait_alu 0xfffe
	s_and_not1_b32 vcc_lo, exec_lo, s27
	s_wait_alu 0xfffe
	s_cbranch_vccnz .LBB79_24
; %bb.23:                               ;   in Loop: Header=BB79_8 Depth=1
	v_add_co_u32 v30, vcc_lo, v1, v10
	s_wait_alu 0xfffd
	v_add_co_ci_u32_e64 v31, null, v16, v11, vcc_lo
	global_store_b64 v[30:31], v[14:15], off
.LBB79_24:                              ;   in Loop: Header=BB79_8 Depth=1
	s_wait_alu 0xfffe
	s_or_b32 exec_lo, exec_lo, s26
	s_and_saveexec_b32 s26, s29
	s_cbranch_execz .LBB79_29
; %bb.25:                               ;   in Loop: Header=BB79_8 Depth=1
	v_mul_f32_e32 v15, s8, v29
	v_mul_f32_e32 v14, s9, v29
	s_and_not1_b32 vcc_lo, exec_lo, s13
	s_mov_b32 s27, -1
	s_delay_alu instid0(VALU_DEP_2) | instskip(NEXT) | instid1(VALU_DEP_2)
	v_fmac_f32_e32 v15, s9, v28
	v_fma_f32 v14, v28, s8, -v14
	s_wait_alu 0xfffe
	s_cbranch_vccnz .LBB79_27
; %bb.26:                               ;   in Loop: Header=BB79_8 Depth=1
	v_add_co_u32 v28, vcc_lo, v1, v12
	s_wait_alu 0xfffd
	v_add_co_ci_u32_e64 v29, null, v16, v13, vcc_lo
	s_mov_b32 s27, 0
	global_load_b64 v[30:31], v[28:29], off
	s_wait_loadcnt 0x0
	v_mul_f32_e32 v17, s7, v31
	s_delay_alu instid0(VALU_DEP_1) | instskip(SKIP_1) | instid1(VALU_DEP_1)
	v_fma_f32 v17, v30, s6, -v17
	v_mul_f32_e32 v31, s6, v31
	v_dual_fmac_f32 v31, s7, v30 :: v_dual_add_f32 v30, v14, v17
	s_delay_alu instid0(VALU_DEP_1)
	v_add_f32_e32 v31, v15, v31
	global_store_b64 v[28:29], v[30:31], off
.LBB79_27:                              ;   in Loop: Header=BB79_8 Depth=1
	s_wait_alu 0xfffe
	s_and_not1_b32 vcc_lo, exec_lo, s27
	s_wait_alu 0xfffe
	s_cbranch_vccnz .LBB79_29
; %bb.28:                               ;   in Loop: Header=BB79_8 Depth=1
	v_add_co_u32 v28, vcc_lo, v1, v12
	s_wait_alu 0xfffd
	v_add_co_ci_u32_e64 v29, null, v16, v13, vcc_lo
	global_store_b64 v[28:29], v[14:15], off
.LBB79_29:                              ;   in Loop: Header=BB79_8 Depth=1
	s_wait_alu 0xfffe
	s_or_b32 exec_lo, exec_lo, s26
	v_add_co_u32 v1, vcc_lo, s0, v8
	s_wait_alu 0xfffd
	v_add_co_ci_u32_e64 v16, null, s1, v9, vcc_lo
	s_and_saveexec_b32 s0, s18
	s_cbranch_execz .LBB79_34
; %bb.30:                               ;   in Loop: Header=BB79_8 Depth=1
	v_mul_f32_e32 v15, s8, v27
	v_mul_f32_e32 v14, s9, v27
	s_and_not1_b32 vcc_lo, exec_lo, s13
	s_mov_b32 s1, -1
	s_delay_alu instid0(VALU_DEP_2) | instskip(NEXT) | instid1(VALU_DEP_2)
	v_fmac_f32_e32 v15, s9, v26
	v_fma_f32 v14, v26, s8, -v14
	s_wait_alu 0xfffe
	s_cbranch_vccnz .LBB79_32
; %bb.31:                               ;   in Loop: Header=BB79_8 Depth=1
	v_add_co_u32 v26, vcc_lo, v1, v10
	s_wait_alu 0xfffd
	v_add_co_ci_u32_e64 v27, null, v16, v11, vcc_lo
	s_mov_b32 s1, 0
	global_load_b64 v[28:29], v[26:27], off
	s_wait_loadcnt 0x0
	v_mul_f32_e32 v17, s7, v29
	v_mul_f32_e32 v29, s6, v29
	s_delay_alu instid0(VALU_DEP_2) | instskip(NEXT) | instid1(VALU_DEP_1)
	v_fma_f32 v17, v28, s6, -v17
	v_dual_fmac_f32 v29, s7, v28 :: v_dual_add_f32 v28, v14, v17
	s_delay_alu instid0(VALU_DEP_1)
	v_add_f32_e32 v29, v15, v29
	global_store_b64 v[26:27], v[28:29], off
.LBB79_32:                              ;   in Loop: Header=BB79_8 Depth=1
	s_wait_alu 0xfffe
	s_and_not1_b32 vcc_lo, exec_lo, s1
	s_wait_alu 0xfffe
	s_cbranch_vccnz .LBB79_34
; %bb.33:                               ;   in Loop: Header=BB79_8 Depth=1
	v_add_co_u32 v26, vcc_lo, v1, v10
	s_wait_alu 0xfffd
	v_add_co_ci_u32_e64 v27, null, v16, v11, vcc_lo
	global_store_b64 v[26:27], v[14:15], off
.LBB79_34:                              ;   in Loop: Header=BB79_8 Depth=1
	s_wait_alu 0xfffe
	s_or_b32 exec_lo, exec_lo, s0
	s_and_saveexec_b32 s0, s20
	s_cbranch_execz .LBB79_7
; %bb.35:                               ;   in Loop: Header=BB79_8 Depth=1
	v_mul_f32_e32 v15, s8, v24
	v_mul_f32_e32 v14, s9, v24
	s_and_not1_b32 vcc_lo, exec_lo, s13
	s_mov_b32 s1, -1
	s_delay_alu instid0(VALU_DEP_2) | instskip(NEXT) | instid1(VALU_DEP_2)
	v_fmac_f32_e32 v15, s9, v25
	v_fma_f32 v14, v25, s8, -v14
	s_wait_alu 0xfffe
	s_cbranch_vccnz .LBB79_37
; %bb.36:                               ;   in Loop: Header=BB79_8 Depth=1
	v_add_co_u32 v24, vcc_lo, v1, v12
	s_wait_alu 0xfffd
	v_add_co_ci_u32_e64 v25, null, v16, v13, vcc_lo
	s_mov_b32 s1, 0
	global_load_b64 v[26:27], v[24:25], off
	s_wait_loadcnt 0x0
	v_mul_f32_e32 v17, s7, v27
	s_delay_alu instid0(VALU_DEP_1) | instskip(SKIP_1) | instid1(VALU_DEP_1)
	v_fma_f32 v17, v26, s6, -v17
	v_mul_f32_e32 v27, s6, v27
	v_dual_fmac_f32 v27, s7, v26 :: v_dual_add_f32 v26, v14, v17
	s_delay_alu instid0(VALU_DEP_1)
	v_add_f32_e32 v27, v15, v27
	global_store_b64 v[24:25], v[26:27], off
.LBB79_37:                              ;   in Loop: Header=BB79_8 Depth=1
	s_wait_alu 0xfffe
	s_and_not1_b32 vcc_lo, exec_lo, s1
	s_wait_alu 0xfffe
	s_cbranch_vccnz .LBB79_7
; %bb.38:                               ;   in Loop: Header=BB79_8 Depth=1
	v_add_co_u32 v24, vcc_lo, v1, v12
	s_wait_alu 0xfffd
	v_add_co_ci_u32_e64 v25, null, v16, v13, vcc_lo
	global_store_b64 v[24:25], v[14:15], off
	s_branch .LBB79_7
.LBB79_39:
	s_endpgm
	.section	.rodata,"a",@progbits
	.p2align	6, 0x0
	.amdhsa_kernel _ZL29rocblas_internal_gemmt_kernelIiLi16ELi32ELi8ELc67ELc84ELc85ELb1ELb0E19rocblas_complex_numIfEPKS1_S3_PS1_EviT_T9_T10_S5_lS7_S5_lS6_T11_S5_li
		.amdhsa_group_segment_fixed_size 4096
		.amdhsa_private_segment_fixed_size 0
		.amdhsa_kernarg_size 100
		.amdhsa_user_sgpr_count 2
		.amdhsa_user_sgpr_dispatch_ptr 0
		.amdhsa_user_sgpr_queue_ptr 0
		.amdhsa_user_sgpr_kernarg_segment_ptr 1
		.amdhsa_user_sgpr_dispatch_id 0
		.amdhsa_user_sgpr_private_segment_size 0
		.amdhsa_wavefront_size32 1
		.amdhsa_uses_dynamic_stack 0
		.amdhsa_enable_private_segment 0
		.amdhsa_system_sgpr_workgroup_id_x 1
		.amdhsa_system_sgpr_workgroup_id_y 1
		.amdhsa_system_sgpr_workgroup_id_z 1
		.amdhsa_system_sgpr_workgroup_info 0
		.amdhsa_system_vgpr_workitem_id 1
		.amdhsa_next_free_vgpr 69
		.amdhsa_next_free_sgpr 36
		.amdhsa_reserve_vcc 1
		.amdhsa_float_round_mode_32 0
		.amdhsa_float_round_mode_16_64 0
		.amdhsa_float_denorm_mode_32 3
		.amdhsa_float_denorm_mode_16_64 3
		.amdhsa_fp16_overflow 0
		.amdhsa_workgroup_processor_mode 1
		.amdhsa_memory_ordered 1
		.amdhsa_forward_progress 1
		.amdhsa_inst_pref_size 25
		.amdhsa_round_robin_scheduling 0
		.amdhsa_exception_fp_ieee_invalid_op 0
		.amdhsa_exception_fp_denorm_src 0
		.amdhsa_exception_fp_ieee_div_zero 0
		.amdhsa_exception_fp_ieee_overflow 0
		.amdhsa_exception_fp_ieee_underflow 0
		.amdhsa_exception_fp_ieee_inexact 0
		.amdhsa_exception_int_div_zero 0
	.end_amdhsa_kernel
	.section	.text._ZL29rocblas_internal_gemmt_kernelIiLi16ELi32ELi8ELc67ELc84ELc85ELb1ELb0E19rocblas_complex_numIfEPKS1_S3_PS1_EviT_T9_T10_S5_lS7_S5_lS6_T11_S5_li,"axG",@progbits,_ZL29rocblas_internal_gemmt_kernelIiLi16ELi32ELi8ELc67ELc84ELc85ELb1ELb0E19rocblas_complex_numIfEPKS1_S3_PS1_EviT_T9_T10_S5_lS7_S5_lS6_T11_S5_li,comdat
.Lfunc_end79:
	.size	_ZL29rocblas_internal_gemmt_kernelIiLi16ELi32ELi8ELc67ELc84ELc85ELb1ELb0E19rocblas_complex_numIfEPKS1_S3_PS1_EviT_T9_T10_S5_lS7_S5_lS6_T11_S5_li, .Lfunc_end79-_ZL29rocblas_internal_gemmt_kernelIiLi16ELi32ELi8ELc67ELc84ELc85ELb1ELb0E19rocblas_complex_numIfEPKS1_S3_PS1_EviT_T9_T10_S5_lS7_S5_lS6_T11_S5_li
                                        ; -- End function
	.set _ZL29rocblas_internal_gemmt_kernelIiLi16ELi32ELi8ELc67ELc84ELc85ELb1ELb0E19rocblas_complex_numIfEPKS1_S3_PS1_EviT_T9_T10_S5_lS7_S5_lS6_T11_S5_li.num_vgpr, 69
	.set _ZL29rocblas_internal_gemmt_kernelIiLi16ELi32ELi8ELc67ELc84ELc85ELb1ELb0E19rocblas_complex_numIfEPKS1_S3_PS1_EviT_T9_T10_S5_lS7_S5_lS6_T11_S5_li.num_agpr, 0
	.set _ZL29rocblas_internal_gemmt_kernelIiLi16ELi32ELi8ELc67ELc84ELc85ELb1ELb0E19rocblas_complex_numIfEPKS1_S3_PS1_EviT_T9_T10_S5_lS7_S5_lS6_T11_S5_li.numbered_sgpr, 36
	.set _ZL29rocblas_internal_gemmt_kernelIiLi16ELi32ELi8ELc67ELc84ELc85ELb1ELb0E19rocblas_complex_numIfEPKS1_S3_PS1_EviT_T9_T10_S5_lS7_S5_lS6_T11_S5_li.num_named_barrier, 0
	.set _ZL29rocblas_internal_gemmt_kernelIiLi16ELi32ELi8ELc67ELc84ELc85ELb1ELb0E19rocblas_complex_numIfEPKS1_S3_PS1_EviT_T9_T10_S5_lS7_S5_lS6_T11_S5_li.private_seg_size, 0
	.set _ZL29rocblas_internal_gemmt_kernelIiLi16ELi32ELi8ELc67ELc84ELc85ELb1ELb0E19rocblas_complex_numIfEPKS1_S3_PS1_EviT_T9_T10_S5_lS7_S5_lS6_T11_S5_li.uses_vcc, 1
	.set _ZL29rocblas_internal_gemmt_kernelIiLi16ELi32ELi8ELc67ELc84ELc85ELb1ELb0E19rocblas_complex_numIfEPKS1_S3_PS1_EviT_T9_T10_S5_lS7_S5_lS6_T11_S5_li.uses_flat_scratch, 0
	.set _ZL29rocblas_internal_gemmt_kernelIiLi16ELi32ELi8ELc67ELc84ELc85ELb1ELb0E19rocblas_complex_numIfEPKS1_S3_PS1_EviT_T9_T10_S5_lS7_S5_lS6_T11_S5_li.has_dyn_sized_stack, 0
	.set _ZL29rocblas_internal_gemmt_kernelIiLi16ELi32ELi8ELc67ELc84ELc85ELb1ELb0E19rocblas_complex_numIfEPKS1_S3_PS1_EviT_T9_T10_S5_lS7_S5_lS6_T11_S5_li.has_recursion, 0
	.set _ZL29rocblas_internal_gemmt_kernelIiLi16ELi32ELi8ELc67ELc84ELc85ELb1ELb0E19rocblas_complex_numIfEPKS1_S3_PS1_EviT_T9_T10_S5_lS7_S5_lS6_T11_S5_li.has_indirect_call, 0
	.section	.AMDGPU.csdata,"",@progbits
; Kernel info:
; codeLenInByte = 3192
; TotalNumSgprs: 38
; NumVgprs: 69
; ScratchSize: 0
; MemoryBound: 1
; FloatMode: 240
; IeeeMode: 1
; LDSByteSize: 4096 bytes/workgroup (compile time only)
; SGPRBlocks: 0
; VGPRBlocks: 8
; NumSGPRsForWavesPerEU: 38
; NumVGPRsForWavesPerEU: 69
; Occupancy: 16
; WaveLimiterHint : 0
; COMPUTE_PGM_RSRC2:SCRATCH_EN: 0
; COMPUTE_PGM_RSRC2:USER_SGPR: 2
; COMPUTE_PGM_RSRC2:TRAP_HANDLER: 0
; COMPUTE_PGM_RSRC2:TGID_X_EN: 1
; COMPUTE_PGM_RSRC2:TGID_Y_EN: 1
; COMPUTE_PGM_RSRC2:TGID_Z_EN: 1
; COMPUTE_PGM_RSRC2:TIDIG_COMP_CNT: 1
	.section	.text._ZL29rocblas_internal_gemmt_kernelIiLi16ELi32ELi8ELc67ELc67ELc85ELb1ELb1E19rocblas_complex_numIfEPKS1_S3_PS1_EviT_T9_T10_S5_lS7_S5_lS6_T11_S5_li,"axG",@progbits,_ZL29rocblas_internal_gemmt_kernelIiLi16ELi32ELi8ELc67ELc67ELc85ELb1ELb1E19rocblas_complex_numIfEPKS1_S3_PS1_EviT_T9_T10_S5_lS7_S5_lS6_T11_S5_li,comdat
	.globl	_ZL29rocblas_internal_gemmt_kernelIiLi16ELi32ELi8ELc67ELc67ELc85ELb1ELb1E19rocblas_complex_numIfEPKS1_S3_PS1_EviT_T9_T10_S5_lS7_S5_lS6_T11_S5_li ; -- Begin function _ZL29rocblas_internal_gemmt_kernelIiLi16ELi32ELi8ELc67ELc67ELc85ELb1ELb1E19rocblas_complex_numIfEPKS1_S3_PS1_EviT_T9_T10_S5_lS7_S5_lS6_T11_S5_li
	.p2align	8
	.type	_ZL29rocblas_internal_gemmt_kernelIiLi16ELi32ELi8ELc67ELc67ELc85ELb1ELb1E19rocblas_complex_numIfEPKS1_S3_PS1_EviT_T9_T10_S5_lS7_S5_lS6_T11_S5_li,@function
_ZL29rocblas_internal_gemmt_kernelIiLi16ELi32ELi8ELc67ELc67ELc85ELb1ELb1E19rocblas_complex_numIfEPKS1_S3_PS1_EviT_T9_T10_S5_lS7_S5_lS6_T11_S5_li: ; @_ZL29rocblas_internal_gemmt_kernelIiLi16ELi32ELi8ELc67ELc67ELc85ELb1ELb1E19rocblas_complex_numIfEPKS1_S3_PS1_EviT_T9_T10_S5_lS7_S5_lS6_T11_S5_li
; %bb.0:
	s_load_b128 s[4:7], s[0:1], 0x38
	s_wait_kmcnt 0x0
	s_load_b64 s[6:7], s[6:7], 0x0
	s_clause 0x1
	s_load_b128 s[8:11], s[0:1], 0x8
	s_load_b64 s[20:21], s[0:1], 0x0
	s_wait_kmcnt 0x0
	s_load_b64 s[8:9], s[8:9], 0x0
	s_cmp_eq_f32 s6, 1.0
	s_cselect_b32 s3, -1, 0
	s_and_b32 s2, s7, 0x7fffffff
	s_delay_alu instid0(SALU_CYCLE_1) | instskip(SKIP_1) | instid1(SALU_CYCLE_1)
	s_cmp_eq_u32 s2, 0
	s_cselect_b32 s2, -1, 0
	s_and_b32 s12, s3, s2
	s_mov_b32 s3, 0
	s_and_not1_b32 vcc_lo, exec_lo, s12
	s_mov_b32 s12, -1
	s_cbranch_vccnz .LBB80_4
; %bb.1:
	s_cmp_lg_u32 s21, 0
	s_cbranch_scc0 .LBB80_3
; %bb.2:
	s_wait_kmcnt 0x0
	s_cmp_neq_f32 s8, 0
	s_cselect_b32 s3, -1, 0
	s_cmp_neq_f32 s9, 0
	s_cselect_b32 s12, -1, 0
	s_delay_alu instid0(SALU_CYCLE_1)
	s_or_b32 s3, s3, s12
.LBB80_3:
	s_delay_alu instid0(SALU_CYCLE_1)
	s_mov_b32 s12, s3
.LBB80_4:
	s_delay_alu instid0(SALU_CYCLE_1)
	s_and_b32 vcc_lo, exec_lo, s12
	s_cbranch_vccz .LBB80_39
; %bb.5:
	s_load_b32 s19, s[0:1], 0x60
	s_lshr_b32 s22, ttmp7, 16
	s_wait_kmcnt 0x0
	s_cmp_ge_u32 s22, s19
	s_cbranch_scc1 .LBB80_39
; %bb.6:
	s_clause 0x2
	s_load_b32 s26, s[0:1], 0x30
	s_load_b32 s30, s[0:1], 0x18
	s_load_b128 s[12:15], s[0:1], 0x20
	v_dual_mov_b32 v22, 0 :: v_dual_and_b32 v1, 0x3ff, v0
	v_bfe_u32 v2, v0, 10, 10
	v_and_b32_e32 v16, 7, v0
	s_clause 0x1
	s_load_b96 s[16:18], s[0:1], 0x48
	s_load_b64 s[24:25], s[0:1], 0x58
	s_lshl_b32 s1, ttmp7, 5
	s_lshl_b32 s0, ttmp9, 5
	v_lshl_add_u32 v0, v2, 4, v1
	s_and_b32 s1, s1, 0x1fffe0
	v_lshlrev_b32_e32 v17, 3, v1
	v_add_nc_u32_e32 v8, s0, v1
	v_lshlrev_b32_e32 v3, 3, v16
	v_and_b32_e32 v1, 31, v0
	v_lshrrev_b32_e32 v4, 3, v0
	v_lshrrev_b32_e32 v18, 5, v0
	v_add_nc_u32_e32 v10, 16, v8
	v_lshl_add_u32 v21, v2, 6, 0x800
	s_wait_kmcnt 0x0
	s_ashr_i32 s27, s26, 31
	s_cmp_neq_f32 s8, 0
	v_or_b32_e32 v0, s0, v1
	v_lshlrev_b32_e32 v1, 3, v1
	v_lshl_or_b32 v3, v4, 6, v3
	s_cselect_b32 s3, -1, 0
	s_cmp_neq_f32 s9, 0
	v_add_nc_u32_e32 v12, s1, v4
	v_lshl_or_b32 v19, v18, 8, v1
	v_add_nc_u32_e32 v1, s1, v2
	s_cselect_b32 s28, -1, 0
	v_cmp_gt_i32_e32 vcc_lo, s20, v0
	s_or_b32 s31, s3, s28
	s_cmp_gt_i32 s21, 0
	v_cmp_gt_i32_e64 s1, s20, v1
	s_cselect_b32 s33, -1, 0
	s_cmp_neq_f32 s6, 0
	v_cmp_le_i32_e64 s3, v10, v1
	v_mad_co_i64_i32 v[4:5], null, v1, s18, 0
	s_cselect_b32 s34, -1, 0
	s_xor_b32 s35, s2, -1
	v_cmp_le_i32_e64 s2, v8, v1
	v_add_nc_u32_e32 v6, 16, v1
	v_mad_co_i64_i32 v[0:1], null, s30, v0, 0
	v_add_nc_u32_e32 v20, 0x800, v3
	v_mad_co_i64_i32 v[2:3], null, s26, v16, 0
	s_and_b32 s28, s1, s2
	s_and_b32 s29, s1, s3
	v_cmp_gt_i32_e64 s1, s20, v6
	v_lshlrev_b64_e32 v[0:1], 3, v[0:1]
	v_cmp_le_i32_e64 s2, v8, v6
	v_cmp_le_i32_e64 s3, v10, v6
	v_lshlrev_b32_e32 v13, 3, v18
	v_lshlrev_b64_e32 v[2:3], 3, v[2:3]
	v_cmp_gt_i32_e64 s0, s20, v12
	v_lshlrev_b32_e32 v12, 3, v12
	v_mad_co_i64_i32 v[6:7], null, v6, s18, 0
	s_and_b32 s18, s1, s2
	s_and_b32 s20, s1, s3
	v_add_co_u32 v0, s1, v0, v13
	s_wait_alu 0xf1ff
	v_add_co_ci_u32_e64 v1, null, 0, v1, s1
	v_add_co_u32 v2, s1, v2, v12
	s_wait_alu 0xf1ff
	v_add_co_ci_u32_e64 v3, null, 0, v3, s1
	;; [unrolled: 3-line block ×3, first 2 shown]
	v_add_co_u32 v2, s1, s14, v2
	v_ashrrev_i32_e32 v9, 31, v8
	v_ashrrev_i32_e32 v11, 31, v10
	s_wait_alu 0xf1ff
	v_add_co_ci_u32_e64 v3, null, s15, v3, s1
	v_add_co_u32 v2, s1, v2, 4
	v_lshlrev_b64_e32 v[4:5], 3, v[4:5]
	v_lshlrev_b64_e32 v[6:7], 3, v[6:7]
	;; [unrolled: 1-line block ×4, first 2 shown]
	s_wait_alu 0xf1ff
	v_add_co_ci_u32_e64 v3, null, 0, v3, s1
	s_mov_b32 s23, 0
	s_lshl_b64 s[2:3], s[12:13], 3
	s_lshl_b64 s[4:5], s[4:5], 3
	s_and_b32 s12, s31, s33
	s_or_b32 s13, s34, s35
	s_lshl_b64 s[10:11], s[26:27], 6
	s_xor_b32 s14, vcc_lo, -1
	s_xor_b32 s15, s0, -1
	s_branch .LBB80_8
.LBB80_7:                               ;   in Loop: Header=BB80_8 Depth=1
	s_wait_alu 0xfffe
	s_or_b32 exec_lo, exec_lo, s0
	s_add_co_i32 s22, s22, 0x10000
	s_wait_alu 0xfffe
	s_cmp_lt_u32 s22, s19
	s_cbranch_scc0 .LBB80_39
.LBB80_8:                               ; =>This Loop Header: Depth=1
                                        ;     Child Loop BB80_11 Depth 2
	v_dual_mov_b32 v29, 0 :: v_dual_mov_b32 v30, 0
	v_dual_mov_b32 v27, 0 :: v_dual_mov_b32 v28, 0
	;; [unrolled: 1-line block ×4, first 2 shown]
	s_and_not1_b32 vcc_lo, exec_lo, s12
	s_wait_alu 0xfffe
	s_cbranch_vccnz .LBB80_19
; %bb.9:                                ;   in Loop: Header=BB80_8 Depth=1
	v_mad_co_u64_u32 v[12:13], null, s2, s22, v[0:1]
	v_mad_co_u64_u32 v[14:15], null, s4, s22, v[2:3]
	v_dual_mov_b32 v23, 0 :: v_dual_mov_b32 v24, 0
	v_dual_mov_b32 v26, 0 :: v_dual_mov_b32 v25, 0
	;; [unrolled: 1-line block ×3, first 2 shown]
	s_delay_alu instid0(VALU_DEP_4) | instskip(SKIP_3) | instid1(VALU_DEP_3)
	v_mad_co_u64_u32 v[29:30], null, s3, s22, v[13:14]
	v_mad_co_u64_u32 v[31:32], null, s5, s22, v[15:16]
	v_mov_b32_e32 v30, 0
	s_mov_b32 s0, 0
	v_mov_b32_e32 v13, v29
	v_mov_b32_e32 v29, 0
	s_delay_alu instid0(VALU_DEP_4)
	v_mov_b32_e32 v15, v31
	s_branch .LBB80_11
.LBB80_10:                              ;   in Loop: Header=BB80_11 Depth=2
	s_or_b32 exec_lo, exec_lo, s1
	ds_store_b32 v20, v31 offset:4
	s_wait_dscnt 0x0
	s_barrier_signal -1
	s_barrier_wait -1
	global_inv scope:SCOPE_SE
	ds_load_b128 v[31:34], v21
	ds_load_2addr_b64 v[35:38], v17 offset1:16
	ds_load_b128 v[39:42], v21 offset:1024
	ds_load_b128 v[43:46], v21 offset:16
	;; [unrolled: 1-line block ×4, first 2 shown]
	ds_load_2addr_b64 v[55:58], v17 offset0:32 offset1:48
	ds_load_b128 v[59:62], v21 offset:1040
	v_add_co_u32 v12, vcc_lo, v12, 64
	s_wait_alu 0xfffd
	v_add_co_ci_u32_e64 v13, null, 0, v13, vcc_lo
	v_add_co_u32 v14, vcc_lo, v14, s10
	s_wait_alu 0xfffd
	v_add_co_ci_u32_e64 v15, null, s11, v15, vcc_lo
	s_add_co_i32 s0, s0, 8
	s_wait_alu 0xfffe
	s_cmp_lt_i32 s0, s21
	s_wait_dscnt 0x6
	v_dual_mul_f32 v63, v32, v36 :: v_dual_mul_f32 v66, v31, v38
	v_dual_mul_f32 v64, v31, v36 :: v_dual_mul_f32 v65, v32, v38
	s_wait_dscnt 0x5
	v_mul_f32_e32 v67, v40, v36
	s_delay_alu instid0(VALU_DEP_3)
	v_fma_f32 v63, v31, v35, -v63
	v_mul_f32_e32 v36, v39, v36
	v_fmac_f32_e32 v66, v32, v37
	v_fma_f32 v31, v31, v37, -v65
	v_mul_f32_e32 v68, v40, v38
	v_dual_mul_f32 v38, v39, v38 :: v_dual_add_f32 v29, v29, v63
	s_delay_alu instid0(VALU_DEP_3) | instskip(NEXT) | instid1(VALU_DEP_3)
	v_add_f32_e32 v31, v27, v31
	v_fma_f32 v27, v39, v37, -v68
	s_delay_alu instid0(VALU_DEP_3) | instskip(SKIP_1) | instid1(VALU_DEP_3)
	v_fmac_f32_e32 v38, v40, v37
	v_fmac_f32_e32 v36, v40, v35
	v_add_f32_e32 v37, v24, v27
	s_delay_alu instid0(VALU_DEP_3)
	v_dual_add_f32 v23, v23, v38 :: v_dual_fmac_f32 v64, v32, v35
	v_fma_f32 v32, v39, v35, -v67
	s_wait_dscnt 0x1
	v_dual_mul_f32 v39, v33, v56 :: v_dual_add_f32 v28, v28, v66
	v_add_f32_e32 v35, v26, v36
	v_add_f32_e32 v30, v30, v64
	s_delay_alu instid0(VALU_DEP_3) | instskip(SKIP_4) | instid1(VALU_DEP_1)
	v_dual_fmac_f32 v39, v34, v55 :: v_dual_add_f32 v32, v25, v32
	ds_load_2addr_b64 v[24:27], v17 offset0:64 offset1:80
	v_mul_f32_e32 v38, v33, v58
	v_mul_f32_e32 v40, v34, v58
	v_dual_add_f32 v39, v30, v39 :: v_dual_mul_f32 v30, v41, v56
	v_fmac_f32_e32 v30, v42, v55
	s_delay_alu instid0(VALU_DEP_1) | instskip(SKIP_1) | instid1(VALU_DEP_1)
	v_dual_fmac_f32 v38, v34, v57 :: v_dual_add_f32 v35, v35, v30
	v_mul_f32_e32 v36, v34, v56
	v_fma_f32 v36, v33, v55, -v36
	s_delay_alu instid0(VALU_DEP_1) | instskip(SKIP_3) | instid1(VALU_DEP_2)
	v_add_f32_e32 v36, v29, v36
	v_fma_f32 v29, v33, v57, -v40
	s_wait_dscnt 0x0
	v_dual_mul_f32 v33, v42, v56 :: v_dual_mul_f32 v40, v43, v25
	v_add_f32_e32 v34, v31, v29
	s_delay_alu instid0(VALU_DEP_2) | instskip(SKIP_3) | instid1(VALU_DEP_4)
	v_fma_f32 v29, v41, v55, -v33
	v_mul_f32_e32 v31, v42, v58
	v_add_f32_e32 v33, v28, v38
	v_mul_f32_e32 v38, v41, v58
	v_add_f32_e32 v32, v32, v29
	s_delay_alu instid0(VALU_DEP_4) | instskip(SKIP_1) | instid1(VALU_DEP_2)
	v_fma_f32 v28, v41, v57, -v31
	v_mul_f32_e32 v29, v44, v25
	v_dual_fmac_f32 v38, v42, v57 :: v_dual_add_f32 v37, v37, v28
	s_delay_alu instid0(VALU_DEP_2) | instskip(SKIP_4) | instid1(VALU_DEP_3)
	v_fma_f32 v41, v43, v24, -v29
	ds_load_2addr_b64 v[28:31], v17 offset0:96 offset1:112
	v_fmac_f32_e32 v40, v44, v24
	v_add_f32_e32 v38, v23, v38
	v_dual_mul_f32 v23, v43, v27 :: v_dual_add_f32 v36, v36, v41
	v_dual_add_f32 v39, v39, v40 :: v_dual_mul_f32 v40, v60, v25
	v_mul_f32_e32 v25, v59, v25
	s_delay_alu instid0(VALU_DEP_3) | instskip(NEXT) | instid1(VALU_DEP_2)
	v_fmac_f32_e32 v23, v44, v26
	v_fmac_f32_e32 v25, v60, v24
	v_mul_f32_e32 v42, v44, v27
	s_delay_alu instid0(VALU_DEP_1) | instskip(NEXT) | instid1(VALU_DEP_4)
	v_fma_f32 v41, v43, v26, -v42
	v_add_f32_e32 v42, v33, v23
	s_wait_dscnt 0x0
	v_mul_f32_e32 v33, v45, v29
	s_delay_alu instid0(VALU_DEP_3) | instskip(SKIP_1) | instid1(VALU_DEP_3)
	v_dual_add_f32 v34, v34, v41 :: v_dual_mul_f32 v41, v60, v27
	v_mul_f32_e32 v27, v59, v27
	v_fmac_f32_e32 v33, v46, v28
	v_fma_f32 v40, v59, v24, -v40
	s_delay_alu instid0(VALU_DEP_4) | instskip(NEXT) | instid1(VALU_DEP_4)
	v_fma_f32 v23, v59, v26, -v41
	v_fmac_f32_e32 v27, v60, v26
	s_delay_alu instid0(VALU_DEP_3) | instskip(NEXT) | instid1(VALU_DEP_3)
	v_dual_add_f32 v41, v35, v25 :: v_dual_add_f32 v40, v32, v40
	v_dual_mul_f32 v32, v46, v29 :: v_dual_add_f32 v37, v37, v23
	v_mul_f32_e32 v35, v46, v31
	ds_load_2addr_b64 v[23:26], v17 offset0:128 offset1:144
	v_add_f32_e32 v38, v38, v27
	v_fma_f32 v32, v45, v28, -v32
	v_mul_f32_e32 v27, v45, v31
	v_fma_f32 v35, v45, v30, -v35
	v_mul_f32_e32 v45, v62, v31
	s_delay_alu instid0(VALU_DEP_4) | instskip(NEXT) | instid1(VALU_DEP_4)
	v_dual_add_f32 v43, v39, v33 :: v_dual_add_f32 v36, v36, v32
	v_fmac_f32_e32 v27, v46, v30
	v_mul_f32_e32 v31, v61, v31
	s_delay_alu instid0(VALU_DEP_2) | instskip(SKIP_4) | instid1(VALU_DEP_4)
	v_add_f32_e32 v42, v42, v27
	v_fma_f32 v27, v61, v30, -v45
	v_mul_f32_e32 v32, v62, v29
	v_mul_f32_e32 v29, v61, v29
	v_fmac_f32_e32 v31, v62, v30
	v_add_f32_e32 v45, v37, v27
	s_delay_alu instid0(VALU_DEP_4) | instskip(NEXT) | instid1(VALU_DEP_4)
	v_fma_f32 v39, v61, v28, -v32
	v_fmac_f32_e32 v29, v62, v28
	s_wait_dscnt 0x0
	v_mul_f32_e32 v28, v48, v24
	v_dual_mul_f32 v46, v47, v24 :: v_dual_add_f32 v31, v38, v31
	v_mul_f32_e32 v56, v47, v26
	v_add_f32_e32 v40, v40, v39
	v_dual_add_f32 v44, v34, v35 :: v_dual_add_f32 v41, v41, v29
	ds_load_b128 v[32:35], v21 offset:1056
	v_fma_f32 v37, v47, v23, -v28
	ds_load_2addr_b64 v[27:30], v17 offset0:160 offset1:176
	v_mul_f32_e32 v39, v48, v26
	v_fmac_f32_e32 v56, v48, v25
	v_add_f32_e32 v55, v36, v37
	s_delay_alu instid0(VALU_DEP_3) | instskip(SKIP_4) | instid1(VALU_DEP_2)
	v_fma_f32 v47, v47, v25, -v39
	ds_load_b128 v[36:39], v21 offset:1072
	v_fmac_f32_e32 v46, v48, v23
	s_wait_dscnt 0x2
	v_dual_add_f32 v44, v44, v47 :: v_dual_mul_f32 v57, v33, v24
	v_dual_add_f32 v43, v43, v46 :: v_dual_mul_f32 v24, v32, v24
	v_mul_f32_e32 v47, v33, v26
	v_mul_f32_e32 v48, v32, v26
	s_delay_alu instid0(VALU_DEP_4)
	v_fma_f32 v46, v32, v23, -v57
	v_add_f32_e32 v42, v42, v56
	s_wait_dscnt 0x1
	v_mul_f32_e32 v26, v50, v28
	v_fmac_f32_e32 v48, v33, v25
	v_fmac_f32_e32 v24, v33, v23
	v_fma_f32 v23, v32, v25, -v47
	v_dual_mul_f32 v33, v49, v28 :: v_dual_add_f32 v40, v40, v46
	s_delay_alu instid0(VALU_DEP_4) | instskip(SKIP_1) | instid1(VALU_DEP_3)
	v_add_f32_e32 v47, v31, v48
	v_mul_f32_e32 v31, v49, v30
	v_dual_fmac_f32 v33, v50, v27 :: v_dual_add_f32 v32, v41, v24
	v_add_f32_e32 v41, v45, v23
	v_fma_f32 v45, v49, v27, -v26
	ds_load_2addr_b64 v[23:26], v17 offset0:192 offset1:208
	v_dual_mul_f32 v46, v50, v30 :: v_dual_add_f32 v43, v43, v33
	v_mul_f32_e32 v33, v35, v28
	v_dual_mul_f32 v28, v34, v28 :: v_dual_add_f32 v45, v55, v45
	s_delay_alu instid0(VALU_DEP_3) | instskip(SKIP_1) | instid1(VALU_DEP_4)
	v_fma_f32 v46, v49, v29, -v46
	v_fmac_f32_e32 v31, v50, v29
	v_fma_f32 v33, v34, v27, -v33
	s_delay_alu instid0(VALU_DEP_4) | instskip(NEXT) | instid1(VALU_DEP_4)
	v_fmac_f32_e32 v28, v35, v27
	v_add_f32_e32 v44, v44, v46
	s_delay_alu instid0(VALU_DEP_4) | instskip(SKIP_2) | instid1(VALU_DEP_3)
	v_dual_mul_f32 v46, v35, v30 :: v_dual_add_f32 v27, v42, v31
	v_mul_f32_e32 v30, v34, v30
	v_add_f32_e32 v40, v40, v33
	v_fma_f32 v31, v34, v29, -v46
	s_delay_alu instid0(VALU_DEP_3) | instskip(SKIP_3) | instid1(VALU_DEP_2)
	v_fmac_f32_e32 v30, v35, v29
	s_wait_dscnt 0x0
	v_mul_f32_e32 v46, v51, v26
	v_mul_f32_e32 v35, v51, v24
	v_dual_add_f32 v29, v41, v31 :: v_dual_fmac_f32 v46, v52, v25
	v_mul_f32_e32 v42, v52, v24
	s_delay_alu instid0(VALU_DEP_3) | instskip(NEXT) | instid1(VALU_DEP_2)
	v_fmac_f32_e32 v35, v52, v23
	v_fma_f32 v41, v51, v23, -v42
	s_delay_alu instid0(VALU_DEP_2) | instskip(NEXT) | instid1(VALU_DEP_2)
	v_dual_mul_f32 v42, v52, v26 :: v_dual_add_f32 v35, v43, v35
	v_dual_add_f32 v41, v45, v41 :: v_dual_add_f32 v28, v32, v28
	ds_load_2addr_b64 v[31:34], v17 offset0:224 offset1:240
	v_mul_f32_e32 v45, v37, v24
	v_fma_f32 v42, v51, v25, -v42
	v_mul_f32_e32 v24, v36, v24
	s_wait_loadcnt_dscnt 0x0
	s_barrier_signal -1
	v_fma_f32 v43, v36, v23, -v45
	v_add_f32_e32 v30, v47, v30
	v_dual_fmac_f32 v24, v37, v23 :: v_dual_add_f32 v45, v27, v46
	s_barrier_wait -1
	s_delay_alu instid0(VALU_DEP_3)
	v_add_f32_e32 v23, v40, v43
	v_add_f32_e32 v42, v44, v42
	v_mul_f32_e32 v44, v37, v26
	v_mul_f32_e32 v26, v36, v26
	v_add_f32_e32 v24, v28, v24
	global_inv scope:SCOPE_SE
	v_fma_f32 v27, v36, v25, -v44
	v_fmac_f32_e32 v26, v37, v25
	v_mul_f32_e32 v36, v54, v32
	v_mul_f32_e32 v40, v53, v32
	;; [unrolled: 1-line block ×3, first 2 shown]
	v_add_f32_e32 v37, v29, v27
	v_mul_f32_e32 v27, v54, v34
	v_fma_f32 v25, v53, v31, -v36
	v_fmac_f32_e32 v40, v54, v31
	v_add_f32_e32 v36, v30, v26
	v_mul_f32_e32 v26, v39, v32
	s_delay_alu instid0(VALU_DEP_4) | instskip(NEXT) | instid1(VALU_DEP_4)
	v_dual_mul_f32 v32, v38, v32 :: v_dual_add_f32 v29, v41, v25
	v_add_f32_e32 v30, v35, v40
	v_fma_f32 v25, v53, v33, -v27
	v_mul_f32_e32 v35, v39, v34
	v_mul_f32_e32 v34, v38, v34
	v_fmac_f32_e32 v28, v54, v33
	s_delay_alu instid0(VALU_DEP_4) | instskip(SKIP_4) | instid1(VALU_DEP_4)
	v_dual_fmac_f32 v32, v39, v31 :: v_dual_add_f32 v27, v42, v25
	v_fma_f32 v25, v38, v31, -v26
	v_fma_f32 v31, v38, v33, -v35
	v_fmac_f32_e32 v34, v39, v33
	v_add_f32_e32 v28, v45, v28
	v_dual_add_f32 v26, v24, v32 :: v_dual_add_f32 v25, v23, v25
	s_delay_alu instid0(VALU_DEP_3)
	v_dual_add_f32 v24, v37, v31 :: v_dual_add_f32 v23, v36, v34
	s_cbranch_scc0 .LBB80_19
.LBB80_11:                              ;   Parent Loop BB80_8 Depth=1
                                        ; =>  This Inner Loop Header: Depth=2
	s_wait_alu 0xfffe
	v_add_nc_u32_e32 v31, s0, v18
	s_delay_alu instid0(VALU_DEP_1)
	v_cmp_le_i32_e32 vcc_lo, s21, v31
	s_or_b32 s1, s14, vcc_lo
	s_wait_alu 0xfffe
	s_and_saveexec_b32 s26, s1
	s_wait_alu 0xfffe
	s_xor_b32 s1, exec_lo, s26
; %bb.12:                               ;   in Loop: Header=BB80_11 Depth=2
	ds_store_b32 v19, v22
; %bb.13:                               ;   in Loop: Header=BB80_11 Depth=2
	s_wait_alu 0xfffe
	s_or_saveexec_b32 s1, s1
	v_mov_b32_e32 v31, 0
	s_wait_alu 0xfffe
	s_xor_b32 exec_lo, exec_lo, s1
	s_cbranch_execz .LBB80_15
; %bb.14:                               ;   in Loop: Header=BB80_11 Depth=2
	global_load_b64 v[32:33], v[12:13], off
	s_wait_loadcnt 0x0
	v_xor_b32_e32 v31, 0x80000000, v33
	ds_store_b32 v19, v32
.LBB80_15:                              ;   in Loop: Header=BB80_11 Depth=2
	s_or_b32 exec_lo, exec_lo, s1
	v_add_nc_u32_e32 v32, s0, v16
	ds_store_b32 v19, v31 offset:4
	v_cmp_le_i32_e32 vcc_lo, s21, v32
	s_or_b32 s1, vcc_lo, s15
	s_wait_alu 0xfffe
	s_and_saveexec_b32 s26, s1
	s_wait_alu 0xfffe
	s_xor_b32 s1, exec_lo, s26
; %bb.16:                               ;   in Loop: Header=BB80_11 Depth=2
	ds_store_b32 v20, v22
; %bb.17:                               ;   in Loop: Header=BB80_11 Depth=2
	s_wait_alu 0xfffe
	s_or_saveexec_b32 s1, s1
	v_mov_b32_e32 v31, 0
	s_wait_alu 0xfffe
	s_xor_b32 exec_lo, exec_lo, s1
	s_cbranch_execz .LBB80_10
; %bb.18:                               ;   in Loop: Header=BB80_11 Depth=2
	global_load_b64 v[32:33], v[14:15], off offset:-4
	s_wait_loadcnt 0x0
	v_xor_b32_e32 v31, 0x80000000, v33
	ds_store_b32 v20, v32
	s_branch .LBB80_10
.LBB80_19:                              ;   in Loop: Header=BB80_8 Depth=1
	s_mul_u64 s[0:1], s[24:25], s[22:23]
	s_wait_alu 0xfffe
	s_lshl_b64 s[0:1], s[0:1], 3
	s_wait_alu 0xfffe
	s_add_nc_u64 s[0:1], s[16:17], s[0:1]
	s_wait_alu 0xfffe
	v_add_co_u32 v14, vcc_lo, s0, v4
	s_wait_alu 0xfffd
	v_add_co_ci_u32_e64 v15, null, s1, v5, vcc_lo
	s_and_saveexec_b32 s26, s28
	s_cbranch_execz .LBB80_24
; %bb.20:                               ;   in Loop: Header=BB80_8 Depth=1
	v_mul_f32_e32 v13, s8, v30
	v_mul_f32_e32 v12, s9, v30
	s_and_b32 vcc_lo, exec_lo, s13
	s_mov_b32 s27, -1
	s_delay_alu instid0(VALU_DEP_2) | instskip(NEXT) | instid1(VALU_DEP_2)
	v_fmac_f32_e32 v13, s9, v29
	v_fma_f32 v12, v29, s8, -v12
	s_wait_alu 0xfffe
	s_cbranch_vccz .LBB80_22
; %bb.21:                               ;   in Loop: Header=BB80_8 Depth=1
	v_add_co_u32 v29, vcc_lo, v14, v8
	s_wait_alu 0xfffd
	v_add_co_ci_u32_e64 v30, null, v15, v9, vcc_lo
	s_mov_b32 s27, 0
	global_load_b64 v[31:32], v[29:30], off
	s_wait_loadcnt 0x0
	v_mul_f32_e32 v33, s7, v32
	v_mul_f32_e32 v32, s6, v32
	s_delay_alu instid0(VALU_DEP_1) | instskip(NEXT) | instid1(VALU_DEP_3)
	v_fmac_f32_e32 v32, s7, v31
	v_fma_f32 v33, v31, s6, -v33
	s_delay_alu instid0(VALU_DEP_1)
	v_dual_add_f32 v32, v13, v32 :: v_dual_add_f32 v31, v12, v33
	global_store_b64 v[29:30], v[31:32], off
.LBB80_22:                              ;   in Loop: Header=BB80_8 Depth=1
	s_wait_alu 0xfffe
	s_and_not1_b32 vcc_lo, exec_lo, s27
	s_wait_alu 0xfffe
	s_cbranch_vccnz .LBB80_24
; %bb.23:                               ;   in Loop: Header=BB80_8 Depth=1
	v_add_co_u32 v29, vcc_lo, v14, v8
	s_wait_alu 0xfffd
	v_add_co_ci_u32_e64 v30, null, v15, v9, vcc_lo
	global_store_b64 v[29:30], v[12:13], off
.LBB80_24:                              ;   in Loop: Header=BB80_8 Depth=1
	s_wait_alu 0xfffe
	s_or_b32 exec_lo, exec_lo, s26
	s_and_saveexec_b32 s26, s29
	s_cbranch_execz .LBB80_29
; %bb.25:                               ;   in Loop: Header=BB80_8 Depth=1
	v_mul_f32_e32 v13, s8, v28
	v_mul_f32_e32 v12, s9, v28
	s_and_not1_b32 vcc_lo, exec_lo, s13
	s_mov_b32 s27, -1
	s_delay_alu instid0(VALU_DEP_2) | instskip(NEXT) | instid1(VALU_DEP_2)
	v_fmac_f32_e32 v13, s9, v27
	v_fma_f32 v12, v27, s8, -v12
	s_wait_alu 0xfffe
	s_cbranch_vccnz .LBB80_27
; %bb.26:                               ;   in Loop: Header=BB80_8 Depth=1
	v_add_co_u32 v27, vcc_lo, v14, v10
	s_wait_alu 0xfffd
	v_add_co_ci_u32_e64 v28, null, v15, v11, vcc_lo
	s_mov_b32 s27, 0
	global_load_b64 v[29:30], v[27:28], off
	s_wait_loadcnt 0x0
	v_mul_f32_e32 v31, s7, v30
	v_mul_f32_e32 v30, s6, v30
	s_delay_alu instid0(VALU_DEP_1) | instskip(NEXT) | instid1(VALU_DEP_3)
	v_fmac_f32_e32 v30, s7, v29
	v_fma_f32 v31, v29, s6, -v31
	s_delay_alu instid0(VALU_DEP_1)
	v_dual_add_f32 v30, v13, v30 :: v_dual_add_f32 v29, v12, v31
	global_store_b64 v[27:28], v[29:30], off
.LBB80_27:                              ;   in Loop: Header=BB80_8 Depth=1
	s_wait_alu 0xfffe
	s_and_not1_b32 vcc_lo, exec_lo, s27
	s_wait_alu 0xfffe
	s_cbranch_vccnz .LBB80_29
; %bb.28:                               ;   in Loop: Header=BB80_8 Depth=1
	v_add_co_u32 v14, vcc_lo, v14, v10
	s_wait_alu 0xfffd
	v_add_co_ci_u32_e64 v15, null, v15, v11, vcc_lo
	global_store_b64 v[14:15], v[12:13], off
.LBB80_29:                              ;   in Loop: Header=BB80_8 Depth=1
	s_wait_alu 0xfffe
	s_or_b32 exec_lo, exec_lo, s26
	v_add_co_u32 v14, vcc_lo, s0, v6
	s_wait_alu 0xfffd
	v_add_co_ci_u32_e64 v15, null, s1, v7, vcc_lo
	s_and_saveexec_b32 s0, s18
	s_cbranch_execz .LBB80_34
; %bb.30:                               ;   in Loop: Header=BB80_8 Depth=1
	v_mul_f32_e32 v13, s8, v26
	v_mul_f32_e32 v12, s9, v26
	s_and_not1_b32 vcc_lo, exec_lo, s13
	s_mov_b32 s1, -1
	s_delay_alu instid0(VALU_DEP_2) | instskip(NEXT) | instid1(VALU_DEP_2)
	v_fmac_f32_e32 v13, s9, v25
	v_fma_f32 v12, v25, s8, -v12
	s_wait_alu 0xfffe
	s_cbranch_vccnz .LBB80_32
; %bb.31:                               ;   in Loop: Header=BB80_8 Depth=1
	v_add_co_u32 v25, vcc_lo, v14, v8
	s_wait_alu 0xfffd
	v_add_co_ci_u32_e64 v26, null, v15, v9, vcc_lo
	s_mov_b32 s1, 0
	global_load_b64 v[27:28], v[25:26], off
	s_wait_loadcnt 0x0
	v_mul_f32_e32 v29, s7, v28
	v_mul_f32_e32 v28, s6, v28
	s_delay_alu instid0(VALU_DEP_1) | instskip(NEXT) | instid1(VALU_DEP_3)
	v_fmac_f32_e32 v28, s7, v27
	v_fma_f32 v29, v27, s6, -v29
	s_delay_alu instid0(VALU_DEP_1)
	v_dual_add_f32 v28, v13, v28 :: v_dual_add_f32 v27, v12, v29
	global_store_b64 v[25:26], v[27:28], off
.LBB80_32:                              ;   in Loop: Header=BB80_8 Depth=1
	s_wait_alu 0xfffe
	s_and_not1_b32 vcc_lo, exec_lo, s1
	s_wait_alu 0xfffe
	s_cbranch_vccnz .LBB80_34
; %bb.33:                               ;   in Loop: Header=BB80_8 Depth=1
	v_add_co_u32 v25, vcc_lo, v14, v8
	s_wait_alu 0xfffd
	v_add_co_ci_u32_e64 v26, null, v15, v9, vcc_lo
	global_store_b64 v[25:26], v[12:13], off
.LBB80_34:                              ;   in Loop: Header=BB80_8 Depth=1
	s_wait_alu 0xfffe
	s_or_b32 exec_lo, exec_lo, s0
	s_and_saveexec_b32 s0, s20
	s_cbranch_execz .LBB80_7
; %bb.35:                               ;   in Loop: Header=BB80_8 Depth=1
	v_mul_f32_e32 v13, s8, v23
	v_mul_f32_e32 v12, s9, v23
	s_and_not1_b32 vcc_lo, exec_lo, s13
	s_mov_b32 s1, -1
	s_delay_alu instid0(VALU_DEP_2) | instskip(NEXT) | instid1(VALU_DEP_2)
	v_fmac_f32_e32 v13, s9, v24
	v_fma_f32 v12, v24, s8, -v12
	s_wait_alu 0xfffe
	s_cbranch_vccnz .LBB80_37
; %bb.36:                               ;   in Loop: Header=BB80_8 Depth=1
	v_add_co_u32 v23, vcc_lo, v14, v10
	s_wait_alu 0xfffd
	v_add_co_ci_u32_e64 v24, null, v15, v11, vcc_lo
	s_mov_b32 s1, 0
	global_load_b64 v[25:26], v[23:24], off
	s_wait_loadcnt 0x0
	v_mul_f32_e32 v27, s7, v26
	v_mul_f32_e32 v26, s6, v26
	s_delay_alu instid0(VALU_DEP_1) | instskip(NEXT) | instid1(VALU_DEP_3)
	v_fmac_f32_e32 v26, s7, v25
	v_fma_f32 v27, v25, s6, -v27
	s_delay_alu instid0(VALU_DEP_1)
	v_dual_add_f32 v26, v13, v26 :: v_dual_add_f32 v25, v12, v27
	global_store_b64 v[23:24], v[25:26], off
.LBB80_37:                              ;   in Loop: Header=BB80_8 Depth=1
	s_wait_alu 0xfffe
	s_and_not1_b32 vcc_lo, exec_lo, s1
	s_wait_alu 0xfffe
	s_cbranch_vccnz .LBB80_7
; %bb.38:                               ;   in Loop: Header=BB80_8 Depth=1
	v_add_co_u32 v14, vcc_lo, v14, v10
	s_wait_alu 0xfffd
	v_add_co_ci_u32_e64 v15, null, v15, v11, vcc_lo
	global_store_b64 v[14:15], v[12:13], off
	s_branch .LBB80_7
.LBB80_39:
	s_endpgm
	.section	.rodata,"a",@progbits
	.p2align	6, 0x0
	.amdhsa_kernel _ZL29rocblas_internal_gemmt_kernelIiLi16ELi32ELi8ELc67ELc67ELc85ELb1ELb1E19rocblas_complex_numIfEPKS1_S3_PS1_EviT_T9_T10_S5_lS7_S5_lS6_T11_S5_li
		.amdhsa_group_segment_fixed_size 4096
		.amdhsa_private_segment_fixed_size 0
		.amdhsa_kernarg_size 100
		.amdhsa_user_sgpr_count 2
		.amdhsa_user_sgpr_dispatch_ptr 0
		.amdhsa_user_sgpr_queue_ptr 0
		.amdhsa_user_sgpr_kernarg_segment_ptr 1
		.amdhsa_user_sgpr_dispatch_id 0
		.amdhsa_user_sgpr_private_segment_size 0
		.amdhsa_wavefront_size32 1
		.amdhsa_uses_dynamic_stack 0
		.amdhsa_enable_private_segment 0
		.amdhsa_system_sgpr_workgroup_id_x 1
		.amdhsa_system_sgpr_workgroup_id_y 1
		.amdhsa_system_sgpr_workgroup_id_z 1
		.amdhsa_system_sgpr_workgroup_info 0
		.amdhsa_system_vgpr_workitem_id 1
		.amdhsa_next_free_vgpr 69
		.amdhsa_next_free_sgpr 36
		.amdhsa_reserve_vcc 1
		.amdhsa_float_round_mode_32 0
		.amdhsa_float_round_mode_16_64 0
		.amdhsa_float_denorm_mode_32 3
		.amdhsa_float_denorm_mode_16_64 3
		.amdhsa_fp16_overflow 0
		.amdhsa_workgroup_processor_mode 1
		.amdhsa_memory_ordered 1
		.amdhsa_forward_progress 1
		.amdhsa_inst_pref_size 25
		.amdhsa_round_robin_scheduling 0
		.amdhsa_exception_fp_ieee_invalid_op 0
		.amdhsa_exception_fp_denorm_src 0
		.amdhsa_exception_fp_ieee_div_zero 0
		.amdhsa_exception_fp_ieee_overflow 0
		.amdhsa_exception_fp_ieee_underflow 0
		.amdhsa_exception_fp_ieee_inexact 0
		.amdhsa_exception_int_div_zero 0
	.end_amdhsa_kernel
	.section	.text._ZL29rocblas_internal_gemmt_kernelIiLi16ELi32ELi8ELc67ELc67ELc85ELb1ELb1E19rocblas_complex_numIfEPKS1_S3_PS1_EviT_T9_T10_S5_lS7_S5_lS6_T11_S5_li,"axG",@progbits,_ZL29rocblas_internal_gemmt_kernelIiLi16ELi32ELi8ELc67ELc67ELc85ELb1ELb1E19rocblas_complex_numIfEPKS1_S3_PS1_EviT_T9_T10_S5_lS7_S5_lS6_T11_S5_li,comdat
.Lfunc_end80:
	.size	_ZL29rocblas_internal_gemmt_kernelIiLi16ELi32ELi8ELc67ELc67ELc85ELb1ELb1E19rocblas_complex_numIfEPKS1_S3_PS1_EviT_T9_T10_S5_lS7_S5_lS6_T11_S5_li, .Lfunc_end80-_ZL29rocblas_internal_gemmt_kernelIiLi16ELi32ELi8ELc67ELc67ELc85ELb1ELb1E19rocblas_complex_numIfEPKS1_S3_PS1_EviT_T9_T10_S5_lS7_S5_lS6_T11_S5_li
                                        ; -- End function
	.set _ZL29rocblas_internal_gemmt_kernelIiLi16ELi32ELi8ELc67ELc67ELc85ELb1ELb1E19rocblas_complex_numIfEPKS1_S3_PS1_EviT_T9_T10_S5_lS7_S5_lS6_T11_S5_li.num_vgpr, 69
	.set _ZL29rocblas_internal_gemmt_kernelIiLi16ELi32ELi8ELc67ELc67ELc85ELb1ELb1E19rocblas_complex_numIfEPKS1_S3_PS1_EviT_T9_T10_S5_lS7_S5_lS6_T11_S5_li.num_agpr, 0
	.set _ZL29rocblas_internal_gemmt_kernelIiLi16ELi32ELi8ELc67ELc67ELc85ELb1ELb1E19rocblas_complex_numIfEPKS1_S3_PS1_EviT_T9_T10_S5_lS7_S5_lS6_T11_S5_li.numbered_sgpr, 36
	.set _ZL29rocblas_internal_gemmt_kernelIiLi16ELi32ELi8ELc67ELc67ELc85ELb1ELb1E19rocblas_complex_numIfEPKS1_S3_PS1_EviT_T9_T10_S5_lS7_S5_lS6_T11_S5_li.num_named_barrier, 0
	.set _ZL29rocblas_internal_gemmt_kernelIiLi16ELi32ELi8ELc67ELc67ELc85ELb1ELb1E19rocblas_complex_numIfEPKS1_S3_PS1_EviT_T9_T10_S5_lS7_S5_lS6_T11_S5_li.private_seg_size, 0
	.set _ZL29rocblas_internal_gemmt_kernelIiLi16ELi32ELi8ELc67ELc67ELc85ELb1ELb1E19rocblas_complex_numIfEPKS1_S3_PS1_EviT_T9_T10_S5_lS7_S5_lS6_T11_S5_li.uses_vcc, 1
	.set _ZL29rocblas_internal_gemmt_kernelIiLi16ELi32ELi8ELc67ELc67ELc85ELb1ELb1E19rocblas_complex_numIfEPKS1_S3_PS1_EviT_T9_T10_S5_lS7_S5_lS6_T11_S5_li.uses_flat_scratch, 0
	.set _ZL29rocblas_internal_gemmt_kernelIiLi16ELi32ELi8ELc67ELc67ELc85ELb1ELb1E19rocblas_complex_numIfEPKS1_S3_PS1_EviT_T9_T10_S5_lS7_S5_lS6_T11_S5_li.has_dyn_sized_stack, 0
	.set _ZL29rocblas_internal_gemmt_kernelIiLi16ELi32ELi8ELc67ELc67ELc85ELb1ELb1E19rocblas_complex_numIfEPKS1_S3_PS1_EviT_T9_T10_S5_lS7_S5_lS6_T11_S5_li.has_recursion, 0
	.set _ZL29rocblas_internal_gemmt_kernelIiLi16ELi32ELi8ELc67ELc67ELc85ELb1ELb1E19rocblas_complex_numIfEPKS1_S3_PS1_EviT_T9_T10_S5_lS7_S5_lS6_T11_S5_li.has_indirect_call, 0
	.section	.AMDGPU.csdata,"",@progbits
; Kernel info:
; codeLenInByte = 3192
; TotalNumSgprs: 38
; NumVgprs: 69
; ScratchSize: 0
; MemoryBound: 0
; FloatMode: 240
; IeeeMode: 1
; LDSByteSize: 4096 bytes/workgroup (compile time only)
; SGPRBlocks: 0
; VGPRBlocks: 8
; NumSGPRsForWavesPerEU: 38
; NumVGPRsForWavesPerEU: 69
; Occupancy: 16
; WaveLimiterHint : 0
; COMPUTE_PGM_RSRC2:SCRATCH_EN: 0
; COMPUTE_PGM_RSRC2:USER_SGPR: 2
; COMPUTE_PGM_RSRC2:TRAP_HANDLER: 0
; COMPUTE_PGM_RSRC2:TGID_X_EN: 1
; COMPUTE_PGM_RSRC2:TGID_Y_EN: 1
; COMPUTE_PGM_RSRC2:TGID_Z_EN: 1
; COMPUTE_PGM_RSRC2:TIDIG_COMP_CNT: 1
	.section	.text._ZL29rocblas_internal_gemmt_kernelIiLi16ELi32ELi8ELc78ELc78ELc76ELb0ELb0E19rocblas_complex_numIfEPKS1_S3_PS1_EviT_T9_T10_S5_lS7_S5_lS6_T11_S5_li,"axG",@progbits,_ZL29rocblas_internal_gemmt_kernelIiLi16ELi32ELi8ELc78ELc78ELc76ELb0ELb0E19rocblas_complex_numIfEPKS1_S3_PS1_EviT_T9_T10_S5_lS7_S5_lS6_T11_S5_li,comdat
	.globl	_ZL29rocblas_internal_gemmt_kernelIiLi16ELi32ELi8ELc78ELc78ELc76ELb0ELb0E19rocblas_complex_numIfEPKS1_S3_PS1_EviT_T9_T10_S5_lS7_S5_lS6_T11_S5_li ; -- Begin function _ZL29rocblas_internal_gemmt_kernelIiLi16ELi32ELi8ELc78ELc78ELc76ELb0ELb0E19rocblas_complex_numIfEPKS1_S3_PS1_EviT_T9_T10_S5_lS7_S5_lS6_T11_S5_li
	.p2align	8
	.type	_ZL29rocblas_internal_gemmt_kernelIiLi16ELi32ELi8ELc78ELc78ELc76ELb0ELb0E19rocblas_complex_numIfEPKS1_S3_PS1_EviT_T9_T10_S5_lS7_S5_lS6_T11_S5_li,@function
_ZL29rocblas_internal_gemmt_kernelIiLi16ELi32ELi8ELc78ELc78ELc76ELb0ELb0E19rocblas_complex_numIfEPKS1_S3_PS1_EviT_T9_T10_S5_lS7_S5_lS6_T11_S5_li: ; @_ZL29rocblas_internal_gemmt_kernelIiLi16ELi32ELi8ELc78ELc78ELc76ELb0ELb0E19rocblas_complex_numIfEPKS1_S3_PS1_EviT_T9_T10_S5_lS7_S5_lS6_T11_S5_li
; %bb.0:
	s_load_b128 s[8:11], s[0:1], 0x38
	s_wait_kmcnt 0x0
	s_load_b64 s[10:11], s[10:11], 0x0
	s_clause 0x1
	s_load_b128 s[4:7], s[0:1], 0x8
	s_load_b64 s[20:21], s[0:1], 0x0
	s_wait_kmcnt 0x0
	s_load_b64 s[22:23], s[4:5], 0x0
	s_cmp_eq_f32 s10, 1.0
	s_cselect_b32 s2, -1, 0
	s_and_b32 s3, s11, 0x7fffffff
	s_delay_alu instid0(SALU_CYCLE_1) | instskip(SKIP_1) | instid1(SALU_CYCLE_1)
	s_cmp_eq_u32 s3, 0
	s_cselect_b32 s3, -1, 0
	s_and_b32 s4, s2, s3
	s_mov_b32 s2, 0
	s_and_not1_b32 vcc_lo, exec_lo, s4
	s_mov_b32 s4, -1
	s_cbranch_vccnz .LBB81_4
; %bb.1:
	s_cmp_lg_u32 s21, 0
	s_cbranch_scc0 .LBB81_3
; %bb.2:
	s_wait_kmcnt 0x0
	s_cmp_neq_f32 s22, 0
	s_cselect_b32 s2, -1, 0
	s_cmp_neq_f32 s23, 0
	s_cselect_b32 s4, -1, 0
	s_delay_alu instid0(SALU_CYCLE_1)
	s_or_b32 s2, s2, s4
.LBB81_3:
	s_delay_alu instid0(SALU_CYCLE_1)
	s_mov_b32 s4, s2
.LBB81_4:
	s_delay_alu instid0(SALU_CYCLE_1)
	s_and_b32 vcc_lo, exec_lo, s4
	s_cbranch_vccz .LBB81_39
; %bb.5:
	s_load_b32 s19, s[0:1], 0x60
	s_lshr_b32 s24, ttmp7, 16
	s_wait_kmcnt 0x0
	s_cmp_ge_u32 s24, s19
	s_cbranch_scc1 .LBB81_39
; %bb.6:
	s_load_b32 s28, s[0:1], 0x18
	v_and_b32_e32 v1, 0x3ff, v0
	v_bfe_u32 v2, v0, 10, 10
	s_clause 0x3
	s_load_b128 s[12:15], s[0:1], 0x20
	s_load_b32 s5, s[0:1], 0x30
	s_load_b96 s[16:18], s[0:1], 0x48
	s_load_b64 s[26:27], s[0:1], 0x58
	s_lshl_b32 s1, ttmp7, 5
	v_and_b32_e32 v18, 7, v0
	s_lshl_b32 s0, ttmp9, 5
	v_lshl_add_u32 v0, v2, 4, v1
	s_and_b32 s1, s1, 0x1fffe0
	v_lshlrev_b32_e32 v19, 3, v1
	v_lshl_add_u32 v20, v2, 6, 0x800
	v_add_nc_u32_e32 v10, s0, v1
	v_add_nc_u32_e32 v1, s1, v2
	v_and_b32_e32 v2, 31, v0
	v_lshlrev_b32_e32 v14, 3, v18
	v_lshrrev_b32_e32 v3, 3, v0
	v_lshrrev_b32_e32 v21, 5, v0
	v_add_nc_u32_e32 v12, 16, v10
	v_or_b32_e32 v0, s0, v2
	v_lshlrev_b32_e32 v2, 3, v2
	s_wait_kmcnt 0x0
	s_ashr_i32 s29, s28, 31
	s_cmp_neq_f32 s22, 0
	v_add_nc_u32_e32 v4, s1, v3
	v_lshl_or_b32 v3, v3, 6, v14
	v_cmp_le_i32_e64 s1, v1, v10
	s_cselect_b32 s2, -1, 0
	s_cmp_neq_f32 s23, 0
	v_lshl_or_b32 v22, v21, 8, v2
	v_add_nc_u32_e32 v23, 0x800, v3
	v_mad_co_i64_i32 v[2:3], null, v21, s28, 0
	s_cselect_b32 s0, -1, 0
	v_mad_co_i64_i32 v[6:7], null, v1, s18, 0
	s_wait_alu 0xfffe
	s_or_b32 s33, s2, s0
	s_cmp_gt_i32 s21, 0
	v_cmp_gt_i32_e64 s2, s20, v10
	s_cselect_b32 s34, -1, 0
	s_cmp_neq_f32 s10, 0
	v_add_nc_u32_e32 v8, 16, v1
	v_cmp_gt_i32_e32 vcc_lo, s20, v0
	v_cmp_gt_i32_e64 s0, s20, v4
	s_cselect_b32 s35, -1, 0
	s_and_b32 s30, s1, s2
	v_cmp_le_i32_e64 s1, v1, v12
	v_ashrrev_i32_e32 v1, 31, v0
	s_xor_b32 s36, s3, -1
	v_cmp_gt_i32_e64 s3, s20, v12
	v_lshlrev_b64_e32 v[2:3], 3, v[2:3]
	v_mad_co_i64_i32 v[4:5], null, s5, v4, 0
	v_lshlrev_b64_e32 v[0:1], 3, v[0:1]
	s_delay_alu instid0(VALU_DEP_4) | instskip(SKIP_4) | instid1(VALU_DEP_4)
	s_and_b32 s20, s1, s3
	v_cmp_le_i32_e64 s1, v8, v10
	v_cmp_le_i32_e64 s4, v8, v12
	v_mad_co_i64_i32 v[8:9], null, v8, s18, 0
	v_ashrrev_i32_e32 v11, 31, v10
	s_and_b32 s18, s1, s2
	v_add_co_u32 v0, s1, v2, v0
	s_wait_alu 0xf1ff
	v_add_co_ci_u32_e64 v1, null, v3, v1, s1
	v_lshlrev_b64_e32 v[2:3], 3, v[4:5]
	s_delay_alu instid0(VALU_DEP_3) | instskip(SKIP_1) | instid1(VALU_DEP_3)
	v_add_co_u32 v0, s1, s6, v0
	s_wait_alu 0xf1ff
	v_add_co_ci_u32_e64 v1, null, s7, v1, s1
	v_ashrrev_i32_e32 v13, 31, v12
	s_delay_alu instid0(VALU_DEP_4) | instskip(SKIP_3) | instid1(VALU_DEP_3)
	v_add_co_u32 v4, s1, v2, v14
	s_wait_alu 0xf1ff
	v_add_co_ci_u32_e64 v3, null, 0, v3, s1
	v_lshlrev_b64_e32 v[6:7], 3, v[6:7]
	v_add_co_u32 v4, s1, s14, v4
	v_lshlrev_b64_e32 v[8:9], 3, v[8:9]
	v_lshlrev_b64_e32 v[10:11], 3, v[10:11]
	;; [unrolled: 1-line block ×3, first 2 shown]
	v_mov_b32_e32 v2, 0
	s_wait_alu 0xf1ff
	v_add_co_ci_u32_e64 v5, null, s15, v3, s1
	s_mov_b32 s25, 0
	s_and_b32 s31, s4, s3
	s_lshl_b64 s[2:3], s[12:13], 3
	s_lshl_b64 s[4:5], s[28:29], 6
	s_and_b32 s12, s33, s34
	s_or_b32 s13, s35, s36
	s_lshl_b64 s[6:7], s[8:9], 3
	s_xor_b32 s8, vcc_lo, -1
	s_xor_b32 s9, s0, -1
	s_branch .LBB81_8
.LBB81_7:                               ;   in Loop: Header=BB81_8 Depth=1
	s_wait_alu 0xfffe
	s_or_b32 exec_lo, exec_lo, s0
	s_add_co_i32 s24, s24, 0x10000
	s_wait_alu 0xfffe
	s_cmp_lt_u32 s24, s19
	s_cbranch_scc0 .LBB81_39
.LBB81_8:                               ; =>This Loop Header: Depth=1
                                        ;     Child Loop BB81_11 Depth 2
	v_dual_mov_b32 v30, v2 :: v_dual_mov_b32 v31, v2
	v_dual_mov_b32 v28, v2 :: v_dual_mov_b32 v29, v2
	;; [unrolled: 1-line block ×4, first 2 shown]
	s_and_not1_b32 vcc_lo, exec_lo, s12
	s_wait_alu 0xfffe
	s_cbranch_vccnz .LBB81_19
; %bb.9:                                ;   in Loop: Header=BB81_8 Depth=1
	v_mad_co_u64_u32 v[14:15], null, s2, s24, v[0:1]
	v_mad_co_u64_u32 v[16:17], null, s6, s24, v[4:5]
	v_dual_mov_b32 v25, 0 :: v_dual_mov_b32 v28, 0
	v_mov_b32_e32 v27, 0
	v_mov_b32_e32 v29, 0
	v_dual_mov_b32 v3, v15 :: v_dual_mov_b32 v24, 0
	v_dual_mov_b32 v15, v17 :: v_dual_mov_b32 v26, 0
	s_mov_b32 s0, 0
	s_delay_alu instid0(VALU_DEP_2) | instskip(NEXT) | instid1(VALU_DEP_2)
	v_mad_co_u64_u32 v[30:31], null, s3, s24, v[3:4]
	v_mad_co_u64_u32 v[32:33], null, s7, s24, v[15:16]
	v_mov_b32_e32 v31, 0
	s_delay_alu instid0(VALU_DEP_3) | instskip(NEXT) | instid1(VALU_DEP_3)
	v_dual_mov_b32 v15, v30 :: v_dual_mov_b32 v30, 0
	v_mov_b32_e32 v17, v32
	s_branch .LBB81_11
.LBB81_10:                              ;   in Loop: Header=BB81_11 Depth=2
	s_wait_alu 0xfffe
	s_or_b32 exec_lo, exec_lo, s1
	s_wait_dscnt 0x0
	s_barrier_signal -1
	s_barrier_wait -1
	global_inv scope:SCOPE_SE
	ds_load_b128 v[32:35], v20
	ds_load_2addr_b64 v[36:39], v19 offset1:16
	ds_load_b128 v[40:43], v20 offset:1024
	ds_load_b128 v[44:47], v20 offset:16
	;; [unrolled: 1-line block ×4, first 2 shown]
	ds_load_2addr_b64 v[56:59], v19 offset0:32 offset1:48
	ds_load_b128 v[60:63], v20 offset:1040
	v_add_co_u32 v14, vcc_lo, v14, s4
	s_wait_alu 0xfffd
	v_add_co_ci_u32_e64 v15, null, s5, v15, vcc_lo
	v_add_co_u32 v16, vcc_lo, v16, 64
	s_wait_alu 0xfffd
	v_add_co_ci_u32_e64 v17, null, 0, v17, vcc_lo
	s_add_co_i32 s0, s0, 8
	s_wait_alu 0xfffe
	s_cmp_lt_i32 s0, s21
	s_wait_dscnt 0x6
	v_dual_mul_f32 v3, v33, v37 :: v_dual_mul_f32 v66, v32, v39
	v_dual_mul_f32 v64, v32, v37 :: v_dual_mul_f32 v65, v33, v39
	s_wait_dscnt 0x5
	v_mul_f32_e32 v68, v41, v39
	s_delay_alu instid0(VALU_DEP_3) | instskip(SKIP_3) | instid1(VALU_DEP_4)
	v_fma_f32 v3, v32, v36, -v3
	v_dual_mul_f32 v39, v40, v39 :: v_dual_fmac_f32 v66, v33, v38
	v_fmac_f32_e32 v64, v33, v36
	v_fma_f32 v32, v32, v38, -v65
	v_add_f32_e32 v3, v30, v3
	v_mul_f32_e32 v67, v41, v37
	s_delay_alu instid0(VALU_DEP_4) | instskip(NEXT) | instid1(VALU_DEP_4)
	v_dual_mul_f32 v37, v40, v37 :: v_dual_add_f32 v30, v31, v64
	v_add_f32_e32 v31, v28, v32
	v_fmac_f32_e32 v39, v41, v38
	s_delay_alu instid0(VALU_DEP_4) | instskip(NEXT) | instid1(VALU_DEP_4)
	v_fma_f32 v33, v40, v36, -v67
	v_fmac_f32_e32 v37, v41, v36
	v_fma_f32 v36, v40, v38, -v68
	s_wait_dscnt 0x1
	v_dual_mul_f32 v38, v34, v57 :: v_dual_add_f32 v29, v29, v66
	v_mul_f32_e32 v40, v35, v59
	v_add_f32_e32 v32, v26, v33
	v_dual_add_f32 v33, v27, v37 :: v_dual_add_f32 v36, v25, v36
	ds_load_2addr_b64 v[25:28], v19 offset0:64 offset1:80
	v_fmac_f32_e32 v38, v35, v56
	v_dual_mul_f32 v37, v35, v57 :: v_dual_add_f32 v24, v24, v39
	v_mul_f32_e32 v39, v34, v59
	s_delay_alu instid0(VALU_DEP_3) | instskip(NEXT) | instid1(VALU_DEP_3)
	v_add_f32_e32 v38, v30, v38
	v_fma_f32 v37, v34, v56, -v37
	v_fma_f32 v34, v34, v58, -v40
	v_mul_f32_e32 v30, v42, v57
	s_delay_alu instid0(VALU_DEP_3) | instskip(SKIP_1) | instid1(VALU_DEP_4)
	v_add_f32_e32 v3, v3, v37
	v_mul_f32_e32 v37, v43, v57
	v_add_f32_e32 v34, v31, v34
	v_fmac_f32_e32 v39, v35, v58
	v_mul_f32_e32 v35, v43, v59
	v_fmac_f32_e32 v30, v43, v56
	v_fma_f32 v31, v42, v56, -v37
	s_delay_alu instid0(VALU_DEP_4) | instskip(SKIP_4) | instid1(VALU_DEP_3)
	v_add_f32_e32 v37, v29, v39
	v_mul_f32_e32 v39, v42, v59
	v_fma_f32 v29, v42, v58, -v35
	s_wait_dscnt 0x0
	v_dual_add_f32 v40, v32, v31 :: v_dual_mul_f32 v31, v45, v26
	v_dual_mul_f32 v42, v45, v28 :: v_dual_fmac_f32 v39, v43, v58
	v_mul_f32_e32 v35, v44, v26
	v_add_f32_e32 v36, v36, v29
	s_delay_alu instid0(VALU_DEP_3) | instskip(SKIP_3) | instid1(VALU_DEP_2)
	v_add_f32_e32 v39, v24, v39
	v_mul_f32_e32 v24, v44, v28
	v_fma_f32 v41, v44, v25, -v31
	v_fmac_f32_e32 v35, v45, v25
	v_dual_fmac_f32 v24, v45, v27 :: v_dual_add_f32 v3, v3, v41
	v_fma_f32 v41, v44, v27, -v42
	v_add_f32_e32 v33, v33, v30
	ds_load_2addr_b64 v[29:32], v19 offset0:96 offset1:112
	v_dual_add_f32 v35, v38, v35 :: v_dual_mul_f32 v38, v61, v26
	v_mul_f32_e32 v26, v60, v26
	v_dual_add_f32 v34, v34, v41 :: v_dual_mul_f32 v41, v61, v28
	v_mul_f32_e32 v28, v60, v28
	s_delay_alu instid0(VALU_DEP_4) | instskip(NEXT) | instid1(VALU_DEP_4)
	v_fma_f32 v38, v60, v25, -v38
	v_fmac_f32_e32 v26, v61, v25
	v_add_f32_e32 v37, v37, v24
	v_fma_f32 v24, v60, v27, -v41
	v_fmac_f32_e32 v28, v61, v27
	v_add_f32_e32 v38, v40, v38
	s_delay_alu instid0(VALU_DEP_3)
	v_dual_add_f32 v40, v33, v26 :: v_dual_add_f32 v41, v36, v24
	ds_load_2addr_b64 v[24:27], v19 offset0:128 offset1:144
	s_wait_dscnt 0x1
	v_mul_f32_e32 v33, v47, v30
	v_mul_f32_e32 v36, v46, v30
	;; [unrolled: 1-line block ×4, first 2 shown]
	s_delay_alu instid0(VALU_DEP_4) | instskip(NEXT) | instid1(VALU_DEP_4)
	v_fma_f32 v33, v46, v29, -v33
	v_fmac_f32_e32 v36, v47, v29
	s_delay_alu instid0(VALU_DEP_2) | instskip(SKIP_1) | instid1(VALU_DEP_3)
	v_add_f32_e32 v3, v3, v33
	v_mul_f32_e32 v33, v63, v30
	v_dual_mul_f32 v30, v62, v30 :: v_dual_add_f32 v43, v35, v36
	s_delay_alu instid0(VALU_DEP_2) | instskip(NEXT) | instid1(VALU_DEP_2)
	v_fma_f32 v44, v62, v29, -v33
	v_fmac_f32_e32 v30, v63, v29
	s_wait_dscnt 0x0
	v_mul_f32_e32 v29, v49, v25
	v_fma_f32 v42, v46, v31, -v42
	v_add_f32_e32 v39, v39, v28
	v_mul_f32_e32 v28, v46, v32
	v_mul_f32_e32 v56, v48, v27
	s_delay_alu instid0(VALU_DEP_4) | instskip(SKIP_2) | instid1(VALU_DEP_1)
	v_add_f32_e32 v42, v34, v42
	ds_load_b128 v[33:36], v20 offset:1056
	v_dual_fmac_f32 v28, v47, v31 :: v_dual_mul_f32 v47, v48, v25
	v_add_f32_e32 v46, v37, v28
	v_fma_f32 v28, v62, v31, -v45
	v_fma_f32 v37, v48, v24, -v29
	v_mul_f32_e32 v32, v62, v32
	v_fmac_f32_e32 v47, v49, v24
	v_add_f32_e32 v44, v38, v44
	v_add_f32_e32 v41, v41, v28
	;; [unrolled: 1-line block ×4, first 2 shown]
	v_fmac_f32_e32 v32, v63, v31
	ds_load_2addr_b64 v[28:31], v19 offset0:160 offset1:176
	v_mul_f32_e32 v38, v49, v27
	v_add_f32_e32 v43, v43, v47
	v_add_f32_e32 v32, v39, v32
	s_delay_alu instid0(VALU_DEP_3)
	v_fma_f32 v48, v48, v26, -v38
	ds_load_b128 v[37:40], v20 offset:1072
	s_wait_dscnt 0x2
	v_mul_f32_e32 v57, v34, v25
	v_dual_mul_f32 v25, v33, v25 :: v_dual_add_f32 v42, v42, v48
	v_fmac_f32_e32 v56, v49, v26
	v_mul_f32_e32 v48, v34, v27
	s_delay_alu instid0(VALU_DEP_4) | instskip(NEXT) | instid1(VALU_DEP_4)
	v_fma_f32 v47, v33, v24, -v57
	v_fmac_f32_e32 v25, v34, v24
	s_delay_alu instid0(VALU_DEP_4) | instskip(SKIP_1) | instid1(VALU_DEP_3)
	v_dual_mul_f32 v49, v33, v27 :: v_dual_add_f32 v46, v46, v56
	s_wait_dscnt 0x1
	v_dual_add_f32 v44, v44, v47 :: v_dual_mul_f32 v27, v51, v29
	v_fma_f32 v24, v33, v26, -v48
	v_add_f32_e32 v33, v45, v25
	v_fmac_f32_e32 v49, v34, v26
	v_mul_f32_e32 v34, v50, v29
	v_fma_f32 v45, v50, v28, -v27
	v_add_f32_e32 v41, v41, v24
	ds_load_2addr_b64 v[24:27], v19 offset0:192 offset1:208
	v_fmac_f32_e32 v34, v51, v28
	v_dual_mul_f32 v47, v51, v31 :: v_dual_add_f32 v48, v32, v49
	v_dual_add_f32 v3, v3, v45 :: v_dual_mul_f32 v32, v50, v31
	s_delay_alu instid0(VALU_DEP_3) | instskip(NEXT) | instid1(VALU_DEP_3)
	v_dual_add_f32 v43, v43, v34 :: v_dual_mul_f32 v34, v36, v29
	v_fma_f32 v45, v50, v30, -v47
	s_delay_alu instid0(VALU_DEP_3) | instskip(NEXT) | instid1(VALU_DEP_3)
	v_fmac_f32_e32 v32, v51, v30
	v_fma_f32 v34, v35, v28, -v34
	s_delay_alu instid0(VALU_DEP_3) | instskip(SKIP_1) | instid1(VALU_DEP_3)
	v_dual_add_f32 v42, v42, v45 :: v_dual_mul_f32 v45, v36, v31
	v_mul_f32_e32 v29, v35, v29
	v_dual_mul_f32 v31, v35, v31 :: v_dual_add_f32 v44, v44, v34
	s_delay_alu instid0(VALU_DEP_2) | instskip(SKIP_2) | instid1(VALU_DEP_4)
	v_fmac_f32_e32 v29, v36, v28
	v_add_f32_e32 v28, v46, v32
	v_fma_f32 v32, v35, v30, -v45
	v_fmac_f32_e32 v31, v36, v30
	s_wait_dscnt 0x0
	v_mul_f32_e32 v36, v52, v25
	v_dual_add_f32 v29, v33, v29 :: v_dual_mul_f32 v46, v52, v27
	v_add_f32_e32 v30, v41, v32
	ds_load_2addr_b64 v[32:35], v19 offset0:224 offset1:240
	v_dual_add_f32 v31, v48, v31 :: v_dual_fmac_f32 v36, v53, v24
	v_mul_f32_e32 v45, v53, v25
	v_fmac_f32_e32 v46, v53, v26
	s_wait_loadcnt_dscnt 0x0
	s_barrier_signal -1
	v_add_f32_e32 v36, v43, v36
	v_fma_f32 v41, v52, v24, -v45
	v_mul_f32_e32 v45, v53, v27
	v_mul_f32_e32 v43, v38, v27
	;; [unrolled: 1-line block ×3, first 2 shown]
	s_barrier_wait -1
	v_add_f32_e32 v3, v3, v41
	v_fma_f32 v45, v52, v26, -v45
	v_mul_f32_e32 v41, v38, v25
	v_fmac_f32_e32 v27, v38, v26
	global_inv scope:SCOPE_SE
	v_dual_add_f32 v42, v42, v45 :: v_dual_add_f32 v45, v28, v46
	v_fma_f32 v28, v37, v26, -v43
	v_mul_f32_e32 v25, v37, v25
	s_delay_alu instid0(VALU_DEP_1) | instskip(NEXT) | instid1(VALU_DEP_3)
	v_fmac_f32_e32 v25, v38, v24
	v_add_f32_e32 v38, v30, v28
	v_mul_f32_e32 v28, v55, v35
	v_fma_f32 v41, v37, v24, -v41
	v_mul_f32_e32 v37, v55, v33
	s_delay_alu instid0(VALU_DEP_2) | instskip(NEXT) | instid1(VALU_DEP_2)
	v_add_f32_e32 v24, v44, v41
	v_fma_f32 v26, v54, v32, -v37
	v_add_f32_e32 v37, v31, v27
	v_mul_f32_e32 v27, v39, v33
	s_delay_alu instid0(VALU_DEP_3) | instskip(SKIP_4) | instid1(VALU_DEP_4)
	v_add_f32_e32 v30, v3, v26
	v_fma_f32 v3, v54, v34, -v28
	v_mul_f32_e32 v26, v40, v33
	v_add_f32_e32 v25, v29, v25
	v_mul_f32_e32 v29, v54, v35
	v_dual_fmac_f32 v27, v40, v32 :: v_dual_add_f32 v28, v42, v3
	s_delay_alu instid0(VALU_DEP_4) | instskip(SKIP_3) | instid1(VALU_DEP_4)
	v_fma_f32 v3, v39, v32, -v26
	v_mul_f32_e32 v41, v54, v33
	v_mul_f32_e32 v33, v40, v35
	;; [unrolled: 1-line block ×3, first 2 shown]
	v_dual_fmac_f32 v29, v55, v34 :: v_dual_add_f32 v26, v24, v3
	s_delay_alu instid0(VALU_DEP_4) | instskip(NEXT) | instid1(VALU_DEP_4)
	v_fmac_f32_e32 v41, v55, v32
	v_fma_f32 v32, v39, v34, -v33
	s_delay_alu instid0(VALU_DEP_4) | instskip(NEXT) | instid1(VALU_DEP_4)
	v_fmac_f32_e32 v35, v40, v34
	v_add_f32_e32 v29, v45, v29
	v_add_f32_e32 v27, v25, v27
	;; [unrolled: 1-line block ×3, first 2 shown]
	s_delay_alu instid0(VALU_DEP_4)
	v_dual_add_f32 v25, v38, v32 :: v_dual_add_f32 v24, v37, v35
	s_cbranch_scc0 .LBB81_19
.LBB81_11:                              ;   Parent Loop BB81_8 Depth=1
                                        ; =>  This Inner Loop Header: Depth=2
	s_wait_alu 0xfffe
	v_add_nc_u32_e32 v3, s0, v21
	s_delay_alu instid0(VALU_DEP_1)
	v_cmp_le_i32_e32 vcc_lo, s21, v3
	s_or_b32 s1, s8, vcc_lo
	s_wait_alu 0xfffe
	s_and_saveexec_b32 s14, s1
	s_wait_alu 0xfffe
	s_xor_b32 s1, exec_lo, s14
; %bb.12:                               ;   in Loop: Header=BB81_11 Depth=2
	v_mov_b32_e32 v3, v2
	ds_store_b64 v22, v[2:3]
; %bb.13:                               ;   in Loop: Header=BB81_11 Depth=2
	s_wait_alu 0xfffe
	s_and_not1_saveexec_b32 s1, s1
	s_cbranch_execz .LBB81_15
; %bb.14:                               ;   in Loop: Header=BB81_11 Depth=2
	global_load_b64 v[32:33], v[14:15], off
	s_wait_loadcnt 0x0
	ds_store_b64 v22, v[32:33]
.LBB81_15:                              ;   in Loop: Header=BB81_11 Depth=2
	s_wait_alu 0xfffe
	s_or_b32 exec_lo, exec_lo, s1
	v_add_nc_u32_e32 v3, s0, v18
	s_delay_alu instid0(VALU_DEP_1)
	v_cmp_le_i32_e32 vcc_lo, s21, v3
	s_or_b32 s1, vcc_lo, s9
	s_wait_alu 0xfffe
	s_and_saveexec_b32 s14, s1
	s_wait_alu 0xfffe
	s_xor_b32 s1, exec_lo, s14
; %bb.16:                               ;   in Loop: Header=BB81_11 Depth=2
	v_mov_b32_e32 v3, v2
	ds_store_b64 v23, v[2:3]
; %bb.17:                               ;   in Loop: Header=BB81_11 Depth=2
	s_wait_alu 0xfffe
	s_and_not1_saveexec_b32 s1, s1
	s_cbranch_execz .LBB81_10
; %bb.18:                               ;   in Loop: Header=BB81_11 Depth=2
	global_load_b64 v[32:33], v[16:17], off
	s_wait_loadcnt 0x0
	ds_store_b64 v23, v[32:33]
	s_branch .LBB81_10
.LBB81_19:                              ;   in Loop: Header=BB81_8 Depth=1
	s_mul_u64 s[0:1], s[26:27], s[24:25]
	s_wait_alu 0xfffe
	s_lshl_b64 s[0:1], s[0:1], 3
	s_wait_alu 0xfffe
	s_add_nc_u64 s[0:1], s[16:17], s[0:1]
	s_wait_alu 0xfffe
	v_add_co_u32 v3, vcc_lo, s0, v6
	s_wait_alu 0xfffd
	v_add_co_ci_u32_e64 v16, null, s1, v7, vcc_lo
	s_and_saveexec_b32 s14, s30
	s_cbranch_execz .LBB81_24
; %bb.20:                               ;   in Loop: Header=BB81_8 Depth=1
	v_mul_f32_e32 v15, s22, v31
	v_mul_f32_e32 v14, s23, v31
	s_and_b32 vcc_lo, exec_lo, s13
	s_mov_b32 s15, -1
	s_delay_alu instid0(VALU_DEP_2) | instskip(NEXT) | instid1(VALU_DEP_2)
	v_fmac_f32_e32 v15, s23, v30
	v_fma_f32 v14, v30, s22, -v14
	s_wait_alu 0xfffe
	s_cbranch_vccz .LBB81_22
; %bb.21:                               ;   in Loop: Header=BB81_8 Depth=1
	v_add_co_u32 v30, vcc_lo, v3, v10
	s_wait_alu 0xfffd
	v_add_co_ci_u32_e64 v31, null, v16, v11, vcc_lo
	s_mov_b32 s15, 0
	global_load_b64 v[32:33], v[30:31], off
	s_wait_loadcnt 0x0
	v_mul_f32_e32 v17, s11, v33
	v_mul_f32_e32 v33, s10, v33
	s_delay_alu instid0(VALU_DEP_2) | instskip(NEXT) | instid1(VALU_DEP_1)
	v_fma_f32 v17, v32, s10, -v17
	v_dual_fmac_f32 v33, s11, v32 :: v_dual_add_f32 v32, v14, v17
	s_delay_alu instid0(VALU_DEP_1)
	v_add_f32_e32 v33, v15, v33
	global_store_b64 v[30:31], v[32:33], off
.LBB81_22:                              ;   in Loop: Header=BB81_8 Depth=1
	s_wait_alu 0xfffe
	s_and_not1_b32 vcc_lo, exec_lo, s15
	s_wait_alu 0xfffe
	s_cbranch_vccnz .LBB81_24
; %bb.23:                               ;   in Loop: Header=BB81_8 Depth=1
	v_add_co_u32 v30, vcc_lo, v3, v10
	s_wait_alu 0xfffd
	v_add_co_ci_u32_e64 v31, null, v16, v11, vcc_lo
	global_store_b64 v[30:31], v[14:15], off
.LBB81_24:                              ;   in Loop: Header=BB81_8 Depth=1
	s_wait_alu 0xfffe
	s_or_b32 exec_lo, exec_lo, s14
	s_and_saveexec_b32 s14, s20
	s_cbranch_execz .LBB81_29
; %bb.25:                               ;   in Loop: Header=BB81_8 Depth=1
	v_mul_f32_e32 v15, s22, v29
	v_mul_f32_e32 v14, s23, v29
	s_and_not1_b32 vcc_lo, exec_lo, s13
	s_mov_b32 s15, -1
	s_delay_alu instid0(VALU_DEP_2) | instskip(NEXT) | instid1(VALU_DEP_2)
	v_fmac_f32_e32 v15, s23, v28
	v_fma_f32 v14, v28, s22, -v14
	s_wait_alu 0xfffe
	s_cbranch_vccnz .LBB81_27
; %bb.26:                               ;   in Loop: Header=BB81_8 Depth=1
	v_add_co_u32 v28, vcc_lo, v3, v12
	s_wait_alu 0xfffd
	v_add_co_ci_u32_e64 v29, null, v16, v13, vcc_lo
	s_mov_b32 s15, 0
	global_load_b64 v[30:31], v[28:29], off
	s_wait_loadcnt 0x0
	v_mul_f32_e32 v17, s11, v31
	s_delay_alu instid0(VALU_DEP_1) | instskip(SKIP_1) | instid1(VALU_DEP_1)
	v_fma_f32 v17, v30, s10, -v17
	v_mul_f32_e32 v31, s10, v31
	v_dual_fmac_f32 v31, s11, v30 :: v_dual_add_f32 v30, v14, v17
	s_delay_alu instid0(VALU_DEP_1)
	v_add_f32_e32 v31, v15, v31
	global_store_b64 v[28:29], v[30:31], off
.LBB81_27:                              ;   in Loop: Header=BB81_8 Depth=1
	s_wait_alu 0xfffe
	s_and_not1_b32 vcc_lo, exec_lo, s15
	s_wait_alu 0xfffe
	s_cbranch_vccnz .LBB81_29
; %bb.28:                               ;   in Loop: Header=BB81_8 Depth=1
	v_add_co_u32 v28, vcc_lo, v3, v12
	s_wait_alu 0xfffd
	v_add_co_ci_u32_e64 v29, null, v16, v13, vcc_lo
	global_store_b64 v[28:29], v[14:15], off
.LBB81_29:                              ;   in Loop: Header=BB81_8 Depth=1
	s_wait_alu 0xfffe
	s_or_b32 exec_lo, exec_lo, s14
	v_add_co_u32 v3, vcc_lo, s0, v8
	s_wait_alu 0xfffd
	v_add_co_ci_u32_e64 v16, null, s1, v9, vcc_lo
	s_and_saveexec_b32 s0, s18
	s_cbranch_execz .LBB81_34
; %bb.30:                               ;   in Loop: Header=BB81_8 Depth=1
	v_mul_f32_e32 v15, s22, v27
	v_mul_f32_e32 v14, s23, v27
	s_and_not1_b32 vcc_lo, exec_lo, s13
	s_mov_b32 s1, -1
	s_delay_alu instid0(VALU_DEP_2) | instskip(NEXT) | instid1(VALU_DEP_2)
	v_fmac_f32_e32 v15, s23, v26
	v_fma_f32 v14, v26, s22, -v14
	s_wait_alu 0xfffe
	s_cbranch_vccnz .LBB81_32
; %bb.31:                               ;   in Loop: Header=BB81_8 Depth=1
	v_add_co_u32 v26, vcc_lo, v3, v10
	s_wait_alu 0xfffd
	v_add_co_ci_u32_e64 v27, null, v16, v11, vcc_lo
	s_mov_b32 s1, 0
	global_load_b64 v[28:29], v[26:27], off
	s_wait_loadcnt 0x0
	v_mul_f32_e32 v17, s11, v29
	v_mul_f32_e32 v29, s10, v29
	s_delay_alu instid0(VALU_DEP_2) | instskip(NEXT) | instid1(VALU_DEP_1)
	v_fma_f32 v17, v28, s10, -v17
	v_dual_fmac_f32 v29, s11, v28 :: v_dual_add_f32 v28, v14, v17
	s_delay_alu instid0(VALU_DEP_1)
	v_add_f32_e32 v29, v15, v29
	global_store_b64 v[26:27], v[28:29], off
.LBB81_32:                              ;   in Loop: Header=BB81_8 Depth=1
	s_wait_alu 0xfffe
	s_and_not1_b32 vcc_lo, exec_lo, s1
	s_wait_alu 0xfffe
	s_cbranch_vccnz .LBB81_34
; %bb.33:                               ;   in Loop: Header=BB81_8 Depth=1
	v_add_co_u32 v26, vcc_lo, v3, v10
	s_wait_alu 0xfffd
	v_add_co_ci_u32_e64 v27, null, v16, v11, vcc_lo
	global_store_b64 v[26:27], v[14:15], off
.LBB81_34:                              ;   in Loop: Header=BB81_8 Depth=1
	s_wait_alu 0xfffe
	s_or_b32 exec_lo, exec_lo, s0
	s_and_saveexec_b32 s0, s31
	s_cbranch_execz .LBB81_7
; %bb.35:                               ;   in Loop: Header=BB81_8 Depth=1
	v_mul_f32_e32 v15, s22, v24
	v_mul_f32_e32 v14, s23, v24
	s_and_not1_b32 vcc_lo, exec_lo, s13
	s_mov_b32 s1, -1
	s_delay_alu instid0(VALU_DEP_2) | instskip(NEXT) | instid1(VALU_DEP_2)
	v_fmac_f32_e32 v15, s23, v25
	v_fma_f32 v14, v25, s22, -v14
	s_wait_alu 0xfffe
	s_cbranch_vccnz .LBB81_37
; %bb.36:                               ;   in Loop: Header=BB81_8 Depth=1
	v_add_co_u32 v24, vcc_lo, v3, v12
	s_wait_alu 0xfffd
	v_add_co_ci_u32_e64 v25, null, v16, v13, vcc_lo
	s_mov_b32 s1, 0
	global_load_b64 v[26:27], v[24:25], off
	s_wait_loadcnt 0x0
	v_mul_f32_e32 v17, s11, v27
	s_delay_alu instid0(VALU_DEP_1) | instskip(SKIP_1) | instid1(VALU_DEP_1)
	v_fma_f32 v17, v26, s10, -v17
	v_mul_f32_e32 v27, s10, v27
	v_dual_fmac_f32 v27, s11, v26 :: v_dual_add_f32 v26, v14, v17
	s_delay_alu instid0(VALU_DEP_1)
	v_add_f32_e32 v27, v15, v27
	global_store_b64 v[24:25], v[26:27], off
.LBB81_37:                              ;   in Loop: Header=BB81_8 Depth=1
	s_wait_alu 0xfffe
	s_and_not1_b32 vcc_lo, exec_lo, s1
	s_wait_alu 0xfffe
	s_cbranch_vccnz .LBB81_7
; %bb.38:                               ;   in Loop: Header=BB81_8 Depth=1
	v_add_co_u32 v24, vcc_lo, v3, v12
	s_wait_alu 0xfffd
	v_add_co_ci_u32_e64 v25, null, v16, v13, vcc_lo
	global_store_b64 v[24:25], v[14:15], off
	s_branch .LBB81_7
.LBB81_39:
	s_endpgm
	.section	.rodata,"a",@progbits
	.p2align	6, 0x0
	.amdhsa_kernel _ZL29rocblas_internal_gemmt_kernelIiLi16ELi32ELi8ELc78ELc78ELc76ELb0ELb0E19rocblas_complex_numIfEPKS1_S3_PS1_EviT_T9_T10_S5_lS7_S5_lS6_T11_S5_li
		.amdhsa_group_segment_fixed_size 4096
		.amdhsa_private_segment_fixed_size 0
		.amdhsa_kernarg_size 100
		.amdhsa_user_sgpr_count 2
		.amdhsa_user_sgpr_dispatch_ptr 0
		.amdhsa_user_sgpr_queue_ptr 0
		.amdhsa_user_sgpr_kernarg_segment_ptr 1
		.amdhsa_user_sgpr_dispatch_id 0
		.amdhsa_user_sgpr_private_segment_size 0
		.amdhsa_wavefront_size32 1
		.amdhsa_uses_dynamic_stack 0
		.amdhsa_enable_private_segment 0
		.amdhsa_system_sgpr_workgroup_id_x 1
		.amdhsa_system_sgpr_workgroup_id_y 1
		.amdhsa_system_sgpr_workgroup_id_z 1
		.amdhsa_system_sgpr_workgroup_info 0
		.amdhsa_system_vgpr_workitem_id 1
		.amdhsa_next_free_vgpr 69
		.amdhsa_next_free_sgpr 37
		.amdhsa_reserve_vcc 1
		.amdhsa_float_round_mode_32 0
		.amdhsa_float_round_mode_16_64 0
		.amdhsa_float_denorm_mode_32 3
		.amdhsa_float_denorm_mode_16_64 3
		.amdhsa_fp16_overflow 0
		.amdhsa_workgroup_processor_mode 1
		.amdhsa_memory_ordered 1
		.amdhsa_forward_progress 1
		.amdhsa_inst_pref_size 25
		.amdhsa_round_robin_scheduling 0
		.amdhsa_exception_fp_ieee_invalid_op 0
		.amdhsa_exception_fp_denorm_src 0
		.amdhsa_exception_fp_ieee_div_zero 0
		.amdhsa_exception_fp_ieee_overflow 0
		.amdhsa_exception_fp_ieee_underflow 0
		.amdhsa_exception_fp_ieee_inexact 0
		.amdhsa_exception_int_div_zero 0
	.end_amdhsa_kernel
	.section	.text._ZL29rocblas_internal_gemmt_kernelIiLi16ELi32ELi8ELc78ELc78ELc76ELb0ELb0E19rocblas_complex_numIfEPKS1_S3_PS1_EviT_T9_T10_S5_lS7_S5_lS6_T11_S5_li,"axG",@progbits,_ZL29rocblas_internal_gemmt_kernelIiLi16ELi32ELi8ELc78ELc78ELc76ELb0ELb0E19rocblas_complex_numIfEPKS1_S3_PS1_EviT_T9_T10_S5_lS7_S5_lS6_T11_S5_li,comdat
.Lfunc_end81:
	.size	_ZL29rocblas_internal_gemmt_kernelIiLi16ELi32ELi8ELc78ELc78ELc76ELb0ELb0E19rocblas_complex_numIfEPKS1_S3_PS1_EviT_T9_T10_S5_lS7_S5_lS6_T11_S5_li, .Lfunc_end81-_ZL29rocblas_internal_gemmt_kernelIiLi16ELi32ELi8ELc78ELc78ELc76ELb0ELb0E19rocblas_complex_numIfEPKS1_S3_PS1_EviT_T9_T10_S5_lS7_S5_lS6_T11_S5_li
                                        ; -- End function
	.set _ZL29rocblas_internal_gemmt_kernelIiLi16ELi32ELi8ELc78ELc78ELc76ELb0ELb0E19rocblas_complex_numIfEPKS1_S3_PS1_EviT_T9_T10_S5_lS7_S5_lS6_T11_S5_li.num_vgpr, 69
	.set _ZL29rocblas_internal_gemmt_kernelIiLi16ELi32ELi8ELc78ELc78ELc76ELb0ELb0E19rocblas_complex_numIfEPKS1_S3_PS1_EviT_T9_T10_S5_lS7_S5_lS6_T11_S5_li.num_agpr, 0
	.set _ZL29rocblas_internal_gemmt_kernelIiLi16ELi32ELi8ELc78ELc78ELc76ELb0ELb0E19rocblas_complex_numIfEPKS1_S3_PS1_EviT_T9_T10_S5_lS7_S5_lS6_T11_S5_li.numbered_sgpr, 37
	.set _ZL29rocblas_internal_gemmt_kernelIiLi16ELi32ELi8ELc78ELc78ELc76ELb0ELb0E19rocblas_complex_numIfEPKS1_S3_PS1_EviT_T9_T10_S5_lS7_S5_lS6_T11_S5_li.num_named_barrier, 0
	.set _ZL29rocblas_internal_gemmt_kernelIiLi16ELi32ELi8ELc78ELc78ELc76ELb0ELb0E19rocblas_complex_numIfEPKS1_S3_PS1_EviT_T9_T10_S5_lS7_S5_lS6_T11_S5_li.private_seg_size, 0
	.set _ZL29rocblas_internal_gemmt_kernelIiLi16ELi32ELi8ELc78ELc78ELc76ELb0ELb0E19rocblas_complex_numIfEPKS1_S3_PS1_EviT_T9_T10_S5_lS7_S5_lS6_T11_S5_li.uses_vcc, 1
	.set _ZL29rocblas_internal_gemmt_kernelIiLi16ELi32ELi8ELc78ELc78ELc76ELb0ELb0E19rocblas_complex_numIfEPKS1_S3_PS1_EviT_T9_T10_S5_lS7_S5_lS6_T11_S5_li.uses_flat_scratch, 0
	.set _ZL29rocblas_internal_gemmt_kernelIiLi16ELi32ELi8ELc78ELc78ELc76ELb0ELb0E19rocblas_complex_numIfEPKS1_S3_PS1_EviT_T9_T10_S5_lS7_S5_lS6_T11_S5_li.has_dyn_sized_stack, 0
	.set _ZL29rocblas_internal_gemmt_kernelIiLi16ELi32ELi8ELc78ELc78ELc76ELb0ELb0E19rocblas_complex_numIfEPKS1_S3_PS1_EviT_T9_T10_S5_lS7_S5_lS6_T11_S5_li.has_recursion, 0
	.set _ZL29rocblas_internal_gemmt_kernelIiLi16ELi32ELi8ELc78ELc78ELc76ELb0ELb0E19rocblas_complex_numIfEPKS1_S3_PS1_EviT_T9_T10_S5_lS7_S5_lS6_T11_S5_li.has_indirect_call, 0
	.section	.AMDGPU.csdata,"",@progbits
; Kernel info:
; codeLenInByte = 3140
; TotalNumSgprs: 39
; NumVgprs: 69
; ScratchSize: 0
; MemoryBound: 1
; FloatMode: 240
; IeeeMode: 1
; LDSByteSize: 4096 bytes/workgroup (compile time only)
; SGPRBlocks: 0
; VGPRBlocks: 8
; NumSGPRsForWavesPerEU: 39
; NumVGPRsForWavesPerEU: 69
; Occupancy: 16
; WaveLimiterHint : 0
; COMPUTE_PGM_RSRC2:SCRATCH_EN: 0
; COMPUTE_PGM_RSRC2:USER_SGPR: 2
; COMPUTE_PGM_RSRC2:TRAP_HANDLER: 0
; COMPUTE_PGM_RSRC2:TGID_X_EN: 1
; COMPUTE_PGM_RSRC2:TGID_Y_EN: 1
; COMPUTE_PGM_RSRC2:TGID_Z_EN: 1
; COMPUTE_PGM_RSRC2:TIDIG_COMP_CNT: 1
	.section	.text._ZL29rocblas_internal_gemmt_kernelIiLi16ELi32ELi8ELc78ELc84ELc76ELb0ELb0E19rocblas_complex_numIfEPKS1_S3_PS1_EviT_T9_T10_S5_lS7_S5_lS6_T11_S5_li,"axG",@progbits,_ZL29rocblas_internal_gemmt_kernelIiLi16ELi32ELi8ELc78ELc84ELc76ELb0ELb0E19rocblas_complex_numIfEPKS1_S3_PS1_EviT_T9_T10_S5_lS7_S5_lS6_T11_S5_li,comdat
	.globl	_ZL29rocblas_internal_gemmt_kernelIiLi16ELi32ELi8ELc78ELc84ELc76ELb0ELb0E19rocblas_complex_numIfEPKS1_S3_PS1_EviT_T9_T10_S5_lS7_S5_lS6_T11_S5_li ; -- Begin function _ZL29rocblas_internal_gemmt_kernelIiLi16ELi32ELi8ELc78ELc84ELc76ELb0ELb0E19rocblas_complex_numIfEPKS1_S3_PS1_EviT_T9_T10_S5_lS7_S5_lS6_T11_S5_li
	.p2align	8
	.type	_ZL29rocblas_internal_gemmt_kernelIiLi16ELi32ELi8ELc78ELc84ELc76ELb0ELb0E19rocblas_complex_numIfEPKS1_S3_PS1_EviT_T9_T10_S5_lS7_S5_lS6_T11_S5_li,@function
_ZL29rocblas_internal_gemmt_kernelIiLi16ELi32ELi8ELc78ELc84ELc76ELb0ELb0E19rocblas_complex_numIfEPKS1_S3_PS1_EviT_T9_T10_S5_lS7_S5_lS6_T11_S5_li: ; @_ZL29rocblas_internal_gemmt_kernelIiLi16ELi32ELi8ELc78ELc84ELc76ELb0ELb0E19rocblas_complex_numIfEPKS1_S3_PS1_EviT_T9_T10_S5_lS7_S5_lS6_T11_S5_li
; %bb.0:
	s_load_b128 s[8:11], s[0:1], 0x38
	s_wait_kmcnt 0x0
	s_load_b64 s[10:11], s[10:11], 0x0
	s_clause 0x1
	s_load_b128 s[4:7], s[0:1], 0x8
	s_load_b64 s[20:21], s[0:1], 0x0
	s_wait_kmcnt 0x0
	s_load_b64 s[22:23], s[4:5], 0x0
	s_cmp_eq_f32 s10, 1.0
	s_cselect_b32 s2, -1, 0
	s_and_b32 s3, s11, 0x7fffffff
	s_delay_alu instid0(SALU_CYCLE_1) | instskip(SKIP_1) | instid1(SALU_CYCLE_1)
	s_cmp_eq_u32 s3, 0
	s_cselect_b32 s3, -1, 0
	s_and_b32 s4, s2, s3
	s_mov_b32 s2, 0
	s_and_not1_b32 vcc_lo, exec_lo, s4
	s_mov_b32 s4, -1
	s_cbranch_vccnz .LBB82_4
; %bb.1:
	s_cmp_lg_u32 s21, 0
	s_cbranch_scc0 .LBB82_3
; %bb.2:
	s_wait_kmcnt 0x0
	s_cmp_neq_f32 s22, 0
	s_cselect_b32 s2, -1, 0
	s_cmp_neq_f32 s23, 0
	s_cselect_b32 s4, -1, 0
	s_delay_alu instid0(SALU_CYCLE_1)
	s_or_b32 s2, s2, s4
.LBB82_3:
	s_delay_alu instid0(SALU_CYCLE_1)
	s_mov_b32 s4, s2
.LBB82_4:
	s_delay_alu instid0(SALU_CYCLE_1)
	s_and_b32 vcc_lo, exec_lo, s4
	s_cbranch_vccz .LBB82_39
; %bb.5:
	s_load_b32 s19, s[0:1], 0x60
	s_lshr_b32 s24, ttmp7, 16
	s_wait_kmcnt 0x0
	s_cmp_ge_u32 s24, s19
	s_cbranch_scc1 .LBB82_39
; %bb.6:
	s_clause 0x2
	s_load_b32 s30, s[0:1], 0x18
	s_load_b32 s28, s[0:1], 0x30
	s_load_b128 s[12:15], s[0:1], 0x20
	v_and_b32_e32 v1, 0x3ff, v0
	v_bfe_u32 v2, v0, 10, 10
	v_and_b32_e32 v18, 7, v0
	s_clause 0x1
	s_load_b96 s[16:18], s[0:1], 0x48
	s_load_b64 s[26:27], s[0:1], 0x58
	s_lshl_b32 s1, ttmp7, 5
	s_lshl_b32 s0, ttmp9, 5
	v_lshl_add_u32 v0, v2, 4, v1
	s_and_b32 s1, s1, 0x1fffe0
	v_lshlrev_b32_e32 v3, 3, v18
	v_add_nc_u32_e32 v10, s0, v1
	v_add_nc_u32_e32 v4, s1, v2
	v_and_b32_e32 v5, 31, v0
	v_lshrrev_b32_e32 v6, 3, v0
	v_lshrrev_b32_e32 v19, 5, v0
	v_cmp_gt_i32_e64 s2, s20, v10
	v_add_nc_u32_e32 v12, 16, v10
	v_or_b32_e32 v0, s0, v5
	s_wait_kmcnt 0x0
	s_ashr_i32 s31, s30, 31
	s_ashr_i32 s29, s28, 31
	s_cmp_neq_f32 s22, 0
	v_add_nc_u32_e32 v14, s1, v6
	v_lshl_or_b32 v3, v6, 6, v3
	v_lshl_add_u32 v23, v2, 6, 0x800
	s_cselect_b32 s0, -1, 0
	s_cmp_neq_f32 s23, 0
	v_lshlrev_b32_e32 v5, 3, v5
	v_add_nc_u32_e32 v21, 0x800, v3
	v_mad_co_i64_i32 v[2:3], null, v19, s30, 0
	s_cselect_b32 s1, -1, 0
	v_lshlrev_b32_e32 v22, 3, v1
	s_wait_alu 0xfffe
	s_or_b32 s35, s0, s1
	s_cmp_gt_i32 s21, 0
	v_cmp_le_i32_e64 s1, v4, v10
	s_cselect_b32 s36, -1, 0
	s_cmp_neq_f32 s10, 0
	v_ashrrev_i32_e32 v1, 31, v0
	v_add_nc_u32_e32 v8, 16, v4
	v_cmp_gt_i32_e32 vcc_lo, s20, v0
	s_cselect_b32 s37, -1, 0
	s_xor_b32 s38, s3, -1
	s_and_b32 s33, s1, s2
	v_cmp_le_i32_e64 s1, v4, v12
	v_cmp_gt_i32_e64 s3, s20, v12
	v_lshl_or_b32 v20, v19, 8, v5
	v_mad_co_i64_i32 v[6:7], null, v4, s18, 0
	v_lshlrev_b64_e32 v[2:3], 3, v[2:3]
	v_lshlrev_b64_e32 v[0:1], 3, v[0:1]
	v_mad_co_i64_i32 v[4:5], null, s28, v18, 0
	v_cmp_gt_i32_e64 s0, s20, v14
	s_and_b32 s20, s1, s3
	v_cmp_le_i32_e64 s1, v8, v10
	v_cmp_le_i32_e64 s4, v8, v12
	v_mad_co_i64_i32 v[8:9], null, v8, s18, 0
	v_ashrrev_i32_e32 v11, 31, v10
	s_delay_alu instid0(VALU_DEP_4)
	s_and_b32 s18, s1, s2
	v_add_co_u32 v0, s1, v2, v0
	s_wait_alu 0xf1ff
	v_add_co_ci_u32_e64 v1, null, v3, v1, s1
	v_lshlrev_b64_e32 v[2:3], 3, v[4:5]
	v_lshlrev_b32_e32 v4, 3, v14
	v_add_co_u32 v0, s1, s6, v0
	s_wait_alu 0xf1ff
	v_add_co_ci_u32_e64 v1, null, s7, v1, s1
	s_delay_alu instid0(VALU_DEP_3) | instskip(SKIP_3) | instid1(VALU_DEP_3)
	v_add_co_u32 v4, s1, v2, v4
	v_ashrrev_i32_e32 v13, 31, v12
	s_wait_alu 0xf1ff
	v_add_co_ci_u32_e64 v3, null, 0, v3, s1
	v_add_co_u32 v4, s1, s14, v4
	v_lshlrev_b64_e32 v[6:7], 3, v[6:7]
	v_lshlrev_b64_e32 v[8:9], 3, v[8:9]
	;; [unrolled: 1-line block ×4, first 2 shown]
	v_mov_b32_e32 v2, 0
	s_wait_alu 0xf1ff
	v_add_co_ci_u32_e64 v5, null, s15, v3, s1
	s_mov_b32 s25, 0
	s_and_b32 s34, s4, s3
	s_lshl_b64 s[2:3], s[12:13], 3
	s_lshl_b64 s[4:5], s[30:31], 6
	s_lshl_b64 s[6:7], s[8:9], 3
	s_and_b32 s12, s35, s36
	s_or_b32 s13, s37, s38
	s_lshl_b64 s[8:9], s[28:29], 6
	s_xor_b32 s14, vcc_lo, -1
	s_xor_b32 s15, s0, -1
	s_branch .LBB82_8
.LBB82_7:                               ;   in Loop: Header=BB82_8 Depth=1
	s_wait_alu 0xfffe
	s_or_b32 exec_lo, exec_lo, s0
	s_add_co_i32 s24, s24, 0x10000
	s_wait_alu 0xfffe
	s_cmp_lt_u32 s24, s19
	s_cbranch_scc0 .LBB82_39
.LBB82_8:                               ; =>This Loop Header: Depth=1
                                        ;     Child Loop BB82_11 Depth 2
	v_dual_mov_b32 v30, v2 :: v_dual_mov_b32 v31, v2
	v_dual_mov_b32 v28, v2 :: v_dual_mov_b32 v29, v2
	;; [unrolled: 1-line block ×4, first 2 shown]
	s_and_not1_b32 vcc_lo, exec_lo, s12
	s_wait_alu 0xfffe
	s_cbranch_vccnz .LBB82_19
; %bb.9:                                ;   in Loop: Header=BB82_8 Depth=1
	v_mad_co_u64_u32 v[14:15], null, s2, s24, v[0:1]
	v_mad_co_u64_u32 v[16:17], null, s6, s24, v[4:5]
	v_dual_mov_b32 v25, 0 :: v_dual_mov_b32 v28, 0
	v_mov_b32_e32 v27, 0
	v_mov_b32_e32 v29, 0
	v_dual_mov_b32 v3, v15 :: v_dual_mov_b32 v24, 0
	v_dual_mov_b32 v15, v17 :: v_dual_mov_b32 v26, 0
	s_mov_b32 s0, 0
	s_delay_alu instid0(VALU_DEP_2) | instskip(NEXT) | instid1(VALU_DEP_2)
	v_mad_co_u64_u32 v[30:31], null, s3, s24, v[3:4]
	v_mad_co_u64_u32 v[32:33], null, s7, s24, v[15:16]
	v_mov_b32_e32 v31, 0
	s_delay_alu instid0(VALU_DEP_3) | instskip(NEXT) | instid1(VALU_DEP_3)
	v_dual_mov_b32 v15, v30 :: v_dual_mov_b32 v30, 0
	v_mov_b32_e32 v17, v32
	s_branch .LBB82_11
.LBB82_10:                              ;   in Loop: Header=BB82_11 Depth=2
	s_wait_alu 0xfffe
	s_or_b32 exec_lo, exec_lo, s1
	s_wait_dscnt 0x0
	s_barrier_signal -1
	s_barrier_wait -1
	global_inv scope:SCOPE_SE
	ds_load_b128 v[32:35], v23
	ds_load_2addr_b64 v[36:39], v22 offset1:16
	ds_load_b128 v[40:43], v23 offset:1024
	ds_load_b128 v[44:47], v23 offset:16
	;; [unrolled: 1-line block ×4, first 2 shown]
	ds_load_2addr_b64 v[56:59], v22 offset0:32 offset1:48
	ds_load_b128 v[60:63], v23 offset:1040
	v_add_co_u32 v14, vcc_lo, v14, s4
	s_wait_alu 0xfffd
	v_add_co_ci_u32_e64 v15, null, s5, v15, vcc_lo
	v_add_co_u32 v16, vcc_lo, v16, s8
	s_wait_alu 0xfffd
	v_add_co_ci_u32_e64 v17, null, s9, v17, vcc_lo
	s_add_co_i32 s0, s0, 8
	s_wait_alu 0xfffe
	s_cmp_lt_i32 s0, s21
	s_wait_dscnt 0x6
	v_dual_mul_f32 v3, v33, v37 :: v_dual_mul_f32 v66, v32, v39
	v_dual_mul_f32 v64, v32, v37 :: v_dual_mul_f32 v65, v33, v39
	s_wait_dscnt 0x5
	v_mul_f32_e32 v68, v41, v39
	s_delay_alu instid0(VALU_DEP_3) | instskip(SKIP_3) | instid1(VALU_DEP_4)
	v_fma_f32 v3, v32, v36, -v3
	v_dual_mul_f32 v39, v40, v39 :: v_dual_fmac_f32 v66, v33, v38
	v_fmac_f32_e32 v64, v33, v36
	v_fma_f32 v32, v32, v38, -v65
	v_add_f32_e32 v3, v30, v3
	v_mul_f32_e32 v67, v41, v37
	s_delay_alu instid0(VALU_DEP_4) | instskip(NEXT) | instid1(VALU_DEP_4)
	v_dual_mul_f32 v37, v40, v37 :: v_dual_add_f32 v30, v31, v64
	v_add_f32_e32 v31, v28, v32
	v_fmac_f32_e32 v39, v41, v38
	s_delay_alu instid0(VALU_DEP_4) | instskip(NEXT) | instid1(VALU_DEP_4)
	v_fma_f32 v33, v40, v36, -v67
	v_fmac_f32_e32 v37, v41, v36
	v_fma_f32 v36, v40, v38, -v68
	s_wait_dscnt 0x1
	v_dual_mul_f32 v38, v34, v57 :: v_dual_add_f32 v29, v29, v66
	v_mul_f32_e32 v40, v35, v59
	v_add_f32_e32 v32, v26, v33
	v_dual_add_f32 v33, v27, v37 :: v_dual_add_f32 v36, v25, v36
	ds_load_2addr_b64 v[25:28], v22 offset0:64 offset1:80
	v_fmac_f32_e32 v38, v35, v56
	v_dual_mul_f32 v37, v35, v57 :: v_dual_add_f32 v24, v24, v39
	v_mul_f32_e32 v39, v34, v59
	s_delay_alu instid0(VALU_DEP_3) | instskip(NEXT) | instid1(VALU_DEP_3)
	v_add_f32_e32 v38, v30, v38
	v_fma_f32 v37, v34, v56, -v37
	v_fma_f32 v34, v34, v58, -v40
	v_mul_f32_e32 v30, v42, v57
	s_delay_alu instid0(VALU_DEP_3) | instskip(SKIP_1) | instid1(VALU_DEP_4)
	v_add_f32_e32 v3, v3, v37
	v_mul_f32_e32 v37, v43, v57
	v_add_f32_e32 v34, v31, v34
	v_fmac_f32_e32 v39, v35, v58
	v_mul_f32_e32 v35, v43, v59
	v_fmac_f32_e32 v30, v43, v56
	v_fma_f32 v31, v42, v56, -v37
	s_delay_alu instid0(VALU_DEP_4) | instskip(SKIP_4) | instid1(VALU_DEP_3)
	v_add_f32_e32 v37, v29, v39
	v_mul_f32_e32 v39, v42, v59
	v_fma_f32 v29, v42, v58, -v35
	s_wait_dscnt 0x0
	v_dual_add_f32 v40, v32, v31 :: v_dual_mul_f32 v31, v45, v26
	v_dual_mul_f32 v42, v45, v28 :: v_dual_fmac_f32 v39, v43, v58
	v_mul_f32_e32 v35, v44, v26
	v_add_f32_e32 v36, v36, v29
	s_delay_alu instid0(VALU_DEP_3) | instskip(SKIP_3) | instid1(VALU_DEP_2)
	v_add_f32_e32 v39, v24, v39
	v_mul_f32_e32 v24, v44, v28
	v_fma_f32 v41, v44, v25, -v31
	v_fmac_f32_e32 v35, v45, v25
	v_dual_fmac_f32 v24, v45, v27 :: v_dual_add_f32 v3, v3, v41
	v_fma_f32 v41, v44, v27, -v42
	v_add_f32_e32 v33, v33, v30
	ds_load_2addr_b64 v[29:32], v22 offset0:96 offset1:112
	v_dual_add_f32 v35, v38, v35 :: v_dual_mul_f32 v38, v61, v26
	v_mul_f32_e32 v26, v60, v26
	v_dual_add_f32 v34, v34, v41 :: v_dual_mul_f32 v41, v61, v28
	v_mul_f32_e32 v28, v60, v28
	s_delay_alu instid0(VALU_DEP_4) | instskip(NEXT) | instid1(VALU_DEP_4)
	v_fma_f32 v38, v60, v25, -v38
	v_fmac_f32_e32 v26, v61, v25
	v_add_f32_e32 v37, v37, v24
	v_fma_f32 v24, v60, v27, -v41
	v_fmac_f32_e32 v28, v61, v27
	v_add_f32_e32 v38, v40, v38
	s_delay_alu instid0(VALU_DEP_3)
	v_dual_add_f32 v40, v33, v26 :: v_dual_add_f32 v41, v36, v24
	ds_load_2addr_b64 v[24:27], v22 offset0:128 offset1:144
	s_wait_dscnt 0x1
	v_mul_f32_e32 v33, v47, v30
	v_mul_f32_e32 v36, v46, v30
	;; [unrolled: 1-line block ×4, first 2 shown]
	s_delay_alu instid0(VALU_DEP_4) | instskip(NEXT) | instid1(VALU_DEP_4)
	v_fma_f32 v33, v46, v29, -v33
	v_fmac_f32_e32 v36, v47, v29
	s_delay_alu instid0(VALU_DEP_2) | instskip(SKIP_1) | instid1(VALU_DEP_3)
	v_add_f32_e32 v3, v3, v33
	v_mul_f32_e32 v33, v63, v30
	v_dual_mul_f32 v30, v62, v30 :: v_dual_add_f32 v43, v35, v36
	s_delay_alu instid0(VALU_DEP_2) | instskip(NEXT) | instid1(VALU_DEP_2)
	v_fma_f32 v44, v62, v29, -v33
	v_fmac_f32_e32 v30, v63, v29
	s_wait_dscnt 0x0
	v_mul_f32_e32 v29, v49, v25
	v_fma_f32 v42, v46, v31, -v42
	v_add_f32_e32 v39, v39, v28
	v_mul_f32_e32 v28, v46, v32
	v_mul_f32_e32 v56, v48, v27
	s_delay_alu instid0(VALU_DEP_4) | instskip(SKIP_2) | instid1(VALU_DEP_1)
	v_add_f32_e32 v42, v34, v42
	ds_load_b128 v[33:36], v23 offset:1056
	v_dual_fmac_f32 v28, v47, v31 :: v_dual_mul_f32 v47, v48, v25
	v_add_f32_e32 v46, v37, v28
	v_fma_f32 v28, v62, v31, -v45
	v_fma_f32 v37, v48, v24, -v29
	v_mul_f32_e32 v32, v62, v32
	v_fmac_f32_e32 v47, v49, v24
	v_add_f32_e32 v44, v38, v44
	v_add_f32_e32 v41, v41, v28
	;; [unrolled: 1-line block ×4, first 2 shown]
	v_fmac_f32_e32 v32, v63, v31
	ds_load_2addr_b64 v[28:31], v22 offset0:160 offset1:176
	v_mul_f32_e32 v38, v49, v27
	v_add_f32_e32 v43, v43, v47
	v_add_f32_e32 v32, v39, v32
	s_delay_alu instid0(VALU_DEP_3)
	v_fma_f32 v48, v48, v26, -v38
	ds_load_b128 v[37:40], v23 offset:1072
	s_wait_dscnt 0x2
	v_mul_f32_e32 v57, v34, v25
	v_dual_mul_f32 v25, v33, v25 :: v_dual_add_f32 v42, v42, v48
	v_fmac_f32_e32 v56, v49, v26
	v_mul_f32_e32 v48, v34, v27
	s_delay_alu instid0(VALU_DEP_4) | instskip(NEXT) | instid1(VALU_DEP_4)
	v_fma_f32 v47, v33, v24, -v57
	v_fmac_f32_e32 v25, v34, v24
	s_delay_alu instid0(VALU_DEP_4) | instskip(SKIP_1) | instid1(VALU_DEP_3)
	v_dual_mul_f32 v49, v33, v27 :: v_dual_add_f32 v46, v46, v56
	s_wait_dscnt 0x1
	v_dual_add_f32 v44, v44, v47 :: v_dual_mul_f32 v27, v51, v29
	v_fma_f32 v24, v33, v26, -v48
	v_add_f32_e32 v33, v45, v25
	v_fmac_f32_e32 v49, v34, v26
	v_mul_f32_e32 v34, v50, v29
	v_fma_f32 v45, v50, v28, -v27
	v_add_f32_e32 v41, v41, v24
	ds_load_2addr_b64 v[24:27], v22 offset0:192 offset1:208
	v_fmac_f32_e32 v34, v51, v28
	v_dual_mul_f32 v47, v51, v31 :: v_dual_add_f32 v48, v32, v49
	v_dual_add_f32 v3, v3, v45 :: v_dual_mul_f32 v32, v50, v31
	s_delay_alu instid0(VALU_DEP_3) | instskip(NEXT) | instid1(VALU_DEP_3)
	v_dual_add_f32 v43, v43, v34 :: v_dual_mul_f32 v34, v36, v29
	v_fma_f32 v45, v50, v30, -v47
	s_delay_alu instid0(VALU_DEP_3) | instskip(NEXT) | instid1(VALU_DEP_3)
	v_fmac_f32_e32 v32, v51, v30
	v_fma_f32 v34, v35, v28, -v34
	s_delay_alu instid0(VALU_DEP_3) | instskip(SKIP_1) | instid1(VALU_DEP_3)
	v_dual_add_f32 v42, v42, v45 :: v_dual_mul_f32 v45, v36, v31
	v_mul_f32_e32 v29, v35, v29
	v_dual_mul_f32 v31, v35, v31 :: v_dual_add_f32 v44, v44, v34
	s_delay_alu instid0(VALU_DEP_2) | instskip(SKIP_2) | instid1(VALU_DEP_4)
	v_fmac_f32_e32 v29, v36, v28
	v_add_f32_e32 v28, v46, v32
	v_fma_f32 v32, v35, v30, -v45
	v_fmac_f32_e32 v31, v36, v30
	s_wait_dscnt 0x0
	v_mul_f32_e32 v36, v52, v25
	v_dual_add_f32 v29, v33, v29 :: v_dual_mul_f32 v46, v52, v27
	v_add_f32_e32 v30, v41, v32
	ds_load_2addr_b64 v[32:35], v22 offset0:224 offset1:240
	v_dual_add_f32 v31, v48, v31 :: v_dual_fmac_f32 v36, v53, v24
	v_mul_f32_e32 v45, v53, v25
	v_fmac_f32_e32 v46, v53, v26
	s_wait_loadcnt_dscnt 0x0
	s_barrier_signal -1
	v_add_f32_e32 v36, v43, v36
	v_fma_f32 v41, v52, v24, -v45
	v_mul_f32_e32 v45, v53, v27
	v_mul_f32_e32 v43, v38, v27
	;; [unrolled: 1-line block ×3, first 2 shown]
	s_barrier_wait -1
	v_add_f32_e32 v3, v3, v41
	v_fma_f32 v45, v52, v26, -v45
	v_mul_f32_e32 v41, v38, v25
	v_fmac_f32_e32 v27, v38, v26
	global_inv scope:SCOPE_SE
	v_dual_add_f32 v42, v42, v45 :: v_dual_add_f32 v45, v28, v46
	v_fma_f32 v28, v37, v26, -v43
	v_mul_f32_e32 v25, v37, v25
	s_delay_alu instid0(VALU_DEP_1) | instskip(NEXT) | instid1(VALU_DEP_3)
	v_fmac_f32_e32 v25, v38, v24
	v_add_f32_e32 v38, v30, v28
	v_mul_f32_e32 v28, v55, v35
	v_fma_f32 v41, v37, v24, -v41
	v_mul_f32_e32 v37, v55, v33
	s_delay_alu instid0(VALU_DEP_2) | instskip(NEXT) | instid1(VALU_DEP_2)
	v_add_f32_e32 v24, v44, v41
	v_fma_f32 v26, v54, v32, -v37
	v_add_f32_e32 v37, v31, v27
	v_mul_f32_e32 v27, v39, v33
	s_delay_alu instid0(VALU_DEP_3) | instskip(SKIP_4) | instid1(VALU_DEP_4)
	v_add_f32_e32 v30, v3, v26
	v_fma_f32 v3, v54, v34, -v28
	v_mul_f32_e32 v26, v40, v33
	v_add_f32_e32 v25, v29, v25
	v_mul_f32_e32 v29, v54, v35
	v_dual_fmac_f32 v27, v40, v32 :: v_dual_add_f32 v28, v42, v3
	s_delay_alu instid0(VALU_DEP_4) | instskip(SKIP_3) | instid1(VALU_DEP_4)
	v_fma_f32 v3, v39, v32, -v26
	v_mul_f32_e32 v41, v54, v33
	v_mul_f32_e32 v33, v40, v35
	;; [unrolled: 1-line block ×3, first 2 shown]
	v_dual_fmac_f32 v29, v55, v34 :: v_dual_add_f32 v26, v24, v3
	s_delay_alu instid0(VALU_DEP_4) | instskip(NEXT) | instid1(VALU_DEP_4)
	v_fmac_f32_e32 v41, v55, v32
	v_fma_f32 v32, v39, v34, -v33
	s_delay_alu instid0(VALU_DEP_4) | instskip(NEXT) | instid1(VALU_DEP_4)
	v_fmac_f32_e32 v35, v40, v34
	v_add_f32_e32 v29, v45, v29
	v_add_f32_e32 v27, v25, v27
	;; [unrolled: 1-line block ×3, first 2 shown]
	s_delay_alu instid0(VALU_DEP_4)
	v_dual_add_f32 v25, v38, v32 :: v_dual_add_f32 v24, v37, v35
	s_cbranch_scc0 .LBB82_19
.LBB82_11:                              ;   Parent Loop BB82_8 Depth=1
                                        ; =>  This Inner Loop Header: Depth=2
	s_wait_alu 0xfffe
	v_add_nc_u32_e32 v3, s0, v19
	s_delay_alu instid0(VALU_DEP_1)
	v_cmp_le_i32_e32 vcc_lo, s21, v3
	s_or_b32 s1, s14, vcc_lo
	s_wait_alu 0xfffe
	s_and_saveexec_b32 s28, s1
	s_wait_alu 0xfffe
	s_xor_b32 s1, exec_lo, s28
; %bb.12:                               ;   in Loop: Header=BB82_11 Depth=2
	v_mov_b32_e32 v3, v2
	ds_store_b64 v20, v[2:3]
; %bb.13:                               ;   in Loop: Header=BB82_11 Depth=2
	s_wait_alu 0xfffe
	s_and_not1_saveexec_b32 s1, s1
	s_cbranch_execz .LBB82_15
; %bb.14:                               ;   in Loop: Header=BB82_11 Depth=2
	global_load_b64 v[32:33], v[14:15], off
	s_wait_loadcnt 0x0
	ds_store_b64 v20, v[32:33]
.LBB82_15:                              ;   in Loop: Header=BB82_11 Depth=2
	s_wait_alu 0xfffe
	s_or_b32 exec_lo, exec_lo, s1
	v_add_nc_u32_e32 v3, s0, v18
	s_delay_alu instid0(VALU_DEP_1)
	v_cmp_le_i32_e32 vcc_lo, s21, v3
	s_or_b32 s1, vcc_lo, s15
	s_wait_alu 0xfffe
	s_and_saveexec_b32 s28, s1
	s_wait_alu 0xfffe
	s_xor_b32 s1, exec_lo, s28
; %bb.16:                               ;   in Loop: Header=BB82_11 Depth=2
	v_mov_b32_e32 v3, v2
	ds_store_b64 v21, v[2:3]
; %bb.17:                               ;   in Loop: Header=BB82_11 Depth=2
	s_wait_alu 0xfffe
	s_and_not1_saveexec_b32 s1, s1
	s_cbranch_execz .LBB82_10
; %bb.18:                               ;   in Loop: Header=BB82_11 Depth=2
	global_load_b64 v[32:33], v[16:17], off
	s_wait_loadcnt 0x0
	ds_store_b64 v21, v[32:33]
	s_branch .LBB82_10
.LBB82_19:                              ;   in Loop: Header=BB82_8 Depth=1
	s_mul_u64 s[0:1], s[26:27], s[24:25]
	s_wait_alu 0xfffe
	s_lshl_b64 s[0:1], s[0:1], 3
	s_wait_alu 0xfffe
	s_add_nc_u64 s[0:1], s[16:17], s[0:1]
	s_wait_alu 0xfffe
	v_add_co_u32 v3, vcc_lo, s0, v6
	s_wait_alu 0xfffd
	v_add_co_ci_u32_e64 v16, null, s1, v7, vcc_lo
	s_and_saveexec_b32 s28, s33
	s_cbranch_execz .LBB82_24
; %bb.20:                               ;   in Loop: Header=BB82_8 Depth=1
	v_mul_f32_e32 v15, s22, v31
	v_mul_f32_e32 v14, s23, v31
	s_and_b32 vcc_lo, exec_lo, s13
	s_mov_b32 s29, -1
	s_delay_alu instid0(VALU_DEP_2) | instskip(NEXT) | instid1(VALU_DEP_2)
	v_fmac_f32_e32 v15, s23, v30
	v_fma_f32 v14, v30, s22, -v14
	s_wait_alu 0xfffe
	s_cbranch_vccz .LBB82_22
; %bb.21:                               ;   in Loop: Header=BB82_8 Depth=1
	v_add_co_u32 v30, vcc_lo, v3, v10
	s_wait_alu 0xfffd
	v_add_co_ci_u32_e64 v31, null, v16, v11, vcc_lo
	s_mov_b32 s29, 0
	global_load_b64 v[32:33], v[30:31], off
	s_wait_loadcnt 0x0
	v_mul_f32_e32 v17, s11, v33
	v_mul_f32_e32 v33, s10, v33
	s_delay_alu instid0(VALU_DEP_2) | instskip(NEXT) | instid1(VALU_DEP_1)
	v_fma_f32 v17, v32, s10, -v17
	v_dual_fmac_f32 v33, s11, v32 :: v_dual_add_f32 v32, v14, v17
	s_delay_alu instid0(VALU_DEP_1)
	v_add_f32_e32 v33, v15, v33
	global_store_b64 v[30:31], v[32:33], off
.LBB82_22:                              ;   in Loop: Header=BB82_8 Depth=1
	s_wait_alu 0xfffe
	s_and_not1_b32 vcc_lo, exec_lo, s29
	s_wait_alu 0xfffe
	s_cbranch_vccnz .LBB82_24
; %bb.23:                               ;   in Loop: Header=BB82_8 Depth=1
	v_add_co_u32 v30, vcc_lo, v3, v10
	s_wait_alu 0xfffd
	v_add_co_ci_u32_e64 v31, null, v16, v11, vcc_lo
	global_store_b64 v[30:31], v[14:15], off
.LBB82_24:                              ;   in Loop: Header=BB82_8 Depth=1
	s_wait_alu 0xfffe
	s_or_b32 exec_lo, exec_lo, s28
	s_and_saveexec_b32 s28, s20
	s_cbranch_execz .LBB82_29
; %bb.25:                               ;   in Loop: Header=BB82_8 Depth=1
	v_mul_f32_e32 v15, s22, v29
	v_mul_f32_e32 v14, s23, v29
	s_and_not1_b32 vcc_lo, exec_lo, s13
	s_mov_b32 s29, -1
	s_delay_alu instid0(VALU_DEP_2) | instskip(NEXT) | instid1(VALU_DEP_2)
	v_fmac_f32_e32 v15, s23, v28
	v_fma_f32 v14, v28, s22, -v14
	s_wait_alu 0xfffe
	s_cbranch_vccnz .LBB82_27
; %bb.26:                               ;   in Loop: Header=BB82_8 Depth=1
	v_add_co_u32 v28, vcc_lo, v3, v12
	s_wait_alu 0xfffd
	v_add_co_ci_u32_e64 v29, null, v16, v13, vcc_lo
	s_mov_b32 s29, 0
	global_load_b64 v[30:31], v[28:29], off
	s_wait_loadcnt 0x0
	v_mul_f32_e32 v17, s11, v31
	s_delay_alu instid0(VALU_DEP_1) | instskip(SKIP_1) | instid1(VALU_DEP_1)
	v_fma_f32 v17, v30, s10, -v17
	v_mul_f32_e32 v31, s10, v31
	v_dual_fmac_f32 v31, s11, v30 :: v_dual_add_f32 v30, v14, v17
	s_delay_alu instid0(VALU_DEP_1)
	v_add_f32_e32 v31, v15, v31
	global_store_b64 v[28:29], v[30:31], off
.LBB82_27:                              ;   in Loop: Header=BB82_8 Depth=1
	s_wait_alu 0xfffe
	s_and_not1_b32 vcc_lo, exec_lo, s29
	s_wait_alu 0xfffe
	s_cbranch_vccnz .LBB82_29
; %bb.28:                               ;   in Loop: Header=BB82_8 Depth=1
	v_add_co_u32 v28, vcc_lo, v3, v12
	s_wait_alu 0xfffd
	v_add_co_ci_u32_e64 v29, null, v16, v13, vcc_lo
	global_store_b64 v[28:29], v[14:15], off
.LBB82_29:                              ;   in Loop: Header=BB82_8 Depth=1
	s_wait_alu 0xfffe
	s_or_b32 exec_lo, exec_lo, s28
	v_add_co_u32 v3, vcc_lo, s0, v8
	s_wait_alu 0xfffd
	v_add_co_ci_u32_e64 v16, null, s1, v9, vcc_lo
	s_and_saveexec_b32 s0, s18
	s_cbranch_execz .LBB82_34
; %bb.30:                               ;   in Loop: Header=BB82_8 Depth=1
	v_mul_f32_e32 v15, s22, v27
	v_mul_f32_e32 v14, s23, v27
	s_and_not1_b32 vcc_lo, exec_lo, s13
	s_mov_b32 s1, -1
	s_delay_alu instid0(VALU_DEP_2) | instskip(NEXT) | instid1(VALU_DEP_2)
	v_fmac_f32_e32 v15, s23, v26
	v_fma_f32 v14, v26, s22, -v14
	s_wait_alu 0xfffe
	s_cbranch_vccnz .LBB82_32
; %bb.31:                               ;   in Loop: Header=BB82_8 Depth=1
	v_add_co_u32 v26, vcc_lo, v3, v10
	s_wait_alu 0xfffd
	v_add_co_ci_u32_e64 v27, null, v16, v11, vcc_lo
	s_mov_b32 s1, 0
	global_load_b64 v[28:29], v[26:27], off
	s_wait_loadcnt 0x0
	v_mul_f32_e32 v17, s11, v29
	v_mul_f32_e32 v29, s10, v29
	s_delay_alu instid0(VALU_DEP_2) | instskip(NEXT) | instid1(VALU_DEP_1)
	v_fma_f32 v17, v28, s10, -v17
	v_dual_fmac_f32 v29, s11, v28 :: v_dual_add_f32 v28, v14, v17
	s_delay_alu instid0(VALU_DEP_1)
	v_add_f32_e32 v29, v15, v29
	global_store_b64 v[26:27], v[28:29], off
.LBB82_32:                              ;   in Loop: Header=BB82_8 Depth=1
	s_wait_alu 0xfffe
	s_and_not1_b32 vcc_lo, exec_lo, s1
	s_wait_alu 0xfffe
	s_cbranch_vccnz .LBB82_34
; %bb.33:                               ;   in Loop: Header=BB82_8 Depth=1
	v_add_co_u32 v26, vcc_lo, v3, v10
	s_wait_alu 0xfffd
	v_add_co_ci_u32_e64 v27, null, v16, v11, vcc_lo
	global_store_b64 v[26:27], v[14:15], off
.LBB82_34:                              ;   in Loop: Header=BB82_8 Depth=1
	s_wait_alu 0xfffe
	s_or_b32 exec_lo, exec_lo, s0
	s_and_saveexec_b32 s0, s34
	s_cbranch_execz .LBB82_7
; %bb.35:                               ;   in Loop: Header=BB82_8 Depth=1
	v_mul_f32_e32 v15, s22, v24
	v_mul_f32_e32 v14, s23, v24
	s_and_not1_b32 vcc_lo, exec_lo, s13
	s_mov_b32 s1, -1
	s_delay_alu instid0(VALU_DEP_2) | instskip(NEXT) | instid1(VALU_DEP_2)
	v_fmac_f32_e32 v15, s23, v25
	v_fma_f32 v14, v25, s22, -v14
	s_wait_alu 0xfffe
	s_cbranch_vccnz .LBB82_37
; %bb.36:                               ;   in Loop: Header=BB82_8 Depth=1
	v_add_co_u32 v24, vcc_lo, v3, v12
	s_wait_alu 0xfffd
	v_add_co_ci_u32_e64 v25, null, v16, v13, vcc_lo
	s_mov_b32 s1, 0
	global_load_b64 v[26:27], v[24:25], off
	s_wait_loadcnt 0x0
	v_mul_f32_e32 v17, s11, v27
	s_delay_alu instid0(VALU_DEP_1) | instskip(SKIP_1) | instid1(VALU_DEP_1)
	v_fma_f32 v17, v26, s10, -v17
	v_mul_f32_e32 v27, s10, v27
	v_dual_fmac_f32 v27, s11, v26 :: v_dual_add_f32 v26, v14, v17
	s_delay_alu instid0(VALU_DEP_1)
	v_add_f32_e32 v27, v15, v27
	global_store_b64 v[24:25], v[26:27], off
.LBB82_37:                              ;   in Loop: Header=BB82_8 Depth=1
	s_wait_alu 0xfffe
	s_and_not1_b32 vcc_lo, exec_lo, s1
	s_wait_alu 0xfffe
	s_cbranch_vccnz .LBB82_7
; %bb.38:                               ;   in Loop: Header=BB82_8 Depth=1
	v_add_co_u32 v24, vcc_lo, v3, v12
	s_wait_alu 0xfffd
	v_add_co_ci_u32_e64 v25, null, v16, v13, vcc_lo
	global_store_b64 v[24:25], v[14:15], off
	s_branch .LBB82_7
.LBB82_39:
	s_endpgm
	.section	.rodata,"a",@progbits
	.p2align	6, 0x0
	.amdhsa_kernel _ZL29rocblas_internal_gemmt_kernelIiLi16ELi32ELi8ELc78ELc84ELc76ELb0ELb0E19rocblas_complex_numIfEPKS1_S3_PS1_EviT_T9_T10_S5_lS7_S5_lS6_T11_S5_li
		.amdhsa_group_segment_fixed_size 4096
		.amdhsa_private_segment_fixed_size 0
		.amdhsa_kernarg_size 100
		.amdhsa_user_sgpr_count 2
		.amdhsa_user_sgpr_dispatch_ptr 0
		.amdhsa_user_sgpr_queue_ptr 0
		.amdhsa_user_sgpr_kernarg_segment_ptr 1
		.amdhsa_user_sgpr_dispatch_id 0
		.amdhsa_user_sgpr_private_segment_size 0
		.amdhsa_wavefront_size32 1
		.amdhsa_uses_dynamic_stack 0
		.amdhsa_enable_private_segment 0
		.amdhsa_system_sgpr_workgroup_id_x 1
		.amdhsa_system_sgpr_workgroup_id_y 1
		.amdhsa_system_sgpr_workgroup_id_z 1
		.amdhsa_system_sgpr_workgroup_info 0
		.amdhsa_system_vgpr_workitem_id 1
		.amdhsa_next_free_vgpr 69
		.amdhsa_next_free_sgpr 39
		.amdhsa_reserve_vcc 1
		.amdhsa_float_round_mode_32 0
		.amdhsa_float_round_mode_16_64 0
		.amdhsa_float_denorm_mode_32 3
		.amdhsa_float_denorm_mode_16_64 3
		.amdhsa_fp16_overflow 0
		.amdhsa_workgroup_processor_mode 1
		.amdhsa_memory_ordered 1
		.amdhsa_forward_progress 1
		.amdhsa_inst_pref_size 25
		.amdhsa_round_robin_scheduling 0
		.amdhsa_exception_fp_ieee_invalid_op 0
		.amdhsa_exception_fp_denorm_src 0
		.amdhsa_exception_fp_ieee_div_zero 0
		.amdhsa_exception_fp_ieee_overflow 0
		.amdhsa_exception_fp_ieee_underflow 0
		.amdhsa_exception_fp_ieee_inexact 0
		.amdhsa_exception_int_div_zero 0
	.end_amdhsa_kernel
	.section	.text._ZL29rocblas_internal_gemmt_kernelIiLi16ELi32ELi8ELc78ELc84ELc76ELb0ELb0E19rocblas_complex_numIfEPKS1_S3_PS1_EviT_T9_T10_S5_lS7_S5_lS6_T11_S5_li,"axG",@progbits,_ZL29rocblas_internal_gemmt_kernelIiLi16ELi32ELi8ELc78ELc84ELc76ELb0ELb0E19rocblas_complex_numIfEPKS1_S3_PS1_EviT_T9_T10_S5_lS7_S5_lS6_T11_S5_li,comdat
.Lfunc_end82:
	.size	_ZL29rocblas_internal_gemmt_kernelIiLi16ELi32ELi8ELc78ELc84ELc76ELb0ELb0E19rocblas_complex_numIfEPKS1_S3_PS1_EviT_T9_T10_S5_lS7_S5_lS6_T11_S5_li, .Lfunc_end82-_ZL29rocblas_internal_gemmt_kernelIiLi16ELi32ELi8ELc78ELc84ELc76ELb0ELb0E19rocblas_complex_numIfEPKS1_S3_PS1_EviT_T9_T10_S5_lS7_S5_lS6_T11_S5_li
                                        ; -- End function
	.set _ZL29rocblas_internal_gemmt_kernelIiLi16ELi32ELi8ELc78ELc84ELc76ELb0ELb0E19rocblas_complex_numIfEPKS1_S3_PS1_EviT_T9_T10_S5_lS7_S5_lS6_T11_S5_li.num_vgpr, 69
	.set _ZL29rocblas_internal_gemmt_kernelIiLi16ELi32ELi8ELc78ELc84ELc76ELb0ELb0E19rocblas_complex_numIfEPKS1_S3_PS1_EviT_T9_T10_S5_lS7_S5_lS6_T11_S5_li.num_agpr, 0
	.set _ZL29rocblas_internal_gemmt_kernelIiLi16ELi32ELi8ELc78ELc84ELc76ELb0ELb0E19rocblas_complex_numIfEPKS1_S3_PS1_EviT_T9_T10_S5_lS7_S5_lS6_T11_S5_li.numbered_sgpr, 39
	.set _ZL29rocblas_internal_gemmt_kernelIiLi16ELi32ELi8ELc78ELc84ELc76ELb0ELb0E19rocblas_complex_numIfEPKS1_S3_PS1_EviT_T9_T10_S5_lS7_S5_lS6_T11_S5_li.num_named_barrier, 0
	.set _ZL29rocblas_internal_gemmt_kernelIiLi16ELi32ELi8ELc78ELc84ELc76ELb0ELb0E19rocblas_complex_numIfEPKS1_S3_PS1_EviT_T9_T10_S5_lS7_S5_lS6_T11_S5_li.private_seg_size, 0
	.set _ZL29rocblas_internal_gemmt_kernelIiLi16ELi32ELi8ELc78ELc84ELc76ELb0ELb0E19rocblas_complex_numIfEPKS1_S3_PS1_EviT_T9_T10_S5_lS7_S5_lS6_T11_S5_li.uses_vcc, 1
	.set _ZL29rocblas_internal_gemmt_kernelIiLi16ELi32ELi8ELc78ELc84ELc76ELb0ELb0E19rocblas_complex_numIfEPKS1_S3_PS1_EviT_T9_T10_S5_lS7_S5_lS6_T11_S5_li.uses_flat_scratch, 0
	.set _ZL29rocblas_internal_gemmt_kernelIiLi16ELi32ELi8ELc78ELc84ELc76ELb0ELb0E19rocblas_complex_numIfEPKS1_S3_PS1_EviT_T9_T10_S5_lS7_S5_lS6_T11_S5_li.has_dyn_sized_stack, 0
	.set _ZL29rocblas_internal_gemmt_kernelIiLi16ELi32ELi8ELc78ELc84ELc76ELb0ELb0E19rocblas_complex_numIfEPKS1_S3_PS1_EviT_T9_T10_S5_lS7_S5_lS6_T11_S5_li.has_recursion, 0
	.set _ZL29rocblas_internal_gemmt_kernelIiLi16ELi32ELi8ELc78ELc84ELc76ELb0ELb0E19rocblas_complex_numIfEPKS1_S3_PS1_EviT_T9_T10_S5_lS7_S5_lS6_T11_S5_li.has_indirect_call, 0
	.section	.AMDGPU.csdata,"",@progbits
; Kernel info:
; codeLenInByte = 3152
; TotalNumSgprs: 41
; NumVgprs: 69
; ScratchSize: 0
; MemoryBound: 1
; FloatMode: 240
; IeeeMode: 1
; LDSByteSize: 4096 bytes/workgroup (compile time only)
; SGPRBlocks: 0
; VGPRBlocks: 8
; NumSGPRsForWavesPerEU: 41
; NumVGPRsForWavesPerEU: 69
; Occupancy: 16
; WaveLimiterHint : 0
; COMPUTE_PGM_RSRC2:SCRATCH_EN: 0
; COMPUTE_PGM_RSRC2:USER_SGPR: 2
; COMPUTE_PGM_RSRC2:TRAP_HANDLER: 0
; COMPUTE_PGM_RSRC2:TGID_X_EN: 1
; COMPUTE_PGM_RSRC2:TGID_Y_EN: 1
; COMPUTE_PGM_RSRC2:TGID_Z_EN: 1
; COMPUTE_PGM_RSRC2:TIDIG_COMP_CNT: 1
	.section	.text._ZL29rocblas_internal_gemmt_kernelIiLi16ELi32ELi8ELc78ELc67ELc76ELb0ELb1E19rocblas_complex_numIfEPKS1_S3_PS1_EviT_T9_T10_S5_lS7_S5_lS6_T11_S5_li,"axG",@progbits,_ZL29rocblas_internal_gemmt_kernelIiLi16ELi32ELi8ELc78ELc67ELc76ELb0ELb1E19rocblas_complex_numIfEPKS1_S3_PS1_EviT_T9_T10_S5_lS7_S5_lS6_T11_S5_li,comdat
	.globl	_ZL29rocblas_internal_gemmt_kernelIiLi16ELi32ELi8ELc78ELc67ELc76ELb0ELb1E19rocblas_complex_numIfEPKS1_S3_PS1_EviT_T9_T10_S5_lS7_S5_lS6_T11_S5_li ; -- Begin function _ZL29rocblas_internal_gemmt_kernelIiLi16ELi32ELi8ELc78ELc67ELc76ELb0ELb1E19rocblas_complex_numIfEPKS1_S3_PS1_EviT_T9_T10_S5_lS7_S5_lS6_T11_S5_li
	.p2align	8
	.type	_ZL29rocblas_internal_gemmt_kernelIiLi16ELi32ELi8ELc78ELc67ELc76ELb0ELb1E19rocblas_complex_numIfEPKS1_S3_PS1_EviT_T9_T10_S5_lS7_S5_lS6_T11_S5_li,@function
_ZL29rocblas_internal_gemmt_kernelIiLi16ELi32ELi8ELc78ELc67ELc76ELb0ELb1E19rocblas_complex_numIfEPKS1_S3_PS1_EviT_T9_T10_S5_lS7_S5_lS6_T11_S5_li: ; @_ZL29rocblas_internal_gemmt_kernelIiLi16ELi32ELi8ELc78ELc67ELc76ELb0ELb1E19rocblas_complex_numIfEPKS1_S3_PS1_EviT_T9_T10_S5_lS7_S5_lS6_T11_S5_li
; %bb.0:
	s_load_b128 s[8:11], s[0:1], 0x38
	s_wait_kmcnt 0x0
	s_load_b64 s[10:11], s[10:11], 0x0
	s_clause 0x1
	s_load_b128 s[4:7], s[0:1], 0x8
	s_load_b64 s[20:21], s[0:1], 0x0
	s_wait_kmcnt 0x0
	s_load_b64 s[22:23], s[4:5], 0x0
	s_cmp_eq_f32 s10, 1.0
	s_cselect_b32 s2, -1, 0
	s_and_b32 s3, s11, 0x7fffffff
	s_delay_alu instid0(SALU_CYCLE_1) | instskip(SKIP_1) | instid1(SALU_CYCLE_1)
	s_cmp_eq_u32 s3, 0
	s_cselect_b32 s3, -1, 0
	s_and_b32 s4, s2, s3
	s_mov_b32 s2, 0
	s_and_not1_b32 vcc_lo, exec_lo, s4
	s_mov_b32 s4, -1
	s_cbranch_vccnz .LBB83_4
; %bb.1:
	s_cmp_lg_u32 s21, 0
	s_cbranch_scc0 .LBB83_3
; %bb.2:
	s_wait_kmcnt 0x0
	s_cmp_neq_f32 s22, 0
	s_cselect_b32 s2, -1, 0
	s_cmp_neq_f32 s23, 0
	s_cselect_b32 s4, -1, 0
	s_delay_alu instid0(SALU_CYCLE_1)
	s_or_b32 s2, s2, s4
.LBB83_3:
	s_delay_alu instid0(SALU_CYCLE_1)
	s_mov_b32 s4, s2
.LBB83_4:
	s_delay_alu instid0(SALU_CYCLE_1)
	s_and_b32 vcc_lo, exec_lo, s4
	s_cbranch_vccz .LBB83_39
; %bb.5:
	s_load_b32 s19, s[0:1], 0x60
	s_lshr_b32 s24, ttmp7, 16
	s_wait_kmcnt 0x0
	s_cmp_ge_u32 s24, s19
	s_cbranch_scc1 .LBB83_39
; %bb.6:
	s_clause 0x2
	s_load_b32 s30, s[0:1], 0x18
	s_load_b32 s28, s[0:1], 0x30
	s_load_b128 s[12:15], s[0:1], 0x20
	v_and_b32_e32 v1, 0x3ff, v0
	v_bfe_u32 v2, v0, 10, 10
	v_and_b32_e32 v18, 7, v0
	s_clause 0x1
	s_load_b96 s[16:18], s[0:1], 0x48
	s_load_b64 s[26:27], s[0:1], 0x58
	s_lshl_b32 s1, ttmp7, 5
	s_lshl_b32 s0, ttmp9, 5
	v_lshl_add_u32 v0, v2, 4, v1
	s_and_b32 s1, s1, 0x1fffe0
	v_lshlrev_b32_e32 v3, 3, v18
	v_add_nc_u32_e32 v10, s0, v1
	v_add_nc_u32_e32 v4, s1, v2
	v_and_b32_e32 v5, 31, v0
	v_lshrrev_b32_e32 v6, 3, v0
	v_lshrrev_b32_e32 v19, 5, v0
	v_cmp_gt_i32_e64 s2, s20, v10
	v_add_nc_u32_e32 v12, 16, v10
	v_or_b32_e32 v0, s0, v5
	s_wait_kmcnt 0x0
	s_ashr_i32 s31, s30, 31
	s_ashr_i32 s29, s28, 31
	s_cmp_neq_f32 s22, 0
	v_add_nc_u32_e32 v14, s1, v6
	v_lshl_or_b32 v3, v6, 6, v3
	v_lshl_add_u32 v23, v2, 6, 0x800
	s_cselect_b32 s0, -1, 0
	s_cmp_neq_f32 s23, 0
	v_lshlrev_b32_e32 v5, 3, v5
	v_add_nc_u32_e32 v21, 0x800, v3
	v_mad_co_i64_i32 v[2:3], null, v19, s30, 0
	s_cselect_b32 s1, -1, 0
	v_lshlrev_b32_e32 v22, 3, v1
	s_wait_alu 0xfffe
	s_or_b32 s35, s0, s1
	s_cmp_gt_i32 s21, 0
	v_cmp_le_i32_e64 s1, v4, v10
	s_cselect_b32 s36, -1, 0
	s_cmp_neq_f32 s10, 0
	v_ashrrev_i32_e32 v1, 31, v0
	v_add_nc_u32_e32 v8, 16, v4
	v_cmp_gt_i32_e32 vcc_lo, s20, v0
	s_cselect_b32 s37, -1, 0
	s_xor_b32 s38, s3, -1
	s_and_b32 s33, s1, s2
	v_cmp_le_i32_e64 s1, v4, v12
	v_cmp_gt_i32_e64 s3, s20, v12
	v_lshl_or_b32 v20, v19, 8, v5
	v_mad_co_i64_i32 v[6:7], null, v4, s18, 0
	v_lshlrev_b64_e32 v[2:3], 3, v[2:3]
	v_lshlrev_b64_e32 v[0:1], 3, v[0:1]
	v_mad_co_i64_i32 v[4:5], null, s28, v18, 0
	v_cmp_gt_i32_e64 s0, s20, v14
	s_and_b32 s20, s1, s3
	v_cmp_le_i32_e64 s1, v8, v10
	v_cmp_le_i32_e64 s4, v8, v12
	v_mad_co_i64_i32 v[8:9], null, v8, s18, 0
	v_ashrrev_i32_e32 v11, 31, v10
	s_delay_alu instid0(VALU_DEP_4)
	s_and_b32 s18, s1, s2
	v_add_co_u32 v0, s1, v2, v0
	s_wait_alu 0xf1ff
	v_add_co_ci_u32_e64 v1, null, v3, v1, s1
	v_lshlrev_b64_e32 v[2:3], 3, v[4:5]
	v_lshlrev_b32_e32 v4, 3, v14
	v_add_co_u32 v0, s1, s6, v0
	s_wait_alu 0xf1ff
	v_add_co_ci_u32_e64 v1, null, s7, v1, s1
	s_delay_alu instid0(VALU_DEP_3) | instskip(SKIP_3) | instid1(VALU_DEP_3)
	v_add_co_u32 v2, s1, v2, v4
	s_wait_alu 0xf1ff
	v_add_co_ci_u32_e64 v3, null, 0, v3, s1
	v_ashrrev_i32_e32 v13, 31, v12
	v_add_co_u32 v4, s1, s14, v2
	s_wait_alu 0xf1ff
	s_delay_alu instid0(VALU_DEP_3) | instskip(SKIP_1) | instid1(VALU_DEP_3)
	v_add_co_ci_u32_e64 v3, null, s15, v3, s1
	v_lshlrev_b64_e32 v[6:7], 3, v[6:7]
	v_add_co_u32 v4, s1, v4, 4
	v_lshlrev_b64_e32 v[8:9], 3, v[8:9]
	v_lshlrev_b64_e32 v[10:11], 3, v[10:11]
	;; [unrolled: 1-line block ×3, first 2 shown]
	v_mov_b32_e32 v2, 0
	s_wait_alu 0xf1ff
	v_add_co_ci_u32_e64 v5, null, 0, v3, s1
	s_mov_b32 s25, 0
	s_and_b32 s34, s4, s3
	s_lshl_b64 s[2:3], s[12:13], 3
	s_lshl_b64 s[4:5], s[30:31], 6
	;; [unrolled: 1-line block ×3, first 2 shown]
	s_and_b32 s12, s35, s36
	s_or_b32 s13, s37, s38
	s_lshl_b64 s[8:9], s[28:29], 6
	s_xor_b32 s14, vcc_lo, -1
	s_xor_b32 s15, s0, -1
	s_branch .LBB83_8
.LBB83_7:                               ;   in Loop: Header=BB83_8 Depth=1
	s_wait_alu 0xfffe
	s_or_b32 exec_lo, exec_lo, s0
	s_add_co_i32 s24, s24, 0x10000
	s_wait_alu 0xfffe
	s_cmp_lt_u32 s24, s19
	s_cbranch_scc0 .LBB83_39
.LBB83_8:                               ; =>This Loop Header: Depth=1
                                        ;     Child Loop BB83_11 Depth 2
	v_dual_mov_b32 v30, v2 :: v_dual_mov_b32 v31, v2
	v_dual_mov_b32 v28, v2 :: v_dual_mov_b32 v29, v2
	;; [unrolled: 1-line block ×4, first 2 shown]
	s_and_not1_b32 vcc_lo, exec_lo, s12
	s_wait_alu 0xfffe
	s_cbranch_vccnz .LBB83_19
; %bb.9:                                ;   in Loop: Header=BB83_8 Depth=1
	v_mad_co_u64_u32 v[14:15], null, s2, s24, v[0:1]
	v_mad_co_u64_u32 v[16:17], null, s6, s24, v[4:5]
	v_dual_mov_b32 v25, 0 :: v_dual_mov_b32 v28, 0
	v_mov_b32_e32 v27, 0
	v_mov_b32_e32 v29, 0
	v_dual_mov_b32 v3, v15 :: v_dual_mov_b32 v24, 0
	v_dual_mov_b32 v15, v17 :: v_dual_mov_b32 v26, 0
	s_mov_b32 s0, 0
	s_delay_alu instid0(VALU_DEP_2) | instskip(NEXT) | instid1(VALU_DEP_2)
	v_mad_co_u64_u32 v[30:31], null, s3, s24, v[3:4]
	v_mad_co_u64_u32 v[32:33], null, s7, s24, v[15:16]
	v_mov_b32_e32 v31, 0
	s_delay_alu instid0(VALU_DEP_3) | instskip(NEXT) | instid1(VALU_DEP_3)
	v_dual_mov_b32 v15, v30 :: v_dual_mov_b32 v30, 0
	v_mov_b32_e32 v17, v32
	s_branch .LBB83_11
.LBB83_10:                              ;   in Loop: Header=BB83_11 Depth=2
	s_or_b32 exec_lo, exec_lo, s1
	ds_store_b32 v21, v3 offset:4
	s_wait_dscnt 0x0
	s_barrier_signal -1
	s_barrier_wait -1
	global_inv scope:SCOPE_SE
	ds_load_b128 v[32:35], v23
	ds_load_2addr_b64 v[36:39], v22 offset1:16
	ds_load_b128 v[40:43], v23 offset:1024
	ds_load_b128 v[44:47], v23 offset:16
	;; [unrolled: 1-line block ×4, first 2 shown]
	ds_load_2addr_b64 v[56:59], v22 offset0:32 offset1:48
	ds_load_b128 v[60:63], v23 offset:1040
	v_add_co_u32 v14, vcc_lo, v14, s4
	s_wait_alu 0xfffd
	v_add_co_ci_u32_e64 v15, null, s5, v15, vcc_lo
	v_add_co_u32 v16, vcc_lo, v16, s8
	s_wait_alu 0xfffd
	v_add_co_ci_u32_e64 v17, null, s9, v17, vcc_lo
	s_add_co_i32 s0, s0, 8
	s_wait_alu 0xfffe
	s_cmp_lt_i32 s0, s21
	s_wait_dscnt 0x6
	v_dual_mul_f32 v3, v33, v37 :: v_dual_mul_f32 v66, v32, v39
	v_dual_mul_f32 v64, v32, v37 :: v_dual_mul_f32 v65, v33, v39
	s_wait_dscnt 0x5
	v_mul_f32_e32 v68, v41, v39
	s_delay_alu instid0(VALU_DEP_3) | instskip(SKIP_3) | instid1(VALU_DEP_4)
	v_fma_f32 v3, v32, v36, -v3
	v_dual_mul_f32 v39, v40, v39 :: v_dual_fmac_f32 v66, v33, v38
	v_fmac_f32_e32 v64, v33, v36
	v_fma_f32 v32, v32, v38, -v65
	v_add_f32_e32 v3, v30, v3
	v_mul_f32_e32 v67, v41, v37
	s_delay_alu instid0(VALU_DEP_4) | instskip(NEXT) | instid1(VALU_DEP_4)
	v_dual_mul_f32 v37, v40, v37 :: v_dual_add_f32 v30, v31, v64
	v_add_f32_e32 v31, v28, v32
	v_fma_f32 v28, v40, v38, -v68
	s_delay_alu instid0(VALU_DEP_4) | instskip(NEXT) | instid1(VALU_DEP_4)
	v_fma_f32 v33, v40, v36, -v67
	v_fmac_f32_e32 v37, v41, v36
	s_wait_dscnt 0x1
	v_dual_add_f32 v29, v29, v66 :: v_dual_mul_f32 v36, v35, v57
	v_dual_fmac_f32 v39, v41, v38 :: v_dual_mul_f32 v40, v35, v59
	v_add_f32_e32 v32, v26, v33
	v_add_f32_e32 v33, v27, v37
	v_dual_add_f32 v37, v25, v28 :: v_dual_mul_f32 v38, v34, v57
	ds_load_2addr_b64 v[25:28], v22 offset0:64 offset1:80
	v_fma_f32 v36, v34, v56, -v36
	v_add_f32_e32 v24, v24, v39
	v_dual_mul_f32 v39, v34, v59 :: v_dual_fmac_f32 v38, v35, v56
	v_fma_f32 v34, v34, v58, -v40
	s_delay_alu instid0(VALU_DEP_4) | instskip(SKIP_1) | instid1(VALU_DEP_4)
	v_add_f32_e32 v3, v3, v36
	v_mul_f32_e32 v36, v43, v57
	v_fmac_f32_e32 v39, v35, v58
	v_add_f32_e32 v38, v30, v38
	v_mul_f32_e32 v30, v42, v57
	v_add_f32_e32 v34, v31, v34
	v_fma_f32 v31, v42, v56, -v36
	v_mul_f32_e32 v35, v43, v59
	v_add_f32_e32 v36, v29, v39
	v_dual_mul_f32 v39, v42, v59 :: v_dual_fmac_f32 v30, v43, v56
	s_delay_alu instid0(VALU_DEP_4) | instskip(NEXT) | instid1(VALU_DEP_4)
	v_add_f32_e32 v40, v32, v31
	v_fma_f32 v29, v42, v58, -v35
	s_wait_dscnt 0x0
	v_mul_f32_e32 v31, v45, v26
	v_fmac_f32_e32 v39, v43, v58
	v_add_f32_e32 v33, v33, v30
	v_add_f32_e32 v37, v37, v29
	v_mul_f32_e32 v42, v45, v28
	v_fma_f32 v41, v44, v25, -v31
	ds_load_2addr_b64 v[29:32], v22 offset0:96 offset1:112
	v_add_f32_e32 v39, v24, v39
	v_mul_f32_e32 v24, v44, v28
	v_mul_f32_e32 v35, v44, v26
	v_add_f32_e32 v3, v3, v41
	v_fma_f32 v41, v44, v27, -v42
	s_delay_alu instid0(VALU_DEP_4) | instskip(NEXT) | instid1(VALU_DEP_4)
	v_fmac_f32_e32 v24, v45, v27
	v_fmac_f32_e32 v35, v45, v25
	s_delay_alu instid0(VALU_DEP_3) | instskip(NEXT) | instid1(VALU_DEP_2)
	v_dual_add_f32 v34, v34, v41 :: v_dual_mul_f32 v41, v61, v28
	v_dual_mul_f32 v28, v60, v28 :: v_dual_add_f32 v35, v38, v35
	v_mul_f32_e32 v38, v61, v26
	v_mul_f32_e32 v26, v60, v26
	v_add_f32_e32 v42, v36, v24
	v_fma_f32 v24, v60, v27, -v41
	s_delay_alu instid0(VALU_DEP_4) | instskip(SKIP_2) | instid1(VALU_DEP_3)
	v_fma_f32 v38, v60, v25, -v38
	s_wait_dscnt 0x0
	v_dual_fmac_f32 v26, v61, v25 :: v_dual_mul_f32 v41, v47, v32
	v_add_f32_e32 v37, v37, v24
	s_delay_alu instid0(VALU_DEP_3) | instskip(NEXT) | instid1(VALU_DEP_3)
	v_dual_mul_f32 v45, v63, v32 :: v_dual_add_f32 v38, v40, v38
	v_add_f32_e32 v40, v33, v26
	v_mul_f32_e32 v33, v47, v30
	v_fma_f32 v41, v46, v31, -v41
	s_delay_alu instid0(VALU_DEP_2)
	v_fma_f32 v33, v46, v29, -v33
	v_fmac_f32_e32 v28, v61, v27
	ds_load_2addr_b64 v[24:27], v22 offset0:128 offset1:144
	v_add_f32_e32 v41, v34, v41
	v_dual_add_f32 v3, v3, v33 :: v_dual_mul_f32 v36, v46, v30
	v_add_f32_e32 v39, v39, v28
	v_dual_mul_f32 v28, v46, v32 :: v_dual_mul_f32 v33, v63, v30
	v_mul_f32_e32 v30, v62, v30
	v_mul_f32_e32 v32, v62, v32
	s_delay_alu instid0(VALU_DEP_3) | instskip(NEXT) | instid1(VALU_DEP_4)
	v_fmac_f32_e32 v28, v47, v31
	v_fma_f32 v44, v62, v29, -v33
	s_delay_alu instid0(VALU_DEP_4) | instskip(SKIP_1) | instid1(VALU_DEP_4)
	v_fmac_f32_e32 v30, v63, v29
	v_fmac_f32_e32 v36, v47, v29
	v_add_f32_e32 v42, v42, v28
	v_fma_f32 v28, v62, v31, -v45
	s_wait_dscnt 0x0
	v_mul_f32_e32 v47, v48, v25
	v_dual_mul_f32 v29, v49, v25 :: v_dual_mul_f32 v56, v48, v27
	s_delay_alu instid0(VALU_DEP_2)
	v_fmac_f32_e32 v47, v49, v24
	v_add_f32_e32 v45, v40, v30
	v_add_f32_e32 v43, v35, v36
	ds_load_b128 v[33:36], v23 offset:1056
	v_fmac_f32_e32 v32, v63, v31
	v_add_f32_e32 v46, v37, v28
	v_fma_f32 v37, v48, v24, -v29
	v_add_f32_e32 v44, v38, v44
	ds_load_2addr_b64 v[28:31], v22 offset0:160 offset1:176
	v_mul_f32_e32 v38, v49, v27
	v_add_f32_e32 v32, v39, v32
	v_add_f32_e32 v3, v3, v37
	;; [unrolled: 1-line block ×3, first 2 shown]
	s_delay_alu instid0(VALU_DEP_4)
	v_fma_f32 v48, v48, v26, -v38
	ds_load_b128 v[37:40], v23 offset:1072
	v_add_f32_e32 v41, v41, v48
	s_wait_dscnt 0x2
	v_mul_f32_e32 v57, v34, v25
	v_mul_f32_e32 v25, v33, v25
	v_fmac_f32_e32 v56, v49, v26
	v_mul_f32_e32 v48, v34, v27
	v_mul_f32_e32 v49, v33, v27
	v_fma_f32 v47, v33, v24, -v57
	v_fmac_f32_e32 v25, v34, v24
	s_wait_dscnt 0x1
	v_dual_add_f32 v42, v42, v56 :: v_dual_mul_f32 v27, v51, v29
	v_fma_f32 v24, v33, v26, -v48
	v_fmac_f32_e32 v49, v34, v26
	v_mul_f32_e32 v34, v50, v29
	v_dual_add_f32 v44, v44, v47 :: v_dual_add_f32 v33, v45, v25
	v_mul_f32_e32 v47, v51, v31
	s_delay_alu instid0(VALU_DEP_3)
	v_fmac_f32_e32 v34, v51, v28
	v_dual_add_f32 v45, v46, v24 :: v_dual_add_f32 v48, v32, v49
	v_fma_f32 v46, v50, v28, -v27
	ds_load_2addr_b64 v[24:27], v22 offset0:192 offset1:208
	v_dual_mul_f32 v32, v50, v31 :: v_dual_add_f32 v43, v43, v34
	v_dual_mul_f32 v34, v36, v29 :: v_dual_add_f32 v3, v3, v46
	v_fma_f32 v46, v50, v30, -v47
	v_mul_f32_e32 v29, v35, v29
	s_delay_alu instid0(VALU_DEP_3) | instskip(NEXT) | instid1(VALU_DEP_3)
	v_fma_f32 v34, v35, v28, -v34
	v_dual_add_f32 v41, v41, v46 :: v_dual_mul_f32 v46, v36, v31
	s_delay_alu instid0(VALU_DEP_3) | instskip(NEXT) | instid1(VALU_DEP_1)
	v_dual_fmac_f32 v32, v51, v30 :: v_dual_fmac_f32 v29, v36, v28
	v_dual_mul_f32 v31, v35, v31 :: v_dual_add_f32 v28, v42, v32
	s_delay_alu instid0(VALU_DEP_3) | instskip(NEXT) | instid1(VALU_DEP_3)
	v_fma_f32 v32, v35, v30, -v46
	v_dual_add_f32 v42, v44, v34 :: v_dual_add_f32 v29, v33, v29
	s_wait_dscnt 0x0
	v_mul_f32_e32 v46, v52, v27
	v_dual_mul_f32 v44, v53, v25 :: v_dual_fmac_f32 v31, v36, v30
	v_add_f32_e32 v30, v45, v32
	ds_load_2addr_b64 v[32:35], v22 offset0:224 offset1:240
	v_dual_mul_f32 v36, v52, v25 :: v_dual_mul_f32 v45, v53, v27
	v_fma_f32 v44, v52, v24, -v44
	v_dual_fmac_f32 v46, v53, v26 :: v_dual_add_f32 v31, v48, v31
	s_delay_alu instid0(VALU_DEP_3) | instskip(NEXT) | instid1(VALU_DEP_4)
	v_fmac_f32_e32 v36, v53, v24
	v_fma_f32 v45, v52, v26, -v45
	s_delay_alu instid0(VALU_DEP_4) | instskip(SKIP_2) | instid1(VALU_DEP_3)
	v_dual_add_f32 v3, v3, v44 :: v_dual_mul_f32 v44, v38, v25
	v_mul_f32_e32 v25, v37, v25
	s_wait_loadcnt_dscnt 0x0
	v_add_f32_e32 v41, v41, v45
	v_dual_add_f32 v45, v28, v46 :: v_dual_add_f32 v36, v43, v36
	v_fma_f32 v43, v37, v24, -v44
	v_mul_f32_e32 v44, v38, v27
	v_fmac_f32_e32 v25, v38, v24
	v_mul_f32_e32 v27, v37, v27
	s_barrier_signal -1
	v_add_f32_e32 v24, v42, v43
	v_fma_f32 v28, v37, v26, -v44
	v_mul_f32_e32 v37, v55, v33
	v_mul_f32_e32 v42, v54, v33
	v_add_f32_e32 v25, v29, v25
	v_fmac_f32_e32 v27, v38, v26
	v_add_f32_e32 v38, v30, v28
	v_fma_f32 v26, v54, v32, -v37
	v_fmac_f32_e32 v42, v55, v32
	v_mul_f32_e32 v28, v55, v35
	v_mul_f32_e32 v29, v54, v35
	v_add_f32_e32 v37, v31, v27
	v_add_f32_e32 v30, v3, v26
	;; [unrolled: 1-line block ×3, first 2 shown]
	v_fma_f32 v3, v54, v34, -v28
	v_dual_mul_f32 v26, v40, v33 :: v_dual_fmac_f32 v29, v55, v34
	s_barrier_wait -1
	global_inv scope:SCOPE_SE
	v_add_f32_e32 v28, v41, v3
	v_fma_f32 v3, v39, v32, -v26
	v_mul_f32_e32 v27, v39, v33
	v_mul_f32_e32 v33, v40, v35
	;; [unrolled: 1-line block ×3, first 2 shown]
	s_delay_alu instid0(VALU_DEP_4) | instskip(NEXT) | instid1(VALU_DEP_2)
	v_dual_add_f32 v29, v45, v29 :: v_dual_add_f32 v26, v24, v3
	v_fmac_f32_e32 v35, v40, v34
	v_fmac_f32_e32 v27, v40, v32
	v_fma_f32 v32, v39, v34, -v33
	s_delay_alu instid0(VALU_DEP_3) | instskip(NEXT) | instid1(VALU_DEP_3)
	v_add_f32_e32 v24, v37, v35
	v_add_f32_e32 v27, v25, v27
	s_delay_alu instid0(VALU_DEP_3)
	v_add_f32_e32 v25, v38, v32
	s_cbranch_scc0 .LBB83_19
.LBB83_11:                              ;   Parent Loop BB83_8 Depth=1
                                        ; =>  This Inner Loop Header: Depth=2
	s_wait_alu 0xfffe
	v_add_nc_u32_e32 v3, s0, v19
	s_delay_alu instid0(VALU_DEP_1)
	v_cmp_le_i32_e32 vcc_lo, s21, v3
	s_or_b32 s1, s14, vcc_lo
	s_wait_alu 0xfffe
	s_and_saveexec_b32 s28, s1
	s_wait_alu 0xfffe
	s_xor_b32 s1, exec_lo, s28
; %bb.12:                               ;   in Loop: Header=BB83_11 Depth=2
	v_mov_b32_e32 v3, v2
	ds_store_b64 v20, v[2:3]
; %bb.13:                               ;   in Loop: Header=BB83_11 Depth=2
	s_wait_alu 0xfffe
	s_and_not1_saveexec_b32 s1, s1
	s_cbranch_execz .LBB83_15
; %bb.14:                               ;   in Loop: Header=BB83_11 Depth=2
	global_load_b64 v[32:33], v[14:15], off
	s_wait_loadcnt 0x0
	ds_store_b64 v20, v[32:33]
.LBB83_15:                              ;   in Loop: Header=BB83_11 Depth=2
	s_wait_alu 0xfffe
	s_or_b32 exec_lo, exec_lo, s1
	v_add_nc_u32_e32 v3, s0, v18
	s_delay_alu instid0(VALU_DEP_1)
	v_cmp_le_i32_e32 vcc_lo, s21, v3
	s_or_b32 s1, vcc_lo, s15
	s_wait_alu 0xfffe
	s_and_saveexec_b32 s28, s1
	s_wait_alu 0xfffe
	s_xor_b32 s1, exec_lo, s28
; %bb.16:                               ;   in Loop: Header=BB83_11 Depth=2
	ds_store_b32 v21, v2
; %bb.17:                               ;   in Loop: Header=BB83_11 Depth=2
	s_wait_alu 0xfffe
	s_or_saveexec_b32 s1, s1
	v_mov_b32_e32 v3, 0
	s_wait_alu 0xfffe
	s_xor_b32 exec_lo, exec_lo, s1
	s_cbranch_execz .LBB83_10
; %bb.18:                               ;   in Loop: Header=BB83_11 Depth=2
	global_load_b64 v[32:33], v[16:17], off offset:-4
	s_wait_loadcnt 0x0
	v_xor_b32_e32 v3, 0x80000000, v33
	ds_store_b32 v21, v32
	s_branch .LBB83_10
.LBB83_19:                              ;   in Loop: Header=BB83_8 Depth=1
	s_mul_u64 s[0:1], s[26:27], s[24:25]
	s_wait_alu 0xfffe
	s_lshl_b64 s[0:1], s[0:1], 3
	s_wait_alu 0xfffe
	s_add_nc_u64 s[0:1], s[16:17], s[0:1]
	s_wait_alu 0xfffe
	v_add_co_u32 v3, vcc_lo, s0, v6
	s_wait_alu 0xfffd
	v_add_co_ci_u32_e64 v16, null, s1, v7, vcc_lo
	s_and_saveexec_b32 s28, s33
	s_cbranch_execz .LBB83_24
; %bb.20:                               ;   in Loop: Header=BB83_8 Depth=1
	v_mul_f32_e32 v15, s22, v31
	v_mul_f32_e32 v14, s23, v31
	s_and_b32 vcc_lo, exec_lo, s13
	s_mov_b32 s29, -1
	s_delay_alu instid0(VALU_DEP_2) | instskip(NEXT) | instid1(VALU_DEP_2)
	v_fmac_f32_e32 v15, s23, v30
	v_fma_f32 v14, v30, s22, -v14
	s_wait_alu 0xfffe
	s_cbranch_vccz .LBB83_22
; %bb.21:                               ;   in Loop: Header=BB83_8 Depth=1
	v_add_co_u32 v30, vcc_lo, v3, v10
	s_wait_alu 0xfffd
	v_add_co_ci_u32_e64 v31, null, v16, v11, vcc_lo
	s_mov_b32 s29, 0
	global_load_b64 v[32:33], v[30:31], off
	s_wait_loadcnt 0x0
	v_mul_f32_e32 v17, s11, v33
	v_mul_f32_e32 v33, s10, v33
	s_delay_alu instid0(VALU_DEP_2) | instskip(NEXT) | instid1(VALU_DEP_1)
	v_fma_f32 v17, v32, s10, -v17
	v_dual_fmac_f32 v33, s11, v32 :: v_dual_add_f32 v32, v14, v17
	s_delay_alu instid0(VALU_DEP_1)
	v_add_f32_e32 v33, v15, v33
	global_store_b64 v[30:31], v[32:33], off
.LBB83_22:                              ;   in Loop: Header=BB83_8 Depth=1
	s_wait_alu 0xfffe
	s_and_not1_b32 vcc_lo, exec_lo, s29
	s_wait_alu 0xfffe
	s_cbranch_vccnz .LBB83_24
; %bb.23:                               ;   in Loop: Header=BB83_8 Depth=1
	v_add_co_u32 v30, vcc_lo, v3, v10
	s_wait_alu 0xfffd
	v_add_co_ci_u32_e64 v31, null, v16, v11, vcc_lo
	global_store_b64 v[30:31], v[14:15], off
.LBB83_24:                              ;   in Loop: Header=BB83_8 Depth=1
	s_wait_alu 0xfffe
	s_or_b32 exec_lo, exec_lo, s28
	s_and_saveexec_b32 s28, s20
	s_cbranch_execz .LBB83_29
; %bb.25:                               ;   in Loop: Header=BB83_8 Depth=1
	v_mul_f32_e32 v15, s22, v29
	v_mul_f32_e32 v14, s23, v29
	s_and_not1_b32 vcc_lo, exec_lo, s13
	s_mov_b32 s29, -1
	s_delay_alu instid0(VALU_DEP_2) | instskip(NEXT) | instid1(VALU_DEP_2)
	v_fmac_f32_e32 v15, s23, v28
	v_fma_f32 v14, v28, s22, -v14
	s_wait_alu 0xfffe
	s_cbranch_vccnz .LBB83_27
; %bb.26:                               ;   in Loop: Header=BB83_8 Depth=1
	v_add_co_u32 v28, vcc_lo, v3, v12
	s_wait_alu 0xfffd
	v_add_co_ci_u32_e64 v29, null, v16, v13, vcc_lo
	s_mov_b32 s29, 0
	global_load_b64 v[30:31], v[28:29], off
	s_wait_loadcnt 0x0
	v_mul_f32_e32 v17, s11, v31
	s_delay_alu instid0(VALU_DEP_1) | instskip(SKIP_1) | instid1(VALU_DEP_1)
	v_fma_f32 v17, v30, s10, -v17
	v_mul_f32_e32 v31, s10, v31
	v_dual_fmac_f32 v31, s11, v30 :: v_dual_add_f32 v30, v14, v17
	s_delay_alu instid0(VALU_DEP_1)
	v_add_f32_e32 v31, v15, v31
	global_store_b64 v[28:29], v[30:31], off
.LBB83_27:                              ;   in Loop: Header=BB83_8 Depth=1
	s_wait_alu 0xfffe
	s_and_not1_b32 vcc_lo, exec_lo, s29
	s_wait_alu 0xfffe
	s_cbranch_vccnz .LBB83_29
; %bb.28:                               ;   in Loop: Header=BB83_8 Depth=1
	v_add_co_u32 v28, vcc_lo, v3, v12
	s_wait_alu 0xfffd
	v_add_co_ci_u32_e64 v29, null, v16, v13, vcc_lo
	global_store_b64 v[28:29], v[14:15], off
.LBB83_29:                              ;   in Loop: Header=BB83_8 Depth=1
	s_wait_alu 0xfffe
	s_or_b32 exec_lo, exec_lo, s28
	v_add_co_u32 v3, vcc_lo, s0, v8
	s_wait_alu 0xfffd
	v_add_co_ci_u32_e64 v16, null, s1, v9, vcc_lo
	s_and_saveexec_b32 s0, s18
	s_cbranch_execz .LBB83_34
; %bb.30:                               ;   in Loop: Header=BB83_8 Depth=1
	v_mul_f32_e32 v15, s22, v27
	v_mul_f32_e32 v14, s23, v27
	s_and_not1_b32 vcc_lo, exec_lo, s13
	s_mov_b32 s1, -1
	s_delay_alu instid0(VALU_DEP_2) | instskip(NEXT) | instid1(VALU_DEP_2)
	v_fmac_f32_e32 v15, s23, v26
	v_fma_f32 v14, v26, s22, -v14
	s_wait_alu 0xfffe
	s_cbranch_vccnz .LBB83_32
; %bb.31:                               ;   in Loop: Header=BB83_8 Depth=1
	v_add_co_u32 v26, vcc_lo, v3, v10
	s_wait_alu 0xfffd
	v_add_co_ci_u32_e64 v27, null, v16, v11, vcc_lo
	s_mov_b32 s1, 0
	global_load_b64 v[28:29], v[26:27], off
	s_wait_loadcnt 0x0
	v_mul_f32_e32 v17, s11, v29
	v_mul_f32_e32 v29, s10, v29
	s_delay_alu instid0(VALU_DEP_2) | instskip(NEXT) | instid1(VALU_DEP_1)
	v_fma_f32 v17, v28, s10, -v17
	v_dual_fmac_f32 v29, s11, v28 :: v_dual_add_f32 v28, v14, v17
	s_delay_alu instid0(VALU_DEP_1)
	v_add_f32_e32 v29, v15, v29
	global_store_b64 v[26:27], v[28:29], off
.LBB83_32:                              ;   in Loop: Header=BB83_8 Depth=1
	s_wait_alu 0xfffe
	s_and_not1_b32 vcc_lo, exec_lo, s1
	s_wait_alu 0xfffe
	s_cbranch_vccnz .LBB83_34
; %bb.33:                               ;   in Loop: Header=BB83_8 Depth=1
	v_add_co_u32 v26, vcc_lo, v3, v10
	s_wait_alu 0xfffd
	v_add_co_ci_u32_e64 v27, null, v16, v11, vcc_lo
	global_store_b64 v[26:27], v[14:15], off
.LBB83_34:                              ;   in Loop: Header=BB83_8 Depth=1
	s_wait_alu 0xfffe
	s_or_b32 exec_lo, exec_lo, s0
	s_and_saveexec_b32 s0, s34
	s_cbranch_execz .LBB83_7
; %bb.35:                               ;   in Loop: Header=BB83_8 Depth=1
	v_mul_f32_e32 v15, s22, v24
	v_mul_f32_e32 v14, s23, v24
	s_and_not1_b32 vcc_lo, exec_lo, s13
	s_mov_b32 s1, -1
	s_delay_alu instid0(VALU_DEP_2) | instskip(NEXT) | instid1(VALU_DEP_2)
	v_fmac_f32_e32 v15, s23, v25
	v_fma_f32 v14, v25, s22, -v14
	s_wait_alu 0xfffe
	s_cbranch_vccnz .LBB83_37
; %bb.36:                               ;   in Loop: Header=BB83_8 Depth=1
	v_add_co_u32 v24, vcc_lo, v3, v12
	s_wait_alu 0xfffd
	v_add_co_ci_u32_e64 v25, null, v16, v13, vcc_lo
	s_mov_b32 s1, 0
	global_load_b64 v[26:27], v[24:25], off
	s_wait_loadcnt 0x0
	v_mul_f32_e32 v17, s11, v27
	s_delay_alu instid0(VALU_DEP_1) | instskip(SKIP_1) | instid1(VALU_DEP_1)
	v_fma_f32 v17, v26, s10, -v17
	v_mul_f32_e32 v27, s10, v27
	v_dual_fmac_f32 v27, s11, v26 :: v_dual_add_f32 v26, v14, v17
	s_delay_alu instid0(VALU_DEP_1)
	v_add_f32_e32 v27, v15, v27
	global_store_b64 v[24:25], v[26:27], off
.LBB83_37:                              ;   in Loop: Header=BB83_8 Depth=1
	s_wait_alu 0xfffe
	s_and_not1_b32 vcc_lo, exec_lo, s1
	s_wait_alu 0xfffe
	s_cbranch_vccnz .LBB83_7
; %bb.38:                               ;   in Loop: Header=BB83_8 Depth=1
	v_add_co_u32 v24, vcc_lo, v3, v12
	s_wait_alu 0xfffd
	v_add_co_ci_u32_e64 v25, null, v16, v13, vcc_lo
	global_store_b64 v[24:25], v[14:15], off
	s_branch .LBB83_7
.LBB83_39:
	s_endpgm
	.section	.rodata,"a",@progbits
	.p2align	6, 0x0
	.amdhsa_kernel _ZL29rocblas_internal_gemmt_kernelIiLi16ELi32ELi8ELc78ELc67ELc76ELb0ELb1E19rocblas_complex_numIfEPKS1_S3_PS1_EviT_T9_T10_S5_lS7_S5_lS6_T11_S5_li
		.amdhsa_group_segment_fixed_size 4096
		.amdhsa_private_segment_fixed_size 0
		.amdhsa_kernarg_size 100
		.amdhsa_user_sgpr_count 2
		.amdhsa_user_sgpr_dispatch_ptr 0
		.amdhsa_user_sgpr_queue_ptr 0
		.amdhsa_user_sgpr_kernarg_segment_ptr 1
		.amdhsa_user_sgpr_dispatch_id 0
		.amdhsa_user_sgpr_private_segment_size 0
		.amdhsa_wavefront_size32 1
		.amdhsa_uses_dynamic_stack 0
		.amdhsa_enable_private_segment 0
		.amdhsa_system_sgpr_workgroup_id_x 1
		.amdhsa_system_sgpr_workgroup_id_y 1
		.amdhsa_system_sgpr_workgroup_id_z 1
		.amdhsa_system_sgpr_workgroup_info 0
		.amdhsa_system_vgpr_workitem_id 1
		.amdhsa_next_free_vgpr 69
		.amdhsa_next_free_sgpr 39
		.amdhsa_reserve_vcc 1
		.amdhsa_float_round_mode_32 0
		.amdhsa_float_round_mode_16_64 0
		.amdhsa_float_denorm_mode_32 3
		.amdhsa_float_denorm_mode_16_64 3
		.amdhsa_fp16_overflow 0
		.amdhsa_workgroup_processor_mode 1
		.amdhsa_memory_ordered 1
		.amdhsa_forward_progress 1
		.amdhsa_inst_pref_size 25
		.amdhsa_round_robin_scheduling 0
		.amdhsa_exception_fp_ieee_invalid_op 0
		.amdhsa_exception_fp_denorm_src 0
		.amdhsa_exception_fp_ieee_div_zero 0
		.amdhsa_exception_fp_ieee_overflow 0
		.amdhsa_exception_fp_ieee_underflow 0
		.amdhsa_exception_fp_ieee_inexact 0
		.amdhsa_exception_int_div_zero 0
	.end_amdhsa_kernel
	.section	.text._ZL29rocblas_internal_gemmt_kernelIiLi16ELi32ELi8ELc78ELc67ELc76ELb0ELb1E19rocblas_complex_numIfEPKS1_S3_PS1_EviT_T9_T10_S5_lS7_S5_lS6_T11_S5_li,"axG",@progbits,_ZL29rocblas_internal_gemmt_kernelIiLi16ELi32ELi8ELc78ELc67ELc76ELb0ELb1E19rocblas_complex_numIfEPKS1_S3_PS1_EviT_T9_T10_S5_lS7_S5_lS6_T11_S5_li,comdat
.Lfunc_end83:
	.size	_ZL29rocblas_internal_gemmt_kernelIiLi16ELi32ELi8ELc78ELc67ELc76ELb0ELb1E19rocblas_complex_numIfEPKS1_S3_PS1_EviT_T9_T10_S5_lS7_S5_lS6_T11_S5_li, .Lfunc_end83-_ZL29rocblas_internal_gemmt_kernelIiLi16ELi32ELi8ELc78ELc67ELc76ELb0ELb1E19rocblas_complex_numIfEPKS1_S3_PS1_EviT_T9_T10_S5_lS7_S5_lS6_T11_S5_li
                                        ; -- End function
	.set _ZL29rocblas_internal_gemmt_kernelIiLi16ELi32ELi8ELc78ELc67ELc76ELb0ELb1E19rocblas_complex_numIfEPKS1_S3_PS1_EviT_T9_T10_S5_lS7_S5_lS6_T11_S5_li.num_vgpr, 69
	.set _ZL29rocblas_internal_gemmt_kernelIiLi16ELi32ELi8ELc78ELc67ELc76ELb0ELb1E19rocblas_complex_numIfEPKS1_S3_PS1_EviT_T9_T10_S5_lS7_S5_lS6_T11_S5_li.num_agpr, 0
	.set _ZL29rocblas_internal_gemmt_kernelIiLi16ELi32ELi8ELc78ELc67ELc76ELb0ELb1E19rocblas_complex_numIfEPKS1_S3_PS1_EviT_T9_T10_S5_lS7_S5_lS6_T11_S5_li.numbered_sgpr, 39
	.set _ZL29rocblas_internal_gemmt_kernelIiLi16ELi32ELi8ELc78ELc67ELc76ELb0ELb1E19rocblas_complex_numIfEPKS1_S3_PS1_EviT_T9_T10_S5_lS7_S5_lS6_T11_S5_li.num_named_barrier, 0
	.set _ZL29rocblas_internal_gemmt_kernelIiLi16ELi32ELi8ELc78ELc67ELc76ELb0ELb1E19rocblas_complex_numIfEPKS1_S3_PS1_EviT_T9_T10_S5_lS7_S5_lS6_T11_S5_li.private_seg_size, 0
	.set _ZL29rocblas_internal_gemmt_kernelIiLi16ELi32ELi8ELc78ELc67ELc76ELb0ELb1E19rocblas_complex_numIfEPKS1_S3_PS1_EviT_T9_T10_S5_lS7_S5_lS6_T11_S5_li.uses_vcc, 1
	.set _ZL29rocblas_internal_gemmt_kernelIiLi16ELi32ELi8ELc78ELc67ELc76ELb0ELb1E19rocblas_complex_numIfEPKS1_S3_PS1_EviT_T9_T10_S5_lS7_S5_lS6_T11_S5_li.uses_flat_scratch, 0
	.set _ZL29rocblas_internal_gemmt_kernelIiLi16ELi32ELi8ELc78ELc67ELc76ELb0ELb1E19rocblas_complex_numIfEPKS1_S3_PS1_EviT_T9_T10_S5_lS7_S5_lS6_T11_S5_li.has_dyn_sized_stack, 0
	.set _ZL29rocblas_internal_gemmt_kernelIiLi16ELi32ELi8ELc78ELc67ELc76ELb0ELb1E19rocblas_complex_numIfEPKS1_S3_PS1_EviT_T9_T10_S5_lS7_S5_lS6_T11_S5_li.has_recursion, 0
	.set _ZL29rocblas_internal_gemmt_kernelIiLi16ELi32ELi8ELc78ELc67ELc76ELb0ELb1E19rocblas_complex_numIfEPKS1_S3_PS1_EviT_T9_T10_S5_lS7_S5_lS6_T11_S5_li.has_indirect_call, 0
	.section	.AMDGPU.csdata,"",@progbits
; Kernel info:
; codeLenInByte = 3180
; TotalNumSgprs: 41
; NumVgprs: 69
; ScratchSize: 0
; MemoryBound: 1
; FloatMode: 240
; IeeeMode: 1
; LDSByteSize: 4096 bytes/workgroup (compile time only)
; SGPRBlocks: 0
; VGPRBlocks: 8
; NumSGPRsForWavesPerEU: 41
; NumVGPRsForWavesPerEU: 69
; Occupancy: 16
; WaveLimiterHint : 0
; COMPUTE_PGM_RSRC2:SCRATCH_EN: 0
; COMPUTE_PGM_RSRC2:USER_SGPR: 2
; COMPUTE_PGM_RSRC2:TRAP_HANDLER: 0
; COMPUTE_PGM_RSRC2:TGID_X_EN: 1
; COMPUTE_PGM_RSRC2:TGID_Y_EN: 1
; COMPUTE_PGM_RSRC2:TGID_Z_EN: 1
; COMPUTE_PGM_RSRC2:TIDIG_COMP_CNT: 1
	.section	.text._ZL29rocblas_internal_gemmt_kernelIiLi16ELi32ELi8ELc84ELc78ELc76ELb0ELb0E19rocblas_complex_numIfEPKS1_S3_PS1_EviT_T9_T10_S5_lS7_S5_lS6_T11_S5_li,"axG",@progbits,_ZL29rocblas_internal_gemmt_kernelIiLi16ELi32ELi8ELc84ELc78ELc76ELb0ELb0E19rocblas_complex_numIfEPKS1_S3_PS1_EviT_T9_T10_S5_lS7_S5_lS6_T11_S5_li,comdat
	.globl	_ZL29rocblas_internal_gemmt_kernelIiLi16ELi32ELi8ELc84ELc78ELc76ELb0ELb0E19rocblas_complex_numIfEPKS1_S3_PS1_EviT_T9_T10_S5_lS7_S5_lS6_T11_S5_li ; -- Begin function _ZL29rocblas_internal_gemmt_kernelIiLi16ELi32ELi8ELc84ELc78ELc76ELb0ELb0E19rocblas_complex_numIfEPKS1_S3_PS1_EviT_T9_T10_S5_lS7_S5_lS6_T11_S5_li
	.p2align	8
	.type	_ZL29rocblas_internal_gemmt_kernelIiLi16ELi32ELi8ELc84ELc78ELc76ELb0ELb0E19rocblas_complex_numIfEPKS1_S3_PS1_EviT_T9_T10_S5_lS7_S5_lS6_T11_S5_li,@function
_ZL29rocblas_internal_gemmt_kernelIiLi16ELi32ELi8ELc84ELc78ELc76ELb0ELb0E19rocblas_complex_numIfEPKS1_S3_PS1_EviT_T9_T10_S5_lS7_S5_lS6_T11_S5_li: ; @_ZL29rocblas_internal_gemmt_kernelIiLi16ELi32ELi8ELc84ELc78ELc76ELb0ELb0E19rocblas_complex_numIfEPKS1_S3_PS1_EviT_T9_T10_S5_lS7_S5_lS6_T11_S5_li
; %bb.0:
	s_load_b128 s[8:11], s[0:1], 0x38
	s_wait_kmcnt 0x0
	s_load_b64 s[10:11], s[10:11], 0x0
	s_clause 0x1
	s_load_b128 s[4:7], s[0:1], 0x8
	s_load_b64 s[20:21], s[0:1], 0x0
	s_wait_kmcnt 0x0
	s_load_b64 s[22:23], s[4:5], 0x0
	s_cmp_eq_f32 s10, 1.0
	s_cselect_b32 s2, -1, 0
	s_and_b32 s3, s11, 0x7fffffff
	s_delay_alu instid0(SALU_CYCLE_1) | instskip(SKIP_1) | instid1(SALU_CYCLE_1)
	s_cmp_eq_u32 s3, 0
	s_cselect_b32 s3, -1, 0
	s_and_b32 s4, s2, s3
	s_mov_b32 s2, 0
	s_and_not1_b32 vcc_lo, exec_lo, s4
	s_mov_b32 s4, -1
	s_cbranch_vccnz .LBB84_4
; %bb.1:
	s_cmp_lg_u32 s21, 0
	s_cbranch_scc0 .LBB84_3
; %bb.2:
	s_wait_kmcnt 0x0
	s_cmp_neq_f32 s22, 0
	s_cselect_b32 s2, -1, 0
	s_cmp_neq_f32 s23, 0
	s_cselect_b32 s4, -1, 0
	s_delay_alu instid0(SALU_CYCLE_1)
	s_or_b32 s2, s2, s4
.LBB84_3:
	s_delay_alu instid0(SALU_CYCLE_1)
	s_mov_b32 s4, s2
.LBB84_4:
	s_delay_alu instid0(SALU_CYCLE_1)
	s_and_b32 vcc_lo, exec_lo, s4
	s_cbranch_vccz .LBB84_39
; %bb.5:
	s_load_b32 s19, s[0:1], 0x60
	s_lshr_b32 s24, ttmp7, 16
	s_wait_kmcnt 0x0
	s_cmp_ge_u32 s24, s19
	s_cbranch_scc1 .LBB84_39
; %bb.6:
	v_and_b32_e32 v1, 0x3ff, v0
	v_bfe_u32 v2, v0, 10, 10
	v_and_b32_e32 v18, 7, v0
	s_clause 0x2
	s_load_b32 s5, s[0:1], 0x18
	s_load_b128 s[12:15], s[0:1], 0x20
	s_load_b32 s29, s[0:1], 0x30
	s_lshl_b32 s2, ttmp7, 5
	s_lshl_b32 s4, ttmp9, 5
	v_lshl_add_u32 v0, v2, 4, v1
	s_and_b32 s2, s2, 0x1fffe0
	s_cmp_neq_f32 s22, 0
	s_clause 0x1
	s_load_b96 s[16:18], s[0:1], 0x48
	s_load_b64 s[26:27], s[0:1], 0x58
	v_lshlrev_b32_e32 v14, 3, v18
	v_lshrrev_b32_e32 v19, 5, v0
	v_lshrrev_b32_e32 v3, 3, v0
	v_and_b32_e32 v0, 31, v0
	s_cselect_b32 s25, -1, 0
	s_cmp_neq_f32 s23, 0
	v_add_nc_u32_e32 v10, s4, v1
	v_add_nc_u32_e32 v5, s2, v3
	v_or_b32_e32 v4, s4, v0
	v_lshlrev_b32_e32 v0, 3, v0
	s_cselect_b32 s0, -1, 0
	v_add_nc_u32_e32 v12, 16, v10
	s_or_b32 s30, s25, s0
	s_cmp_gt_i32 s21, 0
	v_lshl_or_b32 v20, v19, 8, v0
	v_lshl_or_b32 v0, v3, 6, v14
	v_add_nc_u32_e32 v3, s2, v2
	v_cmp_gt_i32_e64 s2, s20, v10
	s_cselect_b32 s31, -1, 0
	s_cmp_neq_f32 s10, 0
	v_add_nc_u32_e32 v21, 0x800, v0
	v_cmp_le_i32_e64 s1, v3, v10
	v_lshlrev_b32_e32 v22, 3, v1
	s_wait_kmcnt 0x0
	v_mad_co_i64_i32 v[0:1], null, s5, v4, 0
	v_lshl_add_u32 v23, v2, 6, 0x800
	s_cselect_b32 s33, -1, 0
	s_xor_b32 s34, s3, -1
	s_and_b32 s28, s1, s2
	v_cmp_le_i32_e64 s1, v3, v12
	v_cmp_gt_i32_e64 s3, s20, v12
	v_add_nc_u32_e32 v2, 16, v3
	v_cmp_gt_i32_e32 vcc_lo, s20, v4
	v_mad_co_i64_i32 v[6:7], null, v3, s18, 0
	v_mad_co_i64_i32 v[3:4], null, s29, v5, 0
	v_cmp_gt_i32_e64 s0, s20, v5
	s_and_b32 s20, s1, s3
	v_mad_co_i64_i32 v[8:9], null, v2, s18, 0
	v_cmp_le_i32_e64 s1, v2, v10
	v_cmp_le_i32_e64 s4, v2, v12
	v_lshlrev_b64_e32 v[1:2], 3, v[0:1]
	v_lshlrev_b32_e32 v15, 3, v19
	v_lshlrev_b64_e32 v[4:5], 3, v[3:4]
	s_and_b32 s18, s1, s2
	v_ashrrev_i32_e32 v11, 31, v10
	v_ashrrev_i32_e32 v13, 31, v12
	v_add_co_u32 v1, s1, v1, v15
	s_delay_alu instid0(VALU_DEP_1) | instskip(SKIP_1) | instid1(VALU_DEP_3)
	v_add_co_ci_u32_e64 v15, null, 0, v2, s1
	v_lshlrev_b64_e32 v[6:7], 3, v[6:7]
	v_add_co_u32 v2, s1, s6, v1
	s_wait_alu 0xf1ff
	s_delay_alu instid0(VALU_DEP_3) | instskip(SKIP_4) | instid1(VALU_DEP_3)
	v_add_co_ci_u32_e64 v3, null, s7, v15, s1
	v_add_co_u32 v1, s1, v4, v14
	s_wait_alu 0xf1ff
	v_add_co_ci_u32_e64 v5, null, 0, v5, s1
	v_lshlrev_b64_e32 v[8:9], 3, v[8:9]
	v_add_co_u32 v4, s1, s14, v1
	v_lshlrev_b64_e32 v[10:11], 3, v[10:11]
	v_lshlrev_b64_e32 v[12:13], 3, v[12:13]
	v_mov_b32_e32 v0, 0
	s_wait_alu 0xf1ff
	v_add_co_ci_u32_e64 v5, null, s15, v5, s1
	s_mov_b32 s25, 0
	s_and_b32 s29, s4, s3
	s_lshl_b64 s[2:3], s[12:13], 3
	s_and_b32 s6, s30, s31
	s_or_b32 s7, s33, s34
	s_lshl_b64 s[4:5], s[8:9], 3
	s_xor_b32 s8, vcc_lo, -1
	s_xor_b32 s9, s0, -1
	s_branch .LBB84_8
.LBB84_7:                               ;   in Loop: Header=BB84_8 Depth=1
	s_wait_alu 0xfffe
	s_or_b32 exec_lo, exec_lo, s0
	s_add_co_i32 s24, s24, 0x10000
	s_wait_alu 0xfffe
	s_cmp_lt_u32 s24, s19
	s_cbranch_scc0 .LBB84_39
.LBB84_8:                               ; =>This Loop Header: Depth=1
                                        ;     Child Loop BB84_11 Depth 2
	v_dual_mov_b32 v30, v0 :: v_dual_mov_b32 v31, v0
	v_dual_mov_b32 v28, v0 :: v_dual_mov_b32 v29, v0
	;; [unrolled: 1-line block ×4, first 2 shown]
	s_wait_alu 0xfffe
	s_and_not1_b32 vcc_lo, exec_lo, s6
	s_wait_alu 0xfffe
	s_cbranch_vccnz .LBB84_19
; %bb.9:                                ;   in Loop: Header=BB84_8 Depth=1
	v_mad_co_u64_u32 v[14:15], null, s2, s24, v[2:3]
	v_mad_co_u64_u32 v[16:17], null, s4, s24, v[4:5]
	v_dual_mov_b32 v25, 0 :: v_dual_mov_b32 v28, 0
	v_mov_b32_e32 v27, 0
	v_mov_b32_e32 v29, 0
	v_dual_mov_b32 v1, v15 :: v_dual_mov_b32 v24, 0
	v_dual_mov_b32 v15, v17 :: v_dual_mov_b32 v26, 0
	s_mov_b32 s0, 0
	s_delay_alu instid0(VALU_DEP_2) | instskip(NEXT) | instid1(VALU_DEP_2)
	v_mad_co_u64_u32 v[30:31], null, s3, s24, v[1:2]
	v_mad_co_u64_u32 v[32:33], null, s5, s24, v[15:16]
	v_mov_b32_e32 v31, 0
	s_delay_alu instid0(VALU_DEP_3) | instskip(NEXT) | instid1(VALU_DEP_3)
	v_dual_mov_b32 v15, v30 :: v_dual_mov_b32 v30, 0
	v_mov_b32_e32 v17, v32
	s_branch .LBB84_11
.LBB84_10:                              ;   in Loop: Header=BB84_11 Depth=2
	s_wait_alu 0xfffe
	s_or_b32 exec_lo, exec_lo, s1
	s_wait_dscnt 0x0
	s_barrier_signal -1
	s_barrier_wait -1
	global_inv scope:SCOPE_SE
	ds_load_b128 v[32:35], v23
	ds_load_2addr_b64 v[36:39], v22 offset1:16
	ds_load_b128 v[40:43], v23 offset:1024
	ds_load_b128 v[44:47], v23 offset:16
	;; [unrolled: 1-line block ×4, first 2 shown]
	ds_load_2addr_b64 v[56:59], v22 offset0:32 offset1:48
	ds_load_b128 v[60:63], v23 offset:1040
	v_add_co_u32 v14, vcc_lo, v14, 64
	s_wait_alu 0xfffd
	v_add_co_ci_u32_e64 v15, null, 0, v15, vcc_lo
	v_add_co_u32 v16, vcc_lo, v16, 64
	s_wait_alu 0xfffd
	v_add_co_ci_u32_e64 v17, null, 0, v17, vcc_lo
	s_add_co_i32 s0, s0, 8
	s_wait_alu 0xfffe
	s_cmp_lt_i32 s0, s21
	s_wait_dscnt 0x6
	v_dual_mul_f32 v1, v33, v37 :: v_dual_mul_f32 v66, v32, v39
	v_dual_mul_f32 v64, v32, v37 :: v_dual_mul_f32 v65, v33, v39
	s_wait_dscnt 0x5
	v_mul_f32_e32 v68, v41, v39
	s_delay_alu instid0(VALU_DEP_3) | instskip(SKIP_3) | instid1(VALU_DEP_4)
	v_fma_f32 v1, v32, v36, -v1
	v_dual_mul_f32 v39, v40, v39 :: v_dual_fmac_f32 v66, v33, v38
	v_fmac_f32_e32 v64, v33, v36
	v_fma_f32 v32, v32, v38, -v65
	v_add_f32_e32 v1, v30, v1
	v_mul_f32_e32 v67, v41, v37
	s_delay_alu instid0(VALU_DEP_4) | instskip(NEXT) | instid1(VALU_DEP_4)
	v_dual_mul_f32 v37, v40, v37 :: v_dual_add_f32 v30, v31, v64
	v_add_f32_e32 v31, v28, v32
	v_fmac_f32_e32 v39, v41, v38
	s_delay_alu instid0(VALU_DEP_4) | instskip(NEXT) | instid1(VALU_DEP_4)
	v_fma_f32 v33, v40, v36, -v67
	v_fmac_f32_e32 v37, v41, v36
	v_fma_f32 v36, v40, v38, -v68
	s_wait_dscnt 0x1
	v_dual_mul_f32 v38, v34, v57 :: v_dual_add_f32 v29, v29, v66
	v_mul_f32_e32 v40, v35, v59
	v_add_f32_e32 v32, v26, v33
	v_dual_add_f32 v33, v27, v37 :: v_dual_add_f32 v36, v25, v36
	ds_load_2addr_b64 v[25:28], v22 offset0:64 offset1:80
	v_fmac_f32_e32 v38, v35, v56
	v_dual_mul_f32 v37, v35, v57 :: v_dual_add_f32 v24, v24, v39
	v_mul_f32_e32 v39, v34, v59
	s_delay_alu instid0(VALU_DEP_3) | instskip(NEXT) | instid1(VALU_DEP_3)
	v_add_f32_e32 v38, v30, v38
	v_fma_f32 v37, v34, v56, -v37
	v_fma_f32 v34, v34, v58, -v40
	v_mul_f32_e32 v30, v42, v57
	s_delay_alu instid0(VALU_DEP_3) | instskip(SKIP_1) | instid1(VALU_DEP_4)
	v_add_f32_e32 v1, v1, v37
	v_mul_f32_e32 v37, v43, v57
	v_add_f32_e32 v34, v31, v34
	v_fmac_f32_e32 v39, v35, v58
	v_mul_f32_e32 v35, v43, v59
	v_fmac_f32_e32 v30, v43, v56
	v_fma_f32 v31, v42, v56, -v37
	s_delay_alu instid0(VALU_DEP_4) | instskip(SKIP_4) | instid1(VALU_DEP_3)
	v_add_f32_e32 v37, v29, v39
	v_mul_f32_e32 v39, v42, v59
	v_fma_f32 v29, v42, v58, -v35
	s_wait_dscnt 0x0
	v_dual_add_f32 v40, v32, v31 :: v_dual_mul_f32 v31, v45, v26
	v_dual_mul_f32 v42, v45, v28 :: v_dual_fmac_f32 v39, v43, v58
	v_mul_f32_e32 v35, v44, v26
	v_add_f32_e32 v36, v36, v29
	s_delay_alu instid0(VALU_DEP_3) | instskip(SKIP_3) | instid1(VALU_DEP_3)
	v_add_f32_e32 v39, v24, v39
	v_mul_f32_e32 v24, v44, v28
	v_fma_f32 v41, v44, v25, -v31
	v_fmac_f32_e32 v35, v45, v25
	v_fmac_f32_e32 v24, v45, v27
	s_delay_alu instid0(VALU_DEP_3)
	v_add_f32_e32 v1, v1, v41
	v_fma_f32 v41, v44, v27, -v42
	v_add_f32_e32 v33, v33, v30
	ds_load_2addr_b64 v[29:32], v22 offset0:96 offset1:112
	v_dual_add_f32 v35, v38, v35 :: v_dual_mul_f32 v38, v61, v26
	v_mul_f32_e32 v26, v60, v26
	v_dual_add_f32 v34, v34, v41 :: v_dual_mul_f32 v41, v61, v28
	v_mul_f32_e32 v28, v60, v28
	s_delay_alu instid0(VALU_DEP_4) | instskip(NEXT) | instid1(VALU_DEP_4)
	v_fma_f32 v38, v60, v25, -v38
	v_fmac_f32_e32 v26, v61, v25
	v_add_f32_e32 v37, v37, v24
	v_fma_f32 v24, v60, v27, -v41
	v_fmac_f32_e32 v28, v61, v27
	v_add_f32_e32 v38, v40, v38
	s_delay_alu instid0(VALU_DEP_3) | instskip(SKIP_4) | instid1(VALU_DEP_2)
	v_dual_add_f32 v40, v33, v26 :: v_dual_add_f32 v41, v36, v24
	ds_load_2addr_b64 v[24:27], v22 offset0:128 offset1:144
	s_wait_dscnt 0x1
	v_mul_f32_e32 v33, v47, v30
	v_dual_mul_f32 v36, v46, v30 :: v_dual_mul_f32 v45, v63, v32
	v_fma_f32 v33, v46, v29, -v33
	v_mul_f32_e32 v42, v47, v32
	s_delay_alu instid0(VALU_DEP_3) | instskip(NEXT) | instid1(VALU_DEP_3)
	v_fmac_f32_e32 v36, v47, v29
	v_add_f32_e32 v1, v1, v33
	s_delay_alu instid0(VALU_DEP_3) | instskip(SKIP_3) | instid1(VALU_DEP_4)
	v_fma_f32 v42, v46, v31, -v42
	v_add_f32_e32 v39, v39, v28
	v_dual_mul_f32 v28, v46, v32 :: v_dual_mul_f32 v33, v63, v30
	v_dual_add_f32 v43, v35, v36 :: v_dual_mul_f32 v30, v62, v30
	v_add_f32_e32 v42, v34, v42
	s_delay_alu instid0(VALU_DEP_3) | instskip(NEXT) | instid1(VALU_DEP_4)
	v_fmac_f32_e32 v28, v47, v31
	v_fma_f32 v44, v62, v29, -v33
	ds_load_b128 v[33:36], v23 offset:1056
	v_fmac_f32_e32 v30, v63, v29
	s_wait_dscnt 0x1
	v_mul_f32_e32 v29, v49, v25
	v_add_f32_e32 v46, v37, v28
	v_dual_mul_f32 v32, v62, v32 :: v_dual_mul_f32 v47, v48, v25
	v_mul_f32_e32 v56, v48, v27
	s_delay_alu instid0(VALU_DEP_4)
	v_fma_f32 v37, v48, v24, -v29
	v_add_f32_e32 v44, v38, v44
	v_mul_f32_e32 v38, v49, v27
	v_fma_f32 v28, v62, v31, -v45
	v_dual_fmac_f32 v32, v63, v31 :: v_dual_fmac_f32 v47, v49, v24
	v_add_f32_e32 v1, v1, v37
	s_delay_alu instid0(VALU_DEP_4) | instskip(NEXT) | instid1(VALU_DEP_4)
	v_fma_f32 v48, v48, v26, -v38
	v_add_f32_e32 v41, v41, v28
	v_add_f32_e32 v45, v40, v30
	ds_load_2addr_b64 v[28:31], v22 offset0:160 offset1:176
	v_add_f32_e32 v32, v39, v32
	ds_load_b128 v[37:40], v23 offset:1072
	s_wait_dscnt 0x2
	v_mul_f32_e32 v57, v34, v25
	v_dual_mul_f32 v25, v33, v25 :: v_dual_add_f32 v42, v42, v48
	v_mul_f32_e32 v48, v34, v27
	v_dual_add_f32 v43, v43, v47 :: v_dual_fmac_f32 v56, v49, v26
	s_delay_alu instid0(VALU_DEP_4) | instskip(NEXT) | instid1(VALU_DEP_4)
	v_fma_f32 v47, v33, v24, -v57
	v_fmac_f32_e32 v25, v34, v24
	v_mul_f32_e32 v49, v33, v27
	s_delay_alu instid0(VALU_DEP_3) | instskip(SKIP_1) | instid1(VALU_DEP_3)
	v_add_f32_e32 v44, v44, v47
	v_add_f32_e32 v46, v46, v56
	v_fmac_f32_e32 v49, v34, v26
	s_wait_dscnt 0x1
	v_mul_f32_e32 v27, v51, v29
	v_fma_f32 v24, v33, v26, -v48
	v_add_f32_e32 v33, v45, v25
	v_mul_f32_e32 v34, v50, v29
	s_delay_alu instid0(VALU_DEP_4) | instskip(NEXT) | instid1(VALU_DEP_4)
	v_fma_f32 v45, v50, v28, -v27
	v_add_f32_e32 v41, v41, v24
	ds_load_2addr_b64 v[24:27], v22 offset0:192 offset1:208
	v_fmac_f32_e32 v34, v51, v28
	v_dual_mul_f32 v47, v51, v31 :: v_dual_add_f32 v48, v32, v49
	v_dual_add_f32 v1, v1, v45 :: v_dual_mul_f32 v32, v50, v31
	s_delay_alu instid0(VALU_DEP_3) | instskip(NEXT) | instid1(VALU_DEP_3)
	v_dual_add_f32 v43, v43, v34 :: v_dual_mul_f32 v34, v36, v29
	v_fma_f32 v45, v50, v30, -v47
	s_delay_alu instid0(VALU_DEP_3) | instskip(NEXT) | instid1(VALU_DEP_3)
	v_fmac_f32_e32 v32, v51, v30
	v_fma_f32 v34, v35, v28, -v34
	s_delay_alu instid0(VALU_DEP_3) | instskip(SKIP_1) | instid1(VALU_DEP_3)
	v_dual_add_f32 v42, v42, v45 :: v_dual_mul_f32 v45, v36, v31
	v_mul_f32_e32 v29, v35, v29
	v_dual_mul_f32 v31, v35, v31 :: v_dual_add_f32 v44, v44, v34
	s_delay_alu instid0(VALU_DEP_2) | instskip(SKIP_2) | instid1(VALU_DEP_4)
	v_fmac_f32_e32 v29, v36, v28
	v_add_f32_e32 v28, v46, v32
	v_fma_f32 v32, v35, v30, -v45
	v_fmac_f32_e32 v31, v36, v30
	s_wait_dscnt 0x0
	v_mul_f32_e32 v36, v52, v25
	v_dual_add_f32 v29, v33, v29 :: v_dual_mul_f32 v46, v52, v27
	v_add_f32_e32 v30, v41, v32
	ds_load_2addr_b64 v[32:35], v22 offset0:224 offset1:240
	v_dual_add_f32 v31, v48, v31 :: v_dual_fmac_f32 v36, v53, v24
	v_mul_f32_e32 v45, v53, v25
	v_fmac_f32_e32 v46, v53, v26
	s_wait_loadcnt_dscnt 0x0
	s_barrier_signal -1
	v_add_f32_e32 v36, v43, v36
	v_fma_f32 v41, v52, v24, -v45
	v_mul_f32_e32 v45, v53, v27
	v_mul_f32_e32 v43, v38, v27
	;; [unrolled: 1-line block ×3, first 2 shown]
	s_barrier_wait -1
	global_inv scope:SCOPE_SE
	v_fma_f32 v45, v52, v26, -v45
	v_fmac_f32_e32 v27, v38, v26
	s_delay_alu instid0(VALU_DEP_2) | instskip(SKIP_4) | instid1(VALU_DEP_1)
	v_dual_add_f32 v42, v42, v45 :: v_dual_add_f32 v45, v28, v46
	v_fma_f32 v28, v37, v26, -v43
	v_add_f32_e32 v1, v1, v41
	v_mul_f32_e32 v41, v38, v25
	v_mul_f32_e32 v25, v37, v25
	v_fmac_f32_e32 v25, v38, v24
	v_add_f32_e32 v38, v30, v28
	v_mul_f32_e32 v28, v55, v35
	v_fma_f32 v41, v37, v24, -v41
	v_mul_f32_e32 v37, v55, v33
	s_delay_alu instid0(VALU_DEP_2) | instskip(NEXT) | instid1(VALU_DEP_2)
	v_add_f32_e32 v24, v44, v41
	v_fma_f32 v26, v54, v32, -v37
	v_add_f32_e32 v25, v29, v25
	s_delay_alu instid0(VALU_DEP_2) | instskip(SKIP_1) | instid1(VALU_DEP_2)
	v_dual_mul_f32 v29, v54, v35 :: v_dual_add_f32 v30, v1, v26
	v_fma_f32 v1, v54, v34, -v28
	v_dual_mul_f32 v26, v40, v33 :: v_dual_fmac_f32 v29, v55, v34
	s_delay_alu instid0(VALU_DEP_2) | instskip(NEXT) | instid1(VALU_DEP_2)
	v_add_f32_e32 v28, v42, v1
	v_fma_f32 v1, v39, v32, -v26
	s_delay_alu instid0(VALU_DEP_3) | instskip(NEXT) | instid1(VALU_DEP_2)
	v_add_f32_e32 v29, v45, v29
	v_dual_add_f32 v26, v24, v1 :: v_dual_add_f32 v37, v31, v27
	v_mul_f32_e32 v41, v54, v33
	v_mul_f32_e32 v27, v39, v33
	;; [unrolled: 1-line block ×4, first 2 shown]
	s_delay_alu instid0(VALU_DEP_3) | instskip(NEXT) | instid1(VALU_DEP_2)
	v_fmac_f32_e32 v27, v40, v32
	v_fmac_f32_e32 v35, v40, v34
	s_delay_alu instid0(VALU_DEP_2) | instskip(NEXT) | instid1(VALU_DEP_2)
	v_add_f32_e32 v27, v25, v27
	v_dual_add_f32 v24, v37, v35 :: v_dual_fmac_f32 v41, v55, v32
	v_fma_f32 v32, v39, v34, -v33
	s_delay_alu instid0(VALU_DEP_2) | instskip(NEXT) | instid1(VALU_DEP_2)
	v_add_f32_e32 v31, v36, v41
	v_add_f32_e32 v25, v38, v32
	s_cbranch_scc0 .LBB84_19
.LBB84_11:                              ;   Parent Loop BB84_8 Depth=1
                                        ; =>  This Inner Loop Header: Depth=2
	s_wait_alu 0xfffe
	v_add_nc_u32_e32 v1, s0, v19
	s_delay_alu instid0(VALU_DEP_1) | instskip(SKIP_3) | instid1(SALU_CYCLE_1)
	v_cmp_le_i32_e32 vcc_lo, s21, v1
	s_or_b32 s1, s8, vcc_lo
	s_wait_alu 0xfffe
	s_and_saveexec_b32 s12, s1
	s_xor_b32 s1, exec_lo, s12
; %bb.12:                               ;   in Loop: Header=BB84_11 Depth=2
	v_mov_b32_e32 v1, v0
	ds_store_b64 v20, v[0:1]
; %bb.13:                               ;   in Loop: Header=BB84_11 Depth=2
	s_wait_alu 0xfffe
	s_and_not1_saveexec_b32 s1, s1
	s_cbranch_execz .LBB84_15
; %bb.14:                               ;   in Loop: Header=BB84_11 Depth=2
	global_load_b64 v[32:33], v[14:15], off
	s_wait_loadcnt 0x0
	ds_store_b64 v20, v[32:33]
.LBB84_15:                              ;   in Loop: Header=BB84_11 Depth=2
	s_wait_alu 0xfffe
	s_or_b32 exec_lo, exec_lo, s1
	v_add_nc_u32_e32 v1, s0, v18
	s_delay_alu instid0(VALU_DEP_1) | instskip(SKIP_3) | instid1(SALU_CYCLE_1)
	v_cmp_le_i32_e32 vcc_lo, s21, v1
	s_or_b32 s1, vcc_lo, s9
	s_wait_alu 0xfffe
	s_and_saveexec_b32 s12, s1
	s_xor_b32 s1, exec_lo, s12
; %bb.16:                               ;   in Loop: Header=BB84_11 Depth=2
	v_mov_b32_e32 v1, v0
	ds_store_b64 v21, v[0:1]
; %bb.17:                               ;   in Loop: Header=BB84_11 Depth=2
	s_wait_alu 0xfffe
	s_and_not1_saveexec_b32 s1, s1
	s_cbranch_execz .LBB84_10
; %bb.18:                               ;   in Loop: Header=BB84_11 Depth=2
	global_load_b64 v[32:33], v[16:17], off
	s_wait_loadcnt 0x0
	ds_store_b64 v21, v[32:33]
	s_branch .LBB84_10
.LBB84_19:                              ;   in Loop: Header=BB84_8 Depth=1
	s_mul_u64 s[0:1], s[26:27], s[24:25]
	s_wait_alu 0xfffe
	s_lshl_b64 s[0:1], s[0:1], 3
	s_wait_alu 0xfffe
	s_add_nc_u64 s[0:1], s[16:17], s[0:1]
	s_wait_alu 0xfffe
	v_add_co_u32 v1, vcc_lo, s0, v6
	s_wait_alu 0xfffd
	v_add_co_ci_u32_e64 v16, null, s1, v7, vcc_lo
	s_and_saveexec_b32 s12, s28
	s_cbranch_execz .LBB84_24
; %bb.20:                               ;   in Loop: Header=BB84_8 Depth=1
	v_mul_f32_e32 v15, s22, v31
	v_mul_f32_e32 v14, s23, v31
	s_and_b32 vcc_lo, exec_lo, s7
	s_mov_b32 s13, -1
	s_delay_alu instid0(VALU_DEP_2) | instskip(NEXT) | instid1(VALU_DEP_2)
	v_fmac_f32_e32 v15, s23, v30
	v_fma_f32 v14, v30, s22, -v14
	s_wait_alu 0xfffe
	s_cbranch_vccz .LBB84_22
; %bb.21:                               ;   in Loop: Header=BB84_8 Depth=1
	v_add_co_u32 v30, vcc_lo, v1, v10
	s_wait_alu 0xfffd
	v_add_co_ci_u32_e64 v31, null, v16, v11, vcc_lo
	s_mov_b32 s13, 0
	global_load_b64 v[32:33], v[30:31], off
	s_wait_loadcnt 0x0
	v_mul_f32_e32 v17, s11, v33
	v_mul_f32_e32 v33, s10, v33
	s_delay_alu instid0(VALU_DEP_2) | instskip(NEXT) | instid1(VALU_DEP_1)
	v_fma_f32 v17, v32, s10, -v17
	v_dual_fmac_f32 v33, s11, v32 :: v_dual_add_f32 v32, v14, v17
	s_delay_alu instid0(VALU_DEP_1)
	v_add_f32_e32 v33, v15, v33
	global_store_b64 v[30:31], v[32:33], off
.LBB84_22:                              ;   in Loop: Header=BB84_8 Depth=1
	s_and_not1_b32 vcc_lo, exec_lo, s13
	s_wait_alu 0xfffe
	s_cbranch_vccnz .LBB84_24
; %bb.23:                               ;   in Loop: Header=BB84_8 Depth=1
	v_add_co_u32 v30, vcc_lo, v1, v10
	s_wait_alu 0xfffd
	v_add_co_ci_u32_e64 v31, null, v16, v11, vcc_lo
	global_store_b64 v[30:31], v[14:15], off
.LBB84_24:                              ;   in Loop: Header=BB84_8 Depth=1
	s_or_b32 exec_lo, exec_lo, s12
	s_and_saveexec_b32 s12, s20
	s_cbranch_execz .LBB84_29
; %bb.25:                               ;   in Loop: Header=BB84_8 Depth=1
	v_mul_f32_e32 v15, s22, v29
	v_mul_f32_e32 v14, s23, v29
	s_and_not1_b32 vcc_lo, exec_lo, s7
	s_mov_b32 s13, -1
	s_delay_alu instid0(VALU_DEP_2) | instskip(NEXT) | instid1(VALU_DEP_2)
	v_fmac_f32_e32 v15, s23, v28
	v_fma_f32 v14, v28, s22, -v14
	s_wait_alu 0xfffe
	s_cbranch_vccnz .LBB84_27
; %bb.26:                               ;   in Loop: Header=BB84_8 Depth=1
	v_add_co_u32 v28, vcc_lo, v1, v12
	s_wait_alu 0xfffd
	v_add_co_ci_u32_e64 v29, null, v16, v13, vcc_lo
	s_mov_b32 s13, 0
	global_load_b64 v[30:31], v[28:29], off
	s_wait_loadcnt 0x0
	v_mul_f32_e32 v17, s11, v31
	s_delay_alu instid0(VALU_DEP_1) | instskip(SKIP_1) | instid1(VALU_DEP_1)
	v_fma_f32 v17, v30, s10, -v17
	v_mul_f32_e32 v31, s10, v31
	v_dual_fmac_f32 v31, s11, v30 :: v_dual_add_f32 v30, v14, v17
	s_delay_alu instid0(VALU_DEP_1)
	v_add_f32_e32 v31, v15, v31
	global_store_b64 v[28:29], v[30:31], off
.LBB84_27:                              ;   in Loop: Header=BB84_8 Depth=1
	s_and_not1_b32 vcc_lo, exec_lo, s13
	s_wait_alu 0xfffe
	s_cbranch_vccnz .LBB84_29
; %bb.28:                               ;   in Loop: Header=BB84_8 Depth=1
	v_add_co_u32 v28, vcc_lo, v1, v12
	s_wait_alu 0xfffd
	v_add_co_ci_u32_e64 v29, null, v16, v13, vcc_lo
	global_store_b64 v[28:29], v[14:15], off
.LBB84_29:                              ;   in Loop: Header=BB84_8 Depth=1
	s_or_b32 exec_lo, exec_lo, s12
	v_add_co_u32 v1, vcc_lo, s0, v8
	s_wait_alu 0xfffd
	v_add_co_ci_u32_e64 v16, null, s1, v9, vcc_lo
	s_and_saveexec_b32 s0, s18
	s_cbranch_execz .LBB84_34
; %bb.30:                               ;   in Loop: Header=BB84_8 Depth=1
	v_mul_f32_e32 v15, s22, v27
	v_mul_f32_e32 v14, s23, v27
	s_and_not1_b32 vcc_lo, exec_lo, s7
	s_mov_b32 s1, -1
	s_delay_alu instid0(VALU_DEP_2) | instskip(NEXT) | instid1(VALU_DEP_2)
	v_fmac_f32_e32 v15, s23, v26
	v_fma_f32 v14, v26, s22, -v14
	s_wait_alu 0xfffe
	s_cbranch_vccnz .LBB84_32
; %bb.31:                               ;   in Loop: Header=BB84_8 Depth=1
	v_add_co_u32 v26, vcc_lo, v1, v10
	s_wait_alu 0xfffd
	v_add_co_ci_u32_e64 v27, null, v16, v11, vcc_lo
	s_mov_b32 s1, 0
	global_load_b64 v[28:29], v[26:27], off
	s_wait_loadcnt 0x0
	v_mul_f32_e32 v17, s11, v29
	v_mul_f32_e32 v29, s10, v29
	s_delay_alu instid0(VALU_DEP_2) | instskip(NEXT) | instid1(VALU_DEP_1)
	v_fma_f32 v17, v28, s10, -v17
	v_dual_fmac_f32 v29, s11, v28 :: v_dual_add_f32 v28, v14, v17
	s_delay_alu instid0(VALU_DEP_1)
	v_add_f32_e32 v29, v15, v29
	global_store_b64 v[26:27], v[28:29], off
.LBB84_32:                              ;   in Loop: Header=BB84_8 Depth=1
	s_wait_alu 0xfffe
	s_and_not1_b32 vcc_lo, exec_lo, s1
	s_wait_alu 0xfffe
	s_cbranch_vccnz .LBB84_34
; %bb.33:                               ;   in Loop: Header=BB84_8 Depth=1
	v_add_co_u32 v26, vcc_lo, v1, v10
	s_wait_alu 0xfffd
	v_add_co_ci_u32_e64 v27, null, v16, v11, vcc_lo
	global_store_b64 v[26:27], v[14:15], off
.LBB84_34:                              ;   in Loop: Header=BB84_8 Depth=1
	s_wait_alu 0xfffe
	s_or_b32 exec_lo, exec_lo, s0
	s_and_saveexec_b32 s0, s29
	s_cbranch_execz .LBB84_7
; %bb.35:                               ;   in Loop: Header=BB84_8 Depth=1
	v_mul_f32_e32 v15, s22, v24
	v_mul_f32_e32 v14, s23, v24
	s_and_not1_b32 vcc_lo, exec_lo, s7
	s_mov_b32 s1, -1
	s_delay_alu instid0(VALU_DEP_2) | instskip(NEXT) | instid1(VALU_DEP_2)
	v_fmac_f32_e32 v15, s23, v25
	v_fma_f32 v14, v25, s22, -v14
	s_wait_alu 0xfffe
	s_cbranch_vccnz .LBB84_37
; %bb.36:                               ;   in Loop: Header=BB84_8 Depth=1
	v_add_co_u32 v24, vcc_lo, v1, v12
	s_wait_alu 0xfffd
	v_add_co_ci_u32_e64 v25, null, v16, v13, vcc_lo
	s_mov_b32 s1, 0
	global_load_b64 v[26:27], v[24:25], off
	s_wait_loadcnt 0x0
	v_mul_f32_e32 v17, s11, v27
	s_delay_alu instid0(VALU_DEP_1) | instskip(SKIP_1) | instid1(VALU_DEP_1)
	v_fma_f32 v17, v26, s10, -v17
	v_mul_f32_e32 v27, s10, v27
	v_dual_fmac_f32 v27, s11, v26 :: v_dual_add_f32 v26, v14, v17
	s_delay_alu instid0(VALU_DEP_1)
	v_add_f32_e32 v27, v15, v27
	global_store_b64 v[24:25], v[26:27], off
.LBB84_37:                              ;   in Loop: Header=BB84_8 Depth=1
	s_wait_alu 0xfffe
	s_and_not1_b32 vcc_lo, exec_lo, s1
	s_wait_alu 0xfffe
	s_cbranch_vccnz .LBB84_7
; %bb.38:                               ;   in Loop: Header=BB84_8 Depth=1
	v_add_co_u32 v24, vcc_lo, v1, v12
	s_wait_alu 0xfffd
	v_add_co_ci_u32_e64 v25, null, v16, v13, vcc_lo
	global_store_b64 v[24:25], v[14:15], off
	s_branch .LBB84_7
.LBB84_39:
	s_endpgm
	.section	.rodata,"a",@progbits
	.p2align	6, 0x0
	.amdhsa_kernel _ZL29rocblas_internal_gemmt_kernelIiLi16ELi32ELi8ELc84ELc78ELc76ELb0ELb0E19rocblas_complex_numIfEPKS1_S3_PS1_EviT_T9_T10_S5_lS7_S5_lS6_T11_S5_li
		.amdhsa_group_segment_fixed_size 4096
		.amdhsa_private_segment_fixed_size 0
		.amdhsa_kernarg_size 100
		.amdhsa_user_sgpr_count 2
		.amdhsa_user_sgpr_dispatch_ptr 0
		.amdhsa_user_sgpr_queue_ptr 0
		.amdhsa_user_sgpr_kernarg_segment_ptr 1
		.amdhsa_user_sgpr_dispatch_id 0
		.amdhsa_user_sgpr_private_segment_size 0
		.amdhsa_wavefront_size32 1
		.amdhsa_uses_dynamic_stack 0
		.amdhsa_enable_private_segment 0
		.amdhsa_system_sgpr_workgroup_id_x 1
		.amdhsa_system_sgpr_workgroup_id_y 1
		.amdhsa_system_sgpr_workgroup_id_z 1
		.amdhsa_system_sgpr_workgroup_info 0
		.amdhsa_system_vgpr_workitem_id 1
		.amdhsa_next_free_vgpr 69
		.amdhsa_next_free_sgpr 35
		.amdhsa_reserve_vcc 1
		.amdhsa_float_round_mode_32 0
		.amdhsa_float_round_mode_16_64 0
		.amdhsa_float_denorm_mode_32 3
		.amdhsa_float_denorm_mode_16_64 3
		.amdhsa_fp16_overflow 0
		.amdhsa_workgroup_processor_mode 1
		.amdhsa_memory_ordered 1
		.amdhsa_forward_progress 1
		.amdhsa_inst_pref_size 25
		.amdhsa_round_robin_scheduling 0
		.amdhsa_exception_fp_ieee_invalid_op 0
		.amdhsa_exception_fp_denorm_src 0
		.amdhsa_exception_fp_ieee_div_zero 0
		.amdhsa_exception_fp_ieee_overflow 0
		.amdhsa_exception_fp_ieee_underflow 0
		.amdhsa_exception_fp_ieee_inexact 0
		.amdhsa_exception_int_div_zero 0
	.end_amdhsa_kernel
	.section	.text._ZL29rocblas_internal_gemmt_kernelIiLi16ELi32ELi8ELc84ELc78ELc76ELb0ELb0E19rocblas_complex_numIfEPKS1_S3_PS1_EviT_T9_T10_S5_lS7_S5_lS6_T11_S5_li,"axG",@progbits,_ZL29rocblas_internal_gemmt_kernelIiLi16ELi32ELi8ELc84ELc78ELc76ELb0ELb0E19rocblas_complex_numIfEPKS1_S3_PS1_EviT_T9_T10_S5_lS7_S5_lS6_T11_S5_li,comdat
.Lfunc_end84:
	.size	_ZL29rocblas_internal_gemmt_kernelIiLi16ELi32ELi8ELc84ELc78ELc76ELb0ELb0E19rocblas_complex_numIfEPKS1_S3_PS1_EviT_T9_T10_S5_lS7_S5_lS6_T11_S5_li, .Lfunc_end84-_ZL29rocblas_internal_gemmt_kernelIiLi16ELi32ELi8ELc84ELc78ELc76ELb0ELb0E19rocblas_complex_numIfEPKS1_S3_PS1_EviT_T9_T10_S5_lS7_S5_lS6_T11_S5_li
                                        ; -- End function
	.set _ZL29rocblas_internal_gemmt_kernelIiLi16ELi32ELi8ELc84ELc78ELc76ELb0ELb0E19rocblas_complex_numIfEPKS1_S3_PS1_EviT_T9_T10_S5_lS7_S5_lS6_T11_S5_li.num_vgpr, 69
	.set _ZL29rocblas_internal_gemmt_kernelIiLi16ELi32ELi8ELc84ELc78ELc76ELb0ELb0E19rocblas_complex_numIfEPKS1_S3_PS1_EviT_T9_T10_S5_lS7_S5_lS6_T11_S5_li.num_agpr, 0
	.set _ZL29rocblas_internal_gemmt_kernelIiLi16ELi32ELi8ELc84ELc78ELc76ELb0ELb0E19rocblas_complex_numIfEPKS1_S3_PS1_EviT_T9_T10_S5_lS7_S5_lS6_T11_S5_li.numbered_sgpr, 35
	.set _ZL29rocblas_internal_gemmt_kernelIiLi16ELi32ELi8ELc84ELc78ELc76ELb0ELb0E19rocblas_complex_numIfEPKS1_S3_PS1_EviT_T9_T10_S5_lS7_S5_lS6_T11_S5_li.num_named_barrier, 0
	.set _ZL29rocblas_internal_gemmt_kernelIiLi16ELi32ELi8ELc84ELc78ELc76ELb0ELb0E19rocblas_complex_numIfEPKS1_S3_PS1_EviT_T9_T10_S5_lS7_S5_lS6_T11_S5_li.private_seg_size, 0
	.set _ZL29rocblas_internal_gemmt_kernelIiLi16ELi32ELi8ELc84ELc78ELc76ELb0ELb0E19rocblas_complex_numIfEPKS1_S3_PS1_EviT_T9_T10_S5_lS7_S5_lS6_T11_S5_li.uses_vcc, 1
	.set _ZL29rocblas_internal_gemmt_kernelIiLi16ELi32ELi8ELc84ELc78ELc76ELb0ELb0E19rocblas_complex_numIfEPKS1_S3_PS1_EviT_T9_T10_S5_lS7_S5_lS6_T11_S5_li.uses_flat_scratch, 0
	.set _ZL29rocblas_internal_gemmt_kernelIiLi16ELi32ELi8ELc84ELc78ELc76ELb0ELb0E19rocblas_complex_numIfEPKS1_S3_PS1_EviT_T9_T10_S5_lS7_S5_lS6_T11_S5_li.has_dyn_sized_stack, 0
	.set _ZL29rocblas_internal_gemmt_kernelIiLi16ELi32ELi8ELc84ELc78ELc76ELb0ELb0E19rocblas_complex_numIfEPKS1_S3_PS1_EviT_T9_T10_S5_lS7_S5_lS6_T11_S5_li.has_recursion, 0
	.set _ZL29rocblas_internal_gemmt_kernelIiLi16ELi32ELi8ELc84ELc78ELc76ELb0ELb0E19rocblas_complex_numIfEPKS1_S3_PS1_EviT_T9_T10_S5_lS7_S5_lS6_T11_S5_li.has_indirect_call, 0
	.section	.AMDGPU.csdata,"",@progbits
; Kernel info:
; codeLenInByte = 3112
; TotalNumSgprs: 37
; NumVgprs: 69
; ScratchSize: 0
; MemoryBound: 1
; FloatMode: 240
; IeeeMode: 1
; LDSByteSize: 4096 bytes/workgroup (compile time only)
; SGPRBlocks: 0
; VGPRBlocks: 8
; NumSGPRsForWavesPerEU: 37
; NumVGPRsForWavesPerEU: 69
; Occupancy: 16
; WaveLimiterHint : 0
; COMPUTE_PGM_RSRC2:SCRATCH_EN: 0
; COMPUTE_PGM_RSRC2:USER_SGPR: 2
; COMPUTE_PGM_RSRC2:TRAP_HANDLER: 0
; COMPUTE_PGM_RSRC2:TGID_X_EN: 1
; COMPUTE_PGM_RSRC2:TGID_Y_EN: 1
; COMPUTE_PGM_RSRC2:TGID_Z_EN: 1
; COMPUTE_PGM_RSRC2:TIDIG_COMP_CNT: 1
	.section	.text._ZL29rocblas_internal_gemmt_kernelIiLi16ELi32ELi8ELc84ELc84ELc76ELb0ELb0E19rocblas_complex_numIfEPKS1_S3_PS1_EviT_T9_T10_S5_lS7_S5_lS6_T11_S5_li,"axG",@progbits,_ZL29rocblas_internal_gemmt_kernelIiLi16ELi32ELi8ELc84ELc84ELc76ELb0ELb0E19rocblas_complex_numIfEPKS1_S3_PS1_EviT_T9_T10_S5_lS7_S5_lS6_T11_S5_li,comdat
	.globl	_ZL29rocblas_internal_gemmt_kernelIiLi16ELi32ELi8ELc84ELc84ELc76ELb0ELb0E19rocblas_complex_numIfEPKS1_S3_PS1_EviT_T9_T10_S5_lS7_S5_lS6_T11_S5_li ; -- Begin function _ZL29rocblas_internal_gemmt_kernelIiLi16ELi32ELi8ELc84ELc84ELc76ELb0ELb0E19rocblas_complex_numIfEPKS1_S3_PS1_EviT_T9_T10_S5_lS7_S5_lS6_T11_S5_li
	.p2align	8
	.type	_ZL29rocblas_internal_gemmt_kernelIiLi16ELi32ELi8ELc84ELc84ELc76ELb0ELb0E19rocblas_complex_numIfEPKS1_S3_PS1_EviT_T9_T10_S5_lS7_S5_lS6_T11_S5_li,@function
_ZL29rocblas_internal_gemmt_kernelIiLi16ELi32ELi8ELc84ELc84ELc76ELb0ELb0E19rocblas_complex_numIfEPKS1_S3_PS1_EviT_T9_T10_S5_lS7_S5_lS6_T11_S5_li: ; @_ZL29rocblas_internal_gemmt_kernelIiLi16ELi32ELi8ELc84ELc84ELc76ELb0ELb0E19rocblas_complex_numIfEPKS1_S3_PS1_EviT_T9_T10_S5_lS7_S5_lS6_T11_S5_li
; %bb.0:
	s_load_b128 s[8:11], s[0:1], 0x38
	s_wait_kmcnt 0x0
	s_load_b64 s[10:11], s[10:11], 0x0
	s_clause 0x1
	s_load_b128 s[4:7], s[0:1], 0x8
	s_load_b64 s[20:21], s[0:1], 0x0
	s_wait_kmcnt 0x0
	s_load_b64 s[22:23], s[4:5], 0x0
	s_cmp_eq_f32 s10, 1.0
	s_cselect_b32 s2, -1, 0
	s_and_b32 s3, s11, 0x7fffffff
	s_delay_alu instid0(SALU_CYCLE_1) | instskip(SKIP_1) | instid1(SALU_CYCLE_1)
	s_cmp_eq_u32 s3, 0
	s_cselect_b32 s3, -1, 0
	s_and_b32 s4, s2, s3
	s_mov_b32 s2, 0
	s_and_not1_b32 vcc_lo, exec_lo, s4
	s_mov_b32 s4, -1
	s_cbranch_vccnz .LBB85_4
; %bb.1:
	s_cmp_lg_u32 s21, 0
	s_cbranch_scc0 .LBB85_3
; %bb.2:
	s_wait_kmcnt 0x0
	s_cmp_neq_f32 s22, 0
	s_cselect_b32 s2, -1, 0
	s_cmp_neq_f32 s23, 0
	s_cselect_b32 s4, -1, 0
	s_delay_alu instid0(SALU_CYCLE_1)
	s_or_b32 s2, s2, s4
.LBB85_3:
	s_delay_alu instid0(SALU_CYCLE_1)
	s_mov_b32 s4, s2
.LBB85_4:
	s_delay_alu instid0(SALU_CYCLE_1)
	s_and_b32 vcc_lo, exec_lo, s4
	s_cbranch_vccz .LBB85_39
; %bb.5:
	s_load_b32 s19, s[0:1], 0x60
	s_lshr_b32 s24, ttmp7, 16
	s_wait_kmcnt 0x0
	s_cmp_ge_u32 s24, s19
	s_cbranch_scc1 .LBB85_39
; %bb.6:
	s_clause 0x2
	s_load_b32 s28, s[0:1], 0x30
	s_load_b32 s4, s[0:1], 0x18
	s_load_b128 s[12:15], s[0:1], 0x20
	v_and_b32_e32 v1, 0x3ff, v0
	v_bfe_u32 v2, v0, 10, 10
	s_clause 0x1
	s_load_b96 s[16:18], s[0:1], 0x48
	s_load_b64 s[26:27], s[0:1], 0x58
	s_lshl_b32 s1, ttmp7, 5
	v_and_b32_e32 v18, 7, v0
	s_lshl_b32 s0, ttmp9, 5
	v_lshl_add_u32 v0, v2, 4, v1
	s_and_b32 s1, s1, 0x1fffe0
	v_lshlrev_b32_e32 v19, 3, v1
	v_lshl_add_u32 v20, v2, 6, 0x800
	v_add_nc_u32_e32 v10, s0, v1
	v_add_nc_u32_e32 v1, s1, v2
	v_and_b32_e32 v2, 31, v0
	v_lshrrev_b32_e32 v4, 3, v0
	v_lshrrev_b32_e32 v21, 5, v0
	v_add_nc_u32_e32 v12, 16, v10
	v_lshlrev_b32_e32 v3, 3, v18
	s_wait_kmcnt 0x0
	s_ashr_i32 s29, s28, 31
	s_cmp_neq_f32 s22, 0
	v_or_b32_e32 v0, s0, v2
	v_add_nc_u32_e32 v14, s1, v4
	v_lshlrev_b32_e32 v2, 3, v2
	s_cselect_b32 s2, -1, 0
	s_cmp_neq_f32 s23, 0
	v_cmp_le_i32_e64 s1, v1, v10
	v_cmp_gt_i32_e32 vcc_lo, s20, v0
	v_lshl_or_b32 v22, v21, 8, v2
	s_cselect_b32 s0, -1, 0
	v_mad_co_i64_i32 v[6:7], null, v1, s18, 0
	s_wait_alu 0xfffe
	s_or_b32 s33, s2, s0
	s_cmp_gt_i32 s21, 0
	v_cmp_gt_i32_e64 s2, s20, v10
	s_cselect_b32 s34, -1, 0
	s_cmp_neq_f32 s10, 0
	v_add_nc_u32_e32 v2, 16, v1
	v_lshl_or_b32 v3, v4, 6, v3
	v_cmp_gt_i32_e64 s0, s20, v14
	s_cselect_b32 s35, -1, 0
	s_and_b32 s30, s1, s2
	v_cmp_le_i32_e64 s1, v1, v12
	v_mad_co_i64_i32 v[0:1], null, s4, v0, 0
	s_xor_b32 s36, s3, -1
	v_cmp_gt_i32_e64 s3, s20, v12
	v_add_nc_u32_e32 v23, 0x800, v3
	v_mad_co_i64_i32 v[3:4], null, s28, v18, 0
	v_mad_co_i64_i32 v[8:9], null, v2, s18, 0
	s_and_b32 s20, s1, s3
	v_cmp_le_i32_e64 s1, v2, v10
	v_cmp_le_i32_e64 s4, v2, v12
	v_lshlrev_b64_e32 v[1:2], 3, v[0:1]
	v_lshlrev_b32_e32 v5, 3, v21
	v_lshlrev_b32_e32 v14, 3, v14
	s_and_b32 s18, s1, s2
	v_ashrrev_i32_e32 v11, 31, v10
	v_ashrrev_i32_e32 v13, 31, v12
	v_add_co_u32 v1, s1, v1, v5
	v_lshlrev_b64_e32 v[4:5], 3, v[3:4]
	s_wait_alu 0xf1ff
	v_add_co_ci_u32_e64 v15, null, 0, v2, s1
	s_delay_alu instid0(VALU_DEP_3) | instskip(SKIP_2) | instid1(VALU_DEP_3)
	v_add_co_u32 v2, s1, s6, v1
	v_lshlrev_b64_e32 v[6:7], 3, v[6:7]
	s_wait_alu 0xf1ff
	v_add_co_ci_u32_e64 v3, null, s7, v15, s1
	v_add_co_u32 v1, s1, v4, v14
	s_wait_alu 0xf1ff
	v_add_co_ci_u32_e64 v5, null, 0, v5, s1
	v_lshlrev_b64_e32 v[8:9], 3, v[8:9]
	s_delay_alu instid0(VALU_DEP_3)
	v_add_co_u32 v4, s1, s14, v1
	v_lshlrev_b64_e32 v[10:11], 3, v[10:11]
	v_lshlrev_b64_e32 v[12:13], 3, v[12:13]
	v_mov_b32_e32 v0, 0
	s_wait_alu 0xf1ff
	v_add_co_ci_u32_e64 v5, null, s15, v5, s1
	s_mov_b32 s25, 0
	s_and_b32 s31, s4, s3
	s_lshl_b64 s[2:3], s[12:13], 3
	s_lshl_b64 s[4:5], s[8:9], 3
	s_and_b32 s8, s33, s34
	s_or_b32 s9, s35, s36
	s_lshl_b64 s[6:7], s[28:29], 6
	s_xor_b32 s12, vcc_lo, -1
	s_xor_b32 s13, s0, -1
	s_branch .LBB85_8
.LBB85_7:                               ;   in Loop: Header=BB85_8 Depth=1
	s_wait_alu 0xfffe
	s_or_b32 exec_lo, exec_lo, s0
	s_add_co_i32 s24, s24, 0x10000
	s_wait_alu 0xfffe
	s_cmp_lt_u32 s24, s19
	s_cbranch_scc0 .LBB85_39
.LBB85_8:                               ; =>This Loop Header: Depth=1
                                        ;     Child Loop BB85_11 Depth 2
	v_dual_mov_b32 v30, v0 :: v_dual_mov_b32 v31, v0
	v_dual_mov_b32 v28, v0 :: v_dual_mov_b32 v29, v0
	;; [unrolled: 1-line block ×4, first 2 shown]
	s_and_not1_b32 vcc_lo, exec_lo, s8
	s_wait_alu 0xfffe
	s_cbranch_vccnz .LBB85_19
; %bb.9:                                ;   in Loop: Header=BB85_8 Depth=1
	v_mad_co_u64_u32 v[14:15], null, s2, s24, v[2:3]
	v_mad_co_u64_u32 v[16:17], null, s4, s24, v[4:5]
	v_dual_mov_b32 v25, 0 :: v_dual_mov_b32 v28, 0
	v_mov_b32_e32 v27, 0
	v_mov_b32_e32 v29, 0
	v_dual_mov_b32 v1, v15 :: v_dual_mov_b32 v24, 0
	v_dual_mov_b32 v15, v17 :: v_dual_mov_b32 v26, 0
	s_mov_b32 s0, 0
	s_delay_alu instid0(VALU_DEP_2) | instskip(NEXT) | instid1(VALU_DEP_2)
	v_mad_co_u64_u32 v[30:31], null, s3, s24, v[1:2]
	v_mad_co_u64_u32 v[32:33], null, s5, s24, v[15:16]
	v_mov_b32_e32 v31, 0
	s_delay_alu instid0(VALU_DEP_3) | instskip(NEXT) | instid1(VALU_DEP_3)
	v_dual_mov_b32 v15, v30 :: v_dual_mov_b32 v30, 0
	v_mov_b32_e32 v17, v32
	s_branch .LBB85_11
.LBB85_10:                              ;   in Loop: Header=BB85_11 Depth=2
	s_wait_alu 0xfffe
	s_or_b32 exec_lo, exec_lo, s1
	s_wait_dscnt 0x0
	s_barrier_signal -1
	s_barrier_wait -1
	global_inv scope:SCOPE_SE
	ds_load_b128 v[32:35], v20
	ds_load_2addr_b64 v[36:39], v19 offset1:16
	ds_load_b128 v[40:43], v20 offset:1024
	ds_load_b128 v[44:47], v20 offset:16
	;; [unrolled: 1-line block ×4, first 2 shown]
	ds_load_2addr_b64 v[56:59], v19 offset0:32 offset1:48
	ds_load_b128 v[60:63], v20 offset:1040
	v_add_co_u32 v14, vcc_lo, v14, 64
	s_wait_alu 0xfffd
	v_add_co_ci_u32_e64 v15, null, 0, v15, vcc_lo
	v_add_co_u32 v16, vcc_lo, v16, s6
	s_wait_alu 0xfffd
	v_add_co_ci_u32_e64 v17, null, s7, v17, vcc_lo
	s_add_co_i32 s0, s0, 8
	s_wait_alu 0xfffe
	s_cmp_lt_i32 s0, s21
	s_wait_dscnt 0x6
	v_dual_mul_f32 v1, v33, v37 :: v_dual_mul_f32 v66, v32, v39
	v_dual_mul_f32 v64, v32, v37 :: v_dual_mul_f32 v65, v33, v39
	s_wait_dscnt 0x5
	v_mul_f32_e32 v68, v41, v39
	s_delay_alu instid0(VALU_DEP_3) | instskip(SKIP_3) | instid1(VALU_DEP_4)
	v_fma_f32 v1, v32, v36, -v1
	v_dual_mul_f32 v39, v40, v39 :: v_dual_fmac_f32 v66, v33, v38
	v_fmac_f32_e32 v64, v33, v36
	v_fma_f32 v32, v32, v38, -v65
	v_add_f32_e32 v1, v30, v1
	v_mul_f32_e32 v67, v41, v37
	s_delay_alu instid0(VALU_DEP_4) | instskip(NEXT) | instid1(VALU_DEP_4)
	v_dual_mul_f32 v37, v40, v37 :: v_dual_add_f32 v30, v31, v64
	v_add_f32_e32 v31, v28, v32
	v_fmac_f32_e32 v39, v41, v38
	s_delay_alu instid0(VALU_DEP_4) | instskip(NEXT) | instid1(VALU_DEP_4)
	v_fma_f32 v33, v40, v36, -v67
	v_fmac_f32_e32 v37, v41, v36
	v_fma_f32 v36, v40, v38, -v68
	s_wait_dscnt 0x1
	v_dual_mul_f32 v38, v34, v57 :: v_dual_add_f32 v29, v29, v66
	v_mul_f32_e32 v40, v35, v59
	v_add_f32_e32 v32, v26, v33
	v_dual_add_f32 v33, v27, v37 :: v_dual_add_f32 v36, v25, v36
	ds_load_2addr_b64 v[25:28], v19 offset0:64 offset1:80
	v_fmac_f32_e32 v38, v35, v56
	v_dual_mul_f32 v37, v35, v57 :: v_dual_add_f32 v24, v24, v39
	v_mul_f32_e32 v39, v34, v59
	s_delay_alu instid0(VALU_DEP_3) | instskip(NEXT) | instid1(VALU_DEP_3)
	v_add_f32_e32 v38, v30, v38
	v_fma_f32 v37, v34, v56, -v37
	v_fma_f32 v34, v34, v58, -v40
	v_mul_f32_e32 v30, v42, v57
	s_delay_alu instid0(VALU_DEP_3) | instskip(SKIP_1) | instid1(VALU_DEP_4)
	v_add_f32_e32 v1, v1, v37
	v_mul_f32_e32 v37, v43, v57
	v_add_f32_e32 v34, v31, v34
	v_fmac_f32_e32 v39, v35, v58
	v_mul_f32_e32 v35, v43, v59
	v_fmac_f32_e32 v30, v43, v56
	v_fma_f32 v31, v42, v56, -v37
	s_delay_alu instid0(VALU_DEP_4) | instskip(SKIP_4) | instid1(VALU_DEP_3)
	v_add_f32_e32 v37, v29, v39
	v_mul_f32_e32 v39, v42, v59
	v_fma_f32 v29, v42, v58, -v35
	s_wait_dscnt 0x0
	v_dual_add_f32 v40, v32, v31 :: v_dual_mul_f32 v31, v45, v26
	v_dual_mul_f32 v42, v45, v28 :: v_dual_fmac_f32 v39, v43, v58
	v_mul_f32_e32 v35, v44, v26
	v_add_f32_e32 v36, v36, v29
	s_delay_alu instid0(VALU_DEP_3) | instskip(SKIP_3) | instid1(VALU_DEP_3)
	v_add_f32_e32 v39, v24, v39
	v_mul_f32_e32 v24, v44, v28
	v_fma_f32 v41, v44, v25, -v31
	v_fmac_f32_e32 v35, v45, v25
	v_fmac_f32_e32 v24, v45, v27
	s_delay_alu instid0(VALU_DEP_3)
	v_add_f32_e32 v1, v1, v41
	v_fma_f32 v41, v44, v27, -v42
	v_add_f32_e32 v33, v33, v30
	ds_load_2addr_b64 v[29:32], v19 offset0:96 offset1:112
	v_dual_add_f32 v35, v38, v35 :: v_dual_mul_f32 v38, v61, v26
	v_mul_f32_e32 v26, v60, v26
	v_dual_add_f32 v34, v34, v41 :: v_dual_mul_f32 v41, v61, v28
	v_mul_f32_e32 v28, v60, v28
	s_delay_alu instid0(VALU_DEP_4) | instskip(NEXT) | instid1(VALU_DEP_4)
	v_fma_f32 v38, v60, v25, -v38
	v_fmac_f32_e32 v26, v61, v25
	v_add_f32_e32 v37, v37, v24
	v_fma_f32 v24, v60, v27, -v41
	v_fmac_f32_e32 v28, v61, v27
	v_add_f32_e32 v38, v40, v38
	s_delay_alu instid0(VALU_DEP_3) | instskip(SKIP_4) | instid1(VALU_DEP_2)
	v_dual_add_f32 v40, v33, v26 :: v_dual_add_f32 v41, v36, v24
	ds_load_2addr_b64 v[24:27], v19 offset0:128 offset1:144
	s_wait_dscnt 0x1
	v_mul_f32_e32 v33, v47, v30
	v_dual_mul_f32 v36, v46, v30 :: v_dual_mul_f32 v45, v63, v32
	v_fma_f32 v33, v46, v29, -v33
	v_mul_f32_e32 v42, v47, v32
	s_delay_alu instid0(VALU_DEP_3) | instskip(NEXT) | instid1(VALU_DEP_3)
	v_fmac_f32_e32 v36, v47, v29
	v_add_f32_e32 v1, v1, v33
	s_delay_alu instid0(VALU_DEP_3) | instskip(SKIP_3) | instid1(VALU_DEP_4)
	v_fma_f32 v42, v46, v31, -v42
	v_add_f32_e32 v39, v39, v28
	v_dual_mul_f32 v28, v46, v32 :: v_dual_mul_f32 v33, v63, v30
	v_dual_add_f32 v43, v35, v36 :: v_dual_mul_f32 v30, v62, v30
	v_add_f32_e32 v42, v34, v42
	s_delay_alu instid0(VALU_DEP_3) | instskip(NEXT) | instid1(VALU_DEP_4)
	v_fmac_f32_e32 v28, v47, v31
	v_fma_f32 v44, v62, v29, -v33
	ds_load_b128 v[33:36], v20 offset:1056
	v_fmac_f32_e32 v30, v63, v29
	s_wait_dscnt 0x1
	v_mul_f32_e32 v29, v49, v25
	v_add_f32_e32 v46, v37, v28
	v_dual_mul_f32 v32, v62, v32 :: v_dual_mul_f32 v47, v48, v25
	v_mul_f32_e32 v56, v48, v27
	s_delay_alu instid0(VALU_DEP_4)
	v_fma_f32 v37, v48, v24, -v29
	v_add_f32_e32 v44, v38, v44
	v_mul_f32_e32 v38, v49, v27
	v_fma_f32 v28, v62, v31, -v45
	v_dual_fmac_f32 v32, v63, v31 :: v_dual_fmac_f32 v47, v49, v24
	v_add_f32_e32 v1, v1, v37
	s_delay_alu instid0(VALU_DEP_4) | instskip(NEXT) | instid1(VALU_DEP_4)
	v_fma_f32 v48, v48, v26, -v38
	v_add_f32_e32 v41, v41, v28
	v_add_f32_e32 v45, v40, v30
	ds_load_2addr_b64 v[28:31], v19 offset0:160 offset1:176
	v_add_f32_e32 v32, v39, v32
	ds_load_b128 v[37:40], v20 offset:1072
	s_wait_dscnt 0x2
	v_mul_f32_e32 v57, v34, v25
	v_dual_mul_f32 v25, v33, v25 :: v_dual_add_f32 v42, v42, v48
	v_mul_f32_e32 v48, v34, v27
	v_dual_add_f32 v43, v43, v47 :: v_dual_fmac_f32 v56, v49, v26
	s_delay_alu instid0(VALU_DEP_4) | instskip(NEXT) | instid1(VALU_DEP_4)
	v_fma_f32 v47, v33, v24, -v57
	v_fmac_f32_e32 v25, v34, v24
	v_mul_f32_e32 v49, v33, v27
	s_delay_alu instid0(VALU_DEP_3) | instskip(SKIP_1) | instid1(VALU_DEP_3)
	v_add_f32_e32 v44, v44, v47
	v_add_f32_e32 v46, v46, v56
	v_fmac_f32_e32 v49, v34, v26
	s_wait_dscnt 0x1
	v_mul_f32_e32 v27, v51, v29
	v_fma_f32 v24, v33, v26, -v48
	v_add_f32_e32 v33, v45, v25
	v_mul_f32_e32 v34, v50, v29
	s_delay_alu instid0(VALU_DEP_4) | instskip(NEXT) | instid1(VALU_DEP_4)
	v_fma_f32 v45, v50, v28, -v27
	v_add_f32_e32 v41, v41, v24
	ds_load_2addr_b64 v[24:27], v19 offset0:192 offset1:208
	v_fmac_f32_e32 v34, v51, v28
	v_dual_mul_f32 v47, v51, v31 :: v_dual_add_f32 v48, v32, v49
	v_dual_add_f32 v1, v1, v45 :: v_dual_mul_f32 v32, v50, v31
	s_delay_alu instid0(VALU_DEP_3) | instskip(NEXT) | instid1(VALU_DEP_3)
	v_dual_add_f32 v43, v43, v34 :: v_dual_mul_f32 v34, v36, v29
	v_fma_f32 v45, v50, v30, -v47
	s_delay_alu instid0(VALU_DEP_3) | instskip(NEXT) | instid1(VALU_DEP_3)
	v_fmac_f32_e32 v32, v51, v30
	v_fma_f32 v34, v35, v28, -v34
	s_delay_alu instid0(VALU_DEP_3) | instskip(SKIP_1) | instid1(VALU_DEP_3)
	v_dual_add_f32 v42, v42, v45 :: v_dual_mul_f32 v45, v36, v31
	v_mul_f32_e32 v29, v35, v29
	v_dual_mul_f32 v31, v35, v31 :: v_dual_add_f32 v44, v44, v34
	s_delay_alu instid0(VALU_DEP_2) | instskip(SKIP_2) | instid1(VALU_DEP_4)
	v_fmac_f32_e32 v29, v36, v28
	v_add_f32_e32 v28, v46, v32
	v_fma_f32 v32, v35, v30, -v45
	v_fmac_f32_e32 v31, v36, v30
	s_wait_dscnt 0x0
	v_mul_f32_e32 v36, v52, v25
	v_dual_add_f32 v29, v33, v29 :: v_dual_mul_f32 v46, v52, v27
	v_add_f32_e32 v30, v41, v32
	ds_load_2addr_b64 v[32:35], v19 offset0:224 offset1:240
	v_dual_add_f32 v31, v48, v31 :: v_dual_fmac_f32 v36, v53, v24
	v_mul_f32_e32 v45, v53, v25
	v_fmac_f32_e32 v46, v53, v26
	s_wait_loadcnt_dscnt 0x0
	s_barrier_signal -1
	v_add_f32_e32 v36, v43, v36
	v_fma_f32 v41, v52, v24, -v45
	v_mul_f32_e32 v45, v53, v27
	v_mul_f32_e32 v43, v38, v27
	v_mul_f32_e32 v27, v37, v27
	s_barrier_wait -1
	global_inv scope:SCOPE_SE
	v_fma_f32 v45, v52, v26, -v45
	v_fmac_f32_e32 v27, v38, v26
	s_delay_alu instid0(VALU_DEP_2) | instskip(SKIP_4) | instid1(VALU_DEP_1)
	v_dual_add_f32 v42, v42, v45 :: v_dual_add_f32 v45, v28, v46
	v_fma_f32 v28, v37, v26, -v43
	v_add_f32_e32 v1, v1, v41
	v_mul_f32_e32 v41, v38, v25
	v_mul_f32_e32 v25, v37, v25
	v_fmac_f32_e32 v25, v38, v24
	v_add_f32_e32 v38, v30, v28
	v_mul_f32_e32 v28, v55, v35
	v_fma_f32 v41, v37, v24, -v41
	v_mul_f32_e32 v37, v55, v33
	s_delay_alu instid0(VALU_DEP_2) | instskip(NEXT) | instid1(VALU_DEP_2)
	v_add_f32_e32 v24, v44, v41
	v_fma_f32 v26, v54, v32, -v37
	v_add_f32_e32 v25, v29, v25
	s_delay_alu instid0(VALU_DEP_2) | instskip(SKIP_1) | instid1(VALU_DEP_2)
	v_dual_mul_f32 v29, v54, v35 :: v_dual_add_f32 v30, v1, v26
	v_fma_f32 v1, v54, v34, -v28
	v_dual_mul_f32 v26, v40, v33 :: v_dual_fmac_f32 v29, v55, v34
	s_delay_alu instid0(VALU_DEP_2) | instskip(NEXT) | instid1(VALU_DEP_2)
	v_add_f32_e32 v28, v42, v1
	v_fma_f32 v1, v39, v32, -v26
	s_delay_alu instid0(VALU_DEP_3) | instskip(NEXT) | instid1(VALU_DEP_2)
	v_add_f32_e32 v29, v45, v29
	v_dual_add_f32 v26, v24, v1 :: v_dual_add_f32 v37, v31, v27
	v_mul_f32_e32 v41, v54, v33
	v_mul_f32_e32 v27, v39, v33
	;; [unrolled: 1-line block ×4, first 2 shown]
	s_delay_alu instid0(VALU_DEP_3) | instskip(NEXT) | instid1(VALU_DEP_2)
	v_fmac_f32_e32 v27, v40, v32
	v_fmac_f32_e32 v35, v40, v34
	s_delay_alu instid0(VALU_DEP_2) | instskip(NEXT) | instid1(VALU_DEP_2)
	v_add_f32_e32 v27, v25, v27
	v_dual_add_f32 v24, v37, v35 :: v_dual_fmac_f32 v41, v55, v32
	v_fma_f32 v32, v39, v34, -v33
	s_delay_alu instid0(VALU_DEP_2) | instskip(NEXT) | instid1(VALU_DEP_2)
	v_add_f32_e32 v31, v36, v41
	v_add_f32_e32 v25, v38, v32
	s_cbranch_scc0 .LBB85_19
.LBB85_11:                              ;   Parent Loop BB85_8 Depth=1
                                        ; =>  This Inner Loop Header: Depth=2
	s_wait_alu 0xfffe
	v_add_nc_u32_e32 v1, s0, v21
	s_delay_alu instid0(VALU_DEP_1)
	v_cmp_le_i32_e32 vcc_lo, s21, v1
	s_or_b32 s1, s12, vcc_lo
	s_wait_alu 0xfffe
	s_and_saveexec_b32 s14, s1
	s_wait_alu 0xfffe
	s_xor_b32 s1, exec_lo, s14
; %bb.12:                               ;   in Loop: Header=BB85_11 Depth=2
	v_mov_b32_e32 v1, v0
	ds_store_b64 v22, v[0:1]
; %bb.13:                               ;   in Loop: Header=BB85_11 Depth=2
	s_wait_alu 0xfffe
	s_and_not1_saveexec_b32 s1, s1
	s_cbranch_execz .LBB85_15
; %bb.14:                               ;   in Loop: Header=BB85_11 Depth=2
	global_load_b64 v[32:33], v[14:15], off
	s_wait_loadcnt 0x0
	ds_store_b64 v22, v[32:33]
.LBB85_15:                              ;   in Loop: Header=BB85_11 Depth=2
	s_wait_alu 0xfffe
	s_or_b32 exec_lo, exec_lo, s1
	v_add_nc_u32_e32 v1, s0, v18
	s_delay_alu instid0(VALU_DEP_1)
	v_cmp_le_i32_e32 vcc_lo, s21, v1
	s_or_b32 s1, vcc_lo, s13
	s_wait_alu 0xfffe
	s_and_saveexec_b32 s14, s1
	s_wait_alu 0xfffe
	s_xor_b32 s1, exec_lo, s14
; %bb.16:                               ;   in Loop: Header=BB85_11 Depth=2
	v_mov_b32_e32 v1, v0
	ds_store_b64 v23, v[0:1]
; %bb.17:                               ;   in Loop: Header=BB85_11 Depth=2
	s_wait_alu 0xfffe
	s_and_not1_saveexec_b32 s1, s1
	s_cbranch_execz .LBB85_10
; %bb.18:                               ;   in Loop: Header=BB85_11 Depth=2
	global_load_b64 v[32:33], v[16:17], off
	s_wait_loadcnt 0x0
	ds_store_b64 v23, v[32:33]
	s_branch .LBB85_10
.LBB85_19:                              ;   in Loop: Header=BB85_8 Depth=1
	s_mul_u64 s[0:1], s[26:27], s[24:25]
	s_wait_alu 0xfffe
	s_lshl_b64 s[0:1], s[0:1], 3
	s_wait_alu 0xfffe
	s_add_nc_u64 s[0:1], s[16:17], s[0:1]
	s_wait_alu 0xfffe
	v_add_co_u32 v1, vcc_lo, s0, v6
	s_wait_alu 0xfffd
	v_add_co_ci_u32_e64 v16, null, s1, v7, vcc_lo
	s_and_saveexec_b32 s14, s30
	s_cbranch_execz .LBB85_24
; %bb.20:                               ;   in Loop: Header=BB85_8 Depth=1
	v_mul_f32_e32 v15, s22, v31
	v_mul_f32_e32 v14, s23, v31
	s_and_b32 vcc_lo, exec_lo, s9
	s_mov_b32 s15, -1
	s_delay_alu instid0(VALU_DEP_2) | instskip(NEXT) | instid1(VALU_DEP_2)
	v_fmac_f32_e32 v15, s23, v30
	v_fma_f32 v14, v30, s22, -v14
	s_wait_alu 0xfffe
	s_cbranch_vccz .LBB85_22
; %bb.21:                               ;   in Loop: Header=BB85_8 Depth=1
	v_add_co_u32 v30, vcc_lo, v1, v10
	s_wait_alu 0xfffd
	v_add_co_ci_u32_e64 v31, null, v16, v11, vcc_lo
	s_mov_b32 s15, 0
	global_load_b64 v[32:33], v[30:31], off
	s_wait_loadcnt 0x0
	v_mul_f32_e32 v17, s11, v33
	v_mul_f32_e32 v33, s10, v33
	s_delay_alu instid0(VALU_DEP_2) | instskip(NEXT) | instid1(VALU_DEP_1)
	v_fma_f32 v17, v32, s10, -v17
	v_dual_fmac_f32 v33, s11, v32 :: v_dual_add_f32 v32, v14, v17
	s_delay_alu instid0(VALU_DEP_1)
	v_add_f32_e32 v33, v15, v33
	global_store_b64 v[30:31], v[32:33], off
.LBB85_22:                              ;   in Loop: Header=BB85_8 Depth=1
	s_wait_alu 0xfffe
	s_and_not1_b32 vcc_lo, exec_lo, s15
	s_wait_alu 0xfffe
	s_cbranch_vccnz .LBB85_24
; %bb.23:                               ;   in Loop: Header=BB85_8 Depth=1
	v_add_co_u32 v30, vcc_lo, v1, v10
	s_wait_alu 0xfffd
	v_add_co_ci_u32_e64 v31, null, v16, v11, vcc_lo
	global_store_b64 v[30:31], v[14:15], off
.LBB85_24:                              ;   in Loop: Header=BB85_8 Depth=1
	s_wait_alu 0xfffe
	s_or_b32 exec_lo, exec_lo, s14
	s_and_saveexec_b32 s14, s20
	s_cbranch_execz .LBB85_29
; %bb.25:                               ;   in Loop: Header=BB85_8 Depth=1
	v_mul_f32_e32 v15, s22, v29
	v_mul_f32_e32 v14, s23, v29
	s_and_not1_b32 vcc_lo, exec_lo, s9
	s_mov_b32 s15, -1
	s_delay_alu instid0(VALU_DEP_2) | instskip(NEXT) | instid1(VALU_DEP_2)
	v_fmac_f32_e32 v15, s23, v28
	v_fma_f32 v14, v28, s22, -v14
	s_wait_alu 0xfffe
	s_cbranch_vccnz .LBB85_27
; %bb.26:                               ;   in Loop: Header=BB85_8 Depth=1
	v_add_co_u32 v28, vcc_lo, v1, v12
	s_wait_alu 0xfffd
	v_add_co_ci_u32_e64 v29, null, v16, v13, vcc_lo
	s_mov_b32 s15, 0
	global_load_b64 v[30:31], v[28:29], off
	s_wait_loadcnt 0x0
	v_mul_f32_e32 v17, s11, v31
	s_delay_alu instid0(VALU_DEP_1) | instskip(SKIP_1) | instid1(VALU_DEP_1)
	v_fma_f32 v17, v30, s10, -v17
	v_mul_f32_e32 v31, s10, v31
	v_dual_fmac_f32 v31, s11, v30 :: v_dual_add_f32 v30, v14, v17
	s_delay_alu instid0(VALU_DEP_1)
	v_add_f32_e32 v31, v15, v31
	global_store_b64 v[28:29], v[30:31], off
.LBB85_27:                              ;   in Loop: Header=BB85_8 Depth=1
	s_wait_alu 0xfffe
	s_and_not1_b32 vcc_lo, exec_lo, s15
	s_wait_alu 0xfffe
	s_cbranch_vccnz .LBB85_29
; %bb.28:                               ;   in Loop: Header=BB85_8 Depth=1
	v_add_co_u32 v28, vcc_lo, v1, v12
	s_wait_alu 0xfffd
	v_add_co_ci_u32_e64 v29, null, v16, v13, vcc_lo
	global_store_b64 v[28:29], v[14:15], off
.LBB85_29:                              ;   in Loop: Header=BB85_8 Depth=1
	s_wait_alu 0xfffe
	s_or_b32 exec_lo, exec_lo, s14
	v_add_co_u32 v1, vcc_lo, s0, v8
	s_wait_alu 0xfffd
	v_add_co_ci_u32_e64 v16, null, s1, v9, vcc_lo
	s_and_saveexec_b32 s0, s18
	s_cbranch_execz .LBB85_34
; %bb.30:                               ;   in Loop: Header=BB85_8 Depth=1
	v_mul_f32_e32 v15, s22, v27
	v_mul_f32_e32 v14, s23, v27
	s_and_not1_b32 vcc_lo, exec_lo, s9
	s_mov_b32 s1, -1
	s_delay_alu instid0(VALU_DEP_2) | instskip(NEXT) | instid1(VALU_DEP_2)
	v_fmac_f32_e32 v15, s23, v26
	v_fma_f32 v14, v26, s22, -v14
	s_wait_alu 0xfffe
	s_cbranch_vccnz .LBB85_32
; %bb.31:                               ;   in Loop: Header=BB85_8 Depth=1
	v_add_co_u32 v26, vcc_lo, v1, v10
	s_wait_alu 0xfffd
	v_add_co_ci_u32_e64 v27, null, v16, v11, vcc_lo
	s_mov_b32 s1, 0
	global_load_b64 v[28:29], v[26:27], off
	s_wait_loadcnt 0x0
	v_mul_f32_e32 v17, s11, v29
	v_mul_f32_e32 v29, s10, v29
	s_delay_alu instid0(VALU_DEP_2) | instskip(NEXT) | instid1(VALU_DEP_1)
	v_fma_f32 v17, v28, s10, -v17
	v_dual_fmac_f32 v29, s11, v28 :: v_dual_add_f32 v28, v14, v17
	s_delay_alu instid0(VALU_DEP_1)
	v_add_f32_e32 v29, v15, v29
	global_store_b64 v[26:27], v[28:29], off
.LBB85_32:                              ;   in Loop: Header=BB85_8 Depth=1
	s_wait_alu 0xfffe
	s_and_not1_b32 vcc_lo, exec_lo, s1
	s_wait_alu 0xfffe
	s_cbranch_vccnz .LBB85_34
; %bb.33:                               ;   in Loop: Header=BB85_8 Depth=1
	v_add_co_u32 v26, vcc_lo, v1, v10
	s_wait_alu 0xfffd
	v_add_co_ci_u32_e64 v27, null, v16, v11, vcc_lo
	global_store_b64 v[26:27], v[14:15], off
.LBB85_34:                              ;   in Loop: Header=BB85_8 Depth=1
	s_wait_alu 0xfffe
	s_or_b32 exec_lo, exec_lo, s0
	s_and_saveexec_b32 s0, s31
	s_cbranch_execz .LBB85_7
; %bb.35:                               ;   in Loop: Header=BB85_8 Depth=1
	v_mul_f32_e32 v15, s22, v24
	v_mul_f32_e32 v14, s23, v24
	s_and_not1_b32 vcc_lo, exec_lo, s9
	s_mov_b32 s1, -1
	s_delay_alu instid0(VALU_DEP_2) | instskip(NEXT) | instid1(VALU_DEP_2)
	v_fmac_f32_e32 v15, s23, v25
	v_fma_f32 v14, v25, s22, -v14
	s_wait_alu 0xfffe
	s_cbranch_vccnz .LBB85_37
; %bb.36:                               ;   in Loop: Header=BB85_8 Depth=1
	v_add_co_u32 v24, vcc_lo, v1, v12
	s_wait_alu 0xfffd
	v_add_co_ci_u32_e64 v25, null, v16, v13, vcc_lo
	s_mov_b32 s1, 0
	global_load_b64 v[26:27], v[24:25], off
	s_wait_loadcnt 0x0
	v_mul_f32_e32 v17, s11, v27
	s_delay_alu instid0(VALU_DEP_1) | instskip(SKIP_1) | instid1(VALU_DEP_1)
	v_fma_f32 v17, v26, s10, -v17
	v_mul_f32_e32 v27, s10, v27
	v_dual_fmac_f32 v27, s11, v26 :: v_dual_add_f32 v26, v14, v17
	s_delay_alu instid0(VALU_DEP_1)
	v_add_f32_e32 v27, v15, v27
	global_store_b64 v[24:25], v[26:27], off
.LBB85_37:                              ;   in Loop: Header=BB85_8 Depth=1
	s_wait_alu 0xfffe
	s_and_not1_b32 vcc_lo, exec_lo, s1
	s_wait_alu 0xfffe
	s_cbranch_vccnz .LBB85_7
; %bb.38:                               ;   in Loop: Header=BB85_8 Depth=1
	v_add_co_u32 v24, vcc_lo, v1, v12
	s_wait_alu 0xfffd
	v_add_co_ci_u32_e64 v25, null, v16, v13, vcc_lo
	global_store_b64 v[24:25], v[14:15], off
	s_branch .LBB85_7
.LBB85_39:
	s_endpgm
	.section	.rodata,"a",@progbits
	.p2align	6, 0x0
	.amdhsa_kernel _ZL29rocblas_internal_gemmt_kernelIiLi16ELi32ELi8ELc84ELc84ELc76ELb0ELb0E19rocblas_complex_numIfEPKS1_S3_PS1_EviT_T9_T10_S5_lS7_S5_lS6_T11_S5_li
		.amdhsa_group_segment_fixed_size 4096
		.amdhsa_private_segment_fixed_size 0
		.amdhsa_kernarg_size 100
		.amdhsa_user_sgpr_count 2
		.amdhsa_user_sgpr_dispatch_ptr 0
		.amdhsa_user_sgpr_queue_ptr 0
		.amdhsa_user_sgpr_kernarg_segment_ptr 1
		.amdhsa_user_sgpr_dispatch_id 0
		.amdhsa_user_sgpr_private_segment_size 0
		.amdhsa_wavefront_size32 1
		.amdhsa_uses_dynamic_stack 0
		.amdhsa_enable_private_segment 0
		.amdhsa_system_sgpr_workgroup_id_x 1
		.amdhsa_system_sgpr_workgroup_id_y 1
		.amdhsa_system_sgpr_workgroup_id_z 1
		.amdhsa_system_sgpr_workgroup_info 0
		.amdhsa_system_vgpr_workitem_id 1
		.amdhsa_next_free_vgpr 69
		.amdhsa_next_free_sgpr 37
		.amdhsa_reserve_vcc 1
		.amdhsa_float_round_mode_32 0
		.amdhsa_float_round_mode_16_64 0
		.amdhsa_float_denorm_mode_32 3
		.amdhsa_float_denorm_mode_16_64 3
		.amdhsa_fp16_overflow 0
		.amdhsa_workgroup_processor_mode 1
		.amdhsa_memory_ordered 1
		.amdhsa_forward_progress 1
		.amdhsa_inst_pref_size 25
		.amdhsa_round_robin_scheduling 0
		.amdhsa_exception_fp_ieee_invalid_op 0
		.amdhsa_exception_fp_denorm_src 0
		.amdhsa_exception_fp_ieee_div_zero 0
		.amdhsa_exception_fp_ieee_overflow 0
		.amdhsa_exception_fp_ieee_underflow 0
		.amdhsa_exception_fp_ieee_inexact 0
		.amdhsa_exception_int_div_zero 0
	.end_amdhsa_kernel
	.section	.text._ZL29rocblas_internal_gemmt_kernelIiLi16ELi32ELi8ELc84ELc84ELc76ELb0ELb0E19rocblas_complex_numIfEPKS1_S3_PS1_EviT_T9_T10_S5_lS7_S5_lS6_T11_S5_li,"axG",@progbits,_ZL29rocblas_internal_gemmt_kernelIiLi16ELi32ELi8ELc84ELc84ELc76ELb0ELb0E19rocblas_complex_numIfEPKS1_S3_PS1_EviT_T9_T10_S5_lS7_S5_lS6_T11_S5_li,comdat
.Lfunc_end85:
	.size	_ZL29rocblas_internal_gemmt_kernelIiLi16ELi32ELi8ELc84ELc84ELc76ELb0ELb0E19rocblas_complex_numIfEPKS1_S3_PS1_EviT_T9_T10_S5_lS7_S5_lS6_T11_S5_li, .Lfunc_end85-_ZL29rocblas_internal_gemmt_kernelIiLi16ELi32ELi8ELc84ELc84ELc76ELb0ELb0E19rocblas_complex_numIfEPKS1_S3_PS1_EviT_T9_T10_S5_lS7_S5_lS6_T11_S5_li
                                        ; -- End function
	.set _ZL29rocblas_internal_gemmt_kernelIiLi16ELi32ELi8ELc84ELc84ELc76ELb0ELb0E19rocblas_complex_numIfEPKS1_S3_PS1_EviT_T9_T10_S5_lS7_S5_lS6_T11_S5_li.num_vgpr, 69
	.set _ZL29rocblas_internal_gemmt_kernelIiLi16ELi32ELi8ELc84ELc84ELc76ELb0ELb0E19rocblas_complex_numIfEPKS1_S3_PS1_EviT_T9_T10_S5_lS7_S5_lS6_T11_S5_li.num_agpr, 0
	.set _ZL29rocblas_internal_gemmt_kernelIiLi16ELi32ELi8ELc84ELc84ELc76ELb0ELb0E19rocblas_complex_numIfEPKS1_S3_PS1_EviT_T9_T10_S5_lS7_S5_lS6_T11_S5_li.numbered_sgpr, 37
	.set _ZL29rocblas_internal_gemmt_kernelIiLi16ELi32ELi8ELc84ELc84ELc76ELb0ELb0E19rocblas_complex_numIfEPKS1_S3_PS1_EviT_T9_T10_S5_lS7_S5_lS6_T11_S5_li.num_named_barrier, 0
	.set _ZL29rocblas_internal_gemmt_kernelIiLi16ELi32ELi8ELc84ELc84ELc76ELb0ELb0E19rocblas_complex_numIfEPKS1_S3_PS1_EviT_T9_T10_S5_lS7_S5_lS6_T11_S5_li.private_seg_size, 0
	.set _ZL29rocblas_internal_gemmt_kernelIiLi16ELi32ELi8ELc84ELc84ELc76ELb0ELb0E19rocblas_complex_numIfEPKS1_S3_PS1_EviT_T9_T10_S5_lS7_S5_lS6_T11_S5_li.uses_vcc, 1
	.set _ZL29rocblas_internal_gemmt_kernelIiLi16ELi32ELi8ELc84ELc84ELc76ELb0ELb0E19rocblas_complex_numIfEPKS1_S3_PS1_EviT_T9_T10_S5_lS7_S5_lS6_T11_S5_li.uses_flat_scratch, 0
	.set _ZL29rocblas_internal_gemmt_kernelIiLi16ELi32ELi8ELc84ELc84ELc76ELb0ELb0E19rocblas_complex_numIfEPKS1_S3_PS1_EviT_T9_T10_S5_lS7_S5_lS6_T11_S5_li.has_dyn_sized_stack, 0
	.set _ZL29rocblas_internal_gemmt_kernelIiLi16ELi32ELi8ELc84ELc84ELc76ELb0ELb0E19rocblas_complex_numIfEPKS1_S3_PS1_EviT_T9_T10_S5_lS7_S5_lS6_T11_S5_li.has_recursion, 0
	.set _ZL29rocblas_internal_gemmt_kernelIiLi16ELi32ELi8ELc84ELc84ELc76ELb0ELb0E19rocblas_complex_numIfEPKS1_S3_PS1_EviT_T9_T10_S5_lS7_S5_lS6_T11_S5_li.has_indirect_call, 0
	.section	.AMDGPU.csdata,"",@progbits
; Kernel info:
; codeLenInByte = 3152
; TotalNumSgprs: 39
; NumVgprs: 69
; ScratchSize: 0
; MemoryBound: 1
; FloatMode: 240
; IeeeMode: 1
; LDSByteSize: 4096 bytes/workgroup (compile time only)
; SGPRBlocks: 0
; VGPRBlocks: 8
; NumSGPRsForWavesPerEU: 39
; NumVGPRsForWavesPerEU: 69
; Occupancy: 16
; WaveLimiterHint : 0
; COMPUTE_PGM_RSRC2:SCRATCH_EN: 0
; COMPUTE_PGM_RSRC2:USER_SGPR: 2
; COMPUTE_PGM_RSRC2:TRAP_HANDLER: 0
; COMPUTE_PGM_RSRC2:TGID_X_EN: 1
; COMPUTE_PGM_RSRC2:TGID_Y_EN: 1
; COMPUTE_PGM_RSRC2:TGID_Z_EN: 1
; COMPUTE_PGM_RSRC2:TIDIG_COMP_CNT: 1
	.section	.text._ZL29rocblas_internal_gemmt_kernelIiLi16ELi32ELi8ELc84ELc67ELc76ELb0ELb1E19rocblas_complex_numIfEPKS1_S3_PS1_EviT_T9_T10_S5_lS7_S5_lS6_T11_S5_li,"axG",@progbits,_ZL29rocblas_internal_gemmt_kernelIiLi16ELi32ELi8ELc84ELc67ELc76ELb0ELb1E19rocblas_complex_numIfEPKS1_S3_PS1_EviT_T9_T10_S5_lS7_S5_lS6_T11_S5_li,comdat
	.globl	_ZL29rocblas_internal_gemmt_kernelIiLi16ELi32ELi8ELc84ELc67ELc76ELb0ELb1E19rocblas_complex_numIfEPKS1_S3_PS1_EviT_T9_T10_S5_lS7_S5_lS6_T11_S5_li ; -- Begin function _ZL29rocblas_internal_gemmt_kernelIiLi16ELi32ELi8ELc84ELc67ELc76ELb0ELb1E19rocblas_complex_numIfEPKS1_S3_PS1_EviT_T9_T10_S5_lS7_S5_lS6_T11_S5_li
	.p2align	8
	.type	_ZL29rocblas_internal_gemmt_kernelIiLi16ELi32ELi8ELc84ELc67ELc76ELb0ELb1E19rocblas_complex_numIfEPKS1_S3_PS1_EviT_T9_T10_S5_lS7_S5_lS6_T11_S5_li,@function
_ZL29rocblas_internal_gemmt_kernelIiLi16ELi32ELi8ELc84ELc67ELc76ELb0ELb1E19rocblas_complex_numIfEPKS1_S3_PS1_EviT_T9_T10_S5_lS7_S5_lS6_T11_S5_li: ; @_ZL29rocblas_internal_gemmt_kernelIiLi16ELi32ELi8ELc84ELc67ELc76ELb0ELb1E19rocblas_complex_numIfEPKS1_S3_PS1_EviT_T9_T10_S5_lS7_S5_lS6_T11_S5_li
; %bb.0:
	s_load_b128 s[8:11], s[0:1], 0x38
	s_wait_kmcnt 0x0
	s_load_b64 s[10:11], s[10:11], 0x0
	s_clause 0x1
	s_load_b128 s[4:7], s[0:1], 0x8
	s_load_b64 s[20:21], s[0:1], 0x0
	s_wait_kmcnt 0x0
	s_load_b64 s[22:23], s[4:5], 0x0
	s_cmp_eq_f32 s10, 1.0
	s_cselect_b32 s3, -1, 0
	s_and_b32 s2, s11, 0x7fffffff
	s_delay_alu instid0(SALU_CYCLE_1) | instskip(SKIP_1) | instid1(SALU_CYCLE_1)
	s_cmp_eq_u32 s2, 0
	s_cselect_b32 s2, -1, 0
	s_and_b32 s4, s3, s2
	s_mov_b32 s3, 0
	s_and_not1_b32 vcc_lo, exec_lo, s4
	s_mov_b32 s4, -1
	s_cbranch_vccnz .LBB86_4
; %bb.1:
	s_cmp_lg_u32 s21, 0
	s_cbranch_scc0 .LBB86_3
; %bb.2:
	s_wait_kmcnt 0x0
	s_cmp_neq_f32 s22, 0
	s_cselect_b32 s3, -1, 0
	s_cmp_neq_f32 s23, 0
	s_cselect_b32 s4, -1, 0
	s_delay_alu instid0(SALU_CYCLE_1)
	s_or_b32 s3, s3, s4
.LBB86_3:
	s_delay_alu instid0(SALU_CYCLE_1)
	s_mov_b32 s4, s3
.LBB86_4:
	s_delay_alu instid0(SALU_CYCLE_1)
	s_and_b32 vcc_lo, exec_lo, s4
	s_cbranch_vccz .LBB86_39
; %bb.5:
	s_load_b32 s19, s[0:1], 0x60
	s_lshr_b32 s24, ttmp7, 16
	s_wait_kmcnt 0x0
	s_cmp_ge_u32 s24, s19
	s_cbranch_scc1 .LBB86_39
; %bb.6:
	s_clause 0x2
	s_load_b32 s28, s[0:1], 0x30
	s_load_b32 s5, s[0:1], 0x18
	s_load_b128 s[12:15], s[0:1], 0x20
	v_and_b32_e32 v1, 0x3ff, v0
	v_bfe_u32 v2, v0, 10, 10
	v_and_b32_e32 v18, 7, v0
	s_clause 0x1
	s_load_b96 s[16:18], s[0:1], 0x48
	s_load_b64 s[26:27], s[0:1], 0x58
	s_lshl_b32 s0, ttmp9, 5
	s_lshl_b32 s1, ttmp7, 5
	v_lshl_add_u32 v0, v2, 4, v1
	s_and_b32 s1, s1, 0x1fffe0
	v_lshlrev_b32_e32 v19, 3, v1
	v_add_nc_u32_e32 v10, s0, v1
	v_lshlrev_b32_e32 v3, 3, v18
	v_and_b32_e32 v1, 31, v0
	v_lshrrev_b32_e32 v4, 3, v0
	v_lshrrev_b32_e32 v20, 5, v0
	v_add_nc_u32_e32 v12, 16, v10
	v_lshl_add_u32 v23, v2, 6, 0x800
	v_or_b32_e32 v0, s0, v1
	s_wait_kmcnt 0x0
	s_ashr_i32 s29, s28, 31
	s_cmp_neq_f32 s22, 0
	v_lshlrev_b32_e32 v1, 3, v1
	v_lshl_or_b32 v3, v4, 6, v3
	v_add_nc_u32_e32 v14, s1, v4
	s_cselect_b32 s3, -1, 0
	s_cmp_neq_f32 s23, 0
	v_lshl_or_b32 v21, v20, 8, v1
	v_add_nc_u32_e32 v1, s1, v2
	v_cmp_gt_i32_e32 vcc_lo, s20, v0
	s_cselect_b32 s4, -1, 0
	v_add_nc_u32_e32 v22, 0x800, v3
	s_or_b32 s33, s3, s4
	s_cmp_gt_i32 s21, 0
	v_cmp_le_i32_e64 s1, v1, v10
	s_cselect_b32 s34, -1, 0
	s_cmp_neq_f32 s10, 0
	v_cmp_le_i32_e64 s3, v1, v12
	v_mad_co_i64_i32 v[6:7], null, v1, s18, 0
	v_add_nc_u32_e32 v4, 16, v1
	v_mad_co_i64_i32 v[0:1], null, s5, v0, 0
	v_mad_co_i64_i32 v[2:3], null, s28, v18, 0
	s_cselect_b32 s35, -1, 0
	s_xor_b32 s36, s2, -1
	v_cmp_gt_i32_e64 s2, s20, v10
	v_cmp_gt_i32_e64 s4, s20, v12
	;; [unrolled: 1-line block ×3, first 2 shown]
	v_mad_co_i64_i32 v[8:9], null, v4, s18, 0
	s_and_b32 s20, s1, s2
	s_and_b32 s30, s3, s4
	v_cmp_le_i32_e64 s1, v4, v10
	v_cmp_le_i32_e64 s3, v4, v12
	v_lshlrev_b64_e32 v[4:5], 3, v[0:1]
	v_lshlrev_b32_e32 v15, 3, v20
	v_lshlrev_b64_e32 v[1:2], 3, v[2:3]
	v_lshlrev_b32_e32 v3, 3, v14
	s_and_b32 s18, s1, s2
	v_ashrrev_i32_e32 v11, 31, v10
	v_add_co_u32 v4, s1, v4, v15
	s_wait_alu 0xf1ff
	v_add_co_ci_u32_e64 v5, null, 0, v5, s1
	v_add_co_u32 v1, s1, v1, v3
	s_wait_alu 0xf1ff
	v_add_co_ci_u32_e64 v14, null, 0, v2, s1
	;; [unrolled: 3-line block ×3, first 2 shown]
	v_add_co_u32 v1, s1, s14, v1
	v_ashrrev_i32_e32 v13, 31, v12
	s_wait_alu 0xf1ff
	v_add_co_ci_u32_e64 v5, null, s15, v14, s1
	s_delay_alu instid0(VALU_DEP_3)
	v_add_co_u32 v4, s1, v1, 4
	v_lshlrev_b64_e32 v[6:7], 3, v[6:7]
	v_lshlrev_b64_e32 v[8:9], 3, v[8:9]
	;; [unrolled: 1-line block ×4, first 2 shown]
	v_mov_b32_e32 v0, 0
	s_wait_alu 0xf1ff
	v_add_co_ci_u32_e64 v5, null, 0, v5, s1
	s_mov_b32 s25, 0
	s_and_b32 s31, s3, s4
	s_lshl_b64 s[2:3], s[12:13], 3
	s_lshl_b64 s[4:5], s[8:9], 3
	s_and_b32 s8, s33, s34
	s_or_b32 s9, s35, s36
	s_lshl_b64 s[6:7], s[28:29], 6
	s_xor_b32 s12, vcc_lo, -1
	s_xor_b32 s13, s0, -1
	s_branch .LBB86_8
.LBB86_7:                               ;   in Loop: Header=BB86_8 Depth=1
	s_wait_alu 0xfffe
	s_or_b32 exec_lo, exec_lo, s0
	s_add_co_i32 s24, s24, 0x10000
	s_wait_alu 0xfffe
	s_cmp_lt_u32 s24, s19
	s_cbranch_scc0 .LBB86_39
.LBB86_8:                               ; =>This Loop Header: Depth=1
                                        ;     Child Loop BB86_11 Depth 2
	v_dual_mov_b32 v30, v0 :: v_dual_mov_b32 v31, v0
	v_dual_mov_b32 v28, v0 :: v_dual_mov_b32 v29, v0
	;; [unrolled: 1-line block ×4, first 2 shown]
	s_and_not1_b32 vcc_lo, exec_lo, s8
	s_wait_alu 0xfffe
	s_cbranch_vccnz .LBB86_19
; %bb.9:                                ;   in Loop: Header=BB86_8 Depth=1
	v_mad_co_u64_u32 v[14:15], null, s2, s24, v[2:3]
	v_mad_co_u64_u32 v[16:17], null, s4, s24, v[4:5]
	v_dual_mov_b32 v25, 0 :: v_dual_mov_b32 v28, 0
	v_mov_b32_e32 v27, 0
	v_mov_b32_e32 v29, 0
	v_dual_mov_b32 v1, v15 :: v_dual_mov_b32 v24, 0
	v_dual_mov_b32 v15, v17 :: v_dual_mov_b32 v26, 0
	s_mov_b32 s0, 0
	s_delay_alu instid0(VALU_DEP_2) | instskip(NEXT) | instid1(VALU_DEP_2)
	v_mad_co_u64_u32 v[30:31], null, s3, s24, v[1:2]
	v_mad_co_u64_u32 v[32:33], null, s5, s24, v[15:16]
	v_mov_b32_e32 v31, 0
	s_delay_alu instid0(VALU_DEP_3) | instskip(NEXT) | instid1(VALU_DEP_3)
	v_dual_mov_b32 v15, v30 :: v_dual_mov_b32 v30, 0
	v_mov_b32_e32 v17, v32
	s_branch .LBB86_11
.LBB86_10:                              ;   in Loop: Header=BB86_11 Depth=2
	s_or_b32 exec_lo, exec_lo, s1
	ds_store_b32 v22, v1 offset:4
	s_wait_dscnt 0x0
	s_barrier_signal -1
	s_barrier_wait -1
	global_inv scope:SCOPE_SE
	ds_load_b128 v[32:35], v23
	ds_load_2addr_b64 v[36:39], v19 offset1:16
	ds_load_b128 v[40:43], v23 offset:1024
	ds_load_b128 v[44:47], v23 offset:16
	;; [unrolled: 1-line block ×4, first 2 shown]
	ds_load_2addr_b64 v[56:59], v19 offset0:32 offset1:48
	ds_load_b128 v[60:63], v23 offset:1040
	v_add_co_u32 v14, vcc_lo, v14, 64
	s_wait_alu 0xfffd
	v_add_co_ci_u32_e64 v15, null, 0, v15, vcc_lo
	v_add_co_u32 v16, vcc_lo, v16, s6
	s_wait_alu 0xfffd
	v_add_co_ci_u32_e64 v17, null, s7, v17, vcc_lo
	s_add_co_i32 s0, s0, 8
	s_wait_alu 0xfffe
	s_cmp_lt_i32 s0, s21
	s_wait_dscnt 0x6
	v_dual_mul_f32 v1, v33, v37 :: v_dual_mul_f32 v66, v32, v39
	v_dual_mul_f32 v64, v32, v37 :: v_dual_mul_f32 v65, v33, v39
	s_wait_dscnt 0x5
	v_mul_f32_e32 v68, v41, v39
	s_delay_alu instid0(VALU_DEP_3) | instskip(SKIP_3) | instid1(VALU_DEP_4)
	v_fma_f32 v1, v32, v36, -v1
	v_dual_mul_f32 v39, v40, v39 :: v_dual_fmac_f32 v66, v33, v38
	v_fmac_f32_e32 v64, v33, v36
	v_fma_f32 v32, v32, v38, -v65
	v_add_f32_e32 v1, v30, v1
	v_mul_f32_e32 v67, v41, v37
	s_delay_alu instid0(VALU_DEP_4) | instskip(NEXT) | instid1(VALU_DEP_4)
	v_dual_mul_f32 v37, v40, v37 :: v_dual_add_f32 v30, v31, v64
	v_add_f32_e32 v31, v28, v32
	v_fma_f32 v28, v40, v38, -v68
	s_delay_alu instid0(VALU_DEP_4) | instskip(NEXT) | instid1(VALU_DEP_4)
	v_fma_f32 v33, v40, v36, -v67
	v_fmac_f32_e32 v37, v41, v36
	s_wait_dscnt 0x1
	v_dual_add_f32 v29, v29, v66 :: v_dual_mul_f32 v36, v35, v57
	v_dual_fmac_f32 v39, v41, v38 :: v_dual_mul_f32 v40, v35, v59
	v_add_f32_e32 v32, v26, v33
	v_add_f32_e32 v33, v27, v37
	v_dual_add_f32 v37, v25, v28 :: v_dual_mul_f32 v38, v34, v57
	ds_load_2addr_b64 v[25:28], v19 offset0:64 offset1:80
	v_fma_f32 v36, v34, v56, -v36
	v_add_f32_e32 v24, v24, v39
	v_dual_mul_f32 v39, v34, v59 :: v_dual_fmac_f32 v38, v35, v56
	v_fma_f32 v34, v34, v58, -v40
	s_delay_alu instid0(VALU_DEP_4) | instskip(NEXT) | instid1(VALU_DEP_3)
	v_dual_add_f32 v1, v1, v36 :: v_dual_mul_f32 v36, v43, v57
	v_fmac_f32_e32 v39, v35, v58
	s_delay_alu instid0(VALU_DEP_4)
	v_add_f32_e32 v38, v30, v38
	v_mul_f32_e32 v30, v42, v57
	v_add_f32_e32 v34, v31, v34
	v_fma_f32 v31, v42, v56, -v36
	v_mul_f32_e32 v35, v43, v59
	v_add_f32_e32 v36, v29, v39
	v_dual_mul_f32 v39, v42, v59 :: v_dual_fmac_f32 v30, v43, v56
	s_delay_alu instid0(VALU_DEP_4) | instskip(NEXT) | instid1(VALU_DEP_4)
	v_add_f32_e32 v40, v32, v31
	v_fma_f32 v29, v42, v58, -v35
	s_wait_dscnt 0x0
	v_mul_f32_e32 v31, v45, v26
	v_dual_fmac_f32 v39, v43, v58 :: v_dual_mul_f32 v42, v45, v28
	s_delay_alu instid0(VALU_DEP_3) | instskip(SKIP_1) | instid1(VALU_DEP_4)
	v_add_f32_e32 v37, v37, v29
	v_add_f32_e32 v33, v33, v30
	v_fma_f32 v41, v44, v25, -v31
	s_delay_alu instid0(VALU_DEP_4)
	v_add_f32_e32 v39, v24, v39
	v_mul_f32_e32 v24, v44, v28
	v_mul_f32_e32 v35, v44, v26
	ds_load_2addr_b64 v[29:32], v19 offset0:96 offset1:112
	v_add_f32_e32 v1, v1, v41
	v_fma_f32 v41, v44, v27, -v42
	v_fmac_f32_e32 v24, v45, v27
	v_fmac_f32_e32 v35, v45, v25
	s_delay_alu instid0(VALU_DEP_3) | instskip(NEXT) | instid1(VALU_DEP_2)
	v_dual_add_f32 v34, v34, v41 :: v_dual_mul_f32 v41, v61, v28
	v_dual_add_f32 v35, v38, v35 :: v_dual_mul_f32 v38, v61, v26
	v_mul_f32_e32 v26, v60, v26
	v_mul_f32_e32 v28, v60, v28
	v_add_f32_e32 v42, v36, v24
	v_fma_f32 v24, v60, v27, -v41
	v_fma_f32 v38, v60, v25, -v38
	v_fmac_f32_e32 v26, v61, v25
	v_fmac_f32_e32 v28, v61, v27
	s_delay_alu instid0(VALU_DEP_3) | instskip(SKIP_1) | instid1(VALU_DEP_3)
	v_dual_add_f32 v37, v37, v24 :: v_dual_add_f32 v38, v40, v38
	s_wait_dscnt 0x0
	v_dual_add_f32 v40, v33, v26 :: v_dual_mul_f32 v41, v47, v32
	ds_load_2addr_b64 v[24:27], v19 offset0:128 offset1:144
	v_mul_f32_e32 v33, v47, v30
	v_mul_f32_e32 v45, v63, v32
	v_fma_f32 v41, v46, v31, -v41
	s_delay_alu instid0(VALU_DEP_3) | instskip(NEXT) | instid1(VALU_DEP_1)
	v_fma_f32 v33, v46, v29, -v33
	v_add_f32_e32 v1, v1, v33
	v_mul_f32_e32 v33, v63, v30
	v_dual_mul_f32 v36, v46, v30 :: v_dual_add_f32 v39, v39, v28
	v_mul_f32_e32 v28, v46, v32
	v_mul_f32_e32 v30, v62, v30
	s_delay_alu instid0(VALU_DEP_4) | instskip(NEXT) | instid1(VALU_DEP_2)
	v_fma_f32 v44, v62, v29, -v33
	v_fmac_f32_e32 v30, v63, v29
	v_fmac_f32_e32 v36, v47, v29
	s_wait_dscnt 0x0
	v_dual_mul_f32 v29, v49, v25 :: v_dual_fmac_f32 v28, v47, v31
	s_delay_alu instid0(VALU_DEP_1) | instskip(SKIP_1) | instid1(VALU_DEP_2)
	v_dual_mul_f32 v47, v48, v25 :: v_dual_add_f32 v42, v42, v28
	v_fma_f32 v28, v62, v31, -v45
	v_fmac_f32_e32 v47, v49, v24
	v_add_f32_e32 v45, v40, v30
	v_add_f32_e32 v43, v35, v36
	;; [unrolled: 1-line block ×4, first 2 shown]
	v_fma_f32 v37, v48, v24, -v29
	v_mul_f32_e32 v32, v62, v32
	v_mul_f32_e32 v38, v49, v27
	v_add_f32_e32 v43, v43, v47
	s_delay_alu instid0(VALU_DEP_4) | instskip(NEXT) | instid1(VALU_DEP_4)
	v_add_f32_e32 v1, v1, v37
	v_dual_add_f32 v41, v34, v41 :: v_dual_fmac_f32 v32, v63, v31
	ds_load_b128 v[33:36], v23 offset:1056
	ds_load_2addr_b64 v[28:31], v19 offset0:160 offset1:176
	v_mul_f32_e32 v56, v48, v27
	v_fma_f32 v48, v48, v26, -v38
	v_add_f32_e32 v32, v39, v32
	ds_load_b128 v[37:40], v23 offset:1072
	v_add_f32_e32 v41, v41, v48
	s_wait_dscnt 0x2
	v_mul_f32_e32 v57, v34, v25
	v_mul_f32_e32 v25, v33, v25
	v_fmac_f32_e32 v56, v49, v26
	v_mul_f32_e32 v48, v34, v27
	v_mul_f32_e32 v49, v33, v27
	v_fma_f32 v47, v33, v24, -v57
	v_fmac_f32_e32 v25, v34, v24
	s_wait_dscnt 0x1
	v_dual_add_f32 v42, v42, v56 :: v_dual_mul_f32 v27, v51, v29
	v_fma_f32 v24, v33, v26, -v48
	v_fmac_f32_e32 v49, v34, v26
	v_mul_f32_e32 v34, v50, v29
	v_dual_add_f32 v44, v44, v47 :: v_dual_add_f32 v33, v45, v25
	v_mul_f32_e32 v47, v51, v31
	s_delay_alu instid0(VALU_DEP_3)
	v_fmac_f32_e32 v34, v51, v28
	v_dual_add_f32 v45, v46, v24 :: v_dual_add_f32 v48, v32, v49
	v_fma_f32 v46, v50, v28, -v27
	ds_load_2addr_b64 v[24:27], v19 offset0:192 offset1:208
	v_dual_mul_f32 v32, v50, v31 :: v_dual_add_f32 v43, v43, v34
	v_dual_mul_f32 v34, v36, v29 :: v_dual_add_f32 v1, v1, v46
	v_fma_f32 v46, v50, v30, -v47
	v_mul_f32_e32 v29, v35, v29
	s_delay_alu instid0(VALU_DEP_3) | instskip(NEXT) | instid1(VALU_DEP_3)
	v_fma_f32 v34, v35, v28, -v34
	v_dual_add_f32 v41, v41, v46 :: v_dual_mul_f32 v46, v36, v31
	s_delay_alu instid0(VALU_DEP_3) | instskip(NEXT) | instid1(VALU_DEP_1)
	v_dual_fmac_f32 v32, v51, v30 :: v_dual_fmac_f32 v29, v36, v28
	v_dual_mul_f32 v31, v35, v31 :: v_dual_add_f32 v28, v42, v32
	s_delay_alu instid0(VALU_DEP_3) | instskip(NEXT) | instid1(VALU_DEP_3)
	v_fma_f32 v32, v35, v30, -v46
	v_dual_add_f32 v42, v44, v34 :: v_dual_add_f32 v29, v33, v29
	s_wait_dscnt 0x0
	v_mul_f32_e32 v46, v52, v27
	v_dual_mul_f32 v44, v53, v25 :: v_dual_fmac_f32 v31, v36, v30
	v_add_f32_e32 v30, v45, v32
	ds_load_2addr_b64 v[32:35], v19 offset0:224 offset1:240
	v_dual_mul_f32 v36, v52, v25 :: v_dual_mul_f32 v45, v53, v27
	v_fma_f32 v44, v52, v24, -v44
	v_dual_fmac_f32 v46, v53, v26 :: v_dual_add_f32 v31, v48, v31
	s_delay_alu instid0(VALU_DEP_3) | instskip(NEXT) | instid1(VALU_DEP_4)
	v_fmac_f32_e32 v36, v53, v24
	v_fma_f32 v45, v52, v26, -v45
	s_delay_alu instid0(VALU_DEP_4) | instskip(SKIP_2) | instid1(VALU_DEP_3)
	v_dual_add_f32 v1, v1, v44 :: v_dual_mul_f32 v44, v38, v25
	v_mul_f32_e32 v25, v37, v25
	s_wait_loadcnt_dscnt 0x0
	v_add_f32_e32 v41, v41, v45
	v_dual_add_f32 v45, v28, v46 :: v_dual_add_f32 v36, v43, v36
	v_fma_f32 v43, v37, v24, -v44
	v_mul_f32_e32 v44, v38, v27
	v_fmac_f32_e32 v25, v38, v24
	v_mul_f32_e32 v27, v37, v27
	s_barrier_signal -1
	v_add_f32_e32 v24, v42, v43
	v_fma_f32 v28, v37, v26, -v44
	v_mul_f32_e32 v37, v55, v33
	v_mul_f32_e32 v42, v54, v33
	v_add_f32_e32 v25, v29, v25
	v_fmac_f32_e32 v27, v38, v26
	v_add_f32_e32 v38, v30, v28
	v_fma_f32 v26, v54, v32, -v37
	v_fmac_f32_e32 v42, v55, v32
	v_mul_f32_e32 v28, v55, v35
	v_mul_f32_e32 v29, v54, v35
	s_delay_alu instid0(VALU_DEP_4) | instskip(NEXT) | instid1(VALU_DEP_4)
	v_dual_add_f32 v37, v31, v27 :: v_dual_add_f32 v30, v1, v26
	v_add_f32_e32 v31, v36, v42
	s_delay_alu instid0(VALU_DEP_4) | instskip(NEXT) | instid1(VALU_DEP_4)
	v_fma_f32 v1, v54, v34, -v28
	v_dual_mul_f32 v26, v40, v33 :: v_dual_fmac_f32 v29, v55, v34
	v_mul_f32_e32 v27, v39, v33
	s_delay_alu instid0(VALU_DEP_3) | instskip(NEXT) | instid1(VALU_DEP_3)
	v_dual_mul_f32 v33, v40, v35 :: v_dual_add_f32 v28, v41, v1
	v_fma_f32 v1, v39, v32, -v26
	v_mul_f32_e32 v35, v39, v35
	v_add_f32_e32 v29, v45, v29
	s_barrier_wait -1
	global_inv scope:SCOPE_SE
	v_add_f32_e32 v26, v24, v1
	v_fmac_f32_e32 v35, v40, v34
	s_delay_alu instid0(VALU_DEP_1) | instskip(SKIP_1) | instid1(VALU_DEP_2)
	v_dual_add_f32 v24, v37, v35 :: v_dual_fmac_f32 v27, v40, v32
	v_fma_f32 v32, v39, v34, -v33
	v_add_f32_e32 v27, v25, v27
	s_delay_alu instid0(VALU_DEP_2)
	v_add_f32_e32 v25, v38, v32
	s_cbranch_scc0 .LBB86_19
.LBB86_11:                              ;   Parent Loop BB86_8 Depth=1
                                        ; =>  This Inner Loop Header: Depth=2
	s_wait_alu 0xfffe
	v_add_nc_u32_e32 v1, s0, v20
	s_delay_alu instid0(VALU_DEP_1)
	v_cmp_le_i32_e32 vcc_lo, s21, v1
	s_or_b32 s1, s12, vcc_lo
	s_wait_alu 0xfffe
	s_and_saveexec_b32 s14, s1
	s_wait_alu 0xfffe
	s_xor_b32 s1, exec_lo, s14
; %bb.12:                               ;   in Loop: Header=BB86_11 Depth=2
	v_mov_b32_e32 v1, v0
	ds_store_b64 v21, v[0:1]
; %bb.13:                               ;   in Loop: Header=BB86_11 Depth=2
	s_wait_alu 0xfffe
	s_and_not1_saveexec_b32 s1, s1
	s_cbranch_execz .LBB86_15
; %bb.14:                               ;   in Loop: Header=BB86_11 Depth=2
	global_load_b64 v[32:33], v[14:15], off
	s_wait_loadcnt 0x0
	ds_store_b64 v21, v[32:33]
.LBB86_15:                              ;   in Loop: Header=BB86_11 Depth=2
	s_wait_alu 0xfffe
	s_or_b32 exec_lo, exec_lo, s1
	v_add_nc_u32_e32 v1, s0, v18
	s_delay_alu instid0(VALU_DEP_1)
	v_cmp_le_i32_e32 vcc_lo, s21, v1
	s_or_b32 s1, vcc_lo, s13
	s_wait_alu 0xfffe
	s_and_saveexec_b32 s14, s1
	s_wait_alu 0xfffe
	s_xor_b32 s1, exec_lo, s14
; %bb.16:                               ;   in Loop: Header=BB86_11 Depth=2
	ds_store_b32 v22, v0
; %bb.17:                               ;   in Loop: Header=BB86_11 Depth=2
	s_wait_alu 0xfffe
	s_or_saveexec_b32 s1, s1
	v_mov_b32_e32 v1, 0
	s_wait_alu 0xfffe
	s_xor_b32 exec_lo, exec_lo, s1
	s_cbranch_execz .LBB86_10
; %bb.18:                               ;   in Loop: Header=BB86_11 Depth=2
	global_load_b64 v[32:33], v[16:17], off offset:-4
	s_wait_loadcnt 0x0
	v_xor_b32_e32 v1, 0x80000000, v33
	ds_store_b32 v22, v32
	s_branch .LBB86_10
.LBB86_19:                              ;   in Loop: Header=BB86_8 Depth=1
	s_mul_u64 s[0:1], s[26:27], s[24:25]
	s_wait_alu 0xfffe
	s_lshl_b64 s[0:1], s[0:1], 3
	s_wait_alu 0xfffe
	s_add_nc_u64 s[0:1], s[16:17], s[0:1]
	s_wait_alu 0xfffe
	v_add_co_u32 v1, vcc_lo, s0, v6
	s_wait_alu 0xfffd
	v_add_co_ci_u32_e64 v16, null, s1, v7, vcc_lo
	s_and_saveexec_b32 s14, s20
	s_cbranch_execz .LBB86_24
; %bb.20:                               ;   in Loop: Header=BB86_8 Depth=1
	v_mul_f32_e32 v15, s22, v31
	v_mul_f32_e32 v14, s23, v31
	s_and_b32 vcc_lo, exec_lo, s9
	s_mov_b32 s15, -1
	s_delay_alu instid0(VALU_DEP_2) | instskip(NEXT) | instid1(VALU_DEP_2)
	v_fmac_f32_e32 v15, s23, v30
	v_fma_f32 v14, v30, s22, -v14
	s_wait_alu 0xfffe
	s_cbranch_vccz .LBB86_22
; %bb.21:                               ;   in Loop: Header=BB86_8 Depth=1
	v_add_co_u32 v30, vcc_lo, v1, v10
	s_wait_alu 0xfffd
	v_add_co_ci_u32_e64 v31, null, v16, v11, vcc_lo
	s_mov_b32 s15, 0
	global_load_b64 v[32:33], v[30:31], off
	s_wait_loadcnt 0x0
	v_mul_f32_e32 v17, s11, v33
	v_mul_f32_e32 v33, s10, v33
	s_delay_alu instid0(VALU_DEP_2) | instskip(NEXT) | instid1(VALU_DEP_1)
	v_fma_f32 v17, v32, s10, -v17
	v_dual_fmac_f32 v33, s11, v32 :: v_dual_add_f32 v32, v14, v17
	s_delay_alu instid0(VALU_DEP_1)
	v_add_f32_e32 v33, v15, v33
	global_store_b64 v[30:31], v[32:33], off
.LBB86_22:                              ;   in Loop: Header=BB86_8 Depth=1
	s_wait_alu 0xfffe
	s_and_not1_b32 vcc_lo, exec_lo, s15
	s_wait_alu 0xfffe
	s_cbranch_vccnz .LBB86_24
; %bb.23:                               ;   in Loop: Header=BB86_8 Depth=1
	v_add_co_u32 v30, vcc_lo, v1, v10
	s_wait_alu 0xfffd
	v_add_co_ci_u32_e64 v31, null, v16, v11, vcc_lo
	global_store_b64 v[30:31], v[14:15], off
.LBB86_24:                              ;   in Loop: Header=BB86_8 Depth=1
	s_wait_alu 0xfffe
	s_or_b32 exec_lo, exec_lo, s14
	s_and_saveexec_b32 s14, s30
	s_cbranch_execz .LBB86_29
; %bb.25:                               ;   in Loop: Header=BB86_8 Depth=1
	v_mul_f32_e32 v15, s22, v29
	v_mul_f32_e32 v14, s23, v29
	s_and_not1_b32 vcc_lo, exec_lo, s9
	s_mov_b32 s15, -1
	s_delay_alu instid0(VALU_DEP_2) | instskip(NEXT) | instid1(VALU_DEP_2)
	v_fmac_f32_e32 v15, s23, v28
	v_fma_f32 v14, v28, s22, -v14
	s_wait_alu 0xfffe
	s_cbranch_vccnz .LBB86_27
; %bb.26:                               ;   in Loop: Header=BB86_8 Depth=1
	v_add_co_u32 v28, vcc_lo, v1, v12
	s_wait_alu 0xfffd
	v_add_co_ci_u32_e64 v29, null, v16, v13, vcc_lo
	s_mov_b32 s15, 0
	global_load_b64 v[30:31], v[28:29], off
	s_wait_loadcnt 0x0
	v_mul_f32_e32 v17, s11, v31
	s_delay_alu instid0(VALU_DEP_1) | instskip(SKIP_1) | instid1(VALU_DEP_1)
	v_fma_f32 v17, v30, s10, -v17
	v_mul_f32_e32 v31, s10, v31
	v_dual_fmac_f32 v31, s11, v30 :: v_dual_add_f32 v30, v14, v17
	s_delay_alu instid0(VALU_DEP_1)
	v_add_f32_e32 v31, v15, v31
	global_store_b64 v[28:29], v[30:31], off
.LBB86_27:                              ;   in Loop: Header=BB86_8 Depth=1
	s_wait_alu 0xfffe
	s_and_not1_b32 vcc_lo, exec_lo, s15
	s_wait_alu 0xfffe
	s_cbranch_vccnz .LBB86_29
; %bb.28:                               ;   in Loop: Header=BB86_8 Depth=1
	v_add_co_u32 v28, vcc_lo, v1, v12
	s_wait_alu 0xfffd
	v_add_co_ci_u32_e64 v29, null, v16, v13, vcc_lo
	global_store_b64 v[28:29], v[14:15], off
.LBB86_29:                              ;   in Loop: Header=BB86_8 Depth=1
	s_wait_alu 0xfffe
	s_or_b32 exec_lo, exec_lo, s14
	v_add_co_u32 v1, vcc_lo, s0, v8
	s_wait_alu 0xfffd
	v_add_co_ci_u32_e64 v16, null, s1, v9, vcc_lo
	s_and_saveexec_b32 s0, s18
	s_cbranch_execz .LBB86_34
; %bb.30:                               ;   in Loop: Header=BB86_8 Depth=1
	v_mul_f32_e32 v15, s22, v27
	v_mul_f32_e32 v14, s23, v27
	s_and_not1_b32 vcc_lo, exec_lo, s9
	s_mov_b32 s1, -1
	s_delay_alu instid0(VALU_DEP_2) | instskip(NEXT) | instid1(VALU_DEP_2)
	v_fmac_f32_e32 v15, s23, v26
	v_fma_f32 v14, v26, s22, -v14
	s_wait_alu 0xfffe
	s_cbranch_vccnz .LBB86_32
; %bb.31:                               ;   in Loop: Header=BB86_8 Depth=1
	v_add_co_u32 v26, vcc_lo, v1, v10
	s_wait_alu 0xfffd
	v_add_co_ci_u32_e64 v27, null, v16, v11, vcc_lo
	s_mov_b32 s1, 0
	global_load_b64 v[28:29], v[26:27], off
	s_wait_loadcnt 0x0
	v_mul_f32_e32 v17, s11, v29
	v_mul_f32_e32 v29, s10, v29
	s_delay_alu instid0(VALU_DEP_2) | instskip(NEXT) | instid1(VALU_DEP_1)
	v_fma_f32 v17, v28, s10, -v17
	v_dual_fmac_f32 v29, s11, v28 :: v_dual_add_f32 v28, v14, v17
	s_delay_alu instid0(VALU_DEP_1)
	v_add_f32_e32 v29, v15, v29
	global_store_b64 v[26:27], v[28:29], off
.LBB86_32:                              ;   in Loop: Header=BB86_8 Depth=1
	s_wait_alu 0xfffe
	s_and_not1_b32 vcc_lo, exec_lo, s1
	s_wait_alu 0xfffe
	s_cbranch_vccnz .LBB86_34
; %bb.33:                               ;   in Loop: Header=BB86_8 Depth=1
	v_add_co_u32 v26, vcc_lo, v1, v10
	s_wait_alu 0xfffd
	v_add_co_ci_u32_e64 v27, null, v16, v11, vcc_lo
	global_store_b64 v[26:27], v[14:15], off
.LBB86_34:                              ;   in Loop: Header=BB86_8 Depth=1
	s_wait_alu 0xfffe
	s_or_b32 exec_lo, exec_lo, s0
	s_and_saveexec_b32 s0, s31
	s_cbranch_execz .LBB86_7
; %bb.35:                               ;   in Loop: Header=BB86_8 Depth=1
	v_mul_f32_e32 v15, s22, v24
	v_mul_f32_e32 v14, s23, v24
	s_and_not1_b32 vcc_lo, exec_lo, s9
	s_mov_b32 s1, -1
	s_delay_alu instid0(VALU_DEP_2) | instskip(NEXT) | instid1(VALU_DEP_2)
	v_fmac_f32_e32 v15, s23, v25
	v_fma_f32 v14, v25, s22, -v14
	s_wait_alu 0xfffe
	s_cbranch_vccnz .LBB86_37
; %bb.36:                               ;   in Loop: Header=BB86_8 Depth=1
	v_add_co_u32 v24, vcc_lo, v1, v12
	s_wait_alu 0xfffd
	v_add_co_ci_u32_e64 v25, null, v16, v13, vcc_lo
	s_mov_b32 s1, 0
	global_load_b64 v[26:27], v[24:25], off
	s_wait_loadcnt 0x0
	v_mul_f32_e32 v17, s11, v27
	s_delay_alu instid0(VALU_DEP_1) | instskip(SKIP_1) | instid1(VALU_DEP_1)
	v_fma_f32 v17, v26, s10, -v17
	v_mul_f32_e32 v27, s10, v27
	v_dual_fmac_f32 v27, s11, v26 :: v_dual_add_f32 v26, v14, v17
	s_delay_alu instid0(VALU_DEP_1)
	v_add_f32_e32 v27, v15, v27
	global_store_b64 v[24:25], v[26:27], off
.LBB86_37:                              ;   in Loop: Header=BB86_8 Depth=1
	s_wait_alu 0xfffe
	s_and_not1_b32 vcc_lo, exec_lo, s1
	s_wait_alu 0xfffe
	s_cbranch_vccnz .LBB86_7
; %bb.38:                               ;   in Loop: Header=BB86_8 Depth=1
	v_add_co_u32 v24, vcc_lo, v1, v12
	s_wait_alu 0xfffd
	v_add_co_ci_u32_e64 v25, null, v16, v13, vcc_lo
	global_store_b64 v[24:25], v[14:15], off
	s_branch .LBB86_7
.LBB86_39:
	s_endpgm
	.section	.rodata,"a",@progbits
	.p2align	6, 0x0
	.amdhsa_kernel _ZL29rocblas_internal_gemmt_kernelIiLi16ELi32ELi8ELc84ELc67ELc76ELb0ELb1E19rocblas_complex_numIfEPKS1_S3_PS1_EviT_T9_T10_S5_lS7_S5_lS6_T11_S5_li
		.amdhsa_group_segment_fixed_size 4096
		.amdhsa_private_segment_fixed_size 0
		.amdhsa_kernarg_size 100
		.amdhsa_user_sgpr_count 2
		.amdhsa_user_sgpr_dispatch_ptr 0
		.amdhsa_user_sgpr_queue_ptr 0
		.amdhsa_user_sgpr_kernarg_segment_ptr 1
		.amdhsa_user_sgpr_dispatch_id 0
		.amdhsa_user_sgpr_private_segment_size 0
		.amdhsa_wavefront_size32 1
		.amdhsa_uses_dynamic_stack 0
		.amdhsa_enable_private_segment 0
		.amdhsa_system_sgpr_workgroup_id_x 1
		.amdhsa_system_sgpr_workgroup_id_y 1
		.amdhsa_system_sgpr_workgroup_id_z 1
		.amdhsa_system_sgpr_workgroup_info 0
		.amdhsa_system_vgpr_workitem_id 1
		.amdhsa_next_free_vgpr 69
		.amdhsa_next_free_sgpr 37
		.amdhsa_reserve_vcc 1
		.amdhsa_float_round_mode_32 0
		.amdhsa_float_round_mode_16_64 0
		.amdhsa_float_denorm_mode_32 3
		.amdhsa_float_denorm_mode_16_64 3
		.amdhsa_fp16_overflow 0
		.amdhsa_workgroup_processor_mode 1
		.amdhsa_memory_ordered 1
		.amdhsa_forward_progress 1
		.amdhsa_inst_pref_size 25
		.amdhsa_round_robin_scheduling 0
		.amdhsa_exception_fp_ieee_invalid_op 0
		.amdhsa_exception_fp_denorm_src 0
		.amdhsa_exception_fp_ieee_div_zero 0
		.amdhsa_exception_fp_ieee_overflow 0
		.amdhsa_exception_fp_ieee_underflow 0
		.amdhsa_exception_fp_ieee_inexact 0
		.amdhsa_exception_int_div_zero 0
	.end_amdhsa_kernel
	.section	.text._ZL29rocblas_internal_gemmt_kernelIiLi16ELi32ELi8ELc84ELc67ELc76ELb0ELb1E19rocblas_complex_numIfEPKS1_S3_PS1_EviT_T9_T10_S5_lS7_S5_lS6_T11_S5_li,"axG",@progbits,_ZL29rocblas_internal_gemmt_kernelIiLi16ELi32ELi8ELc84ELc67ELc76ELb0ELb1E19rocblas_complex_numIfEPKS1_S3_PS1_EviT_T9_T10_S5_lS7_S5_lS6_T11_S5_li,comdat
.Lfunc_end86:
	.size	_ZL29rocblas_internal_gemmt_kernelIiLi16ELi32ELi8ELc84ELc67ELc76ELb0ELb1E19rocblas_complex_numIfEPKS1_S3_PS1_EviT_T9_T10_S5_lS7_S5_lS6_T11_S5_li, .Lfunc_end86-_ZL29rocblas_internal_gemmt_kernelIiLi16ELi32ELi8ELc84ELc67ELc76ELb0ELb1E19rocblas_complex_numIfEPKS1_S3_PS1_EviT_T9_T10_S5_lS7_S5_lS6_T11_S5_li
                                        ; -- End function
	.set _ZL29rocblas_internal_gemmt_kernelIiLi16ELi32ELi8ELc84ELc67ELc76ELb0ELb1E19rocblas_complex_numIfEPKS1_S3_PS1_EviT_T9_T10_S5_lS7_S5_lS6_T11_S5_li.num_vgpr, 69
	.set _ZL29rocblas_internal_gemmt_kernelIiLi16ELi32ELi8ELc84ELc67ELc76ELb0ELb1E19rocblas_complex_numIfEPKS1_S3_PS1_EviT_T9_T10_S5_lS7_S5_lS6_T11_S5_li.num_agpr, 0
	.set _ZL29rocblas_internal_gemmt_kernelIiLi16ELi32ELi8ELc84ELc67ELc76ELb0ELb1E19rocblas_complex_numIfEPKS1_S3_PS1_EviT_T9_T10_S5_lS7_S5_lS6_T11_S5_li.numbered_sgpr, 37
	.set _ZL29rocblas_internal_gemmt_kernelIiLi16ELi32ELi8ELc84ELc67ELc76ELb0ELb1E19rocblas_complex_numIfEPKS1_S3_PS1_EviT_T9_T10_S5_lS7_S5_lS6_T11_S5_li.num_named_barrier, 0
	.set _ZL29rocblas_internal_gemmt_kernelIiLi16ELi32ELi8ELc84ELc67ELc76ELb0ELb1E19rocblas_complex_numIfEPKS1_S3_PS1_EviT_T9_T10_S5_lS7_S5_lS6_T11_S5_li.private_seg_size, 0
	.set _ZL29rocblas_internal_gemmt_kernelIiLi16ELi32ELi8ELc84ELc67ELc76ELb0ELb1E19rocblas_complex_numIfEPKS1_S3_PS1_EviT_T9_T10_S5_lS7_S5_lS6_T11_S5_li.uses_vcc, 1
	.set _ZL29rocblas_internal_gemmt_kernelIiLi16ELi32ELi8ELc84ELc67ELc76ELb0ELb1E19rocblas_complex_numIfEPKS1_S3_PS1_EviT_T9_T10_S5_lS7_S5_lS6_T11_S5_li.uses_flat_scratch, 0
	.set _ZL29rocblas_internal_gemmt_kernelIiLi16ELi32ELi8ELc84ELc67ELc76ELb0ELb1E19rocblas_complex_numIfEPKS1_S3_PS1_EviT_T9_T10_S5_lS7_S5_lS6_T11_S5_li.has_dyn_sized_stack, 0
	.set _ZL29rocblas_internal_gemmt_kernelIiLi16ELi32ELi8ELc84ELc67ELc76ELb0ELb1E19rocblas_complex_numIfEPKS1_S3_PS1_EviT_T9_T10_S5_lS7_S5_lS6_T11_S5_li.has_recursion, 0
	.set _ZL29rocblas_internal_gemmt_kernelIiLi16ELi32ELi8ELc84ELc67ELc76ELb0ELb1E19rocblas_complex_numIfEPKS1_S3_PS1_EviT_T9_T10_S5_lS7_S5_lS6_T11_S5_li.has_indirect_call, 0
	.section	.AMDGPU.csdata,"",@progbits
; Kernel info:
; codeLenInByte = 3164
; TotalNumSgprs: 39
; NumVgprs: 69
; ScratchSize: 0
; MemoryBound: 1
; FloatMode: 240
; IeeeMode: 1
; LDSByteSize: 4096 bytes/workgroup (compile time only)
; SGPRBlocks: 0
; VGPRBlocks: 8
; NumSGPRsForWavesPerEU: 39
; NumVGPRsForWavesPerEU: 69
; Occupancy: 16
; WaveLimiterHint : 0
; COMPUTE_PGM_RSRC2:SCRATCH_EN: 0
; COMPUTE_PGM_RSRC2:USER_SGPR: 2
; COMPUTE_PGM_RSRC2:TRAP_HANDLER: 0
; COMPUTE_PGM_RSRC2:TGID_X_EN: 1
; COMPUTE_PGM_RSRC2:TGID_Y_EN: 1
; COMPUTE_PGM_RSRC2:TGID_Z_EN: 1
; COMPUTE_PGM_RSRC2:TIDIG_COMP_CNT: 1
	.section	.text._ZL29rocblas_internal_gemmt_kernelIiLi16ELi32ELi8ELc67ELc78ELc76ELb1ELb0E19rocblas_complex_numIfEPKS1_S3_PS1_EviT_T9_T10_S5_lS7_S5_lS6_T11_S5_li,"axG",@progbits,_ZL29rocblas_internal_gemmt_kernelIiLi16ELi32ELi8ELc67ELc78ELc76ELb1ELb0E19rocblas_complex_numIfEPKS1_S3_PS1_EviT_T9_T10_S5_lS7_S5_lS6_T11_S5_li,comdat
	.globl	_ZL29rocblas_internal_gemmt_kernelIiLi16ELi32ELi8ELc67ELc78ELc76ELb1ELb0E19rocblas_complex_numIfEPKS1_S3_PS1_EviT_T9_T10_S5_lS7_S5_lS6_T11_S5_li ; -- Begin function _ZL29rocblas_internal_gemmt_kernelIiLi16ELi32ELi8ELc67ELc78ELc76ELb1ELb0E19rocblas_complex_numIfEPKS1_S3_PS1_EviT_T9_T10_S5_lS7_S5_lS6_T11_S5_li
	.p2align	8
	.type	_ZL29rocblas_internal_gemmt_kernelIiLi16ELi32ELi8ELc67ELc78ELc76ELb1ELb0E19rocblas_complex_numIfEPKS1_S3_PS1_EviT_T9_T10_S5_lS7_S5_lS6_T11_S5_li,@function
_ZL29rocblas_internal_gemmt_kernelIiLi16ELi32ELi8ELc67ELc78ELc76ELb1ELb0E19rocblas_complex_numIfEPKS1_S3_PS1_EviT_T9_T10_S5_lS7_S5_lS6_T11_S5_li: ; @_ZL29rocblas_internal_gemmt_kernelIiLi16ELi32ELi8ELc67ELc78ELc76ELb1ELb0E19rocblas_complex_numIfEPKS1_S3_PS1_EviT_T9_T10_S5_lS7_S5_lS6_T11_S5_li
; %bb.0:
	s_load_b128 s[8:11], s[0:1], 0x38
	s_wait_kmcnt 0x0
	s_load_b64 s[10:11], s[10:11], 0x0
	s_clause 0x1
	s_load_b128 s[4:7], s[0:1], 0x8
	s_load_b64 s[20:21], s[0:1], 0x0
	s_wait_kmcnt 0x0
	s_load_b64 s[22:23], s[4:5], 0x0
	s_cmp_eq_f32 s10, 1.0
	s_cselect_b32 s2, -1, 0
	s_and_b32 s3, s11, 0x7fffffff
	s_delay_alu instid0(SALU_CYCLE_1) | instskip(SKIP_1) | instid1(SALU_CYCLE_1)
	s_cmp_eq_u32 s3, 0
	s_cselect_b32 s3, -1, 0
	s_and_b32 s4, s2, s3
	s_mov_b32 s2, 0
	s_and_not1_b32 vcc_lo, exec_lo, s4
	s_mov_b32 s4, -1
	s_cbranch_vccnz .LBB87_4
; %bb.1:
	s_cmp_lg_u32 s21, 0
	s_cbranch_scc0 .LBB87_3
; %bb.2:
	s_wait_kmcnt 0x0
	s_cmp_neq_f32 s22, 0
	s_cselect_b32 s2, -1, 0
	s_cmp_neq_f32 s23, 0
	s_cselect_b32 s4, -1, 0
	s_delay_alu instid0(SALU_CYCLE_1)
	s_or_b32 s2, s2, s4
.LBB87_3:
	s_delay_alu instid0(SALU_CYCLE_1)
	s_mov_b32 s4, s2
.LBB87_4:
	s_delay_alu instid0(SALU_CYCLE_1)
	s_and_b32 vcc_lo, exec_lo, s4
	s_cbranch_vccz .LBB87_39
; %bb.5:
	s_load_b32 s19, s[0:1], 0x60
	s_lshr_b32 s24, ttmp7, 16
	s_wait_kmcnt 0x0
	s_cmp_ge_u32 s24, s19
	s_cbranch_scc1 .LBB87_39
; %bb.6:
	v_and_b32_e32 v1, 0x3ff, v0
	v_bfe_u32 v2, v0, 10, 10
	v_and_b32_e32 v18, 7, v0
	s_clause 0x2
	s_load_b32 s5, s[0:1], 0x18
	s_load_b128 s[12:15], s[0:1], 0x20
	s_load_b32 s30, s[0:1], 0x30
	s_lshl_b32 s2, ttmp7, 5
	s_lshl_b32 s4, ttmp9, 5
	v_lshl_add_u32 v0, v2, 4, v1
	s_and_b32 s2, s2, 0x1fffe0
	s_cmp_neq_f32 s22, 0
	v_lshlrev_b32_e32 v14, 3, v18
	s_clause 0x1
	s_load_b96 s[16:18], s[0:1], 0x48
	s_load_b64 s[26:27], s[0:1], 0x58
	v_lshrrev_b32_e32 v19, 5, v0
	v_lshrrev_b32_e32 v3, 3, v0
	v_and_b32_e32 v0, 31, v0
	s_cselect_b32 s25, -1, 0
	s_cmp_neq_f32 s23, 0
	v_add_nc_u32_e32 v10, s4, v1
	v_add_nc_u32_e32 v5, s2, v3
	v_or_b32_e32 v4, s4, v0
	v_lshlrev_b32_e32 v0, 3, v0
	s_cselect_b32 s0, -1, 0
	v_add_nc_u32_e32 v12, 16, v10
	s_or_b32 s31, s25, s0
	s_cmp_gt_i32 s21, 0
	v_lshl_or_b32 v20, v19, 8, v0
	v_lshl_or_b32 v0, v3, 6, v14
	v_add_nc_u32_e32 v3, s2, v2
	v_cmp_gt_i32_e64 s2, s20, v10
	s_cselect_b32 s33, -1, 0
	s_cmp_neq_f32 s10, 0
	v_add_nc_u32_e32 v21, 0x800, v0
	v_cmp_le_i32_e64 s1, v3, v10
	v_lshlrev_b32_e32 v22, 3, v1
	s_wait_kmcnt 0x0
	v_mad_co_i64_i32 v[0:1], null, s5, v4, 0
	v_lshl_add_u32 v23, v2, 6, 0x800
	s_cselect_b32 s34, -1, 0
	s_xor_b32 s35, s3, -1
	s_and_b32 s28, s1, s2
	v_cmp_le_i32_e64 s1, v3, v12
	v_cmp_gt_i32_e64 s3, s20, v12
	v_add_nc_u32_e32 v2, 16, v3
	v_lshlrev_b64_e32 v[0:1], 3, v[0:1]
	v_cmp_gt_i32_e32 vcc_lo, s20, v4
	v_cmp_gt_i32_e64 s0, s20, v5
	s_and_b32 s20, s1, s3
	v_cmp_le_i32_e64 s1, v2, v10
	v_lshlrev_b32_e32 v4, 3, v19
	v_mad_co_i64_i32 v[6:7], null, v3, s18, 0
	v_cmp_le_i32_e64 s4, v2, v12
	v_mad_co_i64_i32 v[8:9], null, v2, s18, 0
	v_mad_co_i64_i32 v[2:3], null, s30, v5, 0
	s_and_b32 s18, s1, s2
	v_add_co_u32 v4, s1, v0, v4
	s_delay_alu instid0(VALU_DEP_1) | instskip(SKIP_1) | instid1(VALU_DEP_3)
	v_add_co_ci_u32_e64 v1, null, 0, v1, s1
	v_ashrrev_i32_e32 v11, 31, v10
	v_add_co_u32 v15, s1, s6, v4
	v_lshlrev_b64_e32 v[4:5], 3, v[2:3]
	s_wait_alu 0xf1ff
	v_add_co_ci_u32_e64 v1, null, s7, v1, s1
	s_delay_alu instid0(VALU_DEP_3) | instskip(SKIP_2) | instid1(VALU_DEP_3)
	v_add_co_u32 v2, s1, v15, 4
	v_ashrrev_i32_e32 v13, 31, v12
	s_wait_alu 0xf1ff
	v_add_co_ci_u32_e64 v3, null, 0, v1, s1
	v_add_co_u32 v1, s1, v4, v14
	s_wait_alu 0xf1ff
	v_add_co_ci_u32_e64 v5, null, 0, v5, s1
	v_lshlrev_b64_e32 v[6:7], 3, v[6:7]
	s_delay_alu instid0(VALU_DEP_3)
	v_add_co_u32 v4, s1, s14, v1
	v_lshlrev_b64_e32 v[8:9], 3, v[8:9]
	v_lshlrev_b64_e32 v[10:11], 3, v[10:11]
	v_lshlrev_b64_e32 v[12:13], 3, v[12:13]
	v_mov_b32_e32 v0, 0
	s_wait_alu 0xf1ff
	v_add_co_ci_u32_e64 v5, null, s15, v5, s1
	s_mov_b32 s25, 0
	s_and_b32 s29, s4, s3
	s_lshl_b64 s[2:3], s[12:13], 3
	s_and_b32 s6, s31, s33
	s_or_b32 s7, s34, s35
	s_lshl_b64 s[4:5], s[8:9], 3
	s_xor_b32 s8, vcc_lo, -1
	s_xor_b32 s9, s0, -1
	s_branch .LBB87_8
.LBB87_7:                               ;   in Loop: Header=BB87_8 Depth=1
	s_wait_alu 0xfffe
	s_or_b32 exec_lo, exec_lo, s0
	s_add_co_i32 s24, s24, 0x10000
	s_wait_alu 0xfffe
	s_cmp_lt_u32 s24, s19
	s_cbranch_scc0 .LBB87_39
.LBB87_8:                               ; =>This Loop Header: Depth=1
                                        ;     Child Loop BB87_11 Depth 2
	v_dual_mov_b32 v30, v0 :: v_dual_mov_b32 v31, v0
	v_dual_mov_b32 v28, v0 :: v_dual_mov_b32 v29, v0
	;; [unrolled: 1-line block ×4, first 2 shown]
	s_wait_alu 0xfffe
	s_and_not1_b32 vcc_lo, exec_lo, s6
	s_wait_alu 0xfffe
	s_cbranch_vccnz .LBB87_19
; %bb.9:                                ;   in Loop: Header=BB87_8 Depth=1
	v_mad_co_u64_u32 v[14:15], null, s2, s24, v[2:3]
	v_mad_co_u64_u32 v[16:17], null, s4, s24, v[4:5]
	v_dual_mov_b32 v25, 0 :: v_dual_mov_b32 v28, 0
	v_mov_b32_e32 v27, 0
	v_mov_b32_e32 v29, 0
	v_dual_mov_b32 v1, v15 :: v_dual_mov_b32 v24, 0
	v_dual_mov_b32 v15, v17 :: v_dual_mov_b32 v26, 0
	s_mov_b32 s0, 0
	s_delay_alu instid0(VALU_DEP_2) | instskip(NEXT) | instid1(VALU_DEP_2)
	v_mad_co_u64_u32 v[30:31], null, s3, s24, v[1:2]
	v_mad_co_u64_u32 v[32:33], null, s5, s24, v[15:16]
	v_mov_b32_e32 v31, 0
	s_delay_alu instid0(VALU_DEP_3) | instskip(NEXT) | instid1(VALU_DEP_3)
	v_dual_mov_b32 v15, v30 :: v_dual_mov_b32 v30, 0
	v_mov_b32_e32 v17, v32
	s_branch .LBB87_11
.LBB87_10:                              ;   in Loop: Header=BB87_11 Depth=2
	s_wait_alu 0xfffe
	s_or_b32 exec_lo, exec_lo, s1
	s_wait_dscnt 0x0
	s_barrier_signal -1
	s_barrier_wait -1
	global_inv scope:SCOPE_SE
	ds_load_b128 v[32:35], v23
	ds_load_2addr_b64 v[36:39], v22 offset1:16
	ds_load_b128 v[40:43], v23 offset:1024
	ds_load_b128 v[44:47], v23 offset:16
	ds_load_b128 v[48:51], v23 offset:32
	ds_load_b128 v[52:55], v23 offset:48
	ds_load_2addr_b64 v[56:59], v22 offset0:32 offset1:48
	ds_load_b128 v[60:63], v23 offset:1040
	v_add_co_u32 v14, vcc_lo, v14, 64
	s_wait_alu 0xfffd
	v_add_co_ci_u32_e64 v15, null, 0, v15, vcc_lo
	v_add_co_u32 v16, vcc_lo, v16, 64
	s_wait_alu 0xfffd
	v_add_co_ci_u32_e64 v17, null, 0, v17, vcc_lo
	s_add_co_i32 s0, s0, 8
	s_wait_alu 0xfffe
	s_cmp_lt_i32 s0, s21
	s_wait_dscnt 0x6
	v_dual_mul_f32 v1, v33, v37 :: v_dual_mul_f32 v66, v32, v39
	v_dual_mul_f32 v64, v32, v37 :: v_dual_mul_f32 v65, v33, v39
	s_wait_dscnt 0x5
	v_mul_f32_e32 v68, v41, v39
	s_delay_alu instid0(VALU_DEP_3) | instskip(SKIP_3) | instid1(VALU_DEP_4)
	v_fma_f32 v1, v32, v36, -v1
	v_dual_mul_f32 v39, v40, v39 :: v_dual_fmac_f32 v66, v33, v38
	v_fmac_f32_e32 v64, v33, v36
	v_fma_f32 v32, v32, v38, -v65
	v_add_f32_e32 v1, v30, v1
	v_mul_f32_e32 v67, v41, v37
	s_delay_alu instid0(VALU_DEP_4) | instskip(NEXT) | instid1(VALU_DEP_4)
	v_dual_mul_f32 v37, v40, v37 :: v_dual_add_f32 v30, v31, v64
	v_add_f32_e32 v31, v28, v32
	v_fmac_f32_e32 v39, v41, v38
	s_delay_alu instid0(VALU_DEP_4) | instskip(NEXT) | instid1(VALU_DEP_4)
	v_fma_f32 v33, v40, v36, -v67
	v_fmac_f32_e32 v37, v41, v36
	v_fma_f32 v36, v40, v38, -v68
	s_wait_dscnt 0x1
	v_dual_mul_f32 v38, v34, v57 :: v_dual_add_f32 v29, v29, v66
	v_mul_f32_e32 v40, v35, v59
	v_add_f32_e32 v32, v26, v33
	v_dual_add_f32 v33, v27, v37 :: v_dual_add_f32 v36, v25, v36
	ds_load_2addr_b64 v[25:28], v22 offset0:64 offset1:80
	v_fmac_f32_e32 v38, v35, v56
	v_dual_mul_f32 v37, v35, v57 :: v_dual_add_f32 v24, v24, v39
	v_mul_f32_e32 v39, v34, v59
	s_delay_alu instid0(VALU_DEP_3) | instskip(NEXT) | instid1(VALU_DEP_3)
	v_add_f32_e32 v38, v30, v38
	v_fma_f32 v37, v34, v56, -v37
	v_fma_f32 v34, v34, v58, -v40
	v_mul_f32_e32 v30, v42, v57
	s_delay_alu instid0(VALU_DEP_3) | instskip(SKIP_1) | instid1(VALU_DEP_4)
	v_add_f32_e32 v1, v1, v37
	v_mul_f32_e32 v37, v43, v57
	v_add_f32_e32 v34, v31, v34
	v_fmac_f32_e32 v39, v35, v58
	v_mul_f32_e32 v35, v43, v59
	v_fmac_f32_e32 v30, v43, v56
	v_fma_f32 v31, v42, v56, -v37
	s_delay_alu instid0(VALU_DEP_4) | instskip(SKIP_4) | instid1(VALU_DEP_3)
	v_add_f32_e32 v37, v29, v39
	v_mul_f32_e32 v39, v42, v59
	v_fma_f32 v29, v42, v58, -v35
	s_wait_dscnt 0x0
	v_dual_add_f32 v40, v32, v31 :: v_dual_mul_f32 v31, v45, v26
	v_dual_mul_f32 v42, v45, v28 :: v_dual_fmac_f32 v39, v43, v58
	v_mul_f32_e32 v35, v44, v26
	v_add_f32_e32 v36, v36, v29
	s_delay_alu instid0(VALU_DEP_3) | instskip(SKIP_3) | instid1(VALU_DEP_3)
	v_add_f32_e32 v39, v24, v39
	v_mul_f32_e32 v24, v44, v28
	v_fma_f32 v41, v44, v25, -v31
	v_fmac_f32_e32 v35, v45, v25
	v_fmac_f32_e32 v24, v45, v27
	s_delay_alu instid0(VALU_DEP_3)
	v_add_f32_e32 v1, v1, v41
	v_fma_f32 v41, v44, v27, -v42
	v_add_f32_e32 v33, v33, v30
	ds_load_2addr_b64 v[29:32], v22 offset0:96 offset1:112
	v_dual_add_f32 v35, v38, v35 :: v_dual_mul_f32 v38, v61, v26
	v_mul_f32_e32 v26, v60, v26
	v_dual_add_f32 v34, v34, v41 :: v_dual_mul_f32 v41, v61, v28
	v_mul_f32_e32 v28, v60, v28
	s_delay_alu instid0(VALU_DEP_4) | instskip(NEXT) | instid1(VALU_DEP_4)
	v_fma_f32 v38, v60, v25, -v38
	v_fmac_f32_e32 v26, v61, v25
	v_add_f32_e32 v37, v37, v24
	v_fma_f32 v24, v60, v27, -v41
	v_fmac_f32_e32 v28, v61, v27
	v_add_f32_e32 v38, v40, v38
	s_delay_alu instid0(VALU_DEP_3) | instskip(SKIP_4) | instid1(VALU_DEP_2)
	v_dual_add_f32 v40, v33, v26 :: v_dual_add_f32 v41, v36, v24
	ds_load_2addr_b64 v[24:27], v22 offset0:128 offset1:144
	s_wait_dscnt 0x1
	v_mul_f32_e32 v33, v47, v30
	v_dual_mul_f32 v36, v46, v30 :: v_dual_mul_f32 v45, v63, v32
	v_fma_f32 v33, v46, v29, -v33
	v_mul_f32_e32 v42, v47, v32
	s_delay_alu instid0(VALU_DEP_3) | instskip(NEXT) | instid1(VALU_DEP_3)
	v_fmac_f32_e32 v36, v47, v29
	v_add_f32_e32 v1, v1, v33
	s_delay_alu instid0(VALU_DEP_3) | instskip(SKIP_3) | instid1(VALU_DEP_4)
	v_fma_f32 v42, v46, v31, -v42
	v_add_f32_e32 v39, v39, v28
	v_dual_mul_f32 v28, v46, v32 :: v_dual_mul_f32 v33, v63, v30
	v_dual_add_f32 v43, v35, v36 :: v_dual_mul_f32 v30, v62, v30
	v_add_f32_e32 v42, v34, v42
	s_delay_alu instid0(VALU_DEP_3) | instskip(NEXT) | instid1(VALU_DEP_4)
	v_fmac_f32_e32 v28, v47, v31
	v_fma_f32 v44, v62, v29, -v33
	ds_load_b128 v[33:36], v23 offset:1056
	v_fmac_f32_e32 v30, v63, v29
	s_wait_dscnt 0x1
	v_mul_f32_e32 v29, v49, v25
	v_add_f32_e32 v46, v37, v28
	v_dual_mul_f32 v32, v62, v32 :: v_dual_mul_f32 v47, v48, v25
	v_mul_f32_e32 v56, v48, v27
	s_delay_alu instid0(VALU_DEP_4)
	v_fma_f32 v37, v48, v24, -v29
	v_add_f32_e32 v44, v38, v44
	v_mul_f32_e32 v38, v49, v27
	v_fma_f32 v28, v62, v31, -v45
	v_dual_fmac_f32 v32, v63, v31 :: v_dual_fmac_f32 v47, v49, v24
	v_add_f32_e32 v1, v1, v37
	s_delay_alu instid0(VALU_DEP_4) | instskip(NEXT) | instid1(VALU_DEP_4)
	v_fma_f32 v48, v48, v26, -v38
	v_add_f32_e32 v41, v41, v28
	v_add_f32_e32 v45, v40, v30
	ds_load_2addr_b64 v[28:31], v22 offset0:160 offset1:176
	v_add_f32_e32 v32, v39, v32
	ds_load_b128 v[37:40], v23 offset:1072
	s_wait_dscnt 0x2
	v_mul_f32_e32 v57, v34, v25
	v_dual_mul_f32 v25, v33, v25 :: v_dual_add_f32 v42, v42, v48
	v_mul_f32_e32 v48, v34, v27
	v_dual_add_f32 v43, v43, v47 :: v_dual_fmac_f32 v56, v49, v26
	s_delay_alu instid0(VALU_DEP_4) | instskip(NEXT) | instid1(VALU_DEP_4)
	v_fma_f32 v47, v33, v24, -v57
	v_fmac_f32_e32 v25, v34, v24
	v_mul_f32_e32 v49, v33, v27
	s_delay_alu instid0(VALU_DEP_3) | instskip(SKIP_1) | instid1(VALU_DEP_3)
	v_add_f32_e32 v44, v44, v47
	v_add_f32_e32 v46, v46, v56
	v_fmac_f32_e32 v49, v34, v26
	s_wait_dscnt 0x1
	v_mul_f32_e32 v27, v51, v29
	v_fma_f32 v24, v33, v26, -v48
	v_add_f32_e32 v33, v45, v25
	v_mul_f32_e32 v34, v50, v29
	s_delay_alu instid0(VALU_DEP_4) | instskip(NEXT) | instid1(VALU_DEP_4)
	v_fma_f32 v45, v50, v28, -v27
	v_add_f32_e32 v41, v41, v24
	ds_load_2addr_b64 v[24:27], v22 offset0:192 offset1:208
	v_fmac_f32_e32 v34, v51, v28
	v_dual_mul_f32 v47, v51, v31 :: v_dual_add_f32 v48, v32, v49
	v_dual_add_f32 v1, v1, v45 :: v_dual_mul_f32 v32, v50, v31
	s_delay_alu instid0(VALU_DEP_3) | instskip(NEXT) | instid1(VALU_DEP_3)
	v_dual_add_f32 v43, v43, v34 :: v_dual_mul_f32 v34, v36, v29
	v_fma_f32 v45, v50, v30, -v47
	s_delay_alu instid0(VALU_DEP_3) | instskip(NEXT) | instid1(VALU_DEP_3)
	v_fmac_f32_e32 v32, v51, v30
	v_fma_f32 v34, v35, v28, -v34
	s_delay_alu instid0(VALU_DEP_3) | instskip(SKIP_1) | instid1(VALU_DEP_3)
	v_dual_add_f32 v42, v42, v45 :: v_dual_mul_f32 v45, v36, v31
	v_mul_f32_e32 v29, v35, v29
	v_dual_mul_f32 v31, v35, v31 :: v_dual_add_f32 v44, v44, v34
	s_delay_alu instid0(VALU_DEP_2) | instskip(SKIP_2) | instid1(VALU_DEP_4)
	v_fmac_f32_e32 v29, v36, v28
	v_add_f32_e32 v28, v46, v32
	v_fma_f32 v32, v35, v30, -v45
	v_fmac_f32_e32 v31, v36, v30
	s_wait_dscnt 0x0
	v_mul_f32_e32 v36, v52, v25
	v_dual_add_f32 v29, v33, v29 :: v_dual_mul_f32 v46, v52, v27
	v_add_f32_e32 v30, v41, v32
	ds_load_2addr_b64 v[32:35], v22 offset0:224 offset1:240
	v_dual_add_f32 v31, v48, v31 :: v_dual_fmac_f32 v36, v53, v24
	v_mul_f32_e32 v45, v53, v25
	v_fmac_f32_e32 v46, v53, v26
	s_wait_loadcnt_dscnt 0x0
	s_barrier_signal -1
	v_add_f32_e32 v36, v43, v36
	v_fma_f32 v41, v52, v24, -v45
	v_mul_f32_e32 v45, v53, v27
	v_mul_f32_e32 v43, v38, v27
	;; [unrolled: 1-line block ×3, first 2 shown]
	s_barrier_wait -1
	global_inv scope:SCOPE_SE
	v_fma_f32 v45, v52, v26, -v45
	v_fmac_f32_e32 v27, v38, v26
	s_delay_alu instid0(VALU_DEP_2) | instskip(SKIP_4) | instid1(VALU_DEP_1)
	v_dual_add_f32 v42, v42, v45 :: v_dual_add_f32 v45, v28, v46
	v_fma_f32 v28, v37, v26, -v43
	v_add_f32_e32 v1, v1, v41
	v_mul_f32_e32 v41, v38, v25
	v_mul_f32_e32 v25, v37, v25
	v_fmac_f32_e32 v25, v38, v24
	v_add_f32_e32 v38, v30, v28
	v_mul_f32_e32 v28, v55, v35
	v_fma_f32 v41, v37, v24, -v41
	v_mul_f32_e32 v37, v55, v33
	s_delay_alu instid0(VALU_DEP_2) | instskip(NEXT) | instid1(VALU_DEP_2)
	v_add_f32_e32 v24, v44, v41
	v_fma_f32 v26, v54, v32, -v37
	v_add_f32_e32 v25, v29, v25
	s_delay_alu instid0(VALU_DEP_2) | instskip(SKIP_1) | instid1(VALU_DEP_2)
	v_dual_mul_f32 v29, v54, v35 :: v_dual_add_f32 v30, v1, v26
	v_fma_f32 v1, v54, v34, -v28
	v_dual_mul_f32 v26, v40, v33 :: v_dual_fmac_f32 v29, v55, v34
	s_delay_alu instid0(VALU_DEP_2) | instskip(NEXT) | instid1(VALU_DEP_2)
	v_add_f32_e32 v28, v42, v1
	v_fma_f32 v1, v39, v32, -v26
	s_delay_alu instid0(VALU_DEP_3) | instskip(NEXT) | instid1(VALU_DEP_2)
	v_add_f32_e32 v29, v45, v29
	v_dual_add_f32 v26, v24, v1 :: v_dual_add_f32 v37, v31, v27
	v_mul_f32_e32 v41, v54, v33
	v_mul_f32_e32 v27, v39, v33
	;; [unrolled: 1-line block ×4, first 2 shown]
	s_delay_alu instid0(VALU_DEP_3) | instskip(NEXT) | instid1(VALU_DEP_2)
	v_fmac_f32_e32 v27, v40, v32
	v_fmac_f32_e32 v35, v40, v34
	s_delay_alu instid0(VALU_DEP_2) | instskip(NEXT) | instid1(VALU_DEP_2)
	v_add_f32_e32 v27, v25, v27
	v_dual_add_f32 v24, v37, v35 :: v_dual_fmac_f32 v41, v55, v32
	v_fma_f32 v32, v39, v34, -v33
	s_delay_alu instid0(VALU_DEP_2) | instskip(NEXT) | instid1(VALU_DEP_2)
	v_add_f32_e32 v31, v36, v41
	v_add_f32_e32 v25, v38, v32
	s_cbranch_scc0 .LBB87_19
.LBB87_11:                              ;   Parent Loop BB87_8 Depth=1
                                        ; =>  This Inner Loop Header: Depth=2
	s_wait_alu 0xfffe
	v_add_nc_u32_e32 v1, s0, v19
	s_delay_alu instid0(VALU_DEP_1) | instskip(SKIP_3) | instid1(SALU_CYCLE_1)
	v_cmp_le_i32_e32 vcc_lo, s21, v1
	s_or_b32 s1, s8, vcc_lo
	s_wait_alu 0xfffe
	s_and_saveexec_b32 s12, s1
	s_xor_b32 s1, exec_lo, s12
; %bb.12:                               ;   in Loop: Header=BB87_11 Depth=2
	ds_store_b32 v20, v0
; %bb.13:                               ;   in Loop: Header=BB87_11 Depth=2
	s_wait_alu 0xfffe
	s_or_saveexec_b32 s1, s1
	v_mov_b32_e32 v1, 0
	s_wait_alu 0xfffe
	s_xor_b32 exec_lo, exec_lo, s1
	s_cbranch_execz .LBB87_15
; %bb.14:                               ;   in Loop: Header=BB87_11 Depth=2
	global_load_b64 v[32:33], v[14:15], off offset:-4
	s_wait_loadcnt 0x0
	v_xor_b32_e32 v1, 0x80000000, v33
	ds_store_b32 v20, v32
.LBB87_15:                              ;   in Loop: Header=BB87_11 Depth=2
	s_or_b32 exec_lo, exec_lo, s1
	v_add_nc_u32_e32 v32, s0, v18
	ds_store_b32 v20, v1 offset:4
	v_cmp_le_i32_e32 vcc_lo, s21, v32
	s_or_b32 s1, vcc_lo, s9
	s_wait_alu 0xfffe
	s_and_saveexec_b32 s12, s1
	s_delay_alu instid0(SALU_CYCLE_1)
	s_xor_b32 s1, exec_lo, s12
; %bb.16:                               ;   in Loop: Header=BB87_11 Depth=2
	v_mov_b32_e32 v1, v0
	ds_store_b64 v21, v[0:1]
; %bb.17:                               ;   in Loop: Header=BB87_11 Depth=2
	s_wait_alu 0xfffe
	s_and_not1_saveexec_b32 s1, s1
	s_cbranch_execz .LBB87_10
; %bb.18:                               ;   in Loop: Header=BB87_11 Depth=2
	global_load_b64 v[32:33], v[16:17], off
	s_wait_loadcnt 0x0
	ds_store_b64 v21, v[32:33]
	s_branch .LBB87_10
.LBB87_19:                              ;   in Loop: Header=BB87_8 Depth=1
	s_mul_u64 s[0:1], s[26:27], s[24:25]
	s_wait_alu 0xfffe
	s_lshl_b64 s[0:1], s[0:1], 3
	s_wait_alu 0xfffe
	s_add_nc_u64 s[0:1], s[16:17], s[0:1]
	s_wait_alu 0xfffe
	v_add_co_u32 v1, vcc_lo, s0, v6
	s_wait_alu 0xfffd
	v_add_co_ci_u32_e64 v16, null, s1, v7, vcc_lo
	s_and_saveexec_b32 s12, s28
	s_cbranch_execz .LBB87_24
; %bb.20:                               ;   in Loop: Header=BB87_8 Depth=1
	v_mul_f32_e32 v15, s22, v31
	v_mul_f32_e32 v14, s23, v31
	s_and_b32 vcc_lo, exec_lo, s7
	s_mov_b32 s13, -1
	s_delay_alu instid0(VALU_DEP_2) | instskip(NEXT) | instid1(VALU_DEP_2)
	v_fmac_f32_e32 v15, s23, v30
	v_fma_f32 v14, v30, s22, -v14
	s_wait_alu 0xfffe
	s_cbranch_vccz .LBB87_22
; %bb.21:                               ;   in Loop: Header=BB87_8 Depth=1
	v_add_co_u32 v30, vcc_lo, v1, v10
	s_wait_alu 0xfffd
	v_add_co_ci_u32_e64 v31, null, v16, v11, vcc_lo
	s_mov_b32 s13, 0
	global_load_b64 v[32:33], v[30:31], off
	s_wait_loadcnt 0x0
	v_mul_f32_e32 v17, s11, v33
	v_mul_f32_e32 v33, s10, v33
	s_delay_alu instid0(VALU_DEP_2) | instskip(NEXT) | instid1(VALU_DEP_1)
	v_fma_f32 v17, v32, s10, -v17
	v_dual_fmac_f32 v33, s11, v32 :: v_dual_add_f32 v32, v14, v17
	s_delay_alu instid0(VALU_DEP_1)
	v_add_f32_e32 v33, v15, v33
	global_store_b64 v[30:31], v[32:33], off
.LBB87_22:                              ;   in Loop: Header=BB87_8 Depth=1
	s_and_not1_b32 vcc_lo, exec_lo, s13
	s_wait_alu 0xfffe
	s_cbranch_vccnz .LBB87_24
; %bb.23:                               ;   in Loop: Header=BB87_8 Depth=1
	v_add_co_u32 v30, vcc_lo, v1, v10
	s_wait_alu 0xfffd
	v_add_co_ci_u32_e64 v31, null, v16, v11, vcc_lo
	global_store_b64 v[30:31], v[14:15], off
.LBB87_24:                              ;   in Loop: Header=BB87_8 Depth=1
	s_or_b32 exec_lo, exec_lo, s12
	s_and_saveexec_b32 s12, s20
	s_cbranch_execz .LBB87_29
; %bb.25:                               ;   in Loop: Header=BB87_8 Depth=1
	v_mul_f32_e32 v15, s22, v29
	v_mul_f32_e32 v14, s23, v29
	s_and_not1_b32 vcc_lo, exec_lo, s7
	s_mov_b32 s13, -1
	s_delay_alu instid0(VALU_DEP_2) | instskip(NEXT) | instid1(VALU_DEP_2)
	v_fmac_f32_e32 v15, s23, v28
	v_fma_f32 v14, v28, s22, -v14
	s_wait_alu 0xfffe
	s_cbranch_vccnz .LBB87_27
; %bb.26:                               ;   in Loop: Header=BB87_8 Depth=1
	v_add_co_u32 v28, vcc_lo, v1, v12
	s_wait_alu 0xfffd
	v_add_co_ci_u32_e64 v29, null, v16, v13, vcc_lo
	s_mov_b32 s13, 0
	global_load_b64 v[30:31], v[28:29], off
	s_wait_loadcnt 0x0
	v_mul_f32_e32 v17, s11, v31
	s_delay_alu instid0(VALU_DEP_1) | instskip(SKIP_1) | instid1(VALU_DEP_1)
	v_fma_f32 v17, v30, s10, -v17
	v_mul_f32_e32 v31, s10, v31
	v_dual_fmac_f32 v31, s11, v30 :: v_dual_add_f32 v30, v14, v17
	s_delay_alu instid0(VALU_DEP_1)
	v_add_f32_e32 v31, v15, v31
	global_store_b64 v[28:29], v[30:31], off
.LBB87_27:                              ;   in Loop: Header=BB87_8 Depth=1
	s_and_not1_b32 vcc_lo, exec_lo, s13
	s_wait_alu 0xfffe
	s_cbranch_vccnz .LBB87_29
; %bb.28:                               ;   in Loop: Header=BB87_8 Depth=1
	v_add_co_u32 v28, vcc_lo, v1, v12
	s_wait_alu 0xfffd
	v_add_co_ci_u32_e64 v29, null, v16, v13, vcc_lo
	global_store_b64 v[28:29], v[14:15], off
.LBB87_29:                              ;   in Loop: Header=BB87_8 Depth=1
	s_or_b32 exec_lo, exec_lo, s12
	v_add_co_u32 v1, vcc_lo, s0, v8
	s_wait_alu 0xfffd
	v_add_co_ci_u32_e64 v16, null, s1, v9, vcc_lo
	s_and_saveexec_b32 s0, s18
	s_cbranch_execz .LBB87_34
; %bb.30:                               ;   in Loop: Header=BB87_8 Depth=1
	v_mul_f32_e32 v15, s22, v27
	v_mul_f32_e32 v14, s23, v27
	s_and_not1_b32 vcc_lo, exec_lo, s7
	s_mov_b32 s1, -1
	s_delay_alu instid0(VALU_DEP_2) | instskip(NEXT) | instid1(VALU_DEP_2)
	v_fmac_f32_e32 v15, s23, v26
	v_fma_f32 v14, v26, s22, -v14
	s_wait_alu 0xfffe
	s_cbranch_vccnz .LBB87_32
; %bb.31:                               ;   in Loop: Header=BB87_8 Depth=1
	v_add_co_u32 v26, vcc_lo, v1, v10
	s_wait_alu 0xfffd
	v_add_co_ci_u32_e64 v27, null, v16, v11, vcc_lo
	s_mov_b32 s1, 0
	global_load_b64 v[28:29], v[26:27], off
	s_wait_loadcnt 0x0
	v_mul_f32_e32 v17, s11, v29
	v_mul_f32_e32 v29, s10, v29
	s_delay_alu instid0(VALU_DEP_2) | instskip(NEXT) | instid1(VALU_DEP_1)
	v_fma_f32 v17, v28, s10, -v17
	v_dual_fmac_f32 v29, s11, v28 :: v_dual_add_f32 v28, v14, v17
	s_delay_alu instid0(VALU_DEP_1)
	v_add_f32_e32 v29, v15, v29
	global_store_b64 v[26:27], v[28:29], off
.LBB87_32:                              ;   in Loop: Header=BB87_8 Depth=1
	s_wait_alu 0xfffe
	s_and_not1_b32 vcc_lo, exec_lo, s1
	s_wait_alu 0xfffe
	s_cbranch_vccnz .LBB87_34
; %bb.33:                               ;   in Loop: Header=BB87_8 Depth=1
	v_add_co_u32 v26, vcc_lo, v1, v10
	s_wait_alu 0xfffd
	v_add_co_ci_u32_e64 v27, null, v16, v11, vcc_lo
	global_store_b64 v[26:27], v[14:15], off
.LBB87_34:                              ;   in Loop: Header=BB87_8 Depth=1
	s_wait_alu 0xfffe
	s_or_b32 exec_lo, exec_lo, s0
	s_and_saveexec_b32 s0, s29
	s_cbranch_execz .LBB87_7
; %bb.35:                               ;   in Loop: Header=BB87_8 Depth=1
	v_mul_f32_e32 v15, s22, v24
	v_mul_f32_e32 v14, s23, v24
	s_and_not1_b32 vcc_lo, exec_lo, s7
	s_mov_b32 s1, -1
	s_delay_alu instid0(VALU_DEP_2) | instskip(NEXT) | instid1(VALU_DEP_2)
	v_fmac_f32_e32 v15, s23, v25
	v_fma_f32 v14, v25, s22, -v14
	s_wait_alu 0xfffe
	s_cbranch_vccnz .LBB87_37
; %bb.36:                               ;   in Loop: Header=BB87_8 Depth=1
	v_add_co_u32 v24, vcc_lo, v1, v12
	s_wait_alu 0xfffd
	v_add_co_ci_u32_e64 v25, null, v16, v13, vcc_lo
	s_mov_b32 s1, 0
	global_load_b64 v[26:27], v[24:25], off
	s_wait_loadcnt 0x0
	v_mul_f32_e32 v17, s11, v27
	s_delay_alu instid0(VALU_DEP_1) | instskip(SKIP_1) | instid1(VALU_DEP_1)
	v_fma_f32 v17, v26, s10, -v17
	v_mul_f32_e32 v27, s10, v27
	v_dual_fmac_f32 v27, s11, v26 :: v_dual_add_f32 v26, v14, v17
	s_delay_alu instid0(VALU_DEP_1)
	v_add_f32_e32 v27, v15, v27
	global_store_b64 v[24:25], v[26:27], off
.LBB87_37:                              ;   in Loop: Header=BB87_8 Depth=1
	s_wait_alu 0xfffe
	s_and_not1_b32 vcc_lo, exec_lo, s1
	s_wait_alu 0xfffe
	s_cbranch_vccnz .LBB87_7
; %bb.38:                               ;   in Loop: Header=BB87_8 Depth=1
	v_add_co_u32 v24, vcc_lo, v1, v12
	s_wait_alu 0xfffd
	v_add_co_ci_u32_e64 v25, null, v16, v13, vcc_lo
	global_store_b64 v[24:25], v[14:15], off
	s_branch .LBB87_7
.LBB87_39:
	s_endpgm
	.section	.rodata,"a",@progbits
	.p2align	6, 0x0
	.amdhsa_kernel _ZL29rocblas_internal_gemmt_kernelIiLi16ELi32ELi8ELc67ELc78ELc76ELb1ELb0E19rocblas_complex_numIfEPKS1_S3_PS1_EviT_T9_T10_S5_lS7_S5_lS6_T11_S5_li
		.amdhsa_group_segment_fixed_size 4096
		.amdhsa_private_segment_fixed_size 0
		.amdhsa_kernarg_size 100
		.amdhsa_user_sgpr_count 2
		.amdhsa_user_sgpr_dispatch_ptr 0
		.amdhsa_user_sgpr_queue_ptr 0
		.amdhsa_user_sgpr_kernarg_segment_ptr 1
		.amdhsa_user_sgpr_dispatch_id 0
		.amdhsa_user_sgpr_private_segment_size 0
		.amdhsa_wavefront_size32 1
		.amdhsa_uses_dynamic_stack 0
		.amdhsa_enable_private_segment 0
		.amdhsa_system_sgpr_workgroup_id_x 1
		.amdhsa_system_sgpr_workgroup_id_y 1
		.amdhsa_system_sgpr_workgroup_id_z 1
		.amdhsa_system_sgpr_workgroup_info 0
		.amdhsa_system_vgpr_workitem_id 1
		.amdhsa_next_free_vgpr 69
		.amdhsa_next_free_sgpr 36
		.amdhsa_reserve_vcc 1
		.amdhsa_float_round_mode_32 0
		.amdhsa_float_round_mode_16_64 0
		.amdhsa_float_denorm_mode_32 3
		.amdhsa_float_denorm_mode_16_64 3
		.amdhsa_fp16_overflow 0
		.amdhsa_workgroup_processor_mode 1
		.amdhsa_memory_ordered 1
		.amdhsa_forward_progress 1
		.amdhsa_inst_pref_size 25
		.amdhsa_round_robin_scheduling 0
		.amdhsa_exception_fp_ieee_invalid_op 0
		.amdhsa_exception_fp_denorm_src 0
		.amdhsa_exception_fp_ieee_div_zero 0
		.amdhsa_exception_fp_ieee_overflow 0
		.amdhsa_exception_fp_ieee_underflow 0
		.amdhsa_exception_fp_ieee_inexact 0
		.amdhsa_exception_int_div_zero 0
	.end_amdhsa_kernel
	.section	.text._ZL29rocblas_internal_gemmt_kernelIiLi16ELi32ELi8ELc67ELc78ELc76ELb1ELb0E19rocblas_complex_numIfEPKS1_S3_PS1_EviT_T9_T10_S5_lS7_S5_lS6_T11_S5_li,"axG",@progbits,_ZL29rocblas_internal_gemmt_kernelIiLi16ELi32ELi8ELc67ELc78ELc76ELb1ELb0E19rocblas_complex_numIfEPKS1_S3_PS1_EviT_T9_T10_S5_lS7_S5_lS6_T11_S5_li,comdat
.Lfunc_end87:
	.size	_ZL29rocblas_internal_gemmt_kernelIiLi16ELi32ELi8ELc67ELc78ELc76ELb1ELb0E19rocblas_complex_numIfEPKS1_S3_PS1_EviT_T9_T10_S5_lS7_S5_lS6_T11_S5_li, .Lfunc_end87-_ZL29rocblas_internal_gemmt_kernelIiLi16ELi32ELi8ELc67ELc78ELc76ELb1ELb0E19rocblas_complex_numIfEPKS1_S3_PS1_EviT_T9_T10_S5_lS7_S5_lS6_T11_S5_li
                                        ; -- End function
	.set _ZL29rocblas_internal_gemmt_kernelIiLi16ELi32ELi8ELc67ELc78ELc76ELb1ELb0E19rocblas_complex_numIfEPKS1_S3_PS1_EviT_T9_T10_S5_lS7_S5_lS6_T11_S5_li.num_vgpr, 69
	.set _ZL29rocblas_internal_gemmt_kernelIiLi16ELi32ELi8ELc67ELc78ELc76ELb1ELb0E19rocblas_complex_numIfEPKS1_S3_PS1_EviT_T9_T10_S5_lS7_S5_lS6_T11_S5_li.num_agpr, 0
	.set _ZL29rocblas_internal_gemmt_kernelIiLi16ELi32ELi8ELc67ELc78ELc76ELb1ELb0E19rocblas_complex_numIfEPKS1_S3_PS1_EviT_T9_T10_S5_lS7_S5_lS6_T11_S5_li.numbered_sgpr, 36
	.set _ZL29rocblas_internal_gemmt_kernelIiLi16ELi32ELi8ELc67ELc78ELc76ELb1ELb0E19rocblas_complex_numIfEPKS1_S3_PS1_EviT_T9_T10_S5_lS7_S5_lS6_T11_S5_li.num_named_barrier, 0
	.set _ZL29rocblas_internal_gemmt_kernelIiLi16ELi32ELi8ELc67ELc78ELc76ELb1ELb0E19rocblas_complex_numIfEPKS1_S3_PS1_EviT_T9_T10_S5_lS7_S5_lS6_T11_S5_li.private_seg_size, 0
	.set _ZL29rocblas_internal_gemmt_kernelIiLi16ELi32ELi8ELc67ELc78ELc76ELb1ELb0E19rocblas_complex_numIfEPKS1_S3_PS1_EviT_T9_T10_S5_lS7_S5_lS6_T11_S5_li.uses_vcc, 1
	.set _ZL29rocblas_internal_gemmt_kernelIiLi16ELi32ELi8ELc67ELc78ELc76ELb1ELb0E19rocblas_complex_numIfEPKS1_S3_PS1_EviT_T9_T10_S5_lS7_S5_lS6_T11_S5_li.uses_flat_scratch, 0
	.set _ZL29rocblas_internal_gemmt_kernelIiLi16ELi32ELi8ELc67ELc78ELc76ELb1ELb0E19rocblas_complex_numIfEPKS1_S3_PS1_EviT_T9_T10_S5_lS7_S5_lS6_T11_S5_li.has_dyn_sized_stack, 0
	.set _ZL29rocblas_internal_gemmt_kernelIiLi16ELi32ELi8ELc67ELc78ELc76ELb1ELb0E19rocblas_complex_numIfEPKS1_S3_PS1_EviT_T9_T10_S5_lS7_S5_lS6_T11_S5_li.has_recursion, 0
	.set _ZL29rocblas_internal_gemmt_kernelIiLi16ELi32ELi8ELc67ELc78ELc76ELb1ELb0E19rocblas_complex_numIfEPKS1_S3_PS1_EviT_T9_T10_S5_lS7_S5_lS6_T11_S5_li.has_indirect_call, 0
	.section	.AMDGPU.csdata,"",@progbits
; Kernel info:
; codeLenInByte = 3156
; TotalNumSgprs: 38
; NumVgprs: 69
; ScratchSize: 0
; MemoryBound: 1
; FloatMode: 240
; IeeeMode: 1
; LDSByteSize: 4096 bytes/workgroup (compile time only)
; SGPRBlocks: 0
; VGPRBlocks: 8
; NumSGPRsForWavesPerEU: 38
; NumVGPRsForWavesPerEU: 69
; Occupancy: 16
; WaveLimiterHint : 0
; COMPUTE_PGM_RSRC2:SCRATCH_EN: 0
; COMPUTE_PGM_RSRC2:USER_SGPR: 2
; COMPUTE_PGM_RSRC2:TRAP_HANDLER: 0
; COMPUTE_PGM_RSRC2:TGID_X_EN: 1
; COMPUTE_PGM_RSRC2:TGID_Y_EN: 1
; COMPUTE_PGM_RSRC2:TGID_Z_EN: 1
; COMPUTE_PGM_RSRC2:TIDIG_COMP_CNT: 1
	.section	.text._ZL29rocblas_internal_gemmt_kernelIiLi16ELi32ELi8ELc67ELc84ELc76ELb1ELb0E19rocblas_complex_numIfEPKS1_S3_PS1_EviT_T9_T10_S5_lS7_S5_lS6_T11_S5_li,"axG",@progbits,_ZL29rocblas_internal_gemmt_kernelIiLi16ELi32ELi8ELc67ELc84ELc76ELb1ELb0E19rocblas_complex_numIfEPKS1_S3_PS1_EviT_T9_T10_S5_lS7_S5_lS6_T11_S5_li,comdat
	.globl	_ZL29rocblas_internal_gemmt_kernelIiLi16ELi32ELi8ELc67ELc84ELc76ELb1ELb0E19rocblas_complex_numIfEPKS1_S3_PS1_EviT_T9_T10_S5_lS7_S5_lS6_T11_S5_li ; -- Begin function _ZL29rocblas_internal_gemmt_kernelIiLi16ELi32ELi8ELc67ELc84ELc76ELb1ELb0E19rocblas_complex_numIfEPKS1_S3_PS1_EviT_T9_T10_S5_lS7_S5_lS6_T11_S5_li
	.p2align	8
	.type	_ZL29rocblas_internal_gemmt_kernelIiLi16ELi32ELi8ELc67ELc84ELc76ELb1ELb0E19rocblas_complex_numIfEPKS1_S3_PS1_EviT_T9_T10_S5_lS7_S5_lS6_T11_S5_li,@function
_ZL29rocblas_internal_gemmt_kernelIiLi16ELi32ELi8ELc67ELc84ELc76ELb1ELb0E19rocblas_complex_numIfEPKS1_S3_PS1_EviT_T9_T10_S5_lS7_S5_lS6_T11_S5_li: ; @_ZL29rocblas_internal_gemmt_kernelIiLi16ELi32ELi8ELc67ELc84ELc76ELb1ELb0E19rocblas_complex_numIfEPKS1_S3_PS1_EviT_T9_T10_S5_lS7_S5_lS6_T11_S5_li
; %bb.0:
	s_load_b128 s[8:11], s[0:1], 0x38
	s_wait_kmcnt 0x0
	s_load_b64 s[10:11], s[10:11], 0x0
	s_clause 0x1
	s_load_b128 s[4:7], s[0:1], 0x8
	s_load_b64 s[20:21], s[0:1], 0x0
	s_wait_kmcnt 0x0
	s_load_b64 s[22:23], s[4:5], 0x0
	s_cmp_eq_f32 s10, 1.0
	s_cselect_b32 s2, -1, 0
	s_and_b32 s3, s11, 0x7fffffff
	s_delay_alu instid0(SALU_CYCLE_1) | instskip(SKIP_1) | instid1(SALU_CYCLE_1)
	s_cmp_eq_u32 s3, 0
	s_cselect_b32 s3, -1, 0
	s_and_b32 s4, s2, s3
	s_mov_b32 s2, 0
	s_and_not1_b32 vcc_lo, exec_lo, s4
	s_mov_b32 s4, -1
	s_cbranch_vccnz .LBB88_4
; %bb.1:
	s_cmp_lg_u32 s21, 0
	s_cbranch_scc0 .LBB88_3
; %bb.2:
	s_wait_kmcnt 0x0
	s_cmp_neq_f32 s22, 0
	s_cselect_b32 s2, -1, 0
	s_cmp_neq_f32 s23, 0
	s_cselect_b32 s4, -1, 0
	s_delay_alu instid0(SALU_CYCLE_1)
	s_or_b32 s2, s2, s4
.LBB88_3:
	s_delay_alu instid0(SALU_CYCLE_1)
	s_mov_b32 s4, s2
.LBB88_4:
	s_delay_alu instid0(SALU_CYCLE_1)
	s_and_b32 vcc_lo, exec_lo, s4
	s_cbranch_vccz .LBB88_39
; %bb.5:
	s_load_b32 s19, s[0:1], 0x60
	s_lshr_b32 s24, ttmp7, 16
	s_wait_kmcnt 0x0
	s_cmp_ge_u32 s24, s19
	s_cbranch_scc1 .LBB88_39
; %bb.6:
	s_clause 0x2
	s_load_b32 s28, s[0:1], 0x30
	s_load_b32 s4, s[0:1], 0x18
	s_load_b128 s[12:15], s[0:1], 0x20
	v_and_b32_e32 v1, 0x3ff, v0
	v_bfe_u32 v2, v0, 10, 10
	s_clause 0x1
	s_load_b96 s[16:18], s[0:1], 0x48
	s_load_b64 s[26:27], s[0:1], 0x58
	s_lshl_b32 s1, ttmp7, 5
	v_and_b32_e32 v18, 7, v0
	s_lshl_b32 s0, ttmp9, 5
	v_lshl_add_u32 v0, v2, 4, v1
	s_and_b32 s1, s1, 0x1fffe0
	v_lshlrev_b32_e32 v19, 3, v1
	v_lshl_add_u32 v20, v2, 6, 0x800
	v_add_nc_u32_e32 v10, s0, v1
	v_add_nc_u32_e32 v1, s1, v2
	v_and_b32_e32 v2, 31, v0
	v_lshrrev_b32_e32 v4, 3, v0
	v_lshrrev_b32_e32 v21, 5, v0
	v_add_nc_u32_e32 v12, 16, v10
	v_lshlrev_b32_e32 v3, 3, v18
	s_wait_kmcnt 0x0
	s_ashr_i32 s29, s28, 31
	s_cmp_neq_f32 s22, 0
	v_or_b32_e32 v0, s0, v2
	v_add_nc_u32_e32 v14, s1, v4
	v_lshlrev_b32_e32 v2, 3, v2
	s_cselect_b32 s2, -1, 0
	s_cmp_neq_f32 s23, 0
	v_cmp_le_i32_e64 s1, v1, v10
	v_cmp_gt_i32_e32 vcc_lo, s20, v0
	v_lshl_or_b32 v22, v21, 8, v2
	s_cselect_b32 s0, -1, 0
	v_mad_co_i64_i32 v[6:7], null, v1, s18, 0
	s_wait_alu 0xfffe
	s_or_b32 s33, s2, s0
	s_cmp_gt_i32 s21, 0
	v_cmp_gt_i32_e64 s2, s20, v10
	s_cselect_b32 s34, -1, 0
	s_cmp_neq_f32 s10, 0
	v_add_nc_u32_e32 v2, 16, v1
	v_lshl_or_b32 v3, v4, 6, v3
	v_cmp_gt_i32_e64 s0, s20, v14
	s_cselect_b32 s35, -1, 0
	s_and_b32 s30, s1, s2
	v_cmp_le_i32_e64 s1, v1, v12
	v_mad_co_i64_i32 v[0:1], null, s4, v0, 0
	s_xor_b32 s36, s3, -1
	v_cmp_gt_i32_e64 s3, s20, v12
	v_lshlrev_b32_e32 v4, 3, v21
	v_add_nc_u32_e32 v23, 0x800, v3
	v_cmp_le_i32_e64 s4, v2, v12
	v_mad_co_i64_i32 v[8:9], null, v2, s18, 0
	v_lshlrev_b64_e32 v[0:1], 3, v[0:1]
	s_and_b32 s20, s1, s3
	v_cmp_le_i32_e64 s1, v2, v10
	v_mad_co_i64_i32 v[2:3], null, s28, v18, 0
	v_lshlrev_b32_e32 v14, 3, v14
	v_ashrrev_i32_e32 v11, 31, v10
	s_delay_alu instid0(VALU_DEP_4) | instskip(SKIP_4) | instid1(VALU_DEP_3)
	s_and_b32 s18, s1, s2
	v_add_co_u32 v4, s1, v0, v4
	s_wait_alu 0xf1ff
	v_add_co_ci_u32_e64 v1, null, 0, v1, s1
	v_ashrrev_i32_e32 v13, 31, v12
	v_add_co_u32 v15, s1, s6, v4
	v_lshlrev_b64_e32 v[4:5], 3, v[2:3]
	s_wait_alu 0xf1ff
	v_add_co_ci_u32_e64 v1, null, s7, v1, s1
	s_delay_alu instid0(VALU_DEP_3) | instskip(SKIP_2) | instid1(VALU_DEP_3)
	v_add_co_u32 v2, s1, v15, 4
	v_lshlrev_b64_e32 v[6:7], 3, v[6:7]
	s_wait_alu 0xf1ff
	v_add_co_ci_u32_e64 v3, null, 0, v1, s1
	v_add_co_u32 v1, s1, v4, v14
	s_wait_alu 0xf1ff
	v_add_co_ci_u32_e64 v5, null, 0, v5, s1
	v_lshlrev_b64_e32 v[8:9], 3, v[8:9]
	s_delay_alu instid0(VALU_DEP_3)
	v_add_co_u32 v4, s1, s14, v1
	v_lshlrev_b64_e32 v[10:11], 3, v[10:11]
	v_lshlrev_b64_e32 v[12:13], 3, v[12:13]
	v_mov_b32_e32 v0, 0
	s_wait_alu 0xf1ff
	v_add_co_ci_u32_e64 v5, null, s15, v5, s1
	s_mov_b32 s25, 0
	s_and_b32 s31, s4, s3
	s_lshl_b64 s[2:3], s[12:13], 3
	s_lshl_b64 s[4:5], s[8:9], 3
	s_and_b32 s8, s33, s34
	s_or_b32 s9, s35, s36
	s_lshl_b64 s[6:7], s[28:29], 6
	s_xor_b32 s12, vcc_lo, -1
	s_xor_b32 s13, s0, -1
	s_branch .LBB88_8
.LBB88_7:                               ;   in Loop: Header=BB88_8 Depth=1
	s_wait_alu 0xfffe
	s_or_b32 exec_lo, exec_lo, s0
	s_add_co_i32 s24, s24, 0x10000
	s_wait_alu 0xfffe
	s_cmp_lt_u32 s24, s19
	s_cbranch_scc0 .LBB88_39
.LBB88_8:                               ; =>This Loop Header: Depth=1
                                        ;     Child Loop BB88_11 Depth 2
	v_dual_mov_b32 v30, v0 :: v_dual_mov_b32 v31, v0
	v_dual_mov_b32 v28, v0 :: v_dual_mov_b32 v29, v0
	;; [unrolled: 1-line block ×4, first 2 shown]
	s_and_not1_b32 vcc_lo, exec_lo, s8
	s_wait_alu 0xfffe
	s_cbranch_vccnz .LBB88_19
; %bb.9:                                ;   in Loop: Header=BB88_8 Depth=1
	v_mad_co_u64_u32 v[14:15], null, s2, s24, v[2:3]
	v_mad_co_u64_u32 v[16:17], null, s4, s24, v[4:5]
	v_dual_mov_b32 v25, 0 :: v_dual_mov_b32 v28, 0
	v_mov_b32_e32 v27, 0
	v_mov_b32_e32 v29, 0
	v_dual_mov_b32 v1, v15 :: v_dual_mov_b32 v24, 0
	v_dual_mov_b32 v15, v17 :: v_dual_mov_b32 v26, 0
	s_mov_b32 s0, 0
	s_delay_alu instid0(VALU_DEP_2) | instskip(NEXT) | instid1(VALU_DEP_2)
	v_mad_co_u64_u32 v[30:31], null, s3, s24, v[1:2]
	v_mad_co_u64_u32 v[32:33], null, s5, s24, v[15:16]
	v_mov_b32_e32 v31, 0
	s_delay_alu instid0(VALU_DEP_3) | instskip(NEXT) | instid1(VALU_DEP_3)
	v_dual_mov_b32 v15, v30 :: v_dual_mov_b32 v30, 0
	v_mov_b32_e32 v17, v32
	s_branch .LBB88_11
.LBB88_10:                              ;   in Loop: Header=BB88_11 Depth=2
	s_wait_alu 0xfffe
	s_or_b32 exec_lo, exec_lo, s1
	s_wait_dscnt 0x0
	s_barrier_signal -1
	s_barrier_wait -1
	global_inv scope:SCOPE_SE
	ds_load_b128 v[32:35], v20
	ds_load_2addr_b64 v[36:39], v19 offset1:16
	ds_load_b128 v[40:43], v20 offset:1024
	ds_load_b128 v[44:47], v20 offset:16
	;; [unrolled: 1-line block ×4, first 2 shown]
	ds_load_2addr_b64 v[56:59], v19 offset0:32 offset1:48
	ds_load_b128 v[60:63], v20 offset:1040
	v_add_co_u32 v14, vcc_lo, v14, 64
	s_wait_alu 0xfffd
	v_add_co_ci_u32_e64 v15, null, 0, v15, vcc_lo
	v_add_co_u32 v16, vcc_lo, v16, s6
	s_wait_alu 0xfffd
	v_add_co_ci_u32_e64 v17, null, s7, v17, vcc_lo
	s_add_co_i32 s0, s0, 8
	s_wait_alu 0xfffe
	s_cmp_lt_i32 s0, s21
	s_wait_dscnt 0x6
	v_dual_mul_f32 v1, v33, v37 :: v_dual_mul_f32 v66, v32, v39
	v_dual_mul_f32 v64, v32, v37 :: v_dual_mul_f32 v65, v33, v39
	s_wait_dscnt 0x5
	v_mul_f32_e32 v68, v41, v39
	s_delay_alu instid0(VALU_DEP_3) | instskip(SKIP_3) | instid1(VALU_DEP_4)
	v_fma_f32 v1, v32, v36, -v1
	v_dual_mul_f32 v39, v40, v39 :: v_dual_fmac_f32 v66, v33, v38
	v_fmac_f32_e32 v64, v33, v36
	v_fma_f32 v32, v32, v38, -v65
	v_add_f32_e32 v1, v30, v1
	v_mul_f32_e32 v67, v41, v37
	s_delay_alu instid0(VALU_DEP_4) | instskip(NEXT) | instid1(VALU_DEP_4)
	v_dual_mul_f32 v37, v40, v37 :: v_dual_add_f32 v30, v31, v64
	v_add_f32_e32 v31, v28, v32
	v_fmac_f32_e32 v39, v41, v38
	s_delay_alu instid0(VALU_DEP_4) | instskip(NEXT) | instid1(VALU_DEP_4)
	v_fma_f32 v33, v40, v36, -v67
	v_fmac_f32_e32 v37, v41, v36
	v_fma_f32 v36, v40, v38, -v68
	s_wait_dscnt 0x1
	v_dual_mul_f32 v38, v34, v57 :: v_dual_add_f32 v29, v29, v66
	v_mul_f32_e32 v40, v35, v59
	v_add_f32_e32 v32, v26, v33
	v_dual_add_f32 v33, v27, v37 :: v_dual_add_f32 v36, v25, v36
	ds_load_2addr_b64 v[25:28], v19 offset0:64 offset1:80
	v_fmac_f32_e32 v38, v35, v56
	v_dual_mul_f32 v37, v35, v57 :: v_dual_add_f32 v24, v24, v39
	v_mul_f32_e32 v39, v34, v59
	s_delay_alu instid0(VALU_DEP_3) | instskip(NEXT) | instid1(VALU_DEP_3)
	v_add_f32_e32 v38, v30, v38
	v_fma_f32 v37, v34, v56, -v37
	v_fma_f32 v34, v34, v58, -v40
	v_mul_f32_e32 v30, v42, v57
	s_delay_alu instid0(VALU_DEP_3) | instskip(SKIP_1) | instid1(VALU_DEP_4)
	v_add_f32_e32 v1, v1, v37
	v_mul_f32_e32 v37, v43, v57
	v_add_f32_e32 v34, v31, v34
	v_fmac_f32_e32 v39, v35, v58
	v_mul_f32_e32 v35, v43, v59
	v_fmac_f32_e32 v30, v43, v56
	v_fma_f32 v31, v42, v56, -v37
	s_delay_alu instid0(VALU_DEP_4) | instskip(SKIP_4) | instid1(VALU_DEP_3)
	v_add_f32_e32 v37, v29, v39
	v_mul_f32_e32 v39, v42, v59
	v_fma_f32 v29, v42, v58, -v35
	s_wait_dscnt 0x0
	v_dual_add_f32 v40, v32, v31 :: v_dual_mul_f32 v31, v45, v26
	v_dual_mul_f32 v42, v45, v28 :: v_dual_fmac_f32 v39, v43, v58
	v_mul_f32_e32 v35, v44, v26
	v_add_f32_e32 v36, v36, v29
	s_delay_alu instid0(VALU_DEP_3) | instskip(SKIP_3) | instid1(VALU_DEP_3)
	v_add_f32_e32 v39, v24, v39
	v_mul_f32_e32 v24, v44, v28
	v_fma_f32 v41, v44, v25, -v31
	v_fmac_f32_e32 v35, v45, v25
	v_fmac_f32_e32 v24, v45, v27
	s_delay_alu instid0(VALU_DEP_3)
	v_add_f32_e32 v1, v1, v41
	v_fma_f32 v41, v44, v27, -v42
	v_add_f32_e32 v33, v33, v30
	ds_load_2addr_b64 v[29:32], v19 offset0:96 offset1:112
	v_dual_add_f32 v35, v38, v35 :: v_dual_mul_f32 v38, v61, v26
	v_mul_f32_e32 v26, v60, v26
	v_dual_add_f32 v34, v34, v41 :: v_dual_mul_f32 v41, v61, v28
	v_mul_f32_e32 v28, v60, v28
	s_delay_alu instid0(VALU_DEP_4) | instskip(NEXT) | instid1(VALU_DEP_4)
	v_fma_f32 v38, v60, v25, -v38
	v_fmac_f32_e32 v26, v61, v25
	v_add_f32_e32 v37, v37, v24
	v_fma_f32 v24, v60, v27, -v41
	v_fmac_f32_e32 v28, v61, v27
	v_add_f32_e32 v38, v40, v38
	s_delay_alu instid0(VALU_DEP_3) | instskip(SKIP_4) | instid1(VALU_DEP_2)
	v_dual_add_f32 v40, v33, v26 :: v_dual_add_f32 v41, v36, v24
	ds_load_2addr_b64 v[24:27], v19 offset0:128 offset1:144
	s_wait_dscnt 0x1
	v_mul_f32_e32 v33, v47, v30
	v_dual_mul_f32 v36, v46, v30 :: v_dual_mul_f32 v45, v63, v32
	v_fma_f32 v33, v46, v29, -v33
	v_mul_f32_e32 v42, v47, v32
	s_delay_alu instid0(VALU_DEP_3) | instskip(NEXT) | instid1(VALU_DEP_3)
	v_fmac_f32_e32 v36, v47, v29
	v_add_f32_e32 v1, v1, v33
	s_delay_alu instid0(VALU_DEP_3) | instskip(SKIP_3) | instid1(VALU_DEP_4)
	v_fma_f32 v42, v46, v31, -v42
	v_add_f32_e32 v39, v39, v28
	v_dual_mul_f32 v28, v46, v32 :: v_dual_mul_f32 v33, v63, v30
	v_dual_add_f32 v43, v35, v36 :: v_dual_mul_f32 v30, v62, v30
	v_add_f32_e32 v42, v34, v42
	s_delay_alu instid0(VALU_DEP_3) | instskip(NEXT) | instid1(VALU_DEP_4)
	v_fmac_f32_e32 v28, v47, v31
	v_fma_f32 v44, v62, v29, -v33
	ds_load_b128 v[33:36], v20 offset:1056
	v_fmac_f32_e32 v30, v63, v29
	s_wait_dscnt 0x1
	v_mul_f32_e32 v29, v49, v25
	v_add_f32_e32 v46, v37, v28
	v_dual_mul_f32 v32, v62, v32 :: v_dual_mul_f32 v47, v48, v25
	v_mul_f32_e32 v56, v48, v27
	s_delay_alu instid0(VALU_DEP_4)
	v_fma_f32 v37, v48, v24, -v29
	v_add_f32_e32 v44, v38, v44
	v_mul_f32_e32 v38, v49, v27
	v_fma_f32 v28, v62, v31, -v45
	v_dual_fmac_f32 v32, v63, v31 :: v_dual_fmac_f32 v47, v49, v24
	v_add_f32_e32 v1, v1, v37
	s_delay_alu instid0(VALU_DEP_4) | instskip(NEXT) | instid1(VALU_DEP_4)
	v_fma_f32 v48, v48, v26, -v38
	v_add_f32_e32 v41, v41, v28
	v_add_f32_e32 v45, v40, v30
	ds_load_2addr_b64 v[28:31], v19 offset0:160 offset1:176
	v_add_f32_e32 v32, v39, v32
	ds_load_b128 v[37:40], v20 offset:1072
	s_wait_dscnt 0x2
	v_mul_f32_e32 v57, v34, v25
	v_dual_mul_f32 v25, v33, v25 :: v_dual_add_f32 v42, v42, v48
	v_mul_f32_e32 v48, v34, v27
	v_dual_add_f32 v43, v43, v47 :: v_dual_fmac_f32 v56, v49, v26
	s_delay_alu instid0(VALU_DEP_4) | instskip(NEXT) | instid1(VALU_DEP_4)
	v_fma_f32 v47, v33, v24, -v57
	v_fmac_f32_e32 v25, v34, v24
	v_mul_f32_e32 v49, v33, v27
	s_delay_alu instid0(VALU_DEP_3) | instskip(SKIP_1) | instid1(VALU_DEP_3)
	v_add_f32_e32 v44, v44, v47
	v_add_f32_e32 v46, v46, v56
	v_fmac_f32_e32 v49, v34, v26
	s_wait_dscnt 0x1
	v_mul_f32_e32 v27, v51, v29
	v_fma_f32 v24, v33, v26, -v48
	v_add_f32_e32 v33, v45, v25
	v_mul_f32_e32 v34, v50, v29
	s_delay_alu instid0(VALU_DEP_4) | instskip(NEXT) | instid1(VALU_DEP_4)
	v_fma_f32 v45, v50, v28, -v27
	v_add_f32_e32 v41, v41, v24
	ds_load_2addr_b64 v[24:27], v19 offset0:192 offset1:208
	v_fmac_f32_e32 v34, v51, v28
	v_dual_mul_f32 v47, v51, v31 :: v_dual_add_f32 v48, v32, v49
	v_dual_add_f32 v1, v1, v45 :: v_dual_mul_f32 v32, v50, v31
	s_delay_alu instid0(VALU_DEP_3) | instskip(NEXT) | instid1(VALU_DEP_3)
	v_dual_add_f32 v43, v43, v34 :: v_dual_mul_f32 v34, v36, v29
	v_fma_f32 v45, v50, v30, -v47
	s_delay_alu instid0(VALU_DEP_3) | instskip(NEXT) | instid1(VALU_DEP_3)
	v_fmac_f32_e32 v32, v51, v30
	v_fma_f32 v34, v35, v28, -v34
	s_delay_alu instid0(VALU_DEP_3) | instskip(SKIP_1) | instid1(VALU_DEP_3)
	v_dual_add_f32 v42, v42, v45 :: v_dual_mul_f32 v45, v36, v31
	v_mul_f32_e32 v29, v35, v29
	v_dual_mul_f32 v31, v35, v31 :: v_dual_add_f32 v44, v44, v34
	s_delay_alu instid0(VALU_DEP_2) | instskip(SKIP_2) | instid1(VALU_DEP_4)
	v_fmac_f32_e32 v29, v36, v28
	v_add_f32_e32 v28, v46, v32
	v_fma_f32 v32, v35, v30, -v45
	v_fmac_f32_e32 v31, v36, v30
	s_wait_dscnt 0x0
	v_mul_f32_e32 v36, v52, v25
	v_dual_add_f32 v29, v33, v29 :: v_dual_mul_f32 v46, v52, v27
	v_add_f32_e32 v30, v41, v32
	ds_load_2addr_b64 v[32:35], v19 offset0:224 offset1:240
	v_dual_add_f32 v31, v48, v31 :: v_dual_fmac_f32 v36, v53, v24
	v_mul_f32_e32 v45, v53, v25
	v_fmac_f32_e32 v46, v53, v26
	s_wait_loadcnt_dscnt 0x0
	s_barrier_signal -1
	v_add_f32_e32 v36, v43, v36
	v_fma_f32 v41, v52, v24, -v45
	v_mul_f32_e32 v45, v53, v27
	v_mul_f32_e32 v43, v38, v27
	;; [unrolled: 1-line block ×3, first 2 shown]
	s_barrier_wait -1
	global_inv scope:SCOPE_SE
	v_fma_f32 v45, v52, v26, -v45
	v_fmac_f32_e32 v27, v38, v26
	s_delay_alu instid0(VALU_DEP_2) | instskip(SKIP_4) | instid1(VALU_DEP_1)
	v_dual_add_f32 v42, v42, v45 :: v_dual_add_f32 v45, v28, v46
	v_fma_f32 v28, v37, v26, -v43
	v_add_f32_e32 v1, v1, v41
	v_mul_f32_e32 v41, v38, v25
	v_mul_f32_e32 v25, v37, v25
	v_fmac_f32_e32 v25, v38, v24
	v_add_f32_e32 v38, v30, v28
	v_mul_f32_e32 v28, v55, v35
	v_fma_f32 v41, v37, v24, -v41
	v_mul_f32_e32 v37, v55, v33
	s_delay_alu instid0(VALU_DEP_2) | instskip(NEXT) | instid1(VALU_DEP_2)
	v_add_f32_e32 v24, v44, v41
	v_fma_f32 v26, v54, v32, -v37
	v_add_f32_e32 v25, v29, v25
	s_delay_alu instid0(VALU_DEP_2) | instskip(SKIP_1) | instid1(VALU_DEP_2)
	v_dual_mul_f32 v29, v54, v35 :: v_dual_add_f32 v30, v1, v26
	v_fma_f32 v1, v54, v34, -v28
	v_dual_mul_f32 v26, v40, v33 :: v_dual_fmac_f32 v29, v55, v34
	s_delay_alu instid0(VALU_DEP_2) | instskip(NEXT) | instid1(VALU_DEP_2)
	v_add_f32_e32 v28, v42, v1
	v_fma_f32 v1, v39, v32, -v26
	s_delay_alu instid0(VALU_DEP_3) | instskip(NEXT) | instid1(VALU_DEP_2)
	v_add_f32_e32 v29, v45, v29
	v_dual_add_f32 v26, v24, v1 :: v_dual_add_f32 v37, v31, v27
	v_mul_f32_e32 v41, v54, v33
	v_mul_f32_e32 v27, v39, v33
	;; [unrolled: 1-line block ×4, first 2 shown]
	s_delay_alu instid0(VALU_DEP_3) | instskip(NEXT) | instid1(VALU_DEP_2)
	v_fmac_f32_e32 v27, v40, v32
	v_fmac_f32_e32 v35, v40, v34
	s_delay_alu instid0(VALU_DEP_2) | instskip(NEXT) | instid1(VALU_DEP_2)
	v_add_f32_e32 v27, v25, v27
	v_dual_add_f32 v24, v37, v35 :: v_dual_fmac_f32 v41, v55, v32
	v_fma_f32 v32, v39, v34, -v33
	s_delay_alu instid0(VALU_DEP_2) | instskip(NEXT) | instid1(VALU_DEP_2)
	v_add_f32_e32 v31, v36, v41
	v_add_f32_e32 v25, v38, v32
	s_cbranch_scc0 .LBB88_19
.LBB88_11:                              ;   Parent Loop BB88_8 Depth=1
                                        ; =>  This Inner Loop Header: Depth=2
	s_wait_alu 0xfffe
	v_add_nc_u32_e32 v1, s0, v21
	s_delay_alu instid0(VALU_DEP_1)
	v_cmp_le_i32_e32 vcc_lo, s21, v1
	s_or_b32 s1, s12, vcc_lo
	s_wait_alu 0xfffe
	s_and_saveexec_b32 s14, s1
	s_wait_alu 0xfffe
	s_xor_b32 s1, exec_lo, s14
; %bb.12:                               ;   in Loop: Header=BB88_11 Depth=2
	ds_store_b32 v22, v0
; %bb.13:                               ;   in Loop: Header=BB88_11 Depth=2
	s_wait_alu 0xfffe
	s_or_saveexec_b32 s1, s1
	v_mov_b32_e32 v1, 0
	s_wait_alu 0xfffe
	s_xor_b32 exec_lo, exec_lo, s1
	s_cbranch_execz .LBB88_15
; %bb.14:                               ;   in Loop: Header=BB88_11 Depth=2
	global_load_b64 v[32:33], v[14:15], off offset:-4
	s_wait_loadcnt 0x0
	v_xor_b32_e32 v1, 0x80000000, v33
	ds_store_b32 v22, v32
.LBB88_15:                              ;   in Loop: Header=BB88_11 Depth=2
	s_or_b32 exec_lo, exec_lo, s1
	v_add_nc_u32_e32 v32, s0, v18
	ds_store_b32 v22, v1 offset:4
	v_cmp_le_i32_e32 vcc_lo, s21, v32
	s_or_b32 s1, vcc_lo, s13
	s_wait_alu 0xfffe
	s_and_saveexec_b32 s14, s1
	s_wait_alu 0xfffe
	s_xor_b32 s1, exec_lo, s14
; %bb.16:                               ;   in Loop: Header=BB88_11 Depth=2
	v_mov_b32_e32 v1, v0
	ds_store_b64 v23, v[0:1]
; %bb.17:                               ;   in Loop: Header=BB88_11 Depth=2
	s_wait_alu 0xfffe
	s_and_not1_saveexec_b32 s1, s1
	s_cbranch_execz .LBB88_10
; %bb.18:                               ;   in Loop: Header=BB88_11 Depth=2
	global_load_b64 v[32:33], v[16:17], off
	s_wait_loadcnt 0x0
	ds_store_b64 v23, v[32:33]
	s_branch .LBB88_10
.LBB88_19:                              ;   in Loop: Header=BB88_8 Depth=1
	s_mul_u64 s[0:1], s[26:27], s[24:25]
	s_wait_alu 0xfffe
	s_lshl_b64 s[0:1], s[0:1], 3
	s_wait_alu 0xfffe
	s_add_nc_u64 s[0:1], s[16:17], s[0:1]
	s_wait_alu 0xfffe
	v_add_co_u32 v1, vcc_lo, s0, v6
	s_wait_alu 0xfffd
	v_add_co_ci_u32_e64 v16, null, s1, v7, vcc_lo
	s_and_saveexec_b32 s14, s30
	s_cbranch_execz .LBB88_24
; %bb.20:                               ;   in Loop: Header=BB88_8 Depth=1
	v_mul_f32_e32 v15, s22, v31
	v_mul_f32_e32 v14, s23, v31
	s_and_b32 vcc_lo, exec_lo, s9
	s_mov_b32 s15, -1
	s_delay_alu instid0(VALU_DEP_2) | instskip(NEXT) | instid1(VALU_DEP_2)
	v_fmac_f32_e32 v15, s23, v30
	v_fma_f32 v14, v30, s22, -v14
	s_wait_alu 0xfffe
	s_cbranch_vccz .LBB88_22
; %bb.21:                               ;   in Loop: Header=BB88_8 Depth=1
	v_add_co_u32 v30, vcc_lo, v1, v10
	s_wait_alu 0xfffd
	v_add_co_ci_u32_e64 v31, null, v16, v11, vcc_lo
	s_mov_b32 s15, 0
	global_load_b64 v[32:33], v[30:31], off
	s_wait_loadcnt 0x0
	v_mul_f32_e32 v17, s11, v33
	v_mul_f32_e32 v33, s10, v33
	s_delay_alu instid0(VALU_DEP_2) | instskip(NEXT) | instid1(VALU_DEP_1)
	v_fma_f32 v17, v32, s10, -v17
	v_dual_fmac_f32 v33, s11, v32 :: v_dual_add_f32 v32, v14, v17
	s_delay_alu instid0(VALU_DEP_1)
	v_add_f32_e32 v33, v15, v33
	global_store_b64 v[30:31], v[32:33], off
.LBB88_22:                              ;   in Loop: Header=BB88_8 Depth=1
	s_wait_alu 0xfffe
	s_and_not1_b32 vcc_lo, exec_lo, s15
	s_wait_alu 0xfffe
	s_cbranch_vccnz .LBB88_24
; %bb.23:                               ;   in Loop: Header=BB88_8 Depth=1
	v_add_co_u32 v30, vcc_lo, v1, v10
	s_wait_alu 0xfffd
	v_add_co_ci_u32_e64 v31, null, v16, v11, vcc_lo
	global_store_b64 v[30:31], v[14:15], off
.LBB88_24:                              ;   in Loop: Header=BB88_8 Depth=1
	s_wait_alu 0xfffe
	s_or_b32 exec_lo, exec_lo, s14
	s_and_saveexec_b32 s14, s20
	s_cbranch_execz .LBB88_29
; %bb.25:                               ;   in Loop: Header=BB88_8 Depth=1
	v_mul_f32_e32 v15, s22, v29
	v_mul_f32_e32 v14, s23, v29
	s_and_not1_b32 vcc_lo, exec_lo, s9
	s_mov_b32 s15, -1
	s_delay_alu instid0(VALU_DEP_2) | instskip(NEXT) | instid1(VALU_DEP_2)
	v_fmac_f32_e32 v15, s23, v28
	v_fma_f32 v14, v28, s22, -v14
	s_wait_alu 0xfffe
	s_cbranch_vccnz .LBB88_27
; %bb.26:                               ;   in Loop: Header=BB88_8 Depth=1
	v_add_co_u32 v28, vcc_lo, v1, v12
	s_wait_alu 0xfffd
	v_add_co_ci_u32_e64 v29, null, v16, v13, vcc_lo
	s_mov_b32 s15, 0
	global_load_b64 v[30:31], v[28:29], off
	s_wait_loadcnt 0x0
	v_mul_f32_e32 v17, s11, v31
	s_delay_alu instid0(VALU_DEP_1) | instskip(SKIP_1) | instid1(VALU_DEP_1)
	v_fma_f32 v17, v30, s10, -v17
	v_mul_f32_e32 v31, s10, v31
	v_dual_fmac_f32 v31, s11, v30 :: v_dual_add_f32 v30, v14, v17
	s_delay_alu instid0(VALU_DEP_1)
	v_add_f32_e32 v31, v15, v31
	global_store_b64 v[28:29], v[30:31], off
.LBB88_27:                              ;   in Loop: Header=BB88_8 Depth=1
	s_wait_alu 0xfffe
	s_and_not1_b32 vcc_lo, exec_lo, s15
	s_wait_alu 0xfffe
	s_cbranch_vccnz .LBB88_29
; %bb.28:                               ;   in Loop: Header=BB88_8 Depth=1
	v_add_co_u32 v28, vcc_lo, v1, v12
	s_wait_alu 0xfffd
	v_add_co_ci_u32_e64 v29, null, v16, v13, vcc_lo
	global_store_b64 v[28:29], v[14:15], off
.LBB88_29:                              ;   in Loop: Header=BB88_8 Depth=1
	s_wait_alu 0xfffe
	s_or_b32 exec_lo, exec_lo, s14
	v_add_co_u32 v1, vcc_lo, s0, v8
	s_wait_alu 0xfffd
	v_add_co_ci_u32_e64 v16, null, s1, v9, vcc_lo
	s_and_saveexec_b32 s0, s18
	s_cbranch_execz .LBB88_34
; %bb.30:                               ;   in Loop: Header=BB88_8 Depth=1
	v_mul_f32_e32 v15, s22, v27
	v_mul_f32_e32 v14, s23, v27
	s_and_not1_b32 vcc_lo, exec_lo, s9
	s_mov_b32 s1, -1
	s_delay_alu instid0(VALU_DEP_2) | instskip(NEXT) | instid1(VALU_DEP_2)
	v_fmac_f32_e32 v15, s23, v26
	v_fma_f32 v14, v26, s22, -v14
	s_wait_alu 0xfffe
	s_cbranch_vccnz .LBB88_32
; %bb.31:                               ;   in Loop: Header=BB88_8 Depth=1
	v_add_co_u32 v26, vcc_lo, v1, v10
	s_wait_alu 0xfffd
	v_add_co_ci_u32_e64 v27, null, v16, v11, vcc_lo
	s_mov_b32 s1, 0
	global_load_b64 v[28:29], v[26:27], off
	s_wait_loadcnt 0x0
	v_mul_f32_e32 v17, s11, v29
	v_mul_f32_e32 v29, s10, v29
	s_delay_alu instid0(VALU_DEP_2) | instskip(NEXT) | instid1(VALU_DEP_1)
	v_fma_f32 v17, v28, s10, -v17
	v_dual_fmac_f32 v29, s11, v28 :: v_dual_add_f32 v28, v14, v17
	s_delay_alu instid0(VALU_DEP_1)
	v_add_f32_e32 v29, v15, v29
	global_store_b64 v[26:27], v[28:29], off
.LBB88_32:                              ;   in Loop: Header=BB88_8 Depth=1
	s_wait_alu 0xfffe
	s_and_not1_b32 vcc_lo, exec_lo, s1
	s_wait_alu 0xfffe
	s_cbranch_vccnz .LBB88_34
; %bb.33:                               ;   in Loop: Header=BB88_8 Depth=1
	v_add_co_u32 v26, vcc_lo, v1, v10
	s_wait_alu 0xfffd
	v_add_co_ci_u32_e64 v27, null, v16, v11, vcc_lo
	global_store_b64 v[26:27], v[14:15], off
.LBB88_34:                              ;   in Loop: Header=BB88_8 Depth=1
	s_wait_alu 0xfffe
	s_or_b32 exec_lo, exec_lo, s0
	s_and_saveexec_b32 s0, s31
	s_cbranch_execz .LBB88_7
; %bb.35:                               ;   in Loop: Header=BB88_8 Depth=1
	v_mul_f32_e32 v15, s22, v24
	v_mul_f32_e32 v14, s23, v24
	s_and_not1_b32 vcc_lo, exec_lo, s9
	s_mov_b32 s1, -1
	s_delay_alu instid0(VALU_DEP_2) | instskip(NEXT) | instid1(VALU_DEP_2)
	v_fmac_f32_e32 v15, s23, v25
	v_fma_f32 v14, v25, s22, -v14
	s_wait_alu 0xfffe
	s_cbranch_vccnz .LBB88_37
; %bb.36:                               ;   in Loop: Header=BB88_8 Depth=1
	v_add_co_u32 v24, vcc_lo, v1, v12
	s_wait_alu 0xfffd
	v_add_co_ci_u32_e64 v25, null, v16, v13, vcc_lo
	s_mov_b32 s1, 0
	global_load_b64 v[26:27], v[24:25], off
	s_wait_loadcnt 0x0
	v_mul_f32_e32 v17, s11, v27
	s_delay_alu instid0(VALU_DEP_1) | instskip(SKIP_1) | instid1(VALU_DEP_1)
	v_fma_f32 v17, v26, s10, -v17
	v_mul_f32_e32 v27, s10, v27
	v_dual_fmac_f32 v27, s11, v26 :: v_dual_add_f32 v26, v14, v17
	s_delay_alu instid0(VALU_DEP_1)
	v_add_f32_e32 v27, v15, v27
	global_store_b64 v[24:25], v[26:27], off
.LBB88_37:                              ;   in Loop: Header=BB88_8 Depth=1
	s_wait_alu 0xfffe
	s_and_not1_b32 vcc_lo, exec_lo, s1
	s_wait_alu 0xfffe
	s_cbranch_vccnz .LBB88_7
; %bb.38:                               ;   in Loop: Header=BB88_8 Depth=1
	v_add_co_u32 v24, vcc_lo, v1, v12
	s_wait_alu 0xfffd
	v_add_co_ci_u32_e64 v25, null, v16, v13, vcc_lo
	global_store_b64 v[24:25], v[14:15], off
	s_branch .LBB88_7
.LBB88_39:
	s_endpgm
	.section	.rodata,"a",@progbits
	.p2align	6, 0x0
	.amdhsa_kernel _ZL29rocblas_internal_gemmt_kernelIiLi16ELi32ELi8ELc67ELc84ELc76ELb1ELb0E19rocblas_complex_numIfEPKS1_S3_PS1_EviT_T9_T10_S5_lS7_S5_lS6_T11_S5_li
		.amdhsa_group_segment_fixed_size 4096
		.amdhsa_private_segment_fixed_size 0
		.amdhsa_kernarg_size 100
		.amdhsa_user_sgpr_count 2
		.amdhsa_user_sgpr_dispatch_ptr 0
		.amdhsa_user_sgpr_queue_ptr 0
		.amdhsa_user_sgpr_kernarg_segment_ptr 1
		.amdhsa_user_sgpr_dispatch_id 0
		.amdhsa_user_sgpr_private_segment_size 0
		.amdhsa_wavefront_size32 1
		.amdhsa_uses_dynamic_stack 0
		.amdhsa_enable_private_segment 0
		.amdhsa_system_sgpr_workgroup_id_x 1
		.amdhsa_system_sgpr_workgroup_id_y 1
		.amdhsa_system_sgpr_workgroup_id_z 1
		.amdhsa_system_sgpr_workgroup_info 0
		.amdhsa_system_vgpr_workitem_id 1
		.amdhsa_next_free_vgpr 69
		.amdhsa_next_free_sgpr 37
		.amdhsa_reserve_vcc 1
		.amdhsa_float_round_mode_32 0
		.amdhsa_float_round_mode_16_64 0
		.amdhsa_float_denorm_mode_32 3
		.amdhsa_float_denorm_mode_16_64 3
		.amdhsa_fp16_overflow 0
		.amdhsa_workgroup_processor_mode 1
		.amdhsa_memory_ordered 1
		.amdhsa_forward_progress 1
		.amdhsa_inst_pref_size 25
		.amdhsa_round_robin_scheduling 0
		.amdhsa_exception_fp_ieee_invalid_op 0
		.amdhsa_exception_fp_denorm_src 0
		.amdhsa_exception_fp_ieee_div_zero 0
		.amdhsa_exception_fp_ieee_overflow 0
		.amdhsa_exception_fp_ieee_underflow 0
		.amdhsa_exception_fp_ieee_inexact 0
		.amdhsa_exception_int_div_zero 0
	.end_amdhsa_kernel
	.section	.text._ZL29rocblas_internal_gemmt_kernelIiLi16ELi32ELi8ELc67ELc84ELc76ELb1ELb0E19rocblas_complex_numIfEPKS1_S3_PS1_EviT_T9_T10_S5_lS7_S5_lS6_T11_S5_li,"axG",@progbits,_ZL29rocblas_internal_gemmt_kernelIiLi16ELi32ELi8ELc67ELc84ELc76ELb1ELb0E19rocblas_complex_numIfEPKS1_S3_PS1_EviT_T9_T10_S5_lS7_S5_lS6_T11_S5_li,comdat
.Lfunc_end88:
	.size	_ZL29rocblas_internal_gemmt_kernelIiLi16ELi32ELi8ELc67ELc84ELc76ELb1ELb0E19rocblas_complex_numIfEPKS1_S3_PS1_EviT_T9_T10_S5_lS7_S5_lS6_T11_S5_li, .Lfunc_end88-_ZL29rocblas_internal_gemmt_kernelIiLi16ELi32ELi8ELc67ELc84ELc76ELb1ELb0E19rocblas_complex_numIfEPKS1_S3_PS1_EviT_T9_T10_S5_lS7_S5_lS6_T11_S5_li
                                        ; -- End function
	.set _ZL29rocblas_internal_gemmt_kernelIiLi16ELi32ELi8ELc67ELc84ELc76ELb1ELb0E19rocblas_complex_numIfEPKS1_S3_PS1_EviT_T9_T10_S5_lS7_S5_lS6_T11_S5_li.num_vgpr, 69
	.set _ZL29rocblas_internal_gemmt_kernelIiLi16ELi32ELi8ELc67ELc84ELc76ELb1ELb0E19rocblas_complex_numIfEPKS1_S3_PS1_EviT_T9_T10_S5_lS7_S5_lS6_T11_S5_li.num_agpr, 0
	.set _ZL29rocblas_internal_gemmt_kernelIiLi16ELi32ELi8ELc67ELc84ELc76ELb1ELb0E19rocblas_complex_numIfEPKS1_S3_PS1_EviT_T9_T10_S5_lS7_S5_lS6_T11_S5_li.numbered_sgpr, 37
	.set _ZL29rocblas_internal_gemmt_kernelIiLi16ELi32ELi8ELc67ELc84ELc76ELb1ELb0E19rocblas_complex_numIfEPKS1_S3_PS1_EviT_T9_T10_S5_lS7_S5_lS6_T11_S5_li.num_named_barrier, 0
	.set _ZL29rocblas_internal_gemmt_kernelIiLi16ELi32ELi8ELc67ELc84ELc76ELb1ELb0E19rocblas_complex_numIfEPKS1_S3_PS1_EviT_T9_T10_S5_lS7_S5_lS6_T11_S5_li.private_seg_size, 0
	.set _ZL29rocblas_internal_gemmt_kernelIiLi16ELi32ELi8ELc67ELc84ELc76ELb1ELb0E19rocblas_complex_numIfEPKS1_S3_PS1_EviT_T9_T10_S5_lS7_S5_lS6_T11_S5_li.uses_vcc, 1
	.set _ZL29rocblas_internal_gemmt_kernelIiLi16ELi32ELi8ELc67ELc84ELc76ELb1ELb0E19rocblas_complex_numIfEPKS1_S3_PS1_EviT_T9_T10_S5_lS7_S5_lS6_T11_S5_li.uses_flat_scratch, 0
	.set _ZL29rocblas_internal_gemmt_kernelIiLi16ELi32ELi8ELc67ELc84ELc76ELb1ELb0E19rocblas_complex_numIfEPKS1_S3_PS1_EviT_T9_T10_S5_lS7_S5_lS6_T11_S5_li.has_dyn_sized_stack, 0
	.set _ZL29rocblas_internal_gemmt_kernelIiLi16ELi32ELi8ELc67ELc84ELc76ELb1ELb0E19rocblas_complex_numIfEPKS1_S3_PS1_EviT_T9_T10_S5_lS7_S5_lS6_T11_S5_li.has_recursion, 0
	.set _ZL29rocblas_internal_gemmt_kernelIiLi16ELi32ELi8ELc67ELc84ELc76ELb1ELb0E19rocblas_complex_numIfEPKS1_S3_PS1_EviT_T9_T10_S5_lS7_S5_lS6_T11_S5_li.has_indirect_call, 0
	.section	.AMDGPU.csdata,"",@progbits
; Kernel info:
; codeLenInByte = 3192
; TotalNumSgprs: 39
; NumVgprs: 69
; ScratchSize: 0
; MemoryBound: 1
; FloatMode: 240
; IeeeMode: 1
; LDSByteSize: 4096 bytes/workgroup (compile time only)
; SGPRBlocks: 0
; VGPRBlocks: 8
; NumSGPRsForWavesPerEU: 39
; NumVGPRsForWavesPerEU: 69
; Occupancy: 16
; WaveLimiterHint : 0
; COMPUTE_PGM_RSRC2:SCRATCH_EN: 0
; COMPUTE_PGM_RSRC2:USER_SGPR: 2
; COMPUTE_PGM_RSRC2:TRAP_HANDLER: 0
; COMPUTE_PGM_RSRC2:TGID_X_EN: 1
; COMPUTE_PGM_RSRC2:TGID_Y_EN: 1
; COMPUTE_PGM_RSRC2:TGID_Z_EN: 1
; COMPUTE_PGM_RSRC2:TIDIG_COMP_CNT: 1
	.section	.text._ZL29rocblas_internal_gemmt_kernelIiLi16ELi32ELi8ELc67ELc67ELc76ELb1ELb1E19rocblas_complex_numIfEPKS1_S3_PS1_EviT_T9_T10_S5_lS7_S5_lS6_T11_S5_li,"axG",@progbits,_ZL29rocblas_internal_gemmt_kernelIiLi16ELi32ELi8ELc67ELc67ELc76ELb1ELb1E19rocblas_complex_numIfEPKS1_S3_PS1_EviT_T9_T10_S5_lS7_S5_lS6_T11_S5_li,comdat
	.globl	_ZL29rocblas_internal_gemmt_kernelIiLi16ELi32ELi8ELc67ELc67ELc76ELb1ELb1E19rocblas_complex_numIfEPKS1_S3_PS1_EviT_T9_T10_S5_lS7_S5_lS6_T11_S5_li ; -- Begin function _ZL29rocblas_internal_gemmt_kernelIiLi16ELi32ELi8ELc67ELc67ELc76ELb1ELb1E19rocblas_complex_numIfEPKS1_S3_PS1_EviT_T9_T10_S5_lS7_S5_lS6_T11_S5_li
	.p2align	8
	.type	_ZL29rocblas_internal_gemmt_kernelIiLi16ELi32ELi8ELc67ELc67ELc76ELb1ELb1E19rocblas_complex_numIfEPKS1_S3_PS1_EviT_T9_T10_S5_lS7_S5_lS6_T11_S5_li,@function
_ZL29rocblas_internal_gemmt_kernelIiLi16ELi32ELi8ELc67ELc67ELc76ELb1ELb1E19rocblas_complex_numIfEPKS1_S3_PS1_EviT_T9_T10_S5_lS7_S5_lS6_T11_S5_li: ; @_ZL29rocblas_internal_gemmt_kernelIiLi16ELi32ELi8ELc67ELc67ELc76ELb1ELb1E19rocblas_complex_numIfEPKS1_S3_PS1_EviT_T9_T10_S5_lS7_S5_lS6_T11_S5_li
; %bb.0:
	s_load_b128 s[8:11], s[0:1], 0x38
	s_wait_kmcnt 0x0
	s_load_b64 s[10:11], s[10:11], 0x0
	s_clause 0x1
	s_load_b128 s[4:7], s[0:1], 0x8
	s_load_b64 s[20:21], s[0:1], 0x0
	s_wait_kmcnt 0x0
	s_load_b64 s[22:23], s[4:5], 0x0
	s_cmp_eq_f32 s10, 1.0
	s_cselect_b32 s3, -1, 0
	s_and_b32 s2, s11, 0x7fffffff
	s_delay_alu instid0(SALU_CYCLE_1) | instskip(SKIP_1) | instid1(SALU_CYCLE_1)
	s_cmp_eq_u32 s2, 0
	s_cselect_b32 s2, -1, 0
	s_and_b32 s4, s3, s2
	s_mov_b32 s3, 0
	s_and_not1_b32 vcc_lo, exec_lo, s4
	s_mov_b32 s4, -1
	s_cbranch_vccnz .LBB89_4
; %bb.1:
	s_cmp_lg_u32 s21, 0
	s_cbranch_scc0 .LBB89_3
; %bb.2:
	s_wait_kmcnt 0x0
	s_cmp_neq_f32 s22, 0
	s_cselect_b32 s3, -1, 0
	s_cmp_neq_f32 s23, 0
	s_cselect_b32 s4, -1, 0
	s_delay_alu instid0(SALU_CYCLE_1)
	s_or_b32 s3, s3, s4
.LBB89_3:
	s_delay_alu instid0(SALU_CYCLE_1)
	s_mov_b32 s4, s3
.LBB89_4:
	s_delay_alu instid0(SALU_CYCLE_1)
	s_and_b32 vcc_lo, exec_lo, s4
	s_cbranch_vccz .LBB89_39
; %bb.5:
	s_load_b32 s19, s[0:1], 0x60
	s_lshr_b32 s24, ttmp7, 16
	s_wait_kmcnt 0x0
	s_cmp_ge_u32 s24, s19
	s_cbranch_scc1 .LBB89_39
; %bb.6:
	s_clause 0x2
	s_load_b32 s28, s[0:1], 0x30
	s_load_b32 s5, s[0:1], 0x18
	s_load_b128 s[12:15], s[0:1], 0x20
	v_dual_mov_b32 v22, 0 :: v_dual_and_b32 v1, 0x3ff, v0
	v_bfe_u32 v2, v0, 10, 10
	v_and_b32_e32 v16, 7, v0
	s_clause 0x1
	s_load_b96 s[16:18], s[0:1], 0x48
	s_load_b64 s[26:27], s[0:1], 0x58
	s_lshl_b32 s0, ttmp9, 5
	s_lshl_b32 s1, ttmp7, 5
	v_lshl_add_u32 v0, v2, 4, v1
	v_lshlrev_b32_e32 v17, 3, v1
	v_add_nc_u32_e32 v8, s0, v1
	s_and_b32 s1, s1, 0x1fffe0
	v_lshlrev_b32_e32 v3, 3, v16
	v_and_b32_e32 v1, 31, v0
	v_lshrrev_b32_e32 v4, 3, v0
	v_lshrrev_b32_e32 v18, 5, v0
	v_add_nc_u32_e32 v10, 16, v8
	v_lshl_add_u32 v21, v2, 6, 0x800
	s_wait_kmcnt 0x0
	s_ashr_i32 s29, s28, 31
	s_cmp_neq_f32 s22, 0
	v_or_b32_e32 v0, s0, v1
	v_lshlrev_b32_e32 v1, 3, v1
	v_lshl_or_b32 v3, v4, 6, v3
	s_cselect_b32 s3, -1, 0
	s_cmp_neq_f32 s23, 0
	s_wait_alu 0xfffe
	v_add_nc_u32_e32 v12, s1, v4
	v_lshl_or_b32 v19, v18, 8, v1
	v_add_nc_u32_e32 v1, s1, v2
	s_cselect_b32 s4, -1, 0
	v_cmp_gt_i32_e32 vcc_lo, s20, v0
	s_or_b32 s33, s3, s4
	s_cmp_gt_i32 s21, 0
	v_cmp_le_i32_e64 s1, v1, v8
	s_cselect_b32 s34, -1, 0
	s_cmp_neq_f32 s10, 0
	v_cmp_le_i32_e64 s3, v1, v10
	v_mad_co_i64_i32 v[4:5], null, v1, s18, 0
	v_add_nc_u32_e32 v6, 16, v1
	v_mad_co_i64_i32 v[0:1], null, s5, v0, 0
	v_add_nc_u32_e32 v20, 0x800, v3
	v_mad_co_i64_i32 v[2:3], null, s28, v16, 0
	s_cselect_b32 s35, -1, 0
	s_xor_b32 s36, s2, -1
	v_cmp_gt_i32_e64 s2, s20, v8
	v_lshlrev_b64_e32 v[0:1], 3, v[0:1]
	v_cmp_gt_i32_e64 s0, s20, v12
	v_cmp_gt_i32_e64 s4, s20, v10
	v_lshlrev_b32_e32 v13, 3, v18
	s_and_b32 s20, s1, s2
	v_cmp_le_i32_e64 s1, v6, v8
	v_lshlrev_b64_e32 v[2:3], 3, v[2:3]
	v_lshlrev_b32_e32 v12, 3, v12
	s_and_b32 s30, s3, s4
	v_cmp_le_i32_e64 s3, v6, v10
	v_mad_co_i64_i32 v[6:7], null, v6, s18, 0
	s_and_b32 s18, s1, s2
	v_add_co_u32 v0, s1, v0, v13
	s_wait_alu 0xf1ff
	v_add_co_ci_u32_e64 v1, null, 0, v1, s1
	v_add_co_u32 v2, s1, v2, v12
	s_wait_alu 0xf1ff
	v_add_co_ci_u32_e64 v3, null, 0, v3, s1
	v_add_co_u32 v0, s1, s6, v0
	s_wait_alu 0xf1ff
	v_add_co_ci_u32_e64 v1, null, s7, v1, s1
	v_add_co_u32 v2, s1, s14, v2
	v_ashrrev_i32_e32 v9, 31, v8
	v_ashrrev_i32_e32 v11, 31, v10
	s_wait_alu 0xf1ff
	v_add_co_ci_u32_e64 v3, null, s15, v3, s1
	v_add_co_u32 v2, s1, v2, 4
	v_lshlrev_b64_e32 v[4:5], 3, v[4:5]
	v_lshlrev_b64_e32 v[6:7], 3, v[6:7]
	;; [unrolled: 1-line block ×4, first 2 shown]
	s_wait_alu 0xf1ff
	v_add_co_ci_u32_e64 v3, null, 0, v3, s1
	s_mov_b32 s25, 0
	s_and_b32 s31, s3, s4
	s_lshl_b64 s[2:3], s[12:13], 3
	s_lshl_b64 s[4:5], s[8:9], 3
	s_and_b32 s8, s33, s34
	s_or_b32 s9, s35, s36
	s_lshl_b64 s[6:7], s[28:29], 6
	s_xor_b32 s12, vcc_lo, -1
	s_xor_b32 s13, s0, -1
	s_branch .LBB89_8
.LBB89_7:                               ;   in Loop: Header=BB89_8 Depth=1
	s_wait_alu 0xfffe
	s_or_b32 exec_lo, exec_lo, s0
	s_add_co_i32 s24, s24, 0x10000
	s_wait_alu 0xfffe
	s_cmp_lt_u32 s24, s19
	s_cbranch_scc0 .LBB89_39
.LBB89_8:                               ; =>This Loop Header: Depth=1
                                        ;     Child Loop BB89_11 Depth 2
	v_dual_mov_b32 v29, 0 :: v_dual_mov_b32 v30, 0
	v_dual_mov_b32 v27, 0 :: v_dual_mov_b32 v28, 0
	;; [unrolled: 1-line block ×4, first 2 shown]
	s_and_not1_b32 vcc_lo, exec_lo, s8
	s_wait_alu 0xfffe
	s_cbranch_vccnz .LBB89_19
; %bb.9:                                ;   in Loop: Header=BB89_8 Depth=1
	v_mad_co_u64_u32 v[12:13], null, s2, s24, v[0:1]
	v_mad_co_u64_u32 v[14:15], null, s4, s24, v[2:3]
	v_dual_mov_b32 v23, 0 :: v_dual_mov_b32 v24, 0
	v_dual_mov_b32 v26, 0 :: v_dual_mov_b32 v25, 0
	;; [unrolled: 1-line block ×3, first 2 shown]
	s_delay_alu instid0(VALU_DEP_4) | instskip(SKIP_3) | instid1(VALU_DEP_3)
	v_mad_co_u64_u32 v[29:30], null, s3, s24, v[13:14]
	v_mad_co_u64_u32 v[31:32], null, s5, s24, v[15:16]
	v_mov_b32_e32 v30, 0
	s_mov_b32 s0, 0
	v_mov_b32_e32 v13, v29
	v_mov_b32_e32 v29, 0
	s_delay_alu instid0(VALU_DEP_4)
	v_mov_b32_e32 v15, v31
	s_branch .LBB89_11
.LBB89_10:                              ;   in Loop: Header=BB89_11 Depth=2
	s_or_b32 exec_lo, exec_lo, s1
	ds_store_b32 v20, v31 offset:4
	s_wait_dscnt 0x0
	s_barrier_signal -1
	s_barrier_wait -1
	global_inv scope:SCOPE_SE
	ds_load_b128 v[31:34], v21
	ds_load_2addr_b64 v[35:38], v17 offset1:16
	ds_load_b128 v[39:42], v21 offset:1024
	ds_load_b128 v[43:46], v21 offset:16
	;; [unrolled: 1-line block ×4, first 2 shown]
	ds_load_2addr_b64 v[55:58], v17 offset0:32 offset1:48
	ds_load_b128 v[59:62], v21 offset:1040
	v_add_co_u32 v12, vcc_lo, v12, 64
	s_wait_alu 0xfffd
	v_add_co_ci_u32_e64 v13, null, 0, v13, vcc_lo
	v_add_co_u32 v14, vcc_lo, v14, s6
	s_wait_alu 0xfffd
	v_add_co_ci_u32_e64 v15, null, s7, v15, vcc_lo
	s_add_co_i32 s0, s0, 8
	s_wait_alu 0xfffe
	s_cmp_lt_i32 s0, s21
	s_wait_dscnt 0x6
	v_dual_mul_f32 v63, v32, v36 :: v_dual_mul_f32 v66, v31, v38
	v_dual_mul_f32 v64, v31, v36 :: v_dual_mul_f32 v65, v32, v38
	s_wait_dscnt 0x5
	v_mul_f32_e32 v67, v40, v36
	s_delay_alu instid0(VALU_DEP_3)
	v_fma_f32 v63, v31, v35, -v63
	v_mul_f32_e32 v36, v39, v36
	v_fmac_f32_e32 v66, v32, v37
	v_fma_f32 v31, v31, v37, -v65
	v_mul_f32_e32 v68, v40, v38
	v_dual_mul_f32 v38, v39, v38 :: v_dual_add_f32 v29, v29, v63
	s_delay_alu instid0(VALU_DEP_3) | instskip(NEXT) | instid1(VALU_DEP_3)
	v_add_f32_e32 v31, v27, v31
	v_fma_f32 v27, v39, v37, -v68
	s_delay_alu instid0(VALU_DEP_3) | instskip(SKIP_1) | instid1(VALU_DEP_3)
	v_fmac_f32_e32 v38, v40, v37
	v_fmac_f32_e32 v36, v40, v35
	v_add_f32_e32 v37, v24, v27
	s_delay_alu instid0(VALU_DEP_3)
	v_dual_add_f32 v23, v23, v38 :: v_dual_fmac_f32 v64, v32, v35
	v_fma_f32 v32, v39, v35, -v67
	s_wait_dscnt 0x1
	v_dual_mul_f32 v39, v33, v56 :: v_dual_add_f32 v28, v28, v66
	v_add_f32_e32 v35, v26, v36
	v_add_f32_e32 v30, v30, v64
	s_delay_alu instid0(VALU_DEP_3) | instskip(SKIP_4) | instid1(VALU_DEP_1)
	v_dual_fmac_f32 v39, v34, v55 :: v_dual_add_f32 v32, v25, v32
	ds_load_2addr_b64 v[24:27], v17 offset0:64 offset1:80
	v_mul_f32_e32 v38, v33, v58
	v_mul_f32_e32 v40, v34, v58
	v_dual_add_f32 v39, v30, v39 :: v_dual_mul_f32 v30, v41, v56
	v_fmac_f32_e32 v30, v42, v55
	s_delay_alu instid0(VALU_DEP_1) | instskip(SKIP_1) | instid1(VALU_DEP_1)
	v_dual_fmac_f32 v38, v34, v57 :: v_dual_add_f32 v35, v35, v30
	v_mul_f32_e32 v36, v34, v56
	v_fma_f32 v36, v33, v55, -v36
	s_delay_alu instid0(VALU_DEP_1) | instskip(SKIP_3) | instid1(VALU_DEP_2)
	v_add_f32_e32 v36, v29, v36
	v_fma_f32 v29, v33, v57, -v40
	s_wait_dscnt 0x0
	v_dual_mul_f32 v33, v42, v56 :: v_dual_mul_f32 v40, v43, v25
	v_add_f32_e32 v34, v31, v29
	s_delay_alu instid0(VALU_DEP_2) | instskip(SKIP_3) | instid1(VALU_DEP_4)
	v_fma_f32 v29, v41, v55, -v33
	v_mul_f32_e32 v31, v42, v58
	v_add_f32_e32 v33, v28, v38
	v_mul_f32_e32 v38, v41, v58
	v_add_f32_e32 v32, v32, v29
	s_delay_alu instid0(VALU_DEP_4) | instskip(SKIP_1) | instid1(VALU_DEP_2)
	v_fma_f32 v28, v41, v57, -v31
	v_mul_f32_e32 v29, v44, v25
	v_dual_fmac_f32 v38, v42, v57 :: v_dual_add_f32 v37, v37, v28
	s_delay_alu instid0(VALU_DEP_2) | instskip(SKIP_4) | instid1(VALU_DEP_3)
	v_fma_f32 v41, v43, v24, -v29
	ds_load_2addr_b64 v[28:31], v17 offset0:96 offset1:112
	v_fmac_f32_e32 v40, v44, v24
	v_add_f32_e32 v38, v23, v38
	v_dual_mul_f32 v23, v43, v27 :: v_dual_add_f32 v36, v36, v41
	v_dual_add_f32 v39, v39, v40 :: v_dual_mul_f32 v40, v60, v25
	v_mul_f32_e32 v25, v59, v25
	s_delay_alu instid0(VALU_DEP_3) | instskip(NEXT) | instid1(VALU_DEP_2)
	v_fmac_f32_e32 v23, v44, v26
	v_fmac_f32_e32 v25, v60, v24
	v_mul_f32_e32 v42, v44, v27
	s_delay_alu instid0(VALU_DEP_1) | instskip(NEXT) | instid1(VALU_DEP_4)
	v_fma_f32 v41, v43, v26, -v42
	v_add_f32_e32 v42, v33, v23
	s_wait_dscnt 0x0
	v_mul_f32_e32 v33, v45, v29
	s_delay_alu instid0(VALU_DEP_3) | instskip(SKIP_1) | instid1(VALU_DEP_3)
	v_dual_add_f32 v34, v34, v41 :: v_dual_mul_f32 v41, v60, v27
	v_mul_f32_e32 v27, v59, v27
	v_fmac_f32_e32 v33, v46, v28
	v_fma_f32 v40, v59, v24, -v40
	s_delay_alu instid0(VALU_DEP_4) | instskip(NEXT) | instid1(VALU_DEP_4)
	v_fma_f32 v23, v59, v26, -v41
	v_fmac_f32_e32 v27, v60, v26
	s_delay_alu instid0(VALU_DEP_3) | instskip(NEXT) | instid1(VALU_DEP_3)
	v_dual_add_f32 v41, v35, v25 :: v_dual_add_f32 v40, v32, v40
	v_dual_mul_f32 v32, v46, v29 :: v_dual_add_f32 v37, v37, v23
	v_mul_f32_e32 v35, v46, v31
	ds_load_2addr_b64 v[23:26], v17 offset0:128 offset1:144
	v_add_f32_e32 v38, v38, v27
	v_fma_f32 v32, v45, v28, -v32
	v_mul_f32_e32 v27, v45, v31
	v_fma_f32 v35, v45, v30, -v35
	v_mul_f32_e32 v45, v62, v31
	s_delay_alu instid0(VALU_DEP_4) | instskip(NEXT) | instid1(VALU_DEP_4)
	v_dual_add_f32 v43, v39, v33 :: v_dual_add_f32 v36, v36, v32
	v_fmac_f32_e32 v27, v46, v30
	v_mul_f32_e32 v31, v61, v31
	s_delay_alu instid0(VALU_DEP_2) | instskip(SKIP_4) | instid1(VALU_DEP_4)
	v_add_f32_e32 v42, v42, v27
	v_fma_f32 v27, v61, v30, -v45
	v_mul_f32_e32 v32, v62, v29
	v_mul_f32_e32 v29, v61, v29
	v_fmac_f32_e32 v31, v62, v30
	v_add_f32_e32 v45, v37, v27
	s_delay_alu instid0(VALU_DEP_4) | instskip(NEXT) | instid1(VALU_DEP_4)
	v_fma_f32 v39, v61, v28, -v32
	v_fmac_f32_e32 v29, v62, v28
	s_wait_dscnt 0x0
	v_mul_f32_e32 v28, v48, v24
	v_dual_mul_f32 v46, v47, v24 :: v_dual_add_f32 v31, v38, v31
	v_mul_f32_e32 v56, v47, v26
	v_add_f32_e32 v40, v40, v39
	v_dual_add_f32 v44, v34, v35 :: v_dual_add_f32 v41, v41, v29
	ds_load_b128 v[32:35], v21 offset:1056
	v_fma_f32 v37, v47, v23, -v28
	ds_load_2addr_b64 v[27:30], v17 offset0:160 offset1:176
	v_mul_f32_e32 v39, v48, v26
	v_fmac_f32_e32 v56, v48, v25
	v_add_f32_e32 v55, v36, v37
	s_delay_alu instid0(VALU_DEP_3) | instskip(SKIP_4) | instid1(VALU_DEP_2)
	v_fma_f32 v47, v47, v25, -v39
	ds_load_b128 v[36:39], v21 offset:1072
	v_fmac_f32_e32 v46, v48, v23
	s_wait_dscnt 0x2
	v_dual_add_f32 v44, v44, v47 :: v_dual_mul_f32 v57, v33, v24
	v_dual_add_f32 v43, v43, v46 :: v_dual_mul_f32 v24, v32, v24
	v_mul_f32_e32 v47, v33, v26
	v_mul_f32_e32 v48, v32, v26
	s_delay_alu instid0(VALU_DEP_4)
	v_fma_f32 v46, v32, v23, -v57
	v_add_f32_e32 v42, v42, v56
	s_wait_dscnt 0x1
	v_mul_f32_e32 v26, v50, v28
	v_fmac_f32_e32 v48, v33, v25
	v_fmac_f32_e32 v24, v33, v23
	v_fma_f32 v23, v32, v25, -v47
	v_dual_mul_f32 v33, v49, v28 :: v_dual_add_f32 v40, v40, v46
	s_delay_alu instid0(VALU_DEP_4) | instskip(SKIP_1) | instid1(VALU_DEP_3)
	v_add_f32_e32 v47, v31, v48
	v_mul_f32_e32 v31, v49, v30
	v_dual_fmac_f32 v33, v50, v27 :: v_dual_add_f32 v32, v41, v24
	v_add_f32_e32 v41, v45, v23
	v_fma_f32 v45, v49, v27, -v26
	ds_load_2addr_b64 v[23:26], v17 offset0:192 offset1:208
	v_dual_mul_f32 v46, v50, v30 :: v_dual_add_f32 v43, v43, v33
	v_mul_f32_e32 v33, v35, v28
	v_dual_mul_f32 v28, v34, v28 :: v_dual_add_f32 v45, v55, v45
	s_delay_alu instid0(VALU_DEP_3) | instskip(SKIP_1) | instid1(VALU_DEP_4)
	v_fma_f32 v46, v49, v29, -v46
	v_fmac_f32_e32 v31, v50, v29
	v_fma_f32 v33, v34, v27, -v33
	s_delay_alu instid0(VALU_DEP_4) | instskip(NEXT) | instid1(VALU_DEP_4)
	v_fmac_f32_e32 v28, v35, v27
	v_add_f32_e32 v44, v44, v46
	s_delay_alu instid0(VALU_DEP_4) | instskip(SKIP_2) | instid1(VALU_DEP_3)
	v_dual_mul_f32 v46, v35, v30 :: v_dual_add_f32 v27, v42, v31
	v_mul_f32_e32 v30, v34, v30
	v_add_f32_e32 v40, v40, v33
	v_fma_f32 v31, v34, v29, -v46
	s_delay_alu instid0(VALU_DEP_3) | instskip(SKIP_3) | instid1(VALU_DEP_2)
	v_fmac_f32_e32 v30, v35, v29
	s_wait_dscnt 0x0
	v_mul_f32_e32 v46, v51, v26
	v_mul_f32_e32 v35, v51, v24
	v_dual_add_f32 v29, v41, v31 :: v_dual_fmac_f32 v46, v52, v25
	v_mul_f32_e32 v42, v52, v24
	s_delay_alu instid0(VALU_DEP_3) | instskip(NEXT) | instid1(VALU_DEP_2)
	v_fmac_f32_e32 v35, v52, v23
	v_fma_f32 v41, v51, v23, -v42
	s_delay_alu instid0(VALU_DEP_2) | instskip(NEXT) | instid1(VALU_DEP_2)
	v_dual_mul_f32 v42, v52, v26 :: v_dual_add_f32 v35, v43, v35
	v_dual_add_f32 v41, v45, v41 :: v_dual_add_f32 v28, v32, v28
	ds_load_2addr_b64 v[31:34], v17 offset0:224 offset1:240
	v_mul_f32_e32 v45, v37, v24
	v_fma_f32 v42, v51, v25, -v42
	v_mul_f32_e32 v24, v36, v24
	s_wait_loadcnt_dscnt 0x0
	s_barrier_signal -1
	v_fma_f32 v43, v36, v23, -v45
	v_add_f32_e32 v30, v47, v30
	v_dual_fmac_f32 v24, v37, v23 :: v_dual_add_f32 v45, v27, v46
	s_barrier_wait -1
	s_delay_alu instid0(VALU_DEP_3)
	v_add_f32_e32 v23, v40, v43
	v_add_f32_e32 v42, v44, v42
	v_mul_f32_e32 v44, v37, v26
	v_mul_f32_e32 v26, v36, v26
	v_add_f32_e32 v24, v28, v24
	global_inv scope:SCOPE_SE
	v_fma_f32 v27, v36, v25, -v44
	v_fmac_f32_e32 v26, v37, v25
	v_mul_f32_e32 v36, v54, v32
	v_mul_f32_e32 v40, v53, v32
	;; [unrolled: 1-line block ×3, first 2 shown]
	v_add_f32_e32 v37, v29, v27
	v_mul_f32_e32 v27, v54, v34
	v_fma_f32 v25, v53, v31, -v36
	v_fmac_f32_e32 v40, v54, v31
	v_add_f32_e32 v36, v30, v26
	v_mul_f32_e32 v26, v39, v32
	s_delay_alu instid0(VALU_DEP_4) | instskip(NEXT) | instid1(VALU_DEP_4)
	v_dual_mul_f32 v32, v38, v32 :: v_dual_add_f32 v29, v41, v25
	v_add_f32_e32 v30, v35, v40
	v_fma_f32 v25, v53, v33, -v27
	v_mul_f32_e32 v35, v39, v34
	v_mul_f32_e32 v34, v38, v34
	v_fmac_f32_e32 v28, v54, v33
	s_delay_alu instid0(VALU_DEP_4) | instskip(SKIP_4) | instid1(VALU_DEP_4)
	v_dual_fmac_f32 v32, v39, v31 :: v_dual_add_f32 v27, v42, v25
	v_fma_f32 v25, v38, v31, -v26
	v_fma_f32 v31, v38, v33, -v35
	v_fmac_f32_e32 v34, v39, v33
	v_add_f32_e32 v28, v45, v28
	v_dual_add_f32 v26, v24, v32 :: v_dual_add_f32 v25, v23, v25
	s_delay_alu instid0(VALU_DEP_3)
	v_dual_add_f32 v24, v37, v31 :: v_dual_add_f32 v23, v36, v34
	s_cbranch_scc0 .LBB89_19
.LBB89_11:                              ;   Parent Loop BB89_8 Depth=1
                                        ; =>  This Inner Loop Header: Depth=2
	s_wait_alu 0xfffe
	v_add_nc_u32_e32 v31, s0, v18
	s_delay_alu instid0(VALU_DEP_1)
	v_cmp_le_i32_e32 vcc_lo, s21, v31
	s_or_b32 s1, s12, vcc_lo
	s_wait_alu 0xfffe
	s_and_saveexec_b32 s14, s1
	s_wait_alu 0xfffe
	s_xor_b32 s1, exec_lo, s14
; %bb.12:                               ;   in Loop: Header=BB89_11 Depth=2
	ds_store_b32 v19, v22
; %bb.13:                               ;   in Loop: Header=BB89_11 Depth=2
	s_wait_alu 0xfffe
	s_or_saveexec_b32 s1, s1
	v_mov_b32_e32 v31, 0
	s_wait_alu 0xfffe
	s_xor_b32 exec_lo, exec_lo, s1
	s_cbranch_execz .LBB89_15
; %bb.14:                               ;   in Loop: Header=BB89_11 Depth=2
	global_load_b64 v[32:33], v[12:13], off
	s_wait_loadcnt 0x0
	v_xor_b32_e32 v31, 0x80000000, v33
	ds_store_b32 v19, v32
.LBB89_15:                              ;   in Loop: Header=BB89_11 Depth=2
	s_or_b32 exec_lo, exec_lo, s1
	v_add_nc_u32_e32 v32, s0, v16
	ds_store_b32 v19, v31 offset:4
	v_cmp_le_i32_e32 vcc_lo, s21, v32
	s_or_b32 s1, vcc_lo, s13
	s_wait_alu 0xfffe
	s_and_saveexec_b32 s14, s1
	s_wait_alu 0xfffe
	s_xor_b32 s1, exec_lo, s14
; %bb.16:                               ;   in Loop: Header=BB89_11 Depth=2
	ds_store_b32 v20, v22
; %bb.17:                               ;   in Loop: Header=BB89_11 Depth=2
	s_wait_alu 0xfffe
	s_or_saveexec_b32 s1, s1
	v_mov_b32_e32 v31, 0
	s_wait_alu 0xfffe
	s_xor_b32 exec_lo, exec_lo, s1
	s_cbranch_execz .LBB89_10
; %bb.18:                               ;   in Loop: Header=BB89_11 Depth=2
	global_load_b64 v[32:33], v[14:15], off offset:-4
	s_wait_loadcnt 0x0
	v_xor_b32_e32 v31, 0x80000000, v33
	ds_store_b32 v20, v32
	s_branch .LBB89_10
.LBB89_19:                              ;   in Loop: Header=BB89_8 Depth=1
	s_mul_u64 s[0:1], s[26:27], s[24:25]
	s_wait_alu 0xfffe
	s_lshl_b64 s[0:1], s[0:1], 3
	s_wait_alu 0xfffe
	s_add_nc_u64 s[0:1], s[16:17], s[0:1]
	s_wait_alu 0xfffe
	v_add_co_u32 v14, vcc_lo, s0, v4
	s_wait_alu 0xfffd
	v_add_co_ci_u32_e64 v15, null, s1, v5, vcc_lo
	s_and_saveexec_b32 s14, s20
	s_cbranch_execz .LBB89_24
; %bb.20:                               ;   in Loop: Header=BB89_8 Depth=1
	v_mul_f32_e32 v13, s22, v30
	v_mul_f32_e32 v12, s23, v30
	s_and_b32 vcc_lo, exec_lo, s9
	s_mov_b32 s15, -1
	s_delay_alu instid0(VALU_DEP_2) | instskip(NEXT) | instid1(VALU_DEP_2)
	v_fmac_f32_e32 v13, s23, v29
	v_fma_f32 v12, v29, s22, -v12
	s_wait_alu 0xfffe
	s_cbranch_vccz .LBB89_22
; %bb.21:                               ;   in Loop: Header=BB89_8 Depth=1
	v_add_co_u32 v29, vcc_lo, v14, v8
	s_wait_alu 0xfffd
	v_add_co_ci_u32_e64 v30, null, v15, v9, vcc_lo
	s_mov_b32 s15, 0
	global_load_b64 v[31:32], v[29:30], off
	s_wait_loadcnt 0x0
	v_mul_f32_e32 v33, s11, v32
	v_mul_f32_e32 v32, s10, v32
	s_delay_alu instid0(VALU_DEP_1) | instskip(NEXT) | instid1(VALU_DEP_3)
	v_fmac_f32_e32 v32, s11, v31
	v_fma_f32 v33, v31, s10, -v33
	s_delay_alu instid0(VALU_DEP_1)
	v_dual_add_f32 v32, v13, v32 :: v_dual_add_f32 v31, v12, v33
	global_store_b64 v[29:30], v[31:32], off
.LBB89_22:                              ;   in Loop: Header=BB89_8 Depth=1
	s_wait_alu 0xfffe
	s_and_not1_b32 vcc_lo, exec_lo, s15
	s_wait_alu 0xfffe
	s_cbranch_vccnz .LBB89_24
; %bb.23:                               ;   in Loop: Header=BB89_8 Depth=1
	v_add_co_u32 v29, vcc_lo, v14, v8
	s_wait_alu 0xfffd
	v_add_co_ci_u32_e64 v30, null, v15, v9, vcc_lo
	global_store_b64 v[29:30], v[12:13], off
.LBB89_24:                              ;   in Loop: Header=BB89_8 Depth=1
	s_wait_alu 0xfffe
	s_or_b32 exec_lo, exec_lo, s14
	s_and_saveexec_b32 s14, s30
	s_cbranch_execz .LBB89_29
; %bb.25:                               ;   in Loop: Header=BB89_8 Depth=1
	v_mul_f32_e32 v13, s22, v28
	v_mul_f32_e32 v12, s23, v28
	s_and_not1_b32 vcc_lo, exec_lo, s9
	s_mov_b32 s15, -1
	s_delay_alu instid0(VALU_DEP_2) | instskip(NEXT) | instid1(VALU_DEP_2)
	v_fmac_f32_e32 v13, s23, v27
	v_fma_f32 v12, v27, s22, -v12
	s_wait_alu 0xfffe
	s_cbranch_vccnz .LBB89_27
; %bb.26:                               ;   in Loop: Header=BB89_8 Depth=1
	v_add_co_u32 v27, vcc_lo, v14, v10
	s_wait_alu 0xfffd
	v_add_co_ci_u32_e64 v28, null, v15, v11, vcc_lo
	s_mov_b32 s15, 0
	global_load_b64 v[29:30], v[27:28], off
	s_wait_loadcnt 0x0
	v_mul_f32_e32 v31, s11, v30
	v_mul_f32_e32 v30, s10, v30
	s_delay_alu instid0(VALU_DEP_1) | instskip(NEXT) | instid1(VALU_DEP_3)
	v_fmac_f32_e32 v30, s11, v29
	v_fma_f32 v31, v29, s10, -v31
	s_delay_alu instid0(VALU_DEP_1)
	v_dual_add_f32 v30, v13, v30 :: v_dual_add_f32 v29, v12, v31
	global_store_b64 v[27:28], v[29:30], off
.LBB89_27:                              ;   in Loop: Header=BB89_8 Depth=1
	s_wait_alu 0xfffe
	s_and_not1_b32 vcc_lo, exec_lo, s15
	s_wait_alu 0xfffe
	s_cbranch_vccnz .LBB89_29
; %bb.28:                               ;   in Loop: Header=BB89_8 Depth=1
	v_add_co_u32 v14, vcc_lo, v14, v10
	s_wait_alu 0xfffd
	v_add_co_ci_u32_e64 v15, null, v15, v11, vcc_lo
	global_store_b64 v[14:15], v[12:13], off
.LBB89_29:                              ;   in Loop: Header=BB89_8 Depth=1
	s_wait_alu 0xfffe
	s_or_b32 exec_lo, exec_lo, s14
	v_add_co_u32 v14, vcc_lo, s0, v6
	s_wait_alu 0xfffd
	v_add_co_ci_u32_e64 v15, null, s1, v7, vcc_lo
	s_and_saveexec_b32 s0, s18
	s_cbranch_execz .LBB89_34
; %bb.30:                               ;   in Loop: Header=BB89_8 Depth=1
	v_mul_f32_e32 v13, s22, v26
	v_mul_f32_e32 v12, s23, v26
	s_and_not1_b32 vcc_lo, exec_lo, s9
	s_mov_b32 s1, -1
	s_delay_alu instid0(VALU_DEP_2) | instskip(NEXT) | instid1(VALU_DEP_2)
	v_fmac_f32_e32 v13, s23, v25
	v_fma_f32 v12, v25, s22, -v12
	s_wait_alu 0xfffe
	s_cbranch_vccnz .LBB89_32
; %bb.31:                               ;   in Loop: Header=BB89_8 Depth=1
	v_add_co_u32 v25, vcc_lo, v14, v8
	s_wait_alu 0xfffd
	v_add_co_ci_u32_e64 v26, null, v15, v9, vcc_lo
	s_mov_b32 s1, 0
	global_load_b64 v[27:28], v[25:26], off
	s_wait_loadcnt 0x0
	v_mul_f32_e32 v29, s11, v28
	v_mul_f32_e32 v28, s10, v28
	s_delay_alu instid0(VALU_DEP_1) | instskip(NEXT) | instid1(VALU_DEP_3)
	v_fmac_f32_e32 v28, s11, v27
	v_fma_f32 v29, v27, s10, -v29
	s_delay_alu instid0(VALU_DEP_1)
	v_dual_add_f32 v28, v13, v28 :: v_dual_add_f32 v27, v12, v29
	global_store_b64 v[25:26], v[27:28], off
.LBB89_32:                              ;   in Loop: Header=BB89_8 Depth=1
	s_wait_alu 0xfffe
	s_and_not1_b32 vcc_lo, exec_lo, s1
	s_wait_alu 0xfffe
	s_cbranch_vccnz .LBB89_34
; %bb.33:                               ;   in Loop: Header=BB89_8 Depth=1
	v_add_co_u32 v25, vcc_lo, v14, v8
	s_wait_alu 0xfffd
	v_add_co_ci_u32_e64 v26, null, v15, v9, vcc_lo
	global_store_b64 v[25:26], v[12:13], off
.LBB89_34:                              ;   in Loop: Header=BB89_8 Depth=1
	s_wait_alu 0xfffe
	s_or_b32 exec_lo, exec_lo, s0
	s_and_saveexec_b32 s0, s31
	s_cbranch_execz .LBB89_7
; %bb.35:                               ;   in Loop: Header=BB89_8 Depth=1
	v_mul_f32_e32 v13, s22, v23
	v_mul_f32_e32 v12, s23, v23
	s_and_not1_b32 vcc_lo, exec_lo, s9
	s_mov_b32 s1, -1
	s_delay_alu instid0(VALU_DEP_2) | instskip(NEXT) | instid1(VALU_DEP_2)
	v_fmac_f32_e32 v13, s23, v24
	v_fma_f32 v12, v24, s22, -v12
	s_wait_alu 0xfffe
	s_cbranch_vccnz .LBB89_37
; %bb.36:                               ;   in Loop: Header=BB89_8 Depth=1
	v_add_co_u32 v23, vcc_lo, v14, v10
	s_wait_alu 0xfffd
	v_add_co_ci_u32_e64 v24, null, v15, v11, vcc_lo
	s_mov_b32 s1, 0
	global_load_b64 v[25:26], v[23:24], off
	s_wait_loadcnt 0x0
	v_mul_f32_e32 v27, s11, v26
	v_mul_f32_e32 v26, s10, v26
	s_delay_alu instid0(VALU_DEP_1) | instskip(NEXT) | instid1(VALU_DEP_3)
	v_fmac_f32_e32 v26, s11, v25
	v_fma_f32 v27, v25, s10, -v27
	s_delay_alu instid0(VALU_DEP_1)
	v_dual_add_f32 v26, v13, v26 :: v_dual_add_f32 v25, v12, v27
	global_store_b64 v[23:24], v[25:26], off
.LBB89_37:                              ;   in Loop: Header=BB89_8 Depth=1
	s_wait_alu 0xfffe
	s_and_not1_b32 vcc_lo, exec_lo, s1
	s_wait_alu 0xfffe
	s_cbranch_vccnz .LBB89_7
; %bb.38:                               ;   in Loop: Header=BB89_8 Depth=1
	v_add_co_u32 v14, vcc_lo, v14, v10
	s_wait_alu 0xfffd
	v_add_co_ci_u32_e64 v15, null, v15, v11, vcc_lo
	global_store_b64 v[14:15], v[12:13], off
	s_branch .LBB89_7
.LBB89_39:
	s_endpgm
	.section	.rodata,"a",@progbits
	.p2align	6, 0x0
	.amdhsa_kernel _ZL29rocblas_internal_gemmt_kernelIiLi16ELi32ELi8ELc67ELc67ELc76ELb1ELb1E19rocblas_complex_numIfEPKS1_S3_PS1_EviT_T9_T10_S5_lS7_S5_lS6_T11_S5_li
		.amdhsa_group_segment_fixed_size 4096
		.amdhsa_private_segment_fixed_size 0
		.amdhsa_kernarg_size 100
		.amdhsa_user_sgpr_count 2
		.amdhsa_user_sgpr_dispatch_ptr 0
		.amdhsa_user_sgpr_queue_ptr 0
		.amdhsa_user_sgpr_kernarg_segment_ptr 1
		.amdhsa_user_sgpr_dispatch_id 0
		.amdhsa_user_sgpr_private_segment_size 0
		.amdhsa_wavefront_size32 1
		.amdhsa_uses_dynamic_stack 0
		.amdhsa_enable_private_segment 0
		.amdhsa_system_sgpr_workgroup_id_x 1
		.amdhsa_system_sgpr_workgroup_id_y 1
		.amdhsa_system_sgpr_workgroup_id_z 1
		.amdhsa_system_sgpr_workgroup_info 0
		.amdhsa_system_vgpr_workitem_id 1
		.amdhsa_next_free_vgpr 69
		.amdhsa_next_free_sgpr 37
		.amdhsa_reserve_vcc 1
		.amdhsa_float_round_mode_32 0
		.amdhsa_float_round_mode_16_64 0
		.amdhsa_float_denorm_mode_32 3
		.amdhsa_float_denorm_mode_16_64 3
		.amdhsa_fp16_overflow 0
		.amdhsa_workgroup_processor_mode 1
		.amdhsa_memory_ordered 1
		.amdhsa_forward_progress 1
		.amdhsa_inst_pref_size 25
		.amdhsa_round_robin_scheduling 0
		.amdhsa_exception_fp_ieee_invalid_op 0
		.amdhsa_exception_fp_denorm_src 0
		.amdhsa_exception_fp_ieee_div_zero 0
		.amdhsa_exception_fp_ieee_overflow 0
		.amdhsa_exception_fp_ieee_underflow 0
		.amdhsa_exception_fp_ieee_inexact 0
		.amdhsa_exception_int_div_zero 0
	.end_amdhsa_kernel
	.section	.text._ZL29rocblas_internal_gemmt_kernelIiLi16ELi32ELi8ELc67ELc67ELc76ELb1ELb1E19rocblas_complex_numIfEPKS1_S3_PS1_EviT_T9_T10_S5_lS7_S5_lS6_T11_S5_li,"axG",@progbits,_ZL29rocblas_internal_gemmt_kernelIiLi16ELi32ELi8ELc67ELc67ELc76ELb1ELb1E19rocblas_complex_numIfEPKS1_S3_PS1_EviT_T9_T10_S5_lS7_S5_lS6_T11_S5_li,comdat
.Lfunc_end89:
	.size	_ZL29rocblas_internal_gemmt_kernelIiLi16ELi32ELi8ELc67ELc67ELc76ELb1ELb1E19rocblas_complex_numIfEPKS1_S3_PS1_EviT_T9_T10_S5_lS7_S5_lS6_T11_S5_li, .Lfunc_end89-_ZL29rocblas_internal_gemmt_kernelIiLi16ELi32ELi8ELc67ELc67ELc76ELb1ELb1E19rocblas_complex_numIfEPKS1_S3_PS1_EviT_T9_T10_S5_lS7_S5_lS6_T11_S5_li
                                        ; -- End function
	.set _ZL29rocblas_internal_gemmt_kernelIiLi16ELi32ELi8ELc67ELc67ELc76ELb1ELb1E19rocblas_complex_numIfEPKS1_S3_PS1_EviT_T9_T10_S5_lS7_S5_lS6_T11_S5_li.num_vgpr, 69
	.set _ZL29rocblas_internal_gemmt_kernelIiLi16ELi32ELi8ELc67ELc67ELc76ELb1ELb1E19rocblas_complex_numIfEPKS1_S3_PS1_EviT_T9_T10_S5_lS7_S5_lS6_T11_S5_li.num_agpr, 0
	.set _ZL29rocblas_internal_gemmt_kernelIiLi16ELi32ELi8ELc67ELc67ELc76ELb1ELb1E19rocblas_complex_numIfEPKS1_S3_PS1_EviT_T9_T10_S5_lS7_S5_lS6_T11_S5_li.numbered_sgpr, 37
	.set _ZL29rocblas_internal_gemmt_kernelIiLi16ELi32ELi8ELc67ELc67ELc76ELb1ELb1E19rocblas_complex_numIfEPKS1_S3_PS1_EviT_T9_T10_S5_lS7_S5_lS6_T11_S5_li.num_named_barrier, 0
	.set _ZL29rocblas_internal_gemmt_kernelIiLi16ELi32ELi8ELc67ELc67ELc76ELb1ELb1E19rocblas_complex_numIfEPKS1_S3_PS1_EviT_T9_T10_S5_lS7_S5_lS6_T11_S5_li.private_seg_size, 0
	.set _ZL29rocblas_internal_gemmt_kernelIiLi16ELi32ELi8ELc67ELc67ELc76ELb1ELb1E19rocblas_complex_numIfEPKS1_S3_PS1_EviT_T9_T10_S5_lS7_S5_lS6_T11_S5_li.uses_vcc, 1
	.set _ZL29rocblas_internal_gemmt_kernelIiLi16ELi32ELi8ELc67ELc67ELc76ELb1ELb1E19rocblas_complex_numIfEPKS1_S3_PS1_EviT_T9_T10_S5_lS7_S5_lS6_T11_S5_li.uses_flat_scratch, 0
	.set _ZL29rocblas_internal_gemmt_kernelIiLi16ELi32ELi8ELc67ELc67ELc76ELb1ELb1E19rocblas_complex_numIfEPKS1_S3_PS1_EviT_T9_T10_S5_lS7_S5_lS6_T11_S5_li.has_dyn_sized_stack, 0
	.set _ZL29rocblas_internal_gemmt_kernelIiLi16ELi32ELi8ELc67ELc67ELc76ELb1ELb1E19rocblas_complex_numIfEPKS1_S3_PS1_EviT_T9_T10_S5_lS7_S5_lS6_T11_S5_li.has_recursion, 0
	.set _ZL29rocblas_internal_gemmt_kernelIiLi16ELi32ELi8ELc67ELc67ELc76ELb1ELb1E19rocblas_complex_numIfEPKS1_S3_PS1_EviT_T9_T10_S5_lS7_S5_lS6_T11_S5_li.has_indirect_call, 0
	.section	.AMDGPU.csdata,"",@progbits
; Kernel info:
; codeLenInByte = 3196
; TotalNumSgprs: 39
; NumVgprs: 69
; ScratchSize: 0
; MemoryBound: 0
; FloatMode: 240
; IeeeMode: 1
; LDSByteSize: 4096 bytes/workgroup (compile time only)
; SGPRBlocks: 0
; VGPRBlocks: 8
; NumSGPRsForWavesPerEU: 39
; NumVGPRsForWavesPerEU: 69
; Occupancy: 16
; WaveLimiterHint : 0
; COMPUTE_PGM_RSRC2:SCRATCH_EN: 0
; COMPUTE_PGM_RSRC2:USER_SGPR: 2
; COMPUTE_PGM_RSRC2:TRAP_HANDLER: 0
; COMPUTE_PGM_RSRC2:TGID_X_EN: 1
; COMPUTE_PGM_RSRC2:TGID_Y_EN: 1
; COMPUTE_PGM_RSRC2:TGID_Z_EN: 1
; COMPUTE_PGM_RSRC2:TIDIG_COMP_CNT: 1
	.section	.text._ZL29rocblas_internal_gemmt_kernelIiLi16ELi32ELi8ELc78ELc78ELc85ELb0ELb0E19rocblas_complex_numIfES1_PKS1_PS1_EviT_T9_T10_S5_lS7_S5_lS6_T11_S5_li,"axG",@progbits,_ZL29rocblas_internal_gemmt_kernelIiLi16ELi32ELi8ELc78ELc78ELc85ELb0ELb0E19rocblas_complex_numIfES1_PKS1_PS1_EviT_T9_T10_S5_lS7_S5_lS6_T11_S5_li,comdat
	.globl	_ZL29rocblas_internal_gemmt_kernelIiLi16ELi32ELi8ELc78ELc78ELc85ELb0ELb0E19rocblas_complex_numIfES1_PKS1_PS1_EviT_T9_T10_S5_lS7_S5_lS6_T11_S5_li ; -- Begin function _ZL29rocblas_internal_gemmt_kernelIiLi16ELi32ELi8ELc78ELc78ELc85ELb0ELb0E19rocblas_complex_numIfES1_PKS1_PS1_EviT_T9_T10_S5_lS7_S5_lS6_T11_S5_li
	.p2align	8
	.type	_ZL29rocblas_internal_gemmt_kernelIiLi16ELi32ELi8ELc78ELc78ELc85ELb0ELb0E19rocblas_complex_numIfES1_PKS1_PS1_EviT_T9_T10_S5_lS7_S5_lS6_T11_S5_li,@function
_ZL29rocblas_internal_gemmt_kernelIiLi16ELi32ELi8ELc78ELc78ELc85ELb0ELb0E19rocblas_complex_numIfES1_PKS1_PS1_EviT_T9_T10_S5_lS7_S5_lS6_T11_S5_li: ; @_ZL29rocblas_internal_gemmt_kernelIiLi16ELi32ELi8ELc78ELc78ELc85ELb0ELb0E19rocblas_complex_numIfES1_PKS1_PS1_EviT_T9_T10_S5_lS7_S5_lS6_T11_S5_li
; %bb.0:
	s_clause 0x1
	s_load_b64 s[20:21], s[0:1], 0x40
	s_load_b128 s[4:7], s[0:1], 0x0
	s_wait_kmcnt 0x0
	s_cmp_eq_f32 s20, 1.0
	s_cselect_b32 s2, -1, 0
	s_and_b32 s3, s21, 0x7fffffff
	s_delay_alu instid0(SALU_CYCLE_1) | instskip(SKIP_1) | instid1(SALU_CYCLE_1)
	s_cmp_eq_u32 s3, 0
	s_cselect_b32 s3, -1, 0
	s_and_b32 s8, s2, s3
	s_mov_b32 s2, 0
	s_and_not1_b32 vcc_lo, exec_lo, s8
	s_mov_b32 s8, -1
	s_cbranch_vccnz .LBB90_4
; %bb.1:
	s_cmp_lg_u32 s5, 0
	s_cbranch_scc0 .LBB90_3
; %bb.2:
	s_cmp_neq_f32 s6, 0
	s_cselect_b32 s2, -1, 0
	s_cmp_neq_f32 s7, 0
	s_cselect_b32 s8, -1, 0
	s_delay_alu instid0(SALU_CYCLE_1)
	s_or_b32 s2, s2, s8
.LBB90_3:
	s_delay_alu instid0(SALU_CYCLE_1)
	s_mov_b32 s8, s2
.LBB90_4:
	s_delay_alu instid0(SALU_CYCLE_1)
	s_and_b32 vcc_lo, exec_lo, s8
	s_cbranch_vccz .LBB90_39
; %bb.5:
	s_load_b32 s15, s[0:1], 0x60
	s_lshr_b32 s22, ttmp7, 16
	s_wait_kmcnt 0x0
	s_cmp_ge_u32 s22, s15
	s_cbranch_scc1 .LBB90_39
; %bb.6:
	s_clause 0x1
	s_load_b96 s[16:18], s[0:1], 0x10
	s_load_b128 s[8:11], s[0:1], 0x20
	v_and_b32_e32 v1, 0x3ff, v0
	v_bfe_u32 v2, v0, 10, 10
	v_and_b32_e32 v18, 7, v0
	s_clause 0x3
	s_load_b32 s30, s[0:1], 0x30
	s_load_b64 s[26:27], s[0:1], 0x38
	s_load_b96 s[12:14], s[0:1], 0x48
	s_load_b64 s[24:25], s[0:1], 0x58
	s_lshl_b32 s0, ttmp7, 5
	s_lshl_b32 s1, ttmp9, 5
	v_lshl_add_u32 v0, v2, 4, v1
	s_and_b32 s2, s0, 0x1fffe0
	v_add_nc_u32_e32 v10, s1, v1
	v_lshlrev_b32_e32 v14, 3, v18
	v_lshl_add_u32 v23, v2, 6, 0x800
	v_and_b32_e32 v3, 31, v0
	v_lshrrev_b32_e32 v4, 3, v0
	v_lshrrev_b32_e32 v19, 5, v0
	v_add_nc_u32_e32 v12, 16, v10
	v_lshlrev_b32_e32 v22, 3, v1
	v_or_b32_e32 v0, s1, v3
	v_lshlrev_b32_e32 v3, 3, v3
	s_wait_kmcnt 0x0
	s_ashr_i32 s29, s18, 31
	s_cmp_neq_f32 s6, 0
	v_add_nc_u32_e32 v5, s2, v4
	v_lshl_or_b32 v4, v4, 6, v14
	v_lshl_or_b32 v20, v19, 8, v3
	s_cselect_b32 s19, -1, 0
	s_cmp_neq_f32 s7, 0
	v_add_nc_u32_e32 v3, s2, v2
	v_ashrrev_i32_e32 v1, 31, v0
	v_cmp_gt_i32_e32 vcc_lo, s4, v0
	s_cselect_b32 s31, -1, 0
	v_cmp_gt_i32_e64 s0, s4, v5
	s_or_b32 s31, s19, s31
	s_cmp_gt_i32 s5, 0
	v_cmp_gt_i32_e64 s1, s4, v3
	v_cmp_le_i32_e64 s2, v10, v3
	s_cselect_b32 s33, -1, 0
	s_cmp_neq_f32 s20, 0
	v_mad_co_i64_i32 v[6:7], null, v3, s14, 0
	v_add_nc_u32_e32 v8, 16, v3
	s_cselect_b32 s34, -1, 0
	s_and_b32 s19, s1, s2
	v_cmp_le_i32_e64 s2, v12, v3
	v_mad_co_i64_i32 v[2:3], null, v19, s18, 0
	v_add_nc_u32_e32 v21, 0x800, v4
	v_lshlrev_b64_e32 v[0:1], 3, v[0:1]
	v_mad_co_i64_i32 v[4:5], null, s30, v5, 0
	s_mov_b32 s28, s18
	s_xor_b32 s35, s3, -1
	v_lshlrev_b64_e32 v[2:3], 3, v[2:3]
	s_and_b32 s18, s1, s2
	v_cmp_gt_i32_e64 s1, s4, v8
	v_cmp_le_i32_e64 s2, v10, v8
	v_cmp_le_i32_e64 s3, v12, v8
	v_mad_co_i64_i32 v[8:9], null, v8, s14, 0
	v_ashrrev_i32_e32 v11, 31, v10
	s_delay_alu instid0(VALU_DEP_4) | instskip(NEXT) | instid1(VALU_DEP_3)
	s_and_b32 s4, s1, s2
	s_and_b32 s14, s1, s3
	v_add_co_u32 v0, s1, v2, v0
	s_wait_alu 0xf1ff
	v_add_co_ci_u32_e64 v1, null, v3, v1, s1
	v_lshlrev_b64_e32 v[2:3], 3, v[4:5]
	s_delay_alu instid0(VALU_DEP_3) | instskip(SKIP_1) | instid1(VALU_DEP_3)
	v_add_co_u32 v0, s1, s16, v0
	s_wait_alu 0xf1ff
	v_add_co_ci_u32_e64 v1, null, s17, v1, s1
	v_ashrrev_i32_e32 v13, 31, v12
	s_delay_alu instid0(VALU_DEP_4) | instskip(SKIP_3) | instid1(VALU_DEP_3)
	v_add_co_u32 v4, s1, v2, v14
	s_wait_alu 0xf1ff
	v_add_co_ci_u32_e64 v3, null, 0, v3, s1
	v_lshlrev_b64_e32 v[6:7], 3, v[6:7]
	v_add_co_u32 v4, s1, s10, v4
	v_lshlrev_b64_e32 v[8:9], 3, v[8:9]
	v_lshlrev_b64_e32 v[10:11], 3, v[10:11]
	;; [unrolled: 1-line block ×3, first 2 shown]
	v_mov_b32_e32 v2, 0
	s_wait_alu 0xf1ff
	v_add_co_ci_u32_e64 v5, null, s11, v3, s1
	s_mov_b32 s23, 0
	s_lshl_b64 s[2:3], s[8:9], 3
	s_lshl_b64 s[8:9], s[28:29], 6
	s_and_b32 s16, s31, s33
	s_or_b32 s17, s34, s35
	s_lshl_b64 s[10:11], s[26:27], 3
	s_xor_b32 s26, vcc_lo, -1
	s_xor_b32 s27, s0, -1
	s_branch .LBB90_8
.LBB90_7:                               ;   in Loop: Header=BB90_8 Depth=1
	s_wait_alu 0xfffe
	s_or_b32 exec_lo, exec_lo, s0
	s_add_co_i32 s22, s22, 0x10000
	s_wait_alu 0xfffe
	s_cmp_lt_u32 s22, s15
	s_cbranch_scc0 .LBB90_39
.LBB90_8:                               ; =>This Loop Header: Depth=1
                                        ;     Child Loop BB90_11 Depth 2
	v_dual_mov_b32 v30, v2 :: v_dual_mov_b32 v31, v2
	v_dual_mov_b32 v28, v2 :: v_dual_mov_b32 v29, v2
	;; [unrolled: 1-line block ×4, first 2 shown]
	s_wait_alu 0xfffe
	s_and_not1_b32 vcc_lo, exec_lo, s16
	s_wait_alu 0xfffe
	s_cbranch_vccnz .LBB90_19
; %bb.9:                                ;   in Loop: Header=BB90_8 Depth=1
	v_mad_co_u64_u32 v[14:15], null, s2, s22, v[0:1]
	v_mad_co_u64_u32 v[16:17], null, s10, s22, v[4:5]
	v_dual_mov_b32 v25, 0 :: v_dual_mov_b32 v28, 0
	v_mov_b32_e32 v27, 0
	v_mov_b32_e32 v29, 0
	v_dual_mov_b32 v3, v15 :: v_dual_mov_b32 v24, 0
	v_dual_mov_b32 v15, v17 :: v_dual_mov_b32 v26, 0
	s_mov_b32 s0, 0
	s_delay_alu instid0(VALU_DEP_2) | instskip(NEXT) | instid1(VALU_DEP_2)
	v_mad_co_u64_u32 v[30:31], null, s3, s22, v[3:4]
	v_mad_co_u64_u32 v[32:33], null, s11, s22, v[15:16]
	v_mov_b32_e32 v31, 0
	s_delay_alu instid0(VALU_DEP_3) | instskip(NEXT) | instid1(VALU_DEP_3)
	v_dual_mov_b32 v15, v30 :: v_dual_mov_b32 v30, 0
	v_mov_b32_e32 v17, v32
	s_branch .LBB90_11
.LBB90_10:                              ;   in Loop: Header=BB90_11 Depth=2
	s_wait_alu 0xfffe
	s_or_b32 exec_lo, exec_lo, s1
	s_wait_dscnt 0x0
	s_barrier_signal -1
	s_barrier_wait -1
	global_inv scope:SCOPE_SE
	ds_load_b128 v[32:35], v23
	ds_load_2addr_b64 v[36:39], v22 offset1:16
	ds_load_b128 v[40:43], v23 offset:1024
	ds_load_b128 v[44:47], v23 offset:16
	;; [unrolled: 1-line block ×4, first 2 shown]
	ds_load_2addr_b64 v[56:59], v22 offset0:32 offset1:48
	ds_load_b128 v[60:63], v23 offset:1040
	v_add_co_u32 v14, vcc_lo, v14, s8
	s_wait_alu 0xfffd
	v_add_co_ci_u32_e64 v15, null, s9, v15, vcc_lo
	v_add_co_u32 v16, vcc_lo, v16, 64
	s_wait_alu 0xfffd
	v_add_co_ci_u32_e64 v17, null, 0, v17, vcc_lo
	s_add_co_i32 s0, s0, 8
	s_wait_alu 0xfffe
	s_cmp_lt_i32 s0, s5
	s_wait_dscnt 0x6
	v_dual_mul_f32 v3, v33, v37 :: v_dual_mul_f32 v66, v32, v39
	v_dual_mul_f32 v64, v32, v37 :: v_dual_mul_f32 v65, v33, v39
	s_wait_dscnt 0x5
	v_mul_f32_e32 v68, v41, v39
	s_delay_alu instid0(VALU_DEP_3) | instskip(SKIP_3) | instid1(VALU_DEP_4)
	v_fma_f32 v3, v32, v36, -v3
	v_dual_mul_f32 v39, v40, v39 :: v_dual_fmac_f32 v66, v33, v38
	v_fmac_f32_e32 v64, v33, v36
	v_fma_f32 v32, v32, v38, -v65
	v_add_f32_e32 v3, v30, v3
	v_mul_f32_e32 v67, v41, v37
	s_delay_alu instid0(VALU_DEP_4) | instskip(NEXT) | instid1(VALU_DEP_4)
	v_dual_mul_f32 v37, v40, v37 :: v_dual_add_f32 v30, v31, v64
	v_add_f32_e32 v31, v28, v32
	v_fmac_f32_e32 v39, v41, v38
	s_delay_alu instid0(VALU_DEP_4) | instskip(NEXT) | instid1(VALU_DEP_4)
	v_fma_f32 v33, v40, v36, -v67
	v_fmac_f32_e32 v37, v41, v36
	v_fma_f32 v36, v40, v38, -v68
	s_wait_dscnt 0x1
	v_dual_mul_f32 v38, v34, v57 :: v_dual_add_f32 v29, v29, v66
	v_mul_f32_e32 v40, v35, v59
	v_add_f32_e32 v32, v26, v33
	v_dual_add_f32 v33, v27, v37 :: v_dual_add_f32 v36, v25, v36
	ds_load_2addr_b64 v[25:28], v22 offset0:64 offset1:80
	v_fmac_f32_e32 v38, v35, v56
	v_dual_mul_f32 v37, v35, v57 :: v_dual_add_f32 v24, v24, v39
	v_mul_f32_e32 v39, v34, v59
	s_delay_alu instid0(VALU_DEP_3) | instskip(NEXT) | instid1(VALU_DEP_3)
	v_add_f32_e32 v38, v30, v38
	v_fma_f32 v37, v34, v56, -v37
	v_fma_f32 v34, v34, v58, -v40
	v_mul_f32_e32 v30, v42, v57
	s_delay_alu instid0(VALU_DEP_3) | instskip(SKIP_1) | instid1(VALU_DEP_4)
	v_add_f32_e32 v3, v3, v37
	v_mul_f32_e32 v37, v43, v57
	v_add_f32_e32 v34, v31, v34
	v_fmac_f32_e32 v39, v35, v58
	v_mul_f32_e32 v35, v43, v59
	v_fmac_f32_e32 v30, v43, v56
	v_fma_f32 v31, v42, v56, -v37
	s_delay_alu instid0(VALU_DEP_4) | instskip(SKIP_4) | instid1(VALU_DEP_3)
	v_add_f32_e32 v37, v29, v39
	v_mul_f32_e32 v39, v42, v59
	v_fma_f32 v29, v42, v58, -v35
	s_wait_dscnt 0x0
	v_dual_add_f32 v40, v32, v31 :: v_dual_mul_f32 v31, v45, v26
	v_dual_mul_f32 v42, v45, v28 :: v_dual_fmac_f32 v39, v43, v58
	v_mul_f32_e32 v35, v44, v26
	v_add_f32_e32 v36, v36, v29
	s_delay_alu instid0(VALU_DEP_3) | instskip(SKIP_3) | instid1(VALU_DEP_2)
	v_add_f32_e32 v39, v24, v39
	v_mul_f32_e32 v24, v44, v28
	v_fma_f32 v41, v44, v25, -v31
	v_fmac_f32_e32 v35, v45, v25
	v_dual_fmac_f32 v24, v45, v27 :: v_dual_add_f32 v3, v3, v41
	v_fma_f32 v41, v44, v27, -v42
	v_add_f32_e32 v33, v33, v30
	ds_load_2addr_b64 v[29:32], v22 offset0:96 offset1:112
	v_dual_add_f32 v35, v38, v35 :: v_dual_mul_f32 v38, v61, v26
	v_mul_f32_e32 v26, v60, v26
	v_dual_add_f32 v34, v34, v41 :: v_dual_mul_f32 v41, v61, v28
	v_mul_f32_e32 v28, v60, v28
	s_delay_alu instid0(VALU_DEP_4) | instskip(NEXT) | instid1(VALU_DEP_4)
	v_fma_f32 v38, v60, v25, -v38
	v_fmac_f32_e32 v26, v61, v25
	v_add_f32_e32 v37, v37, v24
	v_fma_f32 v24, v60, v27, -v41
	v_fmac_f32_e32 v28, v61, v27
	v_add_f32_e32 v38, v40, v38
	s_delay_alu instid0(VALU_DEP_3)
	v_dual_add_f32 v40, v33, v26 :: v_dual_add_f32 v41, v36, v24
	ds_load_2addr_b64 v[24:27], v22 offset0:128 offset1:144
	s_wait_dscnt 0x1
	v_mul_f32_e32 v33, v47, v30
	v_mul_f32_e32 v36, v46, v30
	;; [unrolled: 1-line block ×4, first 2 shown]
	s_delay_alu instid0(VALU_DEP_4) | instskip(NEXT) | instid1(VALU_DEP_4)
	v_fma_f32 v33, v46, v29, -v33
	v_fmac_f32_e32 v36, v47, v29
	s_delay_alu instid0(VALU_DEP_2) | instskip(SKIP_1) | instid1(VALU_DEP_3)
	v_add_f32_e32 v3, v3, v33
	v_mul_f32_e32 v33, v63, v30
	v_dual_mul_f32 v30, v62, v30 :: v_dual_add_f32 v43, v35, v36
	s_delay_alu instid0(VALU_DEP_2) | instskip(NEXT) | instid1(VALU_DEP_2)
	v_fma_f32 v44, v62, v29, -v33
	v_fmac_f32_e32 v30, v63, v29
	s_wait_dscnt 0x0
	v_mul_f32_e32 v29, v49, v25
	v_fma_f32 v42, v46, v31, -v42
	v_add_f32_e32 v39, v39, v28
	v_mul_f32_e32 v28, v46, v32
	v_mul_f32_e32 v56, v48, v27
	s_delay_alu instid0(VALU_DEP_4) | instskip(SKIP_2) | instid1(VALU_DEP_1)
	v_add_f32_e32 v42, v34, v42
	ds_load_b128 v[33:36], v23 offset:1056
	v_dual_fmac_f32 v28, v47, v31 :: v_dual_mul_f32 v47, v48, v25
	v_add_f32_e32 v46, v37, v28
	v_fma_f32 v28, v62, v31, -v45
	v_fma_f32 v37, v48, v24, -v29
	v_mul_f32_e32 v32, v62, v32
	v_fmac_f32_e32 v47, v49, v24
	v_add_f32_e32 v44, v38, v44
	v_add_f32_e32 v41, v41, v28
	;; [unrolled: 1-line block ×4, first 2 shown]
	v_fmac_f32_e32 v32, v63, v31
	ds_load_2addr_b64 v[28:31], v22 offset0:160 offset1:176
	v_mul_f32_e32 v38, v49, v27
	v_add_f32_e32 v43, v43, v47
	v_add_f32_e32 v32, v39, v32
	s_delay_alu instid0(VALU_DEP_3)
	v_fma_f32 v48, v48, v26, -v38
	ds_load_b128 v[37:40], v23 offset:1072
	s_wait_dscnt 0x2
	v_mul_f32_e32 v57, v34, v25
	v_dual_mul_f32 v25, v33, v25 :: v_dual_add_f32 v42, v42, v48
	v_fmac_f32_e32 v56, v49, v26
	v_mul_f32_e32 v48, v34, v27
	s_delay_alu instid0(VALU_DEP_4) | instskip(NEXT) | instid1(VALU_DEP_4)
	v_fma_f32 v47, v33, v24, -v57
	v_fmac_f32_e32 v25, v34, v24
	s_delay_alu instid0(VALU_DEP_4) | instskip(SKIP_1) | instid1(VALU_DEP_3)
	v_dual_mul_f32 v49, v33, v27 :: v_dual_add_f32 v46, v46, v56
	s_wait_dscnt 0x1
	v_dual_add_f32 v44, v44, v47 :: v_dual_mul_f32 v27, v51, v29
	v_fma_f32 v24, v33, v26, -v48
	v_add_f32_e32 v33, v45, v25
	v_fmac_f32_e32 v49, v34, v26
	v_mul_f32_e32 v34, v50, v29
	v_fma_f32 v45, v50, v28, -v27
	v_add_f32_e32 v41, v41, v24
	ds_load_2addr_b64 v[24:27], v22 offset0:192 offset1:208
	v_fmac_f32_e32 v34, v51, v28
	v_dual_mul_f32 v47, v51, v31 :: v_dual_add_f32 v48, v32, v49
	v_dual_add_f32 v3, v3, v45 :: v_dual_mul_f32 v32, v50, v31
	s_delay_alu instid0(VALU_DEP_3) | instskip(NEXT) | instid1(VALU_DEP_3)
	v_dual_add_f32 v43, v43, v34 :: v_dual_mul_f32 v34, v36, v29
	v_fma_f32 v45, v50, v30, -v47
	s_delay_alu instid0(VALU_DEP_3) | instskip(NEXT) | instid1(VALU_DEP_3)
	v_fmac_f32_e32 v32, v51, v30
	v_fma_f32 v34, v35, v28, -v34
	s_delay_alu instid0(VALU_DEP_3) | instskip(SKIP_1) | instid1(VALU_DEP_3)
	v_dual_add_f32 v42, v42, v45 :: v_dual_mul_f32 v45, v36, v31
	v_mul_f32_e32 v29, v35, v29
	v_dual_mul_f32 v31, v35, v31 :: v_dual_add_f32 v44, v44, v34
	s_delay_alu instid0(VALU_DEP_2) | instskip(SKIP_2) | instid1(VALU_DEP_4)
	v_fmac_f32_e32 v29, v36, v28
	v_add_f32_e32 v28, v46, v32
	v_fma_f32 v32, v35, v30, -v45
	v_fmac_f32_e32 v31, v36, v30
	s_wait_dscnt 0x0
	v_mul_f32_e32 v36, v52, v25
	v_dual_add_f32 v29, v33, v29 :: v_dual_mul_f32 v46, v52, v27
	v_add_f32_e32 v30, v41, v32
	ds_load_2addr_b64 v[32:35], v22 offset0:224 offset1:240
	v_dual_add_f32 v31, v48, v31 :: v_dual_fmac_f32 v36, v53, v24
	v_mul_f32_e32 v45, v53, v25
	v_fmac_f32_e32 v46, v53, v26
	s_wait_loadcnt_dscnt 0x0
	s_barrier_signal -1
	v_add_f32_e32 v36, v43, v36
	v_fma_f32 v41, v52, v24, -v45
	v_mul_f32_e32 v45, v53, v27
	v_mul_f32_e32 v43, v38, v27
	;; [unrolled: 1-line block ×3, first 2 shown]
	s_barrier_wait -1
	v_add_f32_e32 v3, v3, v41
	v_fma_f32 v45, v52, v26, -v45
	v_mul_f32_e32 v41, v38, v25
	v_fmac_f32_e32 v27, v38, v26
	global_inv scope:SCOPE_SE
	v_dual_add_f32 v42, v42, v45 :: v_dual_add_f32 v45, v28, v46
	v_fma_f32 v28, v37, v26, -v43
	v_mul_f32_e32 v25, v37, v25
	s_delay_alu instid0(VALU_DEP_1) | instskip(NEXT) | instid1(VALU_DEP_3)
	v_fmac_f32_e32 v25, v38, v24
	v_add_f32_e32 v38, v30, v28
	v_mul_f32_e32 v28, v55, v35
	v_fma_f32 v41, v37, v24, -v41
	v_mul_f32_e32 v37, v55, v33
	s_delay_alu instid0(VALU_DEP_2) | instskip(NEXT) | instid1(VALU_DEP_2)
	v_add_f32_e32 v24, v44, v41
	v_fma_f32 v26, v54, v32, -v37
	v_add_f32_e32 v37, v31, v27
	v_mul_f32_e32 v27, v39, v33
	s_delay_alu instid0(VALU_DEP_3) | instskip(SKIP_4) | instid1(VALU_DEP_4)
	v_add_f32_e32 v30, v3, v26
	v_fma_f32 v3, v54, v34, -v28
	v_mul_f32_e32 v26, v40, v33
	v_add_f32_e32 v25, v29, v25
	v_mul_f32_e32 v29, v54, v35
	v_dual_fmac_f32 v27, v40, v32 :: v_dual_add_f32 v28, v42, v3
	s_delay_alu instid0(VALU_DEP_4) | instskip(SKIP_3) | instid1(VALU_DEP_4)
	v_fma_f32 v3, v39, v32, -v26
	v_mul_f32_e32 v41, v54, v33
	v_mul_f32_e32 v33, v40, v35
	;; [unrolled: 1-line block ×3, first 2 shown]
	v_dual_fmac_f32 v29, v55, v34 :: v_dual_add_f32 v26, v24, v3
	s_delay_alu instid0(VALU_DEP_4) | instskip(NEXT) | instid1(VALU_DEP_4)
	v_fmac_f32_e32 v41, v55, v32
	v_fma_f32 v32, v39, v34, -v33
	s_delay_alu instid0(VALU_DEP_4) | instskip(NEXT) | instid1(VALU_DEP_4)
	v_fmac_f32_e32 v35, v40, v34
	v_add_f32_e32 v29, v45, v29
	v_add_f32_e32 v27, v25, v27
	v_add_f32_e32 v31, v36, v41
	s_delay_alu instid0(VALU_DEP_4)
	v_dual_add_f32 v25, v38, v32 :: v_dual_add_f32 v24, v37, v35
	s_cbranch_scc0 .LBB90_19
.LBB90_11:                              ;   Parent Loop BB90_8 Depth=1
                                        ; =>  This Inner Loop Header: Depth=2
	s_wait_alu 0xfffe
	v_add_nc_u32_e32 v3, s0, v19
	s_delay_alu instid0(VALU_DEP_1) | instskip(SKIP_3) | instid1(SALU_CYCLE_1)
	v_cmp_le_i32_e32 vcc_lo, s5, v3
	s_or_b32 s1, s26, vcc_lo
	s_wait_alu 0xfffe
	s_and_saveexec_b32 s28, s1
	s_xor_b32 s1, exec_lo, s28
; %bb.12:                               ;   in Loop: Header=BB90_11 Depth=2
	v_mov_b32_e32 v3, v2
	ds_store_b64 v20, v[2:3]
; %bb.13:                               ;   in Loop: Header=BB90_11 Depth=2
	s_wait_alu 0xfffe
	s_and_not1_saveexec_b32 s1, s1
	s_cbranch_execz .LBB90_15
; %bb.14:                               ;   in Loop: Header=BB90_11 Depth=2
	global_load_b64 v[32:33], v[14:15], off
	s_wait_loadcnt 0x0
	ds_store_b64 v20, v[32:33]
.LBB90_15:                              ;   in Loop: Header=BB90_11 Depth=2
	s_wait_alu 0xfffe
	s_or_b32 exec_lo, exec_lo, s1
	v_add_nc_u32_e32 v3, s0, v18
	s_delay_alu instid0(VALU_DEP_1) | instskip(SKIP_3) | instid1(SALU_CYCLE_1)
	v_cmp_le_i32_e32 vcc_lo, s5, v3
	s_or_b32 s1, vcc_lo, s27
	s_wait_alu 0xfffe
	s_and_saveexec_b32 s28, s1
	s_xor_b32 s1, exec_lo, s28
; %bb.16:                               ;   in Loop: Header=BB90_11 Depth=2
	v_mov_b32_e32 v3, v2
	ds_store_b64 v21, v[2:3]
; %bb.17:                               ;   in Loop: Header=BB90_11 Depth=2
	s_wait_alu 0xfffe
	s_and_not1_saveexec_b32 s1, s1
	s_cbranch_execz .LBB90_10
; %bb.18:                               ;   in Loop: Header=BB90_11 Depth=2
	global_load_b64 v[32:33], v[16:17], off
	s_wait_loadcnt 0x0
	ds_store_b64 v21, v[32:33]
	s_branch .LBB90_10
.LBB90_19:                              ;   in Loop: Header=BB90_8 Depth=1
	s_mul_u64 s[0:1], s[24:25], s[22:23]
	s_wait_alu 0xfffe
	s_lshl_b64 s[0:1], s[0:1], 3
	s_wait_alu 0xfffe
	s_add_nc_u64 s[0:1], s[12:13], s[0:1]
	s_wait_alu 0xfffe
	v_add_co_u32 v3, vcc_lo, s0, v6
	s_wait_alu 0xfffd
	v_add_co_ci_u32_e64 v16, null, s1, v7, vcc_lo
	s_and_saveexec_b32 s28, s19
	s_cbranch_execz .LBB90_24
; %bb.20:                               ;   in Loop: Header=BB90_8 Depth=1
	v_mul_f32_e32 v15, s6, v31
	v_mul_f32_e32 v14, s7, v31
	s_and_b32 vcc_lo, exec_lo, s17
	s_mov_b32 s29, -1
	s_delay_alu instid0(VALU_DEP_2) | instskip(NEXT) | instid1(VALU_DEP_2)
	v_fmac_f32_e32 v15, s7, v30
	v_fma_f32 v14, v30, s6, -v14
	s_wait_alu 0xfffe
	s_cbranch_vccz .LBB90_22
; %bb.21:                               ;   in Loop: Header=BB90_8 Depth=1
	v_add_co_u32 v30, vcc_lo, v3, v10
	s_wait_alu 0xfffd
	v_add_co_ci_u32_e64 v31, null, v16, v11, vcc_lo
	s_mov_b32 s29, 0
	global_load_b64 v[32:33], v[30:31], off
	s_wait_loadcnt 0x0
	v_mul_f32_e32 v17, s21, v33
	v_mul_f32_e32 v33, s20, v33
	s_delay_alu instid0(VALU_DEP_2) | instskip(NEXT) | instid1(VALU_DEP_1)
	v_fma_f32 v17, v32, s20, -v17
	v_dual_fmac_f32 v33, s21, v32 :: v_dual_add_f32 v32, v14, v17
	s_delay_alu instid0(VALU_DEP_1)
	v_add_f32_e32 v33, v15, v33
	global_store_b64 v[30:31], v[32:33], off
.LBB90_22:                              ;   in Loop: Header=BB90_8 Depth=1
	s_and_not1_b32 vcc_lo, exec_lo, s29
	s_wait_alu 0xfffe
	s_cbranch_vccnz .LBB90_24
; %bb.23:                               ;   in Loop: Header=BB90_8 Depth=1
	v_add_co_u32 v30, vcc_lo, v3, v10
	s_wait_alu 0xfffd
	v_add_co_ci_u32_e64 v31, null, v16, v11, vcc_lo
	global_store_b64 v[30:31], v[14:15], off
.LBB90_24:                              ;   in Loop: Header=BB90_8 Depth=1
	s_or_b32 exec_lo, exec_lo, s28
	s_and_saveexec_b32 s28, s18
	s_cbranch_execz .LBB90_29
; %bb.25:                               ;   in Loop: Header=BB90_8 Depth=1
	v_mul_f32_e32 v15, s6, v29
	v_mul_f32_e32 v14, s7, v29
	s_and_not1_b32 vcc_lo, exec_lo, s17
	s_mov_b32 s29, -1
	s_delay_alu instid0(VALU_DEP_2) | instskip(NEXT) | instid1(VALU_DEP_2)
	v_fmac_f32_e32 v15, s7, v28
	v_fma_f32 v14, v28, s6, -v14
	s_wait_alu 0xfffe
	s_cbranch_vccnz .LBB90_27
; %bb.26:                               ;   in Loop: Header=BB90_8 Depth=1
	v_add_co_u32 v28, vcc_lo, v3, v12
	s_wait_alu 0xfffd
	v_add_co_ci_u32_e64 v29, null, v16, v13, vcc_lo
	s_mov_b32 s29, 0
	global_load_b64 v[30:31], v[28:29], off
	s_wait_loadcnt 0x0
	v_mul_f32_e32 v17, s21, v31
	s_delay_alu instid0(VALU_DEP_1) | instskip(SKIP_1) | instid1(VALU_DEP_1)
	v_fma_f32 v17, v30, s20, -v17
	v_mul_f32_e32 v31, s20, v31
	v_dual_fmac_f32 v31, s21, v30 :: v_dual_add_f32 v30, v14, v17
	s_delay_alu instid0(VALU_DEP_1)
	v_add_f32_e32 v31, v15, v31
	global_store_b64 v[28:29], v[30:31], off
.LBB90_27:                              ;   in Loop: Header=BB90_8 Depth=1
	s_and_not1_b32 vcc_lo, exec_lo, s29
	s_wait_alu 0xfffe
	s_cbranch_vccnz .LBB90_29
; %bb.28:                               ;   in Loop: Header=BB90_8 Depth=1
	v_add_co_u32 v28, vcc_lo, v3, v12
	s_wait_alu 0xfffd
	v_add_co_ci_u32_e64 v29, null, v16, v13, vcc_lo
	global_store_b64 v[28:29], v[14:15], off
.LBB90_29:                              ;   in Loop: Header=BB90_8 Depth=1
	s_or_b32 exec_lo, exec_lo, s28
	v_add_co_u32 v3, vcc_lo, s0, v8
	s_wait_alu 0xfffd
	v_add_co_ci_u32_e64 v16, null, s1, v9, vcc_lo
	s_and_saveexec_b32 s0, s4
	s_cbranch_execz .LBB90_34
; %bb.30:                               ;   in Loop: Header=BB90_8 Depth=1
	v_mul_f32_e32 v15, s6, v27
	v_mul_f32_e32 v14, s7, v27
	s_and_not1_b32 vcc_lo, exec_lo, s17
	s_mov_b32 s1, -1
	s_delay_alu instid0(VALU_DEP_2) | instskip(NEXT) | instid1(VALU_DEP_2)
	v_fmac_f32_e32 v15, s7, v26
	v_fma_f32 v14, v26, s6, -v14
	s_wait_alu 0xfffe
	s_cbranch_vccnz .LBB90_32
; %bb.31:                               ;   in Loop: Header=BB90_8 Depth=1
	v_add_co_u32 v26, vcc_lo, v3, v10
	s_wait_alu 0xfffd
	v_add_co_ci_u32_e64 v27, null, v16, v11, vcc_lo
	s_mov_b32 s1, 0
	global_load_b64 v[28:29], v[26:27], off
	s_wait_loadcnt 0x0
	v_mul_f32_e32 v17, s21, v29
	v_mul_f32_e32 v29, s20, v29
	s_delay_alu instid0(VALU_DEP_2) | instskip(NEXT) | instid1(VALU_DEP_1)
	v_fma_f32 v17, v28, s20, -v17
	v_dual_fmac_f32 v29, s21, v28 :: v_dual_add_f32 v28, v14, v17
	s_delay_alu instid0(VALU_DEP_1)
	v_add_f32_e32 v29, v15, v29
	global_store_b64 v[26:27], v[28:29], off
.LBB90_32:                              ;   in Loop: Header=BB90_8 Depth=1
	s_wait_alu 0xfffe
	s_and_not1_b32 vcc_lo, exec_lo, s1
	s_wait_alu 0xfffe
	s_cbranch_vccnz .LBB90_34
; %bb.33:                               ;   in Loop: Header=BB90_8 Depth=1
	v_add_co_u32 v26, vcc_lo, v3, v10
	s_wait_alu 0xfffd
	v_add_co_ci_u32_e64 v27, null, v16, v11, vcc_lo
	global_store_b64 v[26:27], v[14:15], off
.LBB90_34:                              ;   in Loop: Header=BB90_8 Depth=1
	s_wait_alu 0xfffe
	s_or_b32 exec_lo, exec_lo, s0
	s_and_saveexec_b32 s0, s14
	s_cbranch_execz .LBB90_7
; %bb.35:                               ;   in Loop: Header=BB90_8 Depth=1
	v_mul_f32_e32 v15, s6, v24
	v_mul_f32_e32 v14, s7, v24
	s_and_not1_b32 vcc_lo, exec_lo, s17
	s_mov_b32 s1, -1
	s_delay_alu instid0(VALU_DEP_2) | instskip(NEXT) | instid1(VALU_DEP_2)
	v_fmac_f32_e32 v15, s7, v25
	v_fma_f32 v14, v25, s6, -v14
	s_wait_alu 0xfffe
	s_cbranch_vccnz .LBB90_37
; %bb.36:                               ;   in Loop: Header=BB90_8 Depth=1
	v_add_co_u32 v24, vcc_lo, v3, v12
	s_wait_alu 0xfffd
	v_add_co_ci_u32_e64 v25, null, v16, v13, vcc_lo
	s_mov_b32 s1, 0
	global_load_b64 v[26:27], v[24:25], off
	s_wait_loadcnt 0x0
	v_mul_f32_e32 v17, s21, v27
	s_delay_alu instid0(VALU_DEP_1) | instskip(SKIP_1) | instid1(VALU_DEP_1)
	v_fma_f32 v17, v26, s20, -v17
	v_mul_f32_e32 v27, s20, v27
	v_dual_fmac_f32 v27, s21, v26 :: v_dual_add_f32 v26, v14, v17
	s_delay_alu instid0(VALU_DEP_1)
	v_add_f32_e32 v27, v15, v27
	global_store_b64 v[24:25], v[26:27], off
.LBB90_37:                              ;   in Loop: Header=BB90_8 Depth=1
	s_wait_alu 0xfffe
	s_and_not1_b32 vcc_lo, exec_lo, s1
	s_wait_alu 0xfffe
	s_cbranch_vccnz .LBB90_7
; %bb.38:                               ;   in Loop: Header=BB90_8 Depth=1
	v_add_co_u32 v24, vcc_lo, v3, v12
	s_wait_alu 0xfffd
	v_add_co_ci_u32_e64 v25, null, v16, v13, vcc_lo
	global_store_b64 v[24:25], v[14:15], off
	s_branch .LBB90_7
.LBB90_39:
	s_endpgm
	.section	.rodata,"a",@progbits
	.p2align	6, 0x0
	.amdhsa_kernel _ZL29rocblas_internal_gemmt_kernelIiLi16ELi32ELi8ELc78ELc78ELc85ELb0ELb0E19rocblas_complex_numIfES1_PKS1_PS1_EviT_T9_T10_S5_lS7_S5_lS6_T11_S5_li
		.amdhsa_group_segment_fixed_size 4096
		.amdhsa_private_segment_fixed_size 0
		.amdhsa_kernarg_size 100
		.amdhsa_user_sgpr_count 2
		.amdhsa_user_sgpr_dispatch_ptr 0
		.amdhsa_user_sgpr_queue_ptr 0
		.amdhsa_user_sgpr_kernarg_segment_ptr 1
		.amdhsa_user_sgpr_dispatch_id 0
		.amdhsa_user_sgpr_private_segment_size 0
		.amdhsa_wavefront_size32 1
		.amdhsa_uses_dynamic_stack 0
		.amdhsa_enable_private_segment 0
		.amdhsa_system_sgpr_workgroup_id_x 1
		.amdhsa_system_sgpr_workgroup_id_y 1
		.amdhsa_system_sgpr_workgroup_id_z 1
		.amdhsa_system_sgpr_workgroup_info 0
		.amdhsa_system_vgpr_workitem_id 1
		.amdhsa_next_free_vgpr 69
		.amdhsa_next_free_sgpr 36
		.amdhsa_reserve_vcc 1
		.amdhsa_float_round_mode_32 0
		.amdhsa_float_round_mode_16_64 0
		.amdhsa_float_denorm_mode_32 3
		.amdhsa_float_denorm_mode_16_64 3
		.amdhsa_fp16_overflow 0
		.amdhsa_workgroup_processor_mode 1
		.amdhsa_memory_ordered 1
		.amdhsa_forward_progress 1
		.amdhsa_inst_pref_size 25
		.amdhsa_round_robin_scheduling 0
		.amdhsa_exception_fp_ieee_invalid_op 0
		.amdhsa_exception_fp_denorm_src 0
		.amdhsa_exception_fp_ieee_div_zero 0
		.amdhsa_exception_fp_ieee_overflow 0
		.amdhsa_exception_fp_ieee_underflow 0
		.amdhsa_exception_fp_ieee_inexact 0
		.amdhsa_exception_int_div_zero 0
	.end_amdhsa_kernel
	.section	.text._ZL29rocblas_internal_gemmt_kernelIiLi16ELi32ELi8ELc78ELc78ELc85ELb0ELb0E19rocblas_complex_numIfES1_PKS1_PS1_EviT_T9_T10_S5_lS7_S5_lS6_T11_S5_li,"axG",@progbits,_ZL29rocblas_internal_gemmt_kernelIiLi16ELi32ELi8ELc78ELc78ELc85ELb0ELb0E19rocblas_complex_numIfES1_PKS1_PS1_EviT_T9_T10_S5_lS7_S5_lS6_T11_S5_li,comdat
.Lfunc_end90:
	.size	_ZL29rocblas_internal_gemmt_kernelIiLi16ELi32ELi8ELc78ELc78ELc85ELb0ELb0E19rocblas_complex_numIfES1_PKS1_PS1_EviT_T9_T10_S5_lS7_S5_lS6_T11_S5_li, .Lfunc_end90-_ZL29rocblas_internal_gemmt_kernelIiLi16ELi32ELi8ELc78ELc78ELc85ELb0ELb0E19rocblas_complex_numIfES1_PKS1_PS1_EviT_T9_T10_S5_lS7_S5_lS6_T11_S5_li
                                        ; -- End function
	.set _ZL29rocblas_internal_gemmt_kernelIiLi16ELi32ELi8ELc78ELc78ELc85ELb0ELb0E19rocblas_complex_numIfES1_PKS1_PS1_EviT_T9_T10_S5_lS7_S5_lS6_T11_S5_li.num_vgpr, 69
	.set _ZL29rocblas_internal_gemmt_kernelIiLi16ELi32ELi8ELc78ELc78ELc85ELb0ELb0E19rocblas_complex_numIfES1_PKS1_PS1_EviT_T9_T10_S5_lS7_S5_lS6_T11_S5_li.num_agpr, 0
	.set _ZL29rocblas_internal_gemmt_kernelIiLi16ELi32ELi8ELc78ELc78ELc85ELb0ELb0E19rocblas_complex_numIfES1_PKS1_PS1_EviT_T9_T10_S5_lS7_S5_lS6_T11_S5_li.numbered_sgpr, 36
	.set _ZL29rocblas_internal_gemmt_kernelIiLi16ELi32ELi8ELc78ELc78ELc85ELb0ELb0E19rocblas_complex_numIfES1_PKS1_PS1_EviT_T9_T10_S5_lS7_S5_lS6_T11_S5_li.num_named_barrier, 0
	.set _ZL29rocblas_internal_gemmt_kernelIiLi16ELi32ELi8ELc78ELc78ELc85ELb0ELb0E19rocblas_complex_numIfES1_PKS1_PS1_EviT_T9_T10_S5_lS7_S5_lS6_T11_S5_li.private_seg_size, 0
	.set _ZL29rocblas_internal_gemmt_kernelIiLi16ELi32ELi8ELc78ELc78ELc85ELb0ELb0E19rocblas_complex_numIfES1_PKS1_PS1_EviT_T9_T10_S5_lS7_S5_lS6_T11_S5_li.uses_vcc, 1
	.set _ZL29rocblas_internal_gemmt_kernelIiLi16ELi32ELi8ELc78ELc78ELc85ELb0ELb0E19rocblas_complex_numIfES1_PKS1_PS1_EviT_T9_T10_S5_lS7_S5_lS6_T11_S5_li.uses_flat_scratch, 0
	.set _ZL29rocblas_internal_gemmt_kernelIiLi16ELi32ELi8ELc78ELc78ELc85ELb0ELb0E19rocblas_complex_numIfES1_PKS1_PS1_EviT_T9_T10_S5_lS7_S5_lS6_T11_S5_li.has_dyn_sized_stack, 0
	.set _ZL29rocblas_internal_gemmt_kernelIiLi16ELi32ELi8ELc78ELc78ELc85ELb0ELb0E19rocblas_complex_numIfES1_PKS1_PS1_EviT_T9_T10_S5_lS7_S5_lS6_T11_S5_li.has_recursion, 0
	.set _ZL29rocblas_internal_gemmt_kernelIiLi16ELi32ELi8ELc78ELc78ELc85ELb0ELb0E19rocblas_complex_numIfES1_PKS1_PS1_EviT_T9_T10_S5_lS7_S5_lS6_T11_S5_li.has_indirect_call, 0
	.section	.AMDGPU.csdata,"",@progbits
; Kernel info:
; codeLenInByte = 3100
; TotalNumSgprs: 38
; NumVgprs: 69
; ScratchSize: 0
; MemoryBound: 1
; FloatMode: 240
; IeeeMode: 1
; LDSByteSize: 4096 bytes/workgroup (compile time only)
; SGPRBlocks: 0
; VGPRBlocks: 8
; NumSGPRsForWavesPerEU: 38
; NumVGPRsForWavesPerEU: 69
; Occupancy: 16
; WaveLimiterHint : 0
; COMPUTE_PGM_RSRC2:SCRATCH_EN: 0
; COMPUTE_PGM_RSRC2:USER_SGPR: 2
; COMPUTE_PGM_RSRC2:TRAP_HANDLER: 0
; COMPUTE_PGM_RSRC2:TGID_X_EN: 1
; COMPUTE_PGM_RSRC2:TGID_Y_EN: 1
; COMPUTE_PGM_RSRC2:TGID_Z_EN: 1
; COMPUTE_PGM_RSRC2:TIDIG_COMP_CNT: 1
	.section	.text._ZL29rocblas_internal_gemmt_kernelIiLi16ELi32ELi8ELc78ELc84ELc85ELb0ELb0E19rocblas_complex_numIfES1_PKS1_PS1_EviT_T9_T10_S5_lS7_S5_lS6_T11_S5_li,"axG",@progbits,_ZL29rocblas_internal_gemmt_kernelIiLi16ELi32ELi8ELc78ELc84ELc85ELb0ELb0E19rocblas_complex_numIfES1_PKS1_PS1_EviT_T9_T10_S5_lS7_S5_lS6_T11_S5_li,comdat
	.globl	_ZL29rocblas_internal_gemmt_kernelIiLi16ELi32ELi8ELc78ELc84ELc85ELb0ELb0E19rocblas_complex_numIfES1_PKS1_PS1_EviT_T9_T10_S5_lS7_S5_lS6_T11_S5_li ; -- Begin function _ZL29rocblas_internal_gemmt_kernelIiLi16ELi32ELi8ELc78ELc84ELc85ELb0ELb0E19rocblas_complex_numIfES1_PKS1_PS1_EviT_T9_T10_S5_lS7_S5_lS6_T11_S5_li
	.p2align	8
	.type	_ZL29rocblas_internal_gemmt_kernelIiLi16ELi32ELi8ELc78ELc84ELc85ELb0ELb0E19rocblas_complex_numIfES1_PKS1_PS1_EviT_T9_T10_S5_lS7_S5_lS6_T11_S5_li,@function
_ZL29rocblas_internal_gemmt_kernelIiLi16ELi32ELi8ELc78ELc84ELc85ELb0ELb0E19rocblas_complex_numIfES1_PKS1_PS1_EviT_T9_T10_S5_lS7_S5_lS6_T11_S5_li: ; @_ZL29rocblas_internal_gemmt_kernelIiLi16ELi32ELi8ELc78ELc84ELc85ELb0ELb0E19rocblas_complex_numIfES1_PKS1_PS1_EviT_T9_T10_S5_lS7_S5_lS6_T11_S5_li
; %bb.0:
	s_clause 0x1
	s_load_b64 s[20:21], s[0:1], 0x40
	s_load_b128 s[4:7], s[0:1], 0x0
	s_wait_kmcnt 0x0
	s_cmp_eq_f32 s20, 1.0
	s_cselect_b32 s2, -1, 0
	s_and_b32 s3, s21, 0x7fffffff
	s_delay_alu instid0(SALU_CYCLE_1) | instskip(SKIP_1) | instid1(SALU_CYCLE_1)
	s_cmp_eq_u32 s3, 0
	s_cselect_b32 s3, -1, 0
	s_and_b32 s8, s2, s3
	s_mov_b32 s2, 0
	s_and_not1_b32 vcc_lo, exec_lo, s8
	s_mov_b32 s8, -1
	s_cbranch_vccnz .LBB91_4
; %bb.1:
	s_cmp_lg_u32 s5, 0
	s_cbranch_scc0 .LBB91_3
; %bb.2:
	s_cmp_neq_f32 s6, 0
	s_cselect_b32 s2, -1, 0
	s_cmp_neq_f32 s7, 0
	s_cselect_b32 s8, -1, 0
	s_delay_alu instid0(SALU_CYCLE_1)
	s_or_b32 s2, s2, s8
.LBB91_3:
	s_delay_alu instid0(SALU_CYCLE_1)
	s_mov_b32 s8, s2
.LBB91_4:
	s_delay_alu instid0(SALU_CYCLE_1)
	s_and_b32 vcc_lo, exec_lo, s8
	s_cbranch_vccz .LBB91_39
; %bb.5:
	s_load_b32 s19, s[0:1], 0x60
	s_lshr_b32 s22, ttmp7, 16
	s_wait_kmcnt 0x0
	s_cmp_ge_u32 s22, s19
	s_cbranch_scc1 .LBB91_39
; %bb.6:
	s_clause 0x1
	s_load_b96 s[16:18], s[0:1], 0x10
	s_load_b32 s26, s[0:1], 0x30
	v_and_b32_e32 v1, 0x3ff, v0
	v_bfe_u32 v2, v0, 10, 10
	v_and_b32_e32 v18, 7, v0
	s_clause 0x3
	s_load_b128 s[8:11], s[0:1], 0x20
	s_load_b64 s[28:29], s[0:1], 0x38
	s_load_b96 s[12:14], s[0:1], 0x48
	s_load_b64 s[24:25], s[0:1], 0x58
	s_lshl_b32 s0, ttmp7, 5
	s_lshl_b32 s1, ttmp9, 5
	v_lshl_add_u32 v0, v2, 4, v1
	v_lshlrev_b32_e32 v3, 3, v18
	s_and_b32 s2, s0, 0x1fffe0
	v_add_nc_u32_e32 v10, s1, v1
	v_lshl_add_u32 v23, v2, 6, 0x800
	v_lshrrev_b32_e32 v5, 3, v0
	v_and_b32_e32 v4, 31, v0
	v_lshrrev_b32_e32 v19, 5, v0
	v_add_nc_u32_e32 v12, 16, v10
	v_lshlrev_b32_e32 v22, 3, v1
	v_lshl_or_b32 v3, v5, 6, v3
	v_or_b32_e32 v0, s1, v4
	s_wait_kmcnt 0x0
	s_ashr_i32 s35, s18, 31
	s_ashr_i32 s27, s26, 31
	s_cmp_neq_f32 s6, 0
	v_add_nc_u32_e32 v21, 0x800, v3
	v_add_nc_u32_e32 v3, s2, v2
	;; [unrolled: 1-line block ×3, first 2 shown]
	s_cselect_b32 s0, -1, 0
	s_cmp_neq_f32 s7, 0
	v_lshlrev_b32_e32 v4, 3, v4
	v_cmp_gt_i32_e64 s1, s4, v3
	v_cmp_le_i32_e64 s2, v10, v3
	s_cselect_b32 s15, -1, 0
	v_mad_co_i64_i32 v[6:7], null, v3, s14, 0
	s_wait_alu 0xfffe
	s_or_b32 s15, s0, s15
	s_cmp_gt_i32 s5, 0
	v_add_nc_u32_e32 v8, 16, v3
	s_cselect_b32 s33, -1, 0
	s_cmp_neq_f32 s20, 0
	v_ashrrev_i32_e32 v1, 31, v0
	v_cmp_gt_i32_e32 vcc_lo, s4, v0
	v_lshl_or_b32 v20, v19, 8, v4
	s_cselect_b32 s36, -1, 0
	s_and_b32 s30, s1, s2
	v_cmp_le_i32_e64 s2, v12, v3
	v_mad_co_i64_i32 v[2:3], null, v19, s18, 0
	v_lshlrev_b64_e32 v[0:1], 3, v[0:1]
	v_mad_co_i64_i32 v[4:5], null, s26, v18, 0
	s_mov_b32 s34, s18
	s_xor_b32 s37, s3, -1
	s_and_b32 s18, s1, s2
	v_lshlrev_b64_e32 v[2:3], 3, v[2:3]
	v_cmp_gt_i32_e64 s1, s4, v8
	v_cmp_le_i32_e64 s2, v10, v8
	v_cmp_le_i32_e64 s3, v12, v8
	v_cmp_gt_i32_e64 s0, s4, v14
	v_mad_co_i64_i32 v[8:9], null, v8, s14, 0
	s_and_b32 s4, s1, s2
	s_and_b32 s31, s1, s3
	v_add_co_u32 v0, s1, v2, v0
	s_wait_alu 0xf1ff
	v_add_co_ci_u32_e64 v1, null, v3, v1, s1
	v_lshlrev_b64_e32 v[2:3], 3, v[4:5]
	v_lshlrev_b32_e32 v4, 3, v14
	v_add_co_u32 v0, s1, s16, v0
	s_wait_alu 0xf1ff
	v_add_co_ci_u32_e64 v1, null, s17, v1, s1
	s_delay_alu instid0(VALU_DEP_3)
	v_add_co_u32 v4, s1, v2, v4
	v_ashrrev_i32_e32 v11, 31, v10
	v_ashrrev_i32_e32 v13, 31, v12
	s_wait_alu 0xf1ff
	v_add_co_ci_u32_e64 v3, null, 0, v3, s1
	v_add_co_u32 v4, s1, s10, v4
	v_lshlrev_b64_e32 v[6:7], 3, v[6:7]
	v_lshlrev_b64_e32 v[8:9], 3, v[8:9]
	;; [unrolled: 1-line block ×4, first 2 shown]
	v_mov_b32_e32 v2, 0
	s_wait_alu 0xf1ff
	v_add_co_ci_u32_e64 v5, null, s11, v3, s1
	s_mov_b32 s23, 0
	s_lshl_b64 s[2:3], s[8:9], 3
	s_lshl_b64 s[8:9], s[34:35], 6
	;; [unrolled: 1-line block ×3, first 2 shown]
	s_wait_alu 0xfffe
	s_and_b32 s16, s15, s33
	s_or_b32 s17, s36, s37
	s_lshl_b64 s[14:15], s[26:27], 6
	s_xor_b32 s26, vcc_lo, -1
	s_xor_b32 s27, s0, -1
	s_branch .LBB91_8
.LBB91_7:                               ;   in Loop: Header=BB91_8 Depth=1
	s_wait_alu 0xfffe
	s_or_b32 exec_lo, exec_lo, s0
	s_add_co_i32 s22, s22, 0x10000
	s_wait_alu 0xfffe
	s_cmp_lt_u32 s22, s19
	s_cbranch_scc0 .LBB91_39
.LBB91_8:                               ; =>This Loop Header: Depth=1
                                        ;     Child Loop BB91_11 Depth 2
	v_dual_mov_b32 v30, v2 :: v_dual_mov_b32 v31, v2
	v_dual_mov_b32 v28, v2 :: v_dual_mov_b32 v29, v2
	;; [unrolled: 1-line block ×4, first 2 shown]
	s_wait_alu 0xfffe
	s_and_not1_b32 vcc_lo, exec_lo, s16
	s_wait_alu 0xfffe
	s_cbranch_vccnz .LBB91_19
; %bb.9:                                ;   in Loop: Header=BB91_8 Depth=1
	v_mad_co_u64_u32 v[14:15], null, s2, s22, v[0:1]
	v_mad_co_u64_u32 v[16:17], null, s10, s22, v[4:5]
	v_dual_mov_b32 v25, 0 :: v_dual_mov_b32 v28, 0
	v_mov_b32_e32 v27, 0
	v_mov_b32_e32 v29, 0
	v_dual_mov_b32 v3, v15 :: v_dual_mov_b32 v24, 0
	v_dual_mov_b32 v15, v17 :: v_dual_mov_b32 v26, 0
	s_mov_b32 s0, 0
	s_delay_alu instid0(VALU_DEP_2) | instskip(NEXT) | instid1(VALU_DEP_2)
	v_mad_co_u64_u32 v[30:31], null, s3, s22, v[3:4]
	v_mad_co_u64_u32 v[32:33], null, s11, s22, v[15:16]
	v_mov_b32_e32 v31, 0
	s_delay_alu instid0(VALU_DEP_3) | instskip(NEXT) | instid1(VALU_DEP_3)
	v_dual_mov_b32 v15, v30 :: v_dual_mov_b32 v30, 0
	v_mov_b32_e32 v17, v32
	s_branch .LBB91_11
.LBB91_10:                              ;   in Loop: Header=BB91_11 Depth=2
	s_wait_alu 0xfffe
	s_or_b32 exec_lo, exec_lo, s1
	s_wait_dscnt 0x0
	s_barrier_signal -1
	s_barrier_wait -1
	global_inv scope:SCOPE_SE
	ds_load_b128 v[32:35], v23
	ds_load_2addr_b64 v[36:39], v22 offset1:16
	ds_load_b128 v[40:43], v23 offset:1024
	ds_load_b128 v[44:47], v23 offset:16
	ds_load_b128 v[48:51], v23 offset:32
	ds_load_b128 v[52:55], v23 offset:48
	ds_load_2addr_b64 v[56:59], v22 offset0:32 offset1:48
	ds_load_b128 v[60:63], v23 offset:1040
	v_add_co_u32 v14, vcc_lo, v14, s8
	s_wait_alu 0xfffd
	v_add_co_ci_u32_e64 v15, null, s9, v15, vcc_lo
	v_add_co_u32 v16, vcc_lo, v16, s14
	s_wait_alu 0xfffd
	v_add_co_ci_u32_e64 v17, null, s15, v17, vcc_lo
	s_add_co_i32 s0, s0, 8
	s_wait_alu 0xfffe
	s_cmp_lt_i32 s0, s5
	s_wait_dscnt 0x6
	v_dual_mul_f32 v3, v33, v37 :: v_dual_mul_f32 v66, v32, v39
	v_dual_mul_f32 v64, v32, v37 :: v_dual_mul_f32 v65, v33, v39
	s_wait_dscnt 0x5
	v_mul_f32_e32 v68, v41, v39
	s_delay_alu instid0(VALU_DEP_3) | instskip(SKIP_3) | instid1(VALU_DEP_4)
	v_fma_f32 v3, v32, v36, -v3
	v_dual_mul_f32 v39, v40, v39 :: v_dual_fmac_f32 v66, v33, v38
	v_fmac_f32_e32 v64, v33, v36
	v_fma_f32 v32, v32, v38, -v65
	v_add_f32_e32 v3, v30, v3
	v_mul_f32_e32 v67, v41, v37
	s_delay_alu instid0(VALU_DEP_4) | instskip(NEXT) | instid1(VALU_DEP_4)
	v_dual_mul_f32 v37, v40, v37 :: v_dual_add_f32 v30, v31, v64
	v_add_f32_e32 v31, v28, v32
	v_fmac_f32_e32 v39, v41, v38
	s_delay_alu instid0(VALU_DEP_4) | instskip(NEXT) | instid1(VALU_DEP_4)
	v_fma_f32 v33, v40, v36, -v67
	v_fmac_f32_e32 v37, v41, v36
	v_fma_f32 v36, v40, v38, -v68
	s_wait_dscnt 0x1
	v_dual_mul_f32 v38, v34, v57 :: v_dual_add_f32 v29, v29, v66
	v_mul_f32_e32 v40, v35, v59
	v_add_f32_e32 v32, v26, v33
	v_dual_add_f32 v33, v27, v37 :: v_dual_add_f32 v36, v25, v36
	ds_load_2addr_b64 v[25:28], v22 offset0:64 offset1:80
	v_fmac_f32_e32 v38, v35, v56
	v_dual_mul_f32 v37, v35, v57 :: v_dual_add_f32 v24, v24, v39
	v_mul_f32_e32 v39, v34, v59
	s_delay_alu instid0(VALU_DEP_3) | instskip(NEXT) | instid1(VALU_DEP_3)
	v_add_f32_e32 v38, v30, v38
	v_fma_f32 v37, v34, v56, -v37
	v_fma_f32 v34, v34, v58, -v40
	v_mul_f32_e32 v30, v42, v57
	s_delay_alu instid0(VALU_DEP_3) | instskip(SKIP_1) | instid1(VALU_DEP_4)
	v_add_f32_e32 v3, v3, v37
	v_mul_f32_e32 v37, v43, v57
	v_add_f32_e32 v34, v31, v34
	v_fmac_f32_e32 v39, v35, v58
	v_mul_f32_e32 v35, v43, v59
	v_fmac_f32_e32 v30, v43, v56
	v_fma_f32 v31, v42, v56, -v37
	s_delay_alu instid0(VALU_DEP_4) | instskip(SKIP_4) | instid1(VALU_DEP_3)
	v_add_f32_e32 v37, v29, v39
	v_mul_f32_e32 v39, v42, v59
	v_fma_f32 v29, v42, v58, -v35
	s_wait_dscnt 0x0
	v_dual_add_f32 v40, v32, v31 :: v_dual_mul_f32 v31, v45, v26
	v_dual_mul_f32 v42, v45, v28 :: v_dual_fmac_f32 v39, v43, v58
	v_mul_f32_e32 v35, v44, v26
	v_add_f32_e32 v36, v36, v29
	s_delay_alu instid0(VALU_DEP_3) | instskip(SKIP_3) | instid1(VALU_DEP_2)
	v_add_f32_e32 v39, v24, v39
	v_mul_f32_e32 v24, v44, v28
	v_fma_f32 v41, v44, v25, -v31
	v_fmac_f32_e32 v35, v45, v25
	v_dual_fmac_f32 v24, v45, v27 :: v_dual_add_f32 v3, v3, v41
	v_fma_f32 v41, v44, v27, -v42
	v_add_f32_e32 v33, v33, v30
	ds_load_2addr_b64 v[29:32], v22 offset0:96 offset1:112
	v_dual_add_f32 v35, v38, v35 :: v_dual_mul_f32 v38, v61, v26
	v_mul_f32_e32 v26, v60, v26
	v_dual_add_f32 v34, v34, v41 :: v_dual_mul_f32 v41, v61, v28
	v_mul_f32_e32 v28, v60, v28
	s_delay_alu instid0(VALU_DEP_4) | instskip(NEXT) | instid1(VALU_DEP_4)
	v_fma_f32 v38, v60, v25, -v38
	v_fmac_f32_e32 v26, v61, v25
	v_add_f32_e32 v37, v37, v24
	v_fma_f32 v24, v60, v27, -v41
	v_fmac_f32_e32 v28, v61, v27
	v_add_f32_e32 v38, v40, v38
	s_delay_alu instid0(VALU_DEP_3)
	v_dual_add_f32 v40, v33, v26 :: v_dual_add_f32 v41, v36, v24
	ds_load_2addr_b64 v[24:27], v22 offset0:128 offset1:144
	s_wait_dscnt 0x1
	v_mul_f32_e32 v33, v47, v30
	v_mul_f32_e32 v36, v46, v30
	;; [unrolled: 1-line block ×4, first 2 shown]
	s_delay_alu instid0(VALU_DEP_4) | instskip(NEXT) | instid1(VALU_DEP_4)
	v_fma_f32 v33, v46, v29, -v33
	v_fmac_f32_e32 v36, v47, v29
	s_delay_alu instid0(VALU_DEP_2) | instskip(SKIP_1) | instid1(VALU_DEP_3)
	v_add_f32_e32 v3, v3, v33
	v_mul_f32_e32 v33, v63, v30
	v_dual_mul_f32 v30, v62, v30 :: v_dual_add_f32 v43, v35, v36
	s_delay_alu instid0(VALU_DEP_2) | instskip(NEXT) | instid1(VALU_DEP_2)
	v_fma_f32 v44, v62, v29, -v33
	v_fmac_f32_e32 v30, v63, v29
	s_wait_dscnt 0x0
	v_mul_f32_e32 v29, v49, v25
	v_fma_f32 v42, v46, v31, -v42
	v_add_f32_e32 v39, v39, v28
	v_mul_f32_e32 v28, v46, v32
	v_mul_f32_e32 v56, v48, v27
	s_delay_alu instid0(VALU_DEP_4) | instskip(SKIP_2) | instid1(VALU_DEP_1)
	v_add_f32_e32 v42, v34, v42
	ds_load_b128 v[33:36], v23 offset:1056
	v_dual_fmac_f32 v28, v47, v31 :: v_dual_mul_f32 v47, v48, v25
	v_add_f32_e32 v46, v37, v28
	v_fma_f32 v28, v62, v31, -v45
	v_fma_f32 v37, v48, v24, -v29
	v_mul_f32_e32 v32, v62, v32
	v_fmac_f32_e32 v47, v49, v24
	v_add_f32_e32 v44, v38, v44
	v_add_f32_e32 v41, v41, v28
	;; [unrolled: 1-line block ×4, first 2 shown]
	v_fmac_f32_e32 v32, v63, v31
	ds_load_2addr_b64 v[28:31], v22 offset0:160 offset1:176
	v_mul_f32_e32 v38, v49, v27
	v_add_f32_e32 v43, v43, v47
	v_add_f32_e32 v32, v39, v32
	s_delay_alu instid0(VALU_DEP_3)
	v_fma_f32 v48, v48, v26, -v38
	ds_load_b128 v[37:40], v23 offset:1072
	s_wait_dscnt 0x2
	v_mul_f32_e32 v57, v34, v25
	v_dual_mul_f32 v25, v33, v25 :: v_dual_add_f32 v42, v42, v48
	v_fmac_f32_e32 v56, v49, v26
	v_mul_f32_e32 v48, v34, v27
	s_delay_alu instid0(VALU_DEP_4) | instskip(NEXT) | instid1(VALU_DEP_4)
	v_fma_f32 v47, v33, v24, -v57
	v_fmac_f32_e32 v25, v34, v24
	s_delay_alu instid0(VALU_DEP_4) | instskip(SKIP_1) | instid1(VALU_DEP_3)
	v_dual_mul_f32 v49, v33, v27 :: v_dual_add_f32 v46, v46, v56
	s_wait_dscnt 0x1
	v_dual_add_f32 v44, v44, v47 :: v_dual_mul_f32 v27, v51, v29
	v_fma_f32 v24, v33, v26, -v48
	v_add_f32_e32 v33, v45, v25
	v_fmac_f32_e32 v49, v34, v26
	v_mul_f32_e32 v34, v50, v29
	v_fma_f32 v45, v50, v28, -v27
	v_add_f32_e32 v41, v41, v24
	ds_load_2addr_b64 v[24:27], v22 offset0:192 offset1:208
	v_fmac_f32_e32 v34, v51, v28
	v_dual_mul_f32 v47, v51, v31 :: v_dual_add_f32 v48, v32, v49
	v_dual_add_f32 v3, v3, v45 :: v_dual_mul_f32 v32, v50, v31
	s_delay_alu instid0(VALU_DEP_3) | instskip(NEXT) | instid1(VALU_DEP_3)
	v_dual_add_f32 v43, v43, v34 :: v_dual_mul_f32 v34, v36, v29
	v_fma_f32 v45, v50, v30, -v47
	s_delay_alu instid0(VALU_DEP_3) | instskip(NEXT) | instid1(VALU_DEP_3)
	v_fmac_f32_e32 v32, v51, v30
	v_fma_f32 v34, v35, v28, -v34
	s_delay_alu instid0(VALU_DEP_3) | instskip(SKIP_1) | instid1(VALU_DEP_3)
	v_dual_add_f32 v42, v42, v45 :: v_dual_mul_f32 v45, v36, v31
	v_mul_f32_e32 v29, v35, v29
	v_dual_mul_f32 v31, v35, v31 :: v_dual_add_f32 v44, v44, v34
	s_delay_alu instid0(VALU_DEP_2) | instskip(SKIP_2) | instid1(VALU_DEP_4)
	v_fmac_f32_e32 v29, v36, v28
	v_add_f32_e32 v28, v46, v32
	v_fma_f32 v32, v35, v30, -v45
	v_fmac_f32_e32 v31, v36, v30
	s_wait_dscnt 0x0
	v_mul_f32_e32 v36, v52, v25
	v_dual_add_f32 v29, v33, v29 :: v_dual_mul_f32 v46, v52, v27
	v_add_f32_e32 v30, v41, v32
	ds_load_2addr_b64 v[32:35], v22 offset0:224 offset1:240
	v_dual_add_f32 v31, v48, v31 :: v_dual_fmac_f32 v36, v53, v24
	v_mul_f32_e32 v45, v53, v25
	v_fmac_f32_e32 v46, v53, v26
	s_wait_loadcnt_dscnt 0x0
	s_barrier_signal -1
	v_add_f32_e32 v36, v43, v36
	v_fma_f32 v41, v52, v24, -v45
	v_mul_f32_e32 v45, v53, v27
	v_mul_f32_e32 v43, v38, v27
	;; [unrolled: 1-line block ×3, first 2 shown]
	s_barrier_wait -1
	v_add_f32_e32 v3, v3, v41
	v_fma_f32 v45, v52, v26, -v45
	v_mul_f32_e32 v41, v38, v25
	v_fmac_f32_e32 v27, v38, v26
	global_inv scope:SCOPE_SE
	v_dual_add_f32 v42, v42, v45 :: v_dual_add_f32 v45, v28, v46
	v_fma_f32 v28, v37, v26, -v43
	v_mul_f32_e32 v25, v37, v25
	s_delay_alu instid0(VALU_DEP_1) | instskip(NEXT) | instid1(VALU_DEP_3)
	v_fmac_f32_e32 v25, v38, v24
	v_add_f32_e32 v38, v30, v28
	v_mul_f32_e32 v28, v55, v35
	v_fma_f32 v41, v37, v24, -v41
	v_mul_f32_e32 v37, v55, v33
	s_delay_alu instid0(VALU_DEP_2) | instskip(NEXT) | instid1(VALU_DEP_2)
	v_add_f32_e32 v24, v44, v41
	v_fma_f32 v26, v54, v32, -v37
	v_add_f32_e32 v37, v31, v27
	v_mul_f32_e32 v27, v39, v33
	s_delay_alu instid0(VALU_DEP_3) | instskip(SKIP_4) | instid1(VALU_DEP_4)
	v_add_f32_e32 v30, v3, v26
	v_fma_f32 v3, v54, v34, -v28
	v_mul_f32_e32 v26, v40, v33
	v_add_f32_e32 v25, v29, v25
	v_mul_f32_e32 v29, v54, v35
	v_dual_fmac_f32 v27, v40, v32 :: v_dual_add_f32 v28, v42, v3
	s_delay_alu instid0(VALU_DEP_4) | instskip(SKIP_3) | instid1(VALU_DEP_4)
	v_fma_f32 v3, v39, v32, -v26
	v_mul_f32_e32 v41, v54, v33
	v_mul_f32_e32 v33, v40, v35
	;; [unrolled: 1-line block ×3, first 2 shown]
	v_dual_fmac_f32 v29, v55, v34 :: v_dual_add_f32 v26, v24, v3
	s_delay_alu instid0(VALU_DEP_4) | instskip(NEXT) | instid1(VALU_DEP_4)
	v_fmac_f32_e32 v41, v55, v32
	v_fma_f32 v32, v39, v34, -v33
	s_delay_alu instid0(VALU_DEP_4) | instskip(NEXT) | instid1(VALU_DEP_4)
	v_fmac_f32_e32 v35, v40, v34
	v_add_f32_e32 v29, v45, v29
	v_add_f32_e32 v27, v25, v27
	;; [unrolled: 1-line block ×3, first 2 shown]
	s_delay_alu instid0(VALU_DEP_4)
	v_dual_add_f32 v25, v38, v32 :: v_dual_add_f32 v24, v37, v35
	s_cbranch_scc0 .LBB91_19
.LBB91_11:                              ;   Parent Loop BB91_8 Depth=1
                                        ; =>  This Inner Loop Header: Depth=2
	s_wait_alu 0xfffe
	v_add_nc_u32_e32 v3, s0, v19
	s_delay_alu instid0(VALU_DEP_1) | instskip(SKIP_3) | instid1(SALU_CYCLE_1)
	v_cmp_le_i32_e32 vcc_lo, s5, v3
	s_or_b32 s1, s26, vcc_lo
	s_wait_alu 0xfffe
	s_and_saveexec_b32 s28, s1
	s_xor_b32 s1, exec_lo, s28
; %bb.12:                               ;   in Loop: Header=BB91_11 Depth=2
	v_mov_b32_e32 v3, v2
	ds_store_b64 v20, v[2:3]
; %bb.13:                               ;   in Loop: Header=BB91_11 Depth=2
	s_wait_alu 0xfffe
	s_and_not1_saveexec_b32 s1, s1
	s_cbranch_execz .LBB91_15
; %bb.14:                               ;   in Loop: Header=BB91_11 Depth=2
	global_load_b64 v[32:33], v[14:15], off
	s_wait_loadcnt 0x0
	ds_store_b64 v20, v[32:33]
.LBB91_15:                              ;   in Loop: Header=BB91_11 Depth=2
	s_wait_alu 0xfffe
	s_or_b32 exec_lo, exec_lo, s1
	v_add_nc_u32_e32 v3, s0, v18
	s_delay_alu instid0(VALU_DEP_1) | instskip(SKIP_3) | instid1(SALU_CYCLE_1)
	v_cmp_le_i32_e32 vcc_lo, s5, v3
	s_or_b32 s1, vcc_lo, s27
	s_wait_alu 0xfffe
	s_and_saveexec_b32 s28, s1
	s_xor_b32 s1, exec_lo, s28
; %bb.16:                               ;   in Loop: Header=BB91_11 Depth=2
	v_mov_b32_e32 v3, v2
	ds_store_b64 v21, v[2:3]
; %bb.17:                               ;   in Loop: Header=BB91_11 Depth=2
	s_wait_alu 0xfffe
	s_and_not1_saveexec_b32 s1, s1
	s_cbranch_execz .LBB91_10
; %bb.18:                               ;   in Loop: Header=BB91_11 Depth=2
	global_load_b64 v[32:33], v[16:17], off
	s_wait_loadcnt 0x0
	ds_store_b64 v21, v[32:33]
	s_branch .LBB91_10
.LBB91_19:                              ;   in Loop: Header=BB91_8 Depth=1
	s_mul_u64 s[0:1], s[24:25], s[22:23]
	s_wait_alu 0xfffe
	s_lshl_b64 s[0:1], s[0:1], 3
	s_wait_alu 0xfffe
	s_add_nc_u64 s[0:1], s[12:13], s[0:1]
	s_wait_alu 0xfffe
	v_add_co_u32 v3, vcc_lo, s0, v6
	s_wait_alu 0xfffd
	v_add_co_ci_u32_e64 v16, null, s1, v7, vcc_lo
	s_and_saveexec_b32 s28, s30
	s_cbranch_execz .LBB91_24
; %bb.20:                               ;   in Loop: Header=BB91_8 Depth=1
	v_mul_f32_e32 v15, s6, v31
	v_mul_f32_e32 v14, s7, v31
	s_and_b32 vcc_lo, exec_lo, s17
	s_mov_b32 s29, -1
	s_delay_alu instid0(VALU_DEP_2) | instskip(NEXT) | instid1(VALU_DEP_2)
	v_fmac_f32_e32 v15, s7, v30
	v_fma_f32 v14, v30, s6, -v14
	s_wait_alu 0xfffe
	s_cbranch_vccz .LBB91_22
; %bb.21:                               ;   in Loop: Header=BB91_8 Depth=1
	v_add_co_u32 v30, vcc_lo, v3, v10
	s_wait_alu 0xfffd
	v_add_co_ci_u32_e64 v31, null, v16, v11, vcc_lo
	s_mov_b32 s29, 0
	global_load_b64 v[32:33], v[30:31], off
	s_wait_loadcnt 0x0
	v_mul_f32_e32 v17, s21, v33
	v_mul_f32_e32 v33, s20, v33
	s_delay_alu instid0(VALU_DEP_2) | instskip(NEXT) | instid1(VALU_DEP_1)
	v_fma_f32 v17, v32, s20, -v17
	v_dual_fmac_f32 v33, s21, v32 :: v_dual_add_f32 v32, v14, v17
	s_delay_alu instid0(VALU_DEP_1)
	v_add_f32_e32 v33, v15, v33
	global_store_b64 v[30:31], v[32:33], off
.LBB91_22:                              ;   in Loop: Header=BB91_8 Depth=1
	s_and_not1_b32 vcc_lo, exec_lo, s29
	s_wait_alu 0xfffe
	s_cbranch_vccnz .LBB91_24
; %bb.23:                               ;   in Loop: Header=BB91_8 Depth=1
	v_add_co_u32 v30, vcc_lo, v3, v10
	s_wait_alu 0xfffd
	v_add_co_ci_u32_e64 v31, null, v16, v11, vcc_lo
	global_store_b64 v[30:31], v[14:15], off
.LBB91_24:                              ;   in Loop: Header=BB91_8 Depth=1
	s_or_b32 exec_lo, exec_lo, s28
	s_and_saveexec_b32 s28, s18
	s_cbranch_execz .LBB91_29
; %bb.25:                               ;   in Loop: Header=BB91_8 Depth=1
	v_mul_f32_e32 v15, s6, v29
	v_mul_f32_e32 v14, s7, v29
	s_and_not1_b32 vcc_lo, exec_lo, s17
	s_mov_b32 s29, -1
	s_delay_alu instid0(VALU_DEP_2) | instskip(NEXT) | instid1(VALU_DEP_2)
	v_fmac_f32_e32 v15, s7, v28
	v_fma_f32 v14, v28, s6, -v14
	s_wait_alu 0xfffe
	s_cbranch_vccnz .LBB91_27
; %bb.26:                               ;   in Loop: Header=BB91_8 Depth=1
	v_add_co_u32 v28, vcc_lo, v3, v12
	s_wait_alu 0xfffd
	v_add_co_ci_u32_e64 v29, null, v16, v13, vcc_lo
	s_mov_b32 s29, 0
	global_load_b64 v[30:31], v[28:29], off
	s_wait_loadcnt 0x0
	v_mul_f32_e32 v17, s21, v31
	s_delay_alu instid0(VALU_DEP_1) | instskip(SKIP_1) | instid1(VALU_DEP_1)
	v_fma_f32 v17, v30, s20, -v17
	v_mul_f32_e32 v31, s20, v31
	v_dual_fmac_f32 v31, s21, v30 :: v_dual_add_f32 v30, v14, v17
	s_delay_alu instid0(VALU_DEP_1)
	v_add_f32_e32 v31, v15, v31
	global_store_b64 v[28:29], v[30:31], off
.LBB91_27:                              ;   in Loop: Header=BB91_8 Depth=1
	s_and_not1_b32 vcc_lo, exec_lo, s29
	s_wait_alu 0xfffe
	s_cbranch_vccnz .LBB91_29
; %bb.28:                               ;   in Loop: Header=BB91_8 Depth=1
	v_add_co_u32 v28, vcc_lo, v3, v12
	s_wait_alu 0xfffd
	v_add_co_ci_u32_e64 v29, null, v16, v13, vcc_lo
	global_store_b64 v[28:29], v[14:15], off
.LBB91_29:                              ;   in Loop: Header=BB91_8 Depth=1
	s_or_b32 exec_lo, exec_lo, s28
	v_add_co_u32 v3, vcc_lo, s0, v8
	s_wait_alu 0xfffd
	v_add_co_ci_u32_e64 v16, null, s1, v9, vcc_lo
	s_and_saveexec_b32 s0, s4
	s_cbranch_execz .LBB91_34
; %bb.30:                               ;   in Loop: Header=BB91_8 Depth=1
	v_mul_f32_e32 v15, s6, v27
	v_mul_f32_e32 v14, s7, v27
	s_and_not1_b32 vcc_lo, exec_lo, s17
	s_mov_b32 s1, -1
	s_delay_alu instid0(VALU_DEP_2) | instskip(NEXT) | instid1(VALU_DEP_2)
	v_fmac_f32_e32 v15, s7, v26
	v_fma_f32 v14, v26, s6, -v14
	s_wait_alu 0xfffe
	s_cbranch_vccnz .LBB91_32
; %bb.31:                               ;   in Loop: Header=BB91_8 Depth=1
	v_add_co_u32 v26, vcc_lo, v3, v10
	s_wait_alu 0xfffd
	v_add_co_ci_u32_e64 v27, null, v16, v11, vcc_lo
	s_mov_b32 s1, 0
	global_load_b64 v[28:29], v[26:27], off
	s_wait_loadcnt 0x0
	v_mul_f32_e32 v17, s21, v29
	v_mul_f32_e32 v29, s20, v29
	s_delay_alu instid0(VALU_DEP_2) | instskip(NEXT) | instid1(VALU_DEP_1)
	v_fma_f32 v17, v28, s20, -v17
	v_dual_fmac_f32 v29, s21, v28 :: v_dual_add_f32 v28, v14, v17
	s_delay_alu instid0(VALU_DEP_1)
	v_add_f32_e32 v29, v15, v29
	global_store_b64 v[26:27], v[28:29], off
.LBB91_32:                              ;   in Loop: Header=BB91_8 Depth=1
	s_wait_alu 0xfffe
	s_and_not1_b32 vcc_lo, exec_lo, s1
	s_wait_alu 0xfffe
	s_cbranch_vccnz .LBB91_34
; %bb.33:                               ;   in Loop: Header=BB91_8 Depth=1
	v_add_co_u32 v26, vcc_lo, v3, v10
	s_wait_alu 0xfffd
	v_add_co_ci_u32_e64 v27, null, v16, v11, vcc_lo
	global_store_b64 v[26:27], v[14:15], off
.LBB91_34:                              ;   in Loop: Header=BB91_8 Depth=1
	s_wait_alu 0xfffe
	s_or_b32 exec_lo, exec_lo, s0
	s_and_saveexec_b32 s0, s31
	s_cbranch_execz .LBB91_7
; %bb.35:                               ;   in Loop: Header=BB91_8 Depth=1
	v_mul_f32_e32 v15, s6, v24
	v_mul_f32_e32 v14, s7, v24
	s_and_not1_b32 vcc_lo, exec_lo, s17
	s_mov_b32 s1, -1
	s_delay_alu instid0(VALU_DEP_2) | instskip(NEXT) | instid1(VALU_DEP_2)
	v_fmac_f32_e32 v15, s7, v25
	v_fma_f32 v14, v25, s6, -v14
	s_wait_alu 0xfffe
	s_cbranch_vccnz .LBB91_37
; %bb.36:                               ;   in Loop: Header=BB91_8 Depth=1
	v_add_co_u32 v24, vcc_lo, v3, v12
	s_wait_alu 0xfffd
	v_add_co_ci_u32_e64 v25, null, v16, v13, vcc_lo
	s_mov_b32 s1, 0
	global_load_b64 v[26:27], v[24:25], off
	s_wait_loadcnt 0x0
	v_mul_f32_e32 v17, s21, v27
	s_delay_alu instid0(VALU_DEP_1) | instskip(SKIP_1) | instid1(VALU_DEP_1)
	v_fma_f32 v17, v26, s20, -v17
	v_mul_f32_e32 v27, s20, v27
	v_dual_fmac_f32 v27, s21, v26 :: v_dual_add_f32 v26, v14, v17
	s_delay_alu instid0(VALU_DEP_1)
	v_add_f32_e32 v27, v15, v27
	global_store_b64 v[24:25], v[26:27], off
.LBB91_37:                              ;   in Loop: Header=BB91_8 Depth=1
	s_wait_alu 0xfffe
	s_and_not1_b32 vcc_lo, exec_lo, s1
	s_wait_alu 0xfffe
	s_cbranch_vccnz .LBB91_7
; %bb.38:                               ;   in Loop: Header=BB91_8 Depth=1
	v_add_co_u32 v24, vcc_lo, v3, v12
	s_wait_alu 0xfffd
	v_add_co_ci_u32_e64 v25, null, v16, v13, vcc_lo
	global_store_b64 v[24:25], v[14:15], off
	s_branch .LBB91_7
.LBB91_39:
	s_endpgm
	.section	.rodata,"a",@progbits
	.p2align	6, 0x0
	.amdhsa_kernel _ZL29rocblas_internal_gemmt_kernelIiLi16ELi32ELi8ELc78ELc84ELc85ELb0ELb0E19rocblas_complex_numIfES1_PKS1_PS1_EviT_T9_T10_S5_lS7_S5_lS6_T11_S5_li
		.amdhsa_group_segment_fixed_size 4096
		.amdhsa_private_segment_fixed_size 0
		.amdhsa_kernarg_size 100
		.amdhsa_user_sgpr_count 2
		.amdhsa_user_sgpr_dispatch_ptr 0
		.amdhsa_user_sgpr_queue_ptr 0
		.amdhsa_user_sgpr_kernarg_segment_ptr 1
		.amdhsa_user_sgpr_dispatch_id 0
		.amdhsa_user_sgpr_private_segment_size 0
		.amdhsa_wavefront_size32 1
		.amdhsa_uses_dynamic_stack 0
		.amdhsa_enable_private_segment 0
		.amdhsa_system_sgpr_workgroup_id_x 1
		.amdhsa_system_sgpr_workgroup_id_y 1
		.amdhsa_system_sgpr_workgroup_id_z 1
		.amdhsa_system_sgpr_workgroup_info 0
		.amdhsa_system_vgpr_workitem_id 1
		.amdhsa_next_free_vgpr 69
		.amdhsa_next_free_sgpr 38
		.amdhsa_reserve_vcc 1
		.amdhsa_float_round_mode_32 0
		.amdhsa_float_round_mode_16_64 0
		.amdhsa_float_denorm_mode_32 3
		.amdhsa_float_denorm_mode_16_64 3
		.amdhsa_fp16_overflow 0
		.amdhsa_workgroup_processor_mode 1
		.amdhsa_memory_ordered 1
		.amdhsa_forward_progress 1
		.amdhsa_inst_pref_size 25
		.amdhsa_round_robin_scheduling 0
		.amdhsa_exception_fp_ieee_invalid_op 0
		.amdhsa_exception_fp_denorm_src 0
		.amdhsa_exception_fp_ieee_div_zero 0
		.amdhsa_exception_fp_ieee_overflow 0
		.amdhsa_exception_fp_ieee_underflow 0
		.amdhsa_exception_fp_ieee_inexact 0
		.amdhsa_exception_int_div_zero 0
	.end_amdhsa_kernel
	.section	.text._ZL29rocblas_internal_gemmt_kernelIiLi16ELi32ELi8ELc78ELc84ELc85ELb0ELb0E19rocblas_complex_numIfES1_PKS1_PS1_EviT_T9_T10_S5_lS7_S5_lS6_T11_S5_li,"axG",@progbits,_ZL29rocblas_internal_gemmt_kernelIiLi16ELi32ELi8ELc78ELc84ELc85ELb0ELb0E19rocblas_complex_numIfES1_PKS1_PS1_EviT_T9_T10_S5_lS7_S5_lS6_T11_S5_li,comdat
.Lfunc_end91:
	.size	_ZL29rocblas_internal_gemmt_kernelIiLi16ELi32ELi8ELc78ELc84ELc85ELb0ELb0E19rocblas_complex_numIfES1_PKS1_PS1_EviT_T9_T10_S5_lS7_S5_lS6_T11_S5_li, .Lfunc_end91-_ZL29rocblas_internal_gemmt_kernelIiLi16ELi32ELi8ELc78ELc84ELc85ELb0ELb0E19rocblas_complex_numIfES1_PKS1_PS1_EviT_T9_T10_S5_lS7_S5_lS6_T11_S5_li
                                        ; -- End function
	.set _ZL29rocblas_internal_gemmt_kernelIiLi16ELi32ELi8ELc78ELc84ELc85ELb0ELb0E19rocblas_complex_numIfES1_PKS1_PS1_EviT_T9_T10_S5_lS7_S5_lS6_T11_S5_li.num_vgpr, 69
	.set _ZL29rocblas_internal_gemmt_kernelIiLi16ELi32ELi8ELc78ELc84ELc85ELb0ELb0E19rocblas_complex_numIfES1_PKS1_PS1_EviT_T9_T10_S5_lS7_S5_lS6_T11_S5_li.num_agpr, 0
	.set _ZL29rocblas_internal_gemmt_kernelIiLi16ELi32ELi8ELc78ELc84ELc85ELb0ELb0E19rocblas_complex_numIfES1_PKS1_PS1_EviT_T9_T10_S5_lS7_S5_lS6_T11_S5_li.numbered_sgpr, 38
	.set _ZL29rocblas_internal_gemmt_kernelIiLi16ELi32ELi8ELc78ELc84ELc85ELb0ELb0E19rocblas_complex_numIfES1_PKS1_PS1_EviT_T9_T10_S5_lS7_S5_lS6_T11_S5_li.num_named_barrier, 0
	.set _ZL29rocblas_internal_gemmt_kernelIiLi16ELi32ELi8ELc78ELc84ELc85ELb0ELb0E19rocblas_complex_numIfES1_PKS1_PS1_EviT_T9_T10_S5_lS7_S5_lS6_T11_S5_li.private_seg_size, 0
	.set _ZL29rocblas_internal_gemmt_kernelIiLi16ELi32ELi8ELc78ELc84ELc85ELb0ELb0E19rocblas_complex_numIfES1_PKS1_PS1_EviT_T9_T10_S5_lS7_S5_lS6_T11_S5_li.uses_vcc, 1
	.set _ZL29rocblas_internal_gemmt_kernelIiLi16ELi32ELi8ELc78ELc84ELc85ELb0ELb0E19rocblas_complex_numIfES1_PKS1_PS1_EviT_T9_T10_S5_lS7_S5_lS6_T11_S5_li.uses_flat_scratch, 0
	.set _ZL29rocblas_internal_gemmt_kernelIiLi16ELi32ELi8ELc78ELc84ELc85ELb0ELb0E19rocblas_complex_numIfES1_PKS1_PS1_EviT_T9_T10_S5_lS7_S5_lS6_T11_S5_li.has_dyn_sized_stack, 0
	.set _ZL29rocblas_internal_gemmt_kernelIiLi16ELi32ELi8ELc78ELc84ELc85ELb0ELb0E19rocblas_complex_numIfES1_PKS1_PS1_EviT_T9_T10_S5_lS7_S5_lS6_T11_S5_li.has_recursion, 0
	.set _ZL29rocblas_internal_gemmt_kernelIiLi16ELi32ELi8ELc78ELc84ELc85ELb0ELb0E19rocblas_complex_numIfES1_PKS1_PS1_EviT_T9_T10_S5_lS7_S5_lS6_T11_S5_li.has_indirect_call, 0
	.section	.AMDGPU.csdata,"",@progbits
; Kernel info:
; codeLenInByte = 3112
; TotalNumSgprs: 40
; NumVgprs: 69
; ScratchSize: 0
; MemoryBound: 1
; FloatMode: 240
; IeeeMode: 1
; LDSByteSize: 4096 bytes/workgroup (compile time only)
; SGPRBlocks: 0
; VGPRBlocks: 8
; NumSGPRsForWavesPerEU: 40
; NumVGPRsForWavesPerEU: 69
; Occupancy: 16
; WaveLimiterHint : 0
; COMPUTE_PGM_RSRC2:SCRATCH_EN: 0
; COMPUTE_PGM_RSRC2:USER_SGPR: 2
; COMPUTE_PGM_RSRC2:TRAP_HANDLER: 0
; COMPUTE_PGM_RSRC2:TGID_X_EN: 1
; COMPUTE_PGM_RSRC2:TGID_Y_EN: 1
; COMPUTE_PGM_RSRC2:TGID_Z_EN: 1
; COMPUTE_PGM_RSRC2:TIDIG_COMP_CNT: 1
	.section	.text._ZL29rocblas_internal_gemmt_kernelIiLi16ELi32ELi8ELc78ELc67ELc85ELb0ELb1E19rocblas_complex_numIfES1_PKS1_PS1_EviT_T9_T10_S5_lS7_S5_lS6_T11_S5_li,"axG",@progbits,_ZL29rocblas_internal_gemmt_kernelIiLi16ELi32ELi8ELc78ELc67ELc85ELb0ELb1E19rocblas_complex_numIfES1_PKS1_PS1_EviT_T9_T10_S5_lS7_S5_lS6_T11_S5_li,comdat
	.globl	_ZL29rocblas_internal_gemmt_kernelIiLi16ELi32ELi8ELc78ELc67ELc85ELb0ELb1E19rocblas_complex_numIfES1_PKS1_PS1_EviT_T9_T10_S5_lS7_S5_lS6_T11_S5_li ; -- Begin function _ZL29rocblas_internal_gemmt_kernelIiLi16ELi32ELi8ELc78ELc67ELc85ELb0ELb1E19rocblas_complex_numIfES1_PKS1_PS1_EviT_T9_T10_S5_lS7_S5_lS6_T11_S5_li
	.p2align	8
	.type	_ZL29rocblas_internal_gemmt_kernelIiLi16ELi32ELi8ELc78ELc67ELc85ELb0ELb1E19rocblas_complex_numIfES1_PKS1_PS1_EviT_T9_T10_S5_lS7_S5_lS6_T11_S5_li,@function
_ZL29rocblas_internal_gemmt_kernelIiLi16ELi32ELi8ELc78ELc67ELc85ELb0ELb1E19rocblas_complex_numIfES1_PKS1_PS1_EviT_T9_T10_S5_lS7_S5_lS6_T11_S5_li: ; @_ZL29rocblas_internal_gemmt_kernelIiLi16ELi32ELi8ELc78ELc67ELc85ELb0ELb1E19rocblas_complex_numIfES1_PKS1_PS1_EviT_T9_T10_S5_lS7_S5_lS6_T11_S5_li
; %bb.0:
	s_clause 0x1
	s_load_b64 s[20:21], s[0:1], 0x40
	s_load_b128 s[4:7], s[0:1], 0x0
	s_wait_kmcnt 0x0
	s_cmp_eq_f32 s20, 1.0
	s_cselect_b32 s2, -1, 0
	s_and_b32 s3, s21, 0x7fffffff
	s_delay_alu instid0(SALU_CYCLE_1) | instskip(SKIP_1) | instid1(SALU_CYCLE_1)
	s_cmp_eq_u32 s3, 0
	s_cselect_b32 s3, -1, 0
	s_and_b32 s8, s2, s3
	s_mov_b32 s2, 0
	s_and_not1_b32 vcc_lo, exec_lo, s8
	s_mov_b32 s8, -1
	s_cbranch_vccnz .LBB92_4
; %bb.1:
	s_cmp_lg_u32 s5, 0
	s_cbranch_scc0 .LBB92_3
; %bb.2:
	s_cmp_neq_f32 s6, 0
	s_cselect_b32 s2, -1, 0
	s_cmp_neq_f32 s7, 0
	s_cselect_b32 s8, -1, 0
	s_delay_alu instid0(SALU_CYCLE_1)
	s_or_b32 s2, s2, s8
.LBB92_3:
	s_delay_alu instid0(SALU_CYCLE_1)
	s_mov_b32 s8, s2
.LBB92_4:
	s_delay_alu instid0(SALU_CYCLE_1)
	s_and_b32 vcc_lo, exec_lo, s8
	s_cbranch_vccz .LBB92_39
; %bb.5:
	s_load_b32 s19, s[0:1], 0x60
	s_lshr_b32 s22, ttmp7, 16
	s_wait_kmcnt 0x0
	s_cmp_ge_u32 s22, s19
	s_cbranch_scc1 .LBB92_39
; %bb.6:
	s_clause 0x1
	s_load_b96 s[16:18], s[0:1], 0x10
	s_load_b32 s26, s[0:1], 0x30
	v_and_b32_e32 v1, 0x3ff, v0
	v_bfe_u32 v2, v0, 10, 10
	v_and_b32_e32 v18, 7, v0
	s_clause 0x3
	s_load_b128 s[8:11], s[0:1], 0x20
	s_load_b64 s[28:29], s[0:1], 0x38
	s_load_b96 s[12:14], s[0:1], 0x48
	s_load_b64 s[24:25], s[0:1], 0x58
	s_lshl_b32 s0, ttmp7, 5
	s_lshl_b32 s1, ttmp9, 5
	v_lshl_add_u32 v0, v2, 4, v1
	v_lshlrev_b32_e32 v3, 3, v18
	s_and_b32 s2, s0, 0x1fffe0
	v_add_nc_u32_e32 v10, s1, v1
	v_lshl_add_u32 v23, v2, 6, 0x800
	v_lshrrev_b32_e32 v5, 3, v0
	v_and_b32_e32 v4, 31, v0
	v_lshrrev_b32_e32 v19, 5, v0
	v_add_nc_u32_e32 v12, 16, v10
	v_lshlrev_b32_e32 v22, 3, v1
	v_lshl_or_b32 v3, v5, 6, v3
	v_or_b32_e32 v0, s1, v4
	s_wait_kmcnt 0x0
	s_ashr_i32 s35, s18, 31
	s_ashr_i32 s27, s26, 31
	s_cmp_neq_f32 s6, 0
	v_add_nc_u32_e32 v21, 0x800, v3
	v_add_nc_u32_e32 v3, s2, v2
	;; [unrolled: 1-line block ×3, first 2 shown]
	s_cselect_b32 s0, -1, 0
	s_cmp_neq_f32 s7, 0
	v_lshlrev_b32_e32 v4, 3, v4
	v_cmp_gt_i32_e64 s1, s4, v3
	v_cmp_le_i32_e64 s2, v10, v3
	s_cselect_b32 s15, -1, 0
	v_mad_co_i64_i32 v[6:7], null, v3, s14, 0
	s_wait_alu 0xfffe
	s_or_b32 s15, s0, s15
	s_cmp_gt_i32 s5, 0
	v_add_nc_u32_e32 v8, 16, v3
	s_cselect_b32 s33, -1, 0
	s_cmp_neq_f32 s20, 0
	v_ashrrev_i32_e32 v1, 31, v0
	v_cmp_gt_i32_e32 vcc_lo, s4, v0
	v_lshl_or_b32 v20, v19, 8, v4
	s_cselect_b32 s36, -1, 0
	s_and_b32 s30, s1, s2
	v_cmp_le_i32_e64 s2, v12, v3
	v_mad_co_i64_i32 v[2:3], null, v19, s18, 0
	v_lshlrev_b64_e32 v[0:1], 3, v[0:1]
	v_mad_co_i64_i32 v[4:5], null, s26, v18, 0
	s_mov_b32 s34, s18
	s_xor_b32 s37, s3, -1
	s_and_b32 s18, s1, s2
	v_lshlrev_b64_e32 v[2:3], 3, v[2:3]
	v_cmp_gt_i32_e64 s1, s4, v8
	v_cmp_le_i32_e64 s2, v10, v8
	v_cmp_le_i32_e64 s3, v12, v8
	v_cmp_gt_i32_e64 s0, s4, v14
	v_mad_co_i64_i32 v[8:9], null, v8, s14, 0
	s_and_b32 s4, s1, s2
	s_and_b32 s31, s1, s3
	v_add_co_u32 v0, s1, v2, v0
	s_wait_alu 0xf1ff
	v_add_co_ci_u32_e64 v1, null, v3, v1, s1
	v_lshlrev_b64_e32 v[2:3], 3, v[4:5]
	v_lshlrev_b32_e32 v4, 3, v14
	v_add_co_u32 v0, s1, s16, v0
	s_wait_alu 0xf1ff
	v_add_co_ci_u32_e64 v1, null, s17, v1, s1
	s_delay_alu instid0(VALU_DEP_3) | instskip(SKIP_3) | instid1(VALU_DEP_3)
	v_add_co_u32 v2, s1, v2, v4
	s_wait_alu 0xf1ff
	v_add_co_ci_u32_e64 v3, null, 0, v3, s1
	v_ashrrev_i32_e32 v11, 31, v10
	v_add_co_u32 v4, s1, s10, v2
	v_ashrrev_i32_e32 v13, 31, v12
	s_wait_alu 0xf1ff
	v_add_co_ci_u32_e64 v3, null, s11, v3, s1
	s_delay_alu instid0(VALU_DEP_3)
	v_add_co_u32 v4, s1, v4, 4
	v_lshlrev_b64_e32 v[6:7], 3, v[6:7]
	v_lshlrev_b64_e32 v[8:9], 3, v[8:9]
	;; [unrolled: 1-line block ×4, first 2 shown]
	v_mov_b32_e32 v2, 0
	s_wait_alu 0xf1ff
	v_add_co_ci_u32_e64 v5, null, 0, v3, s1
	s_mov_b32 s23, 0
	s_lshl_b64 s[2:3], s[8:9], 3
	s_lshl_b64 s[8:9], s[34:35], 6
	;; [unrolled: 1-line block ×3, first 2 shown]
	s_wait_alu 0xfffe
	s_and_b32 s16, s15, s33
	s_or_b32 s17, s36, s37
	s_lshl_b64 s[14:15], s[26:27], 6
	s_xor_b32 s26, vcc_lo, -1
	s_xor_b32 s27, s0, -1
	s_branch .LBB92_8
.LBB92_7:                               ;   in Loop: Header=BB92_8 Depth=1
	s_wait_alu 0xfffe
	s_or_b32 exec_lo, exec_lo, s0
	s_add_co_i32 s22, s22, 0x10000
	s_wait_alu 0xfffe
	s_cmp_lt_u32 s22, s19
	s_cbranch_scc0 .LBB92_39
.LBB92_8:                               ; =>This Loop Header: Depth=1
                                        ;     Child Loop BB92_11 Depth 2
	v_dual_mov_b32 v30, v2 :: v_dual_mov_b32 v31, v2
	v_dual_mov_b32 v28, v2 :: v_dual_mov_b32 v29, v2
	;; [unrolled: 1-line block ×4, first 2 shown]
	s_wait_alu 0xfffe
	s_and_not1_b32 vcc_lo, exec_lo, s16
	s_wait_alu 0xfffe
	s_cbranch_vccnz .LBB92_19
; %bb.9:                                ;   in Loop: Header=BB92_8 Depth=1
	v_mad_co_u64_u32 v[14:15], null, s2, s22, v[0:1]
	v_mad_co_u64_u32 v[16:17], null, s10, s22, v[4:5]
	v_dual_mov_b32 v25, 0 :: v_dual_mov_b32 v28, 0
	v_mov_b32_e32 v27, 0
	v_mov_b32_e32 v29, 0
	v_dual_mov_b32 v3, v15 :: v_dual_mov_b32 v24, 0
	v_dual_mov_b32 v15, v17 :: v_dual_mov_b32 v26, 0
	s_mov_b32 s0, 0
	s_delay_alu instid0(VALU_DEP_2) | instskip(NEXT) | instid1(VALU_DEP_2)
	v_mad_co_u64_u32 v[30:31], null, s3, s22, v[3:4]
	v_mad_co_u64_u32 v[32:33], null, s11, s22, v[15:16]
	v_mov_b32_e32 v31, 0
	s_delay_alu instid0(VALU_DEP_3) | instskip(NEXT) | instid1(VALU_DEP_3)
	v_dual_mov_b32 v15, v30 :: v_dual_mov_b32 v30, 0
	v_mov_b32_e32 v17, v32
	s_branch .LBB92_11
.LBB92_10:                              ;   in Loop: Header=BB92_11 Depth=2
	s_or_b32 exec_lo, exec_lo, s1
	ds_store_b32 v21, v3 offset:4
	s_wait_dscnt 0x0
	s_barrier_signal -1
	s_barrier_wait -1
	global_inv scope:SCOPE_SE
	ds_load_b128 v[32:35], v23
	ds_load_2addr_b64 v[36:39], v22 offset1:16
	ds_load_b128 v[40:43], v23 offset:1024
	ds_load_b128 v[44:47], v23 offset:16
	;; [unrolled: 1-line block ×4, first 2 shown]
	ds_load_2addr_b64 v[56:59], v22 offset0:32 offset1:48
	ds_load_b128 v[60:63], v23 offset:1040
	v_add_co_u32 v14, vcc_lo, v14, s8
	s_wait_alu 0xfffd
	v_add_co_ci_u32_e64 v15, null, s9, v15, vcc_lo
	v_add_co_u32 v16, vcc_lo, v16, s14
	s_wait_alu 0xfffd
	v_add_co_ci_u32_e64 v17, null, s15, v17, vcc_lo
	s_add_co_i32 s0, s0, 8
	s_wait_alu 0xfffe
	s_cmp_lt_i32 s0, s5
	s_wait_dscnt 0x6
	v_dual_mul_f32 v3, v33, v37 :: v_dual_mul_f32 v66, v32, v39
	v_dual_mul_f32 v64, v32, v37 :: v_dual_mul_f32 v65, v33, v39
	s_wait_dscnt 0x5
	v_mul_f32_e32 v68, v41, v39
	s_delay_alu instid0(VALU_DEP_3) | instskip(SKIP_3) | instid1(VALU_DEP_4)
	v_fma_f32 v3, v32, v36, -v3
	v_dual_mul_f32 v39, v40, v39 :: v_dual_fmac_f32 v66, v33, v38
	v_fmac_f32_e32 v64, v33, v36
	v_fma_f32 v32, v32, v38, -v65
	v_add_f32_e32 v3, v30, v3
	v_mul_f32_e32 v67, v41, v37
	s_delay_alu instid0(VALU_DEP_4) | instskip(NEXT) | instid1(VALU_DEP_4)
	v_dual_mul_f32 v37, v40, v37 :: v_dual_add_f32 v30, v31, v64
	v_add_f32_e32 v31, v28, v32
	v_fma_f32 v28, v40, v38, -v68
	s_delay_alu instid0(VALU_DEP_4) | instskip(NEXT) | instid1(VALU_DEP_4)
	v_fma_f32 v33, v40, v36, -v67
	v_fmac_f32_e32 v37, v41, v36
	s_wait_dscnt 0x1
	v_dual_add_f32 v29, v29, v66 :: v_dual_mul_f32 v36, v35, v57
	v_dual_fmac_f32 v39, v41, v38 :: v_dual_mul_f32 v40, v35, v59
	v_add_f32_e32 v32, v26, v33
	v_add_f32_e32 v33, v27, v37
	v_dual_add_f32 v37, v25, v28 :: v_dual_mul_f32 v38, v34, v57
	ds_load_2addr_b64 v[25:28], v22 offset0:64 offset1:80
	v_fma_f32 v36, v34, v56, -v36
	v_add_f32_e32 v24, v24, v39
	v_dual_mul_f32 v39, v34, v59 :: v_dual_fmac_f32 v38, v35, v56
	v_fma_f32 v34, v34, v58, -v40
	s_delay_alu instid0(VALU_DEP_4) | instskip(SKIP_1) | instid1(VALU_DEP_4)
	v_add_f32_e32 v3, v3, v36
	v_mul_f32_e32 v36, v43, v57
	v_fmac_f32_e32 v39, v35, v58
	v_add_f32_e32 v38, v30, v38
	v_mul_f32_e32 v30, v42, v57
	v_add_f32_e32 v34, v31, v34
	v_fma_f32 v31, v42, v56, -v36
	v_mul_f32_e32 v35, v43, v59
	v_add_f32_e32 v36, v29, v39
	v_dual_mul_f32 v39, v42, v59 :: v_dual_fmac_f32 v30, v43, v56
	s_delay_alu instid0(VALU_DEP_4) | instskip(NEXT) | instid1(VALU_DEP_4)
	v_add_f32_e32 v40, v32, v31
	v_fma_f32 v29, v42, v58, -v35
	s_wait_dscnt 0x0
	v_mul_f32_e32 v31, v45, v26
	v_fmac_f32_e32 v39, v43, v58
	v_add_f32_e32 v33, v33, v30
	v_add_f32_e32 v37, v37, v29
	v_mul_f32_e32 v42, v45, v28
	v_fma_f32 v41, v44, v25, -v31
	ds_load_2addr_b64 v[29:32], v22 offset0:96 offset1:112
	v_add_f32_e32 v39, v24, v39
	v_mul_f32_e32 v24, v44, v28
	v_mul_f32_e32 v35, v44, v26
	v_add_f32_e32 v3, v3, v41
	v_fma_f32 v41, v44, v27, -v42
	s_delay_alu instid0(VALU_DEP_4) | instskip(NEXT) | instid1(VALU_DEP_4)
	v_fmac_f32_e32 v24, v45, v27
	v_fmac_f32_e32 v35, v45, v25
	s_delay_alu instid0(VALU_DEP_3) | instskip(NEXT) | instid1(VALU_DEP_2)
	v_dual_add_f32 v34, v34, v41 :: v_dual_mul_f32 v41, v61, v28
	v_dual_mul_f32 v28, v60, v28 :: v_dual_add_f32 v35, v38, v35
	v_mul_f32_e32 v38, v61, v26
	v_mul_f32_e32 v26, v60, v26
	v_add_f32_e32 v42, v36, v24
	v_fma_f32 v24, v60, v27, -v41
	s_delay_alu instid0(VALU_DEP_4) | instskip(SKIP_2) | instid1(VALU_DEP_3)
	v_fma_f32 v38, v60, v25, -v38
	s_wait_dscnt 0x0
	v_dual_fmac_f32 v26, v61, v25 :: v_dual_mul_f32 v41, v47, v32
	v_add_f32_e32 v37, v37, v24
	s_delay_alu instid0(VALU_DEP_3) | instskip(NEXT) | instid1(VALU_DEP_3)
	v_dual_mul_f32 v45, v63, v32 :: v_dual_add_f32 v38, v40, v38
	v_add_f32_e32 v40, v33, v26
	v_mul_f32_e32 v33, v47, v30
	v_fma_f32 v41, v46, v31, -v41
	s_delay_alu instid0(VALU_DEP_2)
	v_fma_f32 v33, v46, v29, -v33
	v_fmac_f32_e32 v28, v61, v27
	ds_load_2addr_b64 v[24:27], v22 offset0:128 offset1:144
	v_add_f32_e32 v41, v34, v41
	v_dual_add_f32 v3, v3, v33 :: v_dual_mul_f32 v36, v46, v30
	v_add_f32_e32 v39, v39, v28
	v_dual_mul_f32 v28, v46, v32 :: v_dual_mul_f32 v33, v63, v30
	v_mul_f32_e32 v30, v62, v30
	v_mul_f32_e32 v32, v62, v32
	s_delay_alu instid0(VALU_DEP_3) | instskip(NEXT) | instid1(VALU_DEP_4)
	v_fmac_f32_e32 v28, v47, v31
	v_fma_f32 v44, v62, v29, -v33
	s_delay_alu instid0(VALU_DEP_4) | instskip(SKIP_1) | instid1(VALU_DEP_4)
	v_fmac_f32_e32 v30, v63, v29
	v_fmac_f32_e32 v36, v47, v29
	v_add_f32_e32 v42, v42, v28
	v_fma_f32 v28, v62, v31, -v45
	s_wait_dscnt 0x0
	v_mul_f32_e32 v47, v48, v25
	v_dual_mul_f32 v29, v49, v25 :: v_dual_mul_f32 v56, v48, v27
	s_delay_alu instid0(VALU_DEP_2)
	v_fmac_f32_e32 v47, v49, v24
	v_add_f32_e32 v45, v40, v30
	v_add_f32_e32 v43, v35, v36
	ds_load_b128 v[33:36], v23 offset:1056
	v_fmac_f32_e32 v32, v63, v31
	v_add_f32_e32 v46, v37, v28
	v_fma_f32 v37, v48, v24, -v29
	v_add_f32_e32 v44, v38, v44
	ds_load_2addr_b64 v[28:31], v22 offset0:160 offset1:176
	v_mul_f32_e32 v38, v49, v27
	v_add_f32_e32 v32, v39, v32
	v_add_f32_e32 v3, v3, v37
	;; [unrolled: 1-line block ×3, first 2 shown]
	s_delay_alu instid0(VALU_DEP_4)
	v_fma_f32 v48, v48, v26, -v38
	ds_load_b128 v[37:40], v23 offset:1072
	v_add_f32_e32 v41, v41, v48
	s_wait_dscnt 0x2
	v_mul_f32_e32 v57, v34, v25
	v_mul_f32_e32 v25, v33, v25
	v_fmac_f32_e32 v56, v49, v26
	v_mul_f32_e32 v48, v34, v27
	v_mul_f32_e32 v49, v33, v27
	v_fma_f32 v47, v33, v24, -v57
	v_fmac_f32_e32 v25, v34, v24
	s_wait_dscnt 0x1
	v_dual_add_f32 v42, v42, v56 :: v_dual_mul_f32 v27, v51, v29
	v_fma_f32 v24, v33, v26, -v48
	v_fmac_f32_e32 v49, v34, v26
	v_mul_f32_e32 v34, v50, v29
	v_dual_add_f32 v44, v44, v47 :: v_dual_add_f32 v33, v45, v25
	v_mul_f32_e32 v47, v51, v31
	s_delay_alu instid0(VALU_DEP_3)
	v_fmac_f32_e32 v34, v51, v28
	v_dual_add_f32 v45, v46, v24 :: v_dual_add_f32 v48, v32, v49
	v_fma_f32 v46, v50, v28, -v27
	ds_load_2addr_b64 v[24:27], v22 offset0:192 offset1:208
	v_dual_mul_f32 v32, v50, v31 :: v_dual_add_f32 v43, v43, v34
	v_dual_mul_f32 v34, v36, v29 :: v_dual_add_f32 v3, v3, v46
	v_fma_f32 v46, v50, v30, -v47
	v_mul_f32_e32 v29, v35, v29
	s_delay_alu instid0(VALU_DEP_3) | instskip(NEXT) | instid1(VALU_DEP_3)
	v_fma_f32 v34, v35, v28, -v34
	v_dual_add_f32 v41, v41, v46 :: v_dual_mul_f32 v46, v36, v31
	s_delay_alu instid0(VALU_DEP_3) | instskip(NEXT) | instid1(VALU_DEP_1)
	v_dual_fmac_f32 v32, v51, v30 :: v_dual_fmac_f32 v29, v36, v28
	v_dual_mul_f32 v31, v35, v31 :: v_dual_add_f32 v28, v42, v32
	s_delay_alu instid0(VALU_DEP_3) | instskip(NEXT) | instid1(VALU_DEP_3)
	v_fma_f32 v32, v35, v30, -v46
	v_dual_add_f32 v42, v44, v34 :: v_dual_add_f32 v29, v33, v29
	s_wait_dscnt 0x0
	v_mul_f32_e32 v46, v52, v27
	v_dual_mul_f32 v44, v53, v25 :: v_dual_fmac_f32 v31, v36, v30
	v_add_f32_e32 v30, v45, v32
	ds_load_2addr_b64 v[32:35], v22 offset0:224 offset1:240
	v_dual_mul_f32 v36, v52, v25 :: v_dual_mul_f32 v45, v53, v27
	v_fma_f32 v44, v52, v24, -v44
	v_dual_fmac_f32 v46, v53, v26 :: v_dual_add_f32 v31, v48, v31
	s_delay_alu instid0(VALU_DEP_3) | instskip(NEXT) | instid1(VALU_DEP_4)
	v_fmac_f32_e32 v36, v53, v24
	v_fma_f32 v45, v52, v26, -v45
	s_delay_alu instid0(VALU_DEP_4) | instskip(SKIP_2) | instid1(VALU_DEP_3)
	v_dual_add_f32 v3, v3, v44 :: v_dual_mul_f32 v44, v38, v25
	v_mul_f32_e32 v25, v37, v25
	s_wait_loadcnt_dscnt 0x0
	v_add_f32_e32 v41, v41, v45
	v_dual_add_f32 v45, v28, v46 :: v_dual_add_f32 v36, v43, v36
	v_fma_f32 v43, v37, v24, -v44
	v_mul_f32_e32 v44, v38, v27
	v_fmac_f32_e32 v25, v38, v24
	v_mul_f32_e32 v27, v37, v27
	s_barrier_signal -1
	v_add_f32_e32 v24, v42, v43
	v_fma_f32 v28, v37, v26, -v44
	v_mul_f32_e32 v37, v55, v33
	v_mul_f32_e32 v42, v54, v33
	v_add_f32_e32 v25, v29, v25
	v_fmac_f32_e32 v27, v38, v26
	v_add_f32_e32 v38, v30, v28
	v_fma_f32 v26, v54, v32, -v37
	v_fmac_f32_e32 v42, v55, v32
	v_mul_f32_e32 v28, v55, v35
	v_mul_f32_e32 v29, v54, v35
	v_add_f32_e32 v37, v31, v27
	v_add_f32_e32 v30, v3, v26
	;; [unrolled: 1-line block ×3, first 2 shown]
	v_fma_f32 v3, v54, v34, -v28
	v_dual_mul_f32 v26, v40, v33 :: v_dual_fmac_f32 v29, v55, v34
	s_barrier_wait -1
	global_inv scope:SCOPE_SE
	v_add_f32_e32 v28, v41, v3
	v_fma_f32 v3, v39, v32, -v26
	v_mul_f32_e32 v27, v39, v33
	v_mul_f32_e32 v33, v40, v35
	;; [unrolled: 1-line block ×3, first 2 shown]
	s_delay_alu instid0(VALU_DEP_4) | instskip(NEXT) | instid1(VALU_DEP_2)
	v_dual_add_f32 v29, v45, v29 :: v_dual_add_f32 v26, v24, v3
	v_fmac_f32_e32 v35, v40, v34
	v_fmac_f32_e32 v27, v40, v32
	v_fma_f32 v32, v39, v34, -v33
	s_delay_alu instid0(VALU_DEP_3) | instskip(NEXT) | instid1(VALU_DEP_3)
	v_add_f32_e32 v24, v37, v35
	v_add_f32_e32 v27, v25, v27
	s_delay_alu instid0(VALU_DEP_3)
	v_add_f32_e32 v25, v38, v32
	s_cbranch_scc0 .LBB92_19
.LBB92_11:                              ;   Parent Loop BB92_8 Depth=1
                                        ; =>  This Inner Loop Header: Depth=2
	s_wait_alu 0xfffe
	v_add_nc_u32_e32 v3, s0, v19
	s_delay_alu instid0(VALU_DEP_1) | instskip(SKIP_3) | instid1(SALU_CYCLE_1)
	v_cmp_le_i32_e32 vcc_lo, s5, v3
	s_or_b32 s1, s26, vcc_lo
	s_wait_alu 0xfffe
	s_and_saveexec_b32 s28, s1
	s_xor_b32 s1, exec_lo, s28
; %bb.12:                               ;   in Loop: Header=BB92_11 Depth=2
	v_mov_b32_e32 v3, v2
	ds_store_b64 v20, v[2:3]
; %bb.13:                               ;   in Loop: Header=BB92_11 Depth=2
	s_wait_alu 0xfffe
	s_and_not1_saveexec_b32 s1, s1
	s_cbranch_execz .LBB92_15
; %bb.14:                               ;   in Loop: Header=BB92_11 Depth=2
	global_load_b64 v[32:33], v[14:15], off
	s_wait_loadcnt 0x0
	ds_store_b64 v20, v[32:33]
.LBB92_15:                              ;   in Loop: Header=BB92_11 Depth=2
	s_wait_alu 0xfffe
	s_or_b32 exec_lo, exec_lo, s1
	v_add_nc_u32_e32 v3, s0, v18
	s_delay_alu instid0(VALU_DEP_1) | instskip(SKIP_3) | instid1(SALU_CYCLE_1)
	v_cmp_le_i32_e32 vcc_lo, s5, v3
	s_or_b32 s1, vcc_lo, s27
	s_wait_alu 0xfffe
	s_and_saveexec_b32 s28, s1
	s_xor_b32 s1, exec_lo, s28
; %bb.16:                               ;   in Loop: Header=BB92_11 Depth=2
	ds_store_b32 v21, v2
; %bb.17:                               ;   in Loop: Header=BB92_11 Depth=2
	s_wait_alu 0xfffe
	s_or_saveexec_b32 s1, s1
	v_mov_b32_e32 v3, 0
	s_wait_alu 0xfffe
	s_xor_b32 exec_lo, exec_lo, s1
	s_cbranch_execz .LBB92_10
; %bb.18:                               ;   in Loop: Header=BB92_11 Depth=2
	global_load_b64 v[32:33], v[16:17], off offset:-4
	s_wait_loadcnt 0x0
	v_xor_b32_e32 v3, 0x80000000, v33
	ds_store_b32 v21, v32
	s_branch .LBB92_10
.LBB92_19:                              ;   in Loop: Header=BB92_8 Depth=1
	s_mul_u64 s[0:1], s[24:25], s[22:23]
	s_wait_alu 0xfffe
	s_lshl_b64 s[0:1], s[0:1], 3
	s_wait_alu 0xfffe
	s_add_nc_u64 s[0:1], s[12:13], s[0:1]
	s_wait_alu 0xfffe
	v_add_co_u32 v3, vcc_lo, s0, v6
	s_wait_alu 0xfffd
	v_add_co_ci_u32_e64 v16, null, s1, v7, vcc_lo
	s_and_saveexec_b32 s28, s30
	s_cbranch_execz .LBB92_24
; %bb.20:                               ;   in Loop: Header=BB92_8 Depth=1
	v_mul_f32_e32 v15, s6, v31
	v_mul_f32_e32 v14, s7, v31
	s_and_b32 vcc_lo, exec_lo, s17
	s_mov_b32 s29, -1
	s_delay_alu instid0(VALU_DEP_2) | instskip(NEXT) | instid1(VALU_DEP_2)
	v_fmac_f32_e32 v15, s7, v30
	v_fma_f32 v14, v30, s6, -v14
	s_wait_alu 0xfffe
	s_cbranch_vccz .LBB92_22
; %bb.21:                               ;   in Loop: Header=BB92_8 Depth=1
	v_add_co_u32 v30, vcc_lo, v3, v10
	s_wait_alu 0xfffd
	v_add_co_ci_u32_e64 v31, null, v16, v11, vcc_lo
	s_mov_b32 s29, 0
	global_load_b64 v[32:33], v[30:31], off
	s_wait_loadcnt 0x0
	v_mul_f32_e32 v17, s21, v33
	v_mul_f32_e32 v33, s20, v33
	s_delay_alu instid0(VALU_DEP_2) | instskip(NEXT) | instid1(VALU_DEP_1)
	v_fma_f32 v17, v32, s20, -v17
	v_dual_fmac_f32 v33, s21, v32 :: v_dual_add_f32 v32, v14, v17
	s_delay_alu instid0(VALU_DEP_1)
	v_add_f32_e32 v33, v15, v33
	global_store_b64 v[30:31], v[32:33], off
.LBB92_22:                              ;   in Loop: Header=BB92_8 Depth=1
	s_and_not1_b32 vcc_lo, exec_lo, s29
	s_wait_alu 0xfffe
	s_cbranch_vccnz .LBB92_24
; %bb.23:                               ;   in Loop: Header=BB92_8 Depth=1
	v_add_co_u32 v30, vcc_lo, v3, v10
	s_wait_alu 0xfffd
	v_add_co_ci_u32_e64 v31, null, v16, v11, vcc_lo
	global_store_b64 v[30:31], v[14:15], off
.LBB92_24:                              ;   in Loop: Header=BB92_8 Depth=1
	s_or_b32 exec_lo, exec_lo, s28
	s_and_saveexec_b32 s28, s18
	s_cbranch_execz .LBB92_29
; %bb.25:                               ;   in Loop: Header=BB92_8 Depth=1
	v_mul_f32_e32 v15, s6, v29
	v_mul_f32_e32 v14, s7, v29
	s_and_not1_b32 vcc_lo, exec_lo, s17
	s_mov_b32 s29, -1
	s_delay_alu instid0(VALU_DEP_2) | instskip(NEXT) | instid1(VALU_DEP_2)
	v_fmac_f32_e32 v15, s7, v28
	v_fma_f32 v14, v28, s6, -v14
	s_wait_alu 0xfffe
	s_cbranch_vccnz .LBB92_27
; %bb.26:                               ;   in Loop: Header=BB92_8 Depth=1
	v_add_co_u32 v28, vcc_lo, v3, v12
	s_wait_alu 0xfffd
	v_add_co_ci_u32_e64 v29, null, v16, v13, vcc_lo
	s_mov_b32 s29, 0
	global_load_b64 v[30:31], v[28:29], off
	s_wait_loadcnt 0x0
	v_mul_f32_e32 v17, s21, v31
	s_delay_alu instid0(VALU_DEP_1) | instskip(SKIP_1) | instid1(VALU_DEP_1)
	v_fma_f32 v17, v30, s20, -v17
	v_mul_f32_e32 v31, s20, v31
	v_dual_fmac_f32 v31, s21, v30 :: v_dual_add_f32 v30, v14, v17
	s_delay_alu instid0(VALU_DEP_1)
	v_add_f32_e32 v31, v15, v31
	global_store_b64 v[28:29], v[30:31], off
.LBB92_27:                              ;   in Loop: Header=BB92_8 Depth=1
	s_and_not1_b32 vcc_lo, exec_lo, s29
	s_wait_alu 0xfffe
	s_cbranch_vccnz .LBB92_29
; %bb.28:                               ;   in Loop: Header=BB92_8 Depth=1
	v_add_co_u32 v28, vcc_lo, v3, v12
	s_wait_alu 0xfffd
	v_add_co_ci_u32_e64 v29, null, v16, v13, vcc_lo
	global_store_b64 v[28:29], v[14:15], off
.LBB92_29:                              ;   in Loop: Header=BB92_8 Depth=1
	s_or_b32 exec_lo, exec_lo, s28
	v_add_co_u32 v3, vcc_lo, s0, v8
	s_wait_alu 0xfffd
	v_add_co_ci_u32_e64 v16, null, s1, v9, vcc_lo
	s_and_saveexec_b32 s0, s4
	s_cbranch_execz .LBB92_34
; %bb.30:                               ;   in Loop: Header=BB92_8 Depth=1
	v_mul_f32_e32 v15, s6, v27
	v_mul_f32_e32 v14, s7, v27
	s_and_not1_b32 vcc_lo, exec_lo, s17
	s_mov_b32 s1, -1
	s_delay_alu instid0(VALU_DEP_2) | instskip(NEXT) | instid1(VALU_DEP_2)
	v_fmac_f32_e32 v15, s7, v26
	v_fma_f32 v14, v26, s6, -v14
	s_wait_alu 0xfffe
	s_cbranch_vccnz .LBB92_32
; %bb.31:                               ;   in Loop: Header=BB92_8 Depth=1
	v_add_co_u32 v26, vcc_lo, v3, v10
	s_wait_alu 0xfffd
	v_add_co_ci_u32_e64 v27, null, v16, v11, vcc_lo
	s_mov_b32 s1, 0
	global_load_b64 v[28:29], v[26:27], off
	s_wait_loadcnt 0x0
	v_mul_f32_e32 v17, s21, v29
	v_mul_f32_e32 v29, s20, v29
	s_delay_alu instid0(VALU_DEP_2) | instskip(NEXT) | instid1(VALU_DEP_1)
	v_fma_f32 v17, v28, s20, -v17
	v_dual_fmac_f32 v29, s21, v28 :: v_dual_add_f32 v28, v14, v17
	s_delay_alu instid0(VALU_DEP_1)
	v_add_f32_e32 v29, v15, v29
	global_store_b64 v[26:27], v[28:29], off
.LBB92_32:                              ;   in Loop: Header=BB92_8 Depth=1
	s_wait_alu 0xfffe
	s_and_not1_b32 vcc_lo, exec_lo, s1
	s_wait_alu 0xfffe
	s_cbranch_vccnz .LBB92_34
; %bb.33:                               ;   in Loop: Header=BB92_8 Depth=1
	v_add_co_u32 v26, vcc_lo, v3, v10
	s_wait_alu 0xfffd
	v_add_co_ci_u32_e64 v27, null, v16, v11, vcc_lo
	global_store_b64 v[26:27], v[14:15], off
.LBB92_34:                              ;   in Loop: Header=BB92_8 Depth=1
	s_wait_alu 0xfffe
	s_or_b32 exec_lo, exec_lo, s0
	s_and_saveexec_b32 s0, s31
	s_cbranch_execz .LBB92_7
; %bb.35:                               ;   in Loop: Header=BB92_8 Depth=1
	v_mul_f32_e32 v15, s6, v24
	v_mul_f32_e32 v14, s7, v24
	s_and_not1_b32 vcc_lo, exec_lo, s17
	s_mov_b32 s1, -1
	s_delay_alu instid0(VALU_DEP_2) | instskip(NEXT) | instid1(VALU_DEP_2)
	v_fmac_f32_e32 v15, s7, v25
	v_fma_f32 v14, v25, s6, -v14
	s_wait_alu 0xfffe
	s_cbranch_vccnz .LBB92_37
; %bb.36:                               ;   in Loop: Header=BB92_8 Depth=1
	v_add_co_u32 v24, vcc_lo, v3, v12
	s_wait_alu 0xfffd
	v_add_co_ci_u32_e64 v25, null, v16, v13, vcc_lo
	s_mov_b32 s1, 0
	global_load_b64 v[26:27], v[24:25], off
	s_wait_loadcnt 0x0
	v_mul_f32_e32 v17, s21, v27
	s_delay_alu instid0(VALU_DEP_1) | instskip(SKIP_1) | instid1(VALU_DEP_1)
	v_fma_f32 v17, v26, s20, -v17
	v_mul_f32_e32 v27, s20, v27
	v_dual_fmac_f32 v27, s21, v26 :: v_dual_add_f32 v26, v14, v17
	s_delay_alu instid0(VALU_DEP_1)
	v_add_f32_e32 v27, v15, v27
	global_store_b64 v[24:25], v[26:27], off
.LBB92_37:                              ;   in Loop: Header=BB92_8 Depth=1
	s_wait_alu 0xfffe
	s_and_not1_b32 vcc_lo, exec_lo, s1
	s_wait_alu 0xfffe
	s_cbranch_vccnz .LBB92_7
; %bb.38:                               ;   in Loop: Header=BB92_8 Depth=1
	v_add_co_u32 v24, vcc_lo, v3, v12
	s_wait_alu 0xfffd
	v_add_co_ci_u32_e64 v25, null, v16, v13, vcc_lo
	global_store_b64 v[24:25], v[14:15], off
	s_branch .LBB92_7
.LBB92_39:
	s_endpgm
	.section	.rodata,"a",@progbits
	.p2align	6, 0x0
	.amdhsa_kernel _ZL29rocblas_internal_gemmt_kernelIiLi16ELi32ELi8ELc78ELc67ELc85ELb0ELb1E19rocblas_complex_numIfES1_PKS1_PS1_EviT_T9_T10_S5_lS7_S5_lS6_T11_S5_li
		.amdhsa_group_segment_fixed_size 4096
		.amdhsa_private_segment_fixed_size 0
		.amdhsa_kernarg_size 100
		.amdhsa_user_sgpr_count 2
		.amdhsa_user_sgpr_dispatch_ptr 0
		.amdhsa_user_sgpr_queue_ptr 0
		.amdhsa_user_sgpr_kernarg_segment_ptr 1
		.amdhsa_user_sgpr_dispatch_id 0
		.amdhsa_user_sgpr_private_segment_size 0
		.amdhsa_wavefront_size32 1
		.amdhsa_uses_dynamic_stack 0
		.amdhsa_enable_private_segment 0
		.amdhsa_system_sgpr_workgroup_id_x 1
		.amdhsa_system_sgpr_workgroup_id_y 1
		.amdhsa_system_sgpr_workgroup_id_z 1
		.amdhsa_system_sgpr_workgroup_info 0
		.amdhsa_system_vgpr_workitem_id 1
		.amdhsa_next_free_vgpr 69
		.amdhsa_next_free_sgpr 38
		.amdhsa_reserve_vcc 1
		.amdhsa_float_round_mode_32 0
		.amdhsa_float_round_mode_16_64 0
		.amdhsa_float_denorm_mode_32 3
		.amdhsa_float_denorm_mode_16_64 3
		.amdhsa_fp16_overflow 0
		.amdhsa_workgroup_processor_mode 1
		.amdhsa_memory_ordered 1
		.amdhsa_forward_progress 1
		.amdhsa_inst_pref_size 25
		.amdhsa_round_robin_scheduling 0
		.amdhsa_exception_fp_ieee_invalid_op 0
		.amdhsa_exception_fp_denorm_src 0
		.amdhsa_exception_fp_ieee_div_zero 0
		.amdhsa_exception_fp_ieee_overflow 0
		.amdhsa_exception_fp_ieee_underflow 0
		.amdhsa_exception_fp_ieee_inexact 0
		.amdhsa_exception_int_div_zero 0
	.end_amdhsa_kernel
	.section	.text._ZL29rocblas_internal_gemmt_kernelIiLi16ELi32ELi8ELc78ELc67ELc85ELb0ELb1E19rocblas_complex_numIfES1_PKS1_PS1_EviT_T9_T10_S5_lS7_S5_lS6_T11_S5_li,"axG",@progbits,_ZL29rocblas_internal_gemmt_kernelIiLi16ELi32ELi8ELc78ELc67ELc85ELb0ELb1E19rocblas_complex_numIfES1_PKS1_PS1_EviT_T9_T10_S5_lS7_S5_lS6_T11_S5_li,comdat
.Lfunc_end92:
	.size	_ZL29rocblas_internal_gemmt_kernelIiLi16ELi32ELi8ELc78ELc67ELc85ELb0ELb1E19rocblas_complex_numIfES1_PKS1_PS1_EviT_T9_T10_S5_lS7_S5_lS6_T11_S5_li, .Lfunc_end92-_ZL29rocblas_internal_gemmt_kernelIiLi16ELi32ELi8ELc78ELc67ELc85ELb0ELb1E19rocblas_complex_numIfES1_PKS1_PS1_EviT_T9_T10_S5_lS7_S5_lS6_T11_S5_li
                                        ; -- End function
	.set _ZL29rocblas_internal_gemmt_kernelIiLi16ELi32ELi8ELc78ELc67ELc85ELb0ELb1E19rocblas_complex_numIfES1_PKS1_PS1_EviT_T9_T10_S5_lS7_S5_lS6_T11_S5_li.num_vgpr, 69
	.set _ZL29rocblas_internal_gemmt_kernelIiLi16ELi32ELi8ELc78ELc67ELc85ELb0ELb1E19rocblas_complex_numIfES1_PKS1_PS1_EviT_T9_T10_S5_lS7_S5_lS6_T11_S5_li.num_agpr, 0
	.set _ZL29rocblas_internal_gemmt_kernelIiLi16ELi32ELi8ELc78ELc67ELc85ELb0ELb1E19rocblas_complex_numIfES1_PKS1_PS1_EviT_T9_T10_S5_lS7_S5_lS6_T11_S5_li.numbered_sgpr, 38
	.set _ZL29rocblas_internal_gemmt_kernelIiLi16ELi32ELi8ELc78ELc67ELc85ELb0ELb1E19rocblas_complex_numIfES1_PKS1_PS1_EviT_T9_T10_S5_lS7_S5_lS6_T11_S5_li.num_named_barrier, 0
	.set _ZL29rocblas_internal_gemmt_kernelIiLi16ELi32ELi8ELc78ELc67ELc85ELb0ELb1E19rocblas_complex_numIfES1_PKS1_PS1_EviT_T9_T10_S5_lS7_S5_lS6_T11_S5_li.private_seg_size, 0
	.set _ZL29rocblas_internal_gemmt_kernelIiLi16ELi32ELi8ELc78ELc67ELc85ELb0ELb1E19rocblas_complex_numIfES1_PKS1_PS1_EviT_T9_T10_S5_lS7_S5_lS6_T11_S5_li.uses_vcc, 1
	.set _ZL29rocblas_internal_gemmt_kernelIiLi16ELi32ELi8ELc78ELc67ELc85ELb0ELb1E19rocblas_complex_numIfES1_PKS1_PS1_EviT_T9_T10_S5_lS7_S5_lS6_T11_S5_li.uses_flat_scratch, 0
	.set _ZL29rocblas_internal_gemmt_kernelIiLi16ELi32ELi8ELc78ELc67ELc85ELb0ELb1E19rocblas_complex_numIfES1_PKS1_PS1_EviT_T9_T10_S5_lS7_S5_lS6_T11_S5_li.has_dyn_sized_stack, 0
	.set _ZL29rocblas_internal_gemmt_kernelIiLi16ELi32ELi8ELc78ELc67ELc85ELb0ELb1E19rocblas_complex_numIfES1_PKS1_PS1_EviT_T9_T10_S5_lS7_S5_lS6_T11_S5_li.has_recursion, 0
	.set _ZL29rocblas_internal_gemmt_kernelIiLi16ELi32ELi8ELc78ELc67ELc85ELb0ELb1E19rocblas_complex_numIfES1_PKS1_PS1_EviT_T9_T10_S5_lS7_S5_lS6_T11_S5_li.has_indirect_call, 0
	.section	.AMDGPU.csdata,"",@progbits
; Kernel info:
; codeLenInByte = 3140
; TotalNumSgprs: 40
; NumVgprs: 69
; ScratchSize: 0
; MemoryBound: 1
; FloatMode: 240
; IeeeMode: 1
; LDSByteSize: 4096 bytes/workgroup (compile time only)
; SGPRBlocks: 0
; VGPRBlocks: 8
; NumSGPRsForWavesPerEU: 40
; NumVGPRsForWavesPerEU: 69
; Occupancy: 16
; WaveLimiterHint : 0
; COMPUTE_PGM_RSRC2:SCRATCH_EN: 0
; COMPUTE_PGM_RSRC2:USER_SGPR: 2
; COMPUTE_PGM_RSRC2:TRAP_HANDLER: 0
; COMPUTE_PGM_RSRC2:TGID_X_EN: 1
; COMPUTE_PGM_RSRC2:TGID_Y_EN: 1
; COMPUTE_PGM_RSRC2:TGID_Z_EN: 1
; COMPUTE_PGM_RSRC2:TIDIG_COMP_CNT: 1
	.section	.text._ZL29rocblas_internal_gemmt_kernelIiLi16ELi32ELi8ELc84ELc78ELc85ELb0ELb0E19rocblas_complex_numIfES1_PKS1_PS1_EviT_T9_T10_S5_lS7_S5_lS6_T11_S5_li,"axG",@progbits,_ZL29rocblas_internal_gemmt_kernelIiLi16ELi32ELi8ELc84ELc78ELc85ELb0ELb0E19rocblas_complex_numIfES1_PKS1_PS1_EviT_T9_T10_S5_lS7_S5_lS6_T11_S5_li,comdat
	.globl	_ZL29rocblas_internal_gemmt_kernelIiLi16ELi32ELi8ELc84ELc78ELc85ELb0ELb0E19rocblas_complex_numIfES1_PKS1_PS1_EviT_T9_T10_S5_lS7_S5_lS6_T11_S5_li ; -- Begin function _ZL29rocblas_internal_gemmt_kernelIiLi16ELi32ELi8ELc84ELc78ELc85ELb0ELb0E19rocblas_complex_numIfES1_PKS1_PS1_EviT_T9_T10_S5_lS7_S5_lS6_T11_S5_li
	.p2align	8
	.type	_ZL29rocblas_internal_gemmt_kernelIiLi16ELi32ELi8ELc84ELc78ELc85ELb0ELb0E19rocblas_complex_numIfES1_PKS1_PS1_EviT_T9_T10_S5_lS7_S5_lS6_T11_S5_li,@function
_ZL29rocblas_internal_gemmt_kernelIiLi16ELi32ELi8ELc84ELc78ELc85ELb0ELb0E19rocblas_complex_numIfES1_PKS1_PS1_EviT_T9_T10_S5_lS7_S5_lS6_T11_S5_li: ; @_ZL29rocblas_internal_gemmt_kernelIiLi16ELi32ELi8ELc84ELc78ELc85ELb0ELb0E19rocblas_complex_numIfES1_PKS1_PS1_EviT_T9_T10_S5_lS7_S5_lS6_T11_S5_li
; %bb.0:
	s_clause 0x1
	s_load_b64 s[20:21], s[0:1], 0x40
	s_load_b128 s[4:7], s[0:1], 0x0
	s_wait_kmcnt 0x0
	s_cmp_eq_f32 s20, 1.0
	s_cselect_b32 s2, -1, 0
	s_and_b32 s3, s21, 0x7fffffff
	s_delay_alu instid0(SALU_CYCLE_1) | instskip(SKIP_1) | instid1(SALU_CYCLE_1)
	s_cmp_eq_u32 s3, 0
	s_cselect_b32 s3, -1, 0
	s_and_b32 s8, s2, s3
	s_mov_b32 s2, 0
	s_and_not1_b32 vcc_lo, exec_lo, s8
	s_mov_b32 s8, -1
	s_cbranch_vccnz .LBB93_4
; %bb.1:
	s_cmp_lg_u32 s5, 0
	s_cbranch_scc0 .LBB93_3
; %bb.2:
	s_cmp_neq_f32 s6, 0
	s_cselect_b32 s2, -1, 0
	s_cmp_neq_f32 s7, 0
	s_cselect_b32 s8, -1, 0
	s_delay_alu instid0(SALU_CYCLE_1)
	s_or_b32 s2, s2, s8
.LBB93_3:
	s_delay_alu instid0(SALU_CYCLE_1)
	s_mov_b32 s8, s2
.LBB93_4:
	s_delay_alu instid0(SALU_CYCLE_1)
	s_and_b32 vcc_lo, exec_lo, s8
	s_cbranch_vccz .LBB93_39
; %bb.5:
	s_load_b32 s15, s[0:1], 0x60
	s_lshr_b32 s22, ttmp7, 16
	s_wait_kmcnt 0x0
	s_cmp_ge_u32 s22, s15
	s_cbranch_scc1 .LBB93_39
; %bb.6:
	v_and_b32_e32 v1, 0x3ff, v0
	v_bfe_u32 v2, v0, 10, 10
	v_and_b32_e32 v18, 7, v0
	s_lshl_b32 s2, ttmp7, 5
	s_clause 0x5
	s_load_b96 s[16:18], s[0:1], 0x10
	s_load_b128 s[8:11], s[0:1], 0x20
	s_load_b32 s29, s[0:1], 0x30
	s_load_b64 s[26:27], s[0:1], 0x38
	s_load_b96 s[12:14], s[0:1], 0x48
	s_load_b64 s[24:25], s[0:1], 0x58
	v_lshl_add_u32 v0, v2, 4, v1
	s_lshl_b32 s19, ttmp9, 5
	s_and_b32 s2, s2, 0x1fffe0
	s_cmp_neq_f32 s6, 0
	v_add_nc_u32_e32 v10, s19, v1
	v_lshrrev_b32_e32 v19, 5, v0
	v_lshrrev_b32_e32 v3, 3, v0
	v_and_b32_e32 v0, 31, v0
	s_cselect_b32 s28, -1, 0
	s_cmp_neq_f32 s7, 0
	v_add_nc_u32_e32 v12, 16, v10
	v_add_nc_u32_e32 v5, s2, v3
	v_or_b32_e32 v4, s19, v0
	v_lshlrev_b32_e32 v0, 3, v0
	s_cselect_b32 s0, -1, 0
	v_lshlrev_b32_e32 v14, 3, v18
	s_or_b32 s28, s28, s0
	s_cmp_gt_i32 s5, 0
	v_lshl_or_b32 v20, v19, 8, v0
	v_add_nc_u32_e32 v0, s2, v2
	s_cselect_b32 s30, -1, 0
	s_cmp_neq_f32 s20, 0
	v_lshlrev_b32_e32 v22, 3, v1
	v_lshl_add_u32 v23, v2, 6, 0x800
	v_cmp_gt_i32_e64 s1, s4, v0
	v_cmp_le_i32_e64 s2, v10, v0
	s_cselect_b32 s31, -1, 0
	s_wait_kmcnt 0x0
	v_mad_co_i64_i32 v[6:7], null, v0, s14, 0
	v_add_nc_u32_e32 v2, 16, v0
	s_and_b32 s19, s1, s2
	v_cmp_le_i32_e64 s2, v12, v0
	v_mad_co_i64_i32 v[0:1], null, s18, v4, 0
	v_lshl_or_b32 v3, v3, 6, v14
	v_cmp_gt_i32_e32 vcc_lo, s4, v4
	s_xor_b32 s33, s3, -1
	s_and_b32 s18, s1, s2
	v_cmp_gt_i32_e64 s1, s4, v2
	v_add_nc_u32_e32 v21, 0x800, v3
	v_mad_co_i64_i32 v[3:4], null, s29, v5, 0
	v_mad_co_i64_i32 v[8:9], null, v2, s14, 0
	v_cmp_le_i32_e64 s2, v10, v2
	v_cmp_le_i32_e64 s3, v12, v2
	v_lshlrev_b64_e32 v[1:2], 3, v[0:1]
	v_lshlrev_b32_e32 v15, 3, v19
	v_cmp_gt_i32_e64 s0, s4, v5
	s_and_b32 s4, s1, s2
	s_and_b32 s14, s1, s3
	v_lshlrev_b64_e32 v[4:5], 3, v[3:4]
	v_add_co_u32 v1, s1, v1, v15
	s_delay_alu instid0(VALU_DEP_1) | instskip(SKIP_1) | instid1(VALU_DEP_3)
	v_add_co_ci_u32_e64 v15, null, 0, v2, s1
	v_ashrrev_i32_e32 v11, 31, v10
	v_add_co_u32 v2, s1, s16, v1
	s_wait_alu 0xf1ff
	s_delay_alu instid0(VALU_DEP_3) | instskip(SKIP_4) | instid1(VALU_DEP_3)
	v_add_co_ci_u32_e64 v3, null, s17, v15, s1
	v_add_co_u32 v1, s1, v4, v14
	v_ashrrev_i32_e32 v13, 31, v12
	s_wait_alu 0xf1ff
	v_add_co_ci_u32_e64 v5, null, 0, v5, s1
	v_add_co_u32 v4, s1, s10, v1
	v_lshlrev_b64_e32 v[6:7], 3, v[6:7]
	v_lshlrev_b64_e32 v[8:9], 3, v[8:9]
	;; [unrolled: 1-line block ×4, first 2 shown]
	v_mov_b32_e32 v0, 0
	s_wait_alu 0xf1ff
	v_add_co_ci_u32_e64 v5, null, s11, v5, s1
	s_mov_b32 s23, 0
	s_lshl_b64 s[2:3], s[8:9], 3
	s_and_b32 s10, s28, s30
	s_or_b32 s11, s31, s33
	s_lshl_b64 s[8:9], s[26:27], 3
	s_xor_b32 s16, vcc_lo, -1
	s_xor_b32 s17, s0, -1
	s_branch .LBB93_8
.LBB93_7:                               ;   in Loop: Header=BB93_8 Depth=1
	s_wait_alu 0xfffe
	s_or_b32 exec_lo, exec_lo, s0
	s_add_co_i32 s22, s22, 0x10000
	s_wait_alu 0xfffe
	s_cmp_lt_u32 s22, s15
	s_cbranch_scc0 .LBB93_39
.LBB93_8:                               ; =>This Loop Header: Depth=1
                                        ;     Child Loop BB93_11 Depth 2
	v_dual_mov_b32 v30, v0 :: v_dual_mov_b32 v31, v0
	v_dual_mov_b32 v28, v0 :: v_dual_mov_b32 v29, v0
	;; [unrolled: 1-line block ×4, first 2 shown]
	s_wait_alu 0xfffe
	s_and_not1_b32 vcc_lo, exec_lo, s10
	s_wait_alu 0xfffe
	s_cbranch_vccnz .LBB93_19
; %bb.9:                                ;   in Loop: Header=BB93_8 Depth=1
	v_mad_co_u64_u32 v[14:15], null, s2, s22, v[2:3]
	v_mad_co_u64_u32 v[16:17], null, s8, s22, v[4:5]
	v_dual_mov_b32 v25, 0 :: v_dual_mov_b32 v28, 0
	v_mov_b32_e32 v27, 0
	v_mov_b32_e32 v29, 0
	v_dual_mov_b32 v1, v15 :: v_dual_mov_b32 v24, 0
	v_dual_mov_b32 v15, v17 :: v_dual_mov_b32 v26, 0
	s_mov_b32 s0, 0
	s_delay_alu instid0(VALU_DEP_2) | instskip(NEXT) | instid1(VALU_DEP_2)
	v_mad_co_u64_u32 v[30:31], null, s3, s22, v[1:2]
	v_mad_co_u64_u32 v[32:33], null, s9, s22, v[15:16]
	v_mov_b32_e32 v31, 0
	s_delay_alu instid0(VALU_DEP_3) | instskip(NEXT) | instid1(VALU_DEP_3)
	v_dual_mov_b32 v15, v30 :: v_dual_mov_b32 v30, 0
	v_mov_b32_e32 v17, v32
	s_branch .LBB93_11
.LBB93_10:                              ;   in Loop: Header=BB93_11 Depth=2
	s_wait_alu 0xfffe
	s_or_b32 exec_lo, exec_lo, s1
	s_wait_dscnt 0x0
	s_barrier_signal -1
	s_barrier_wait -1
	global_inv scope:SCOPE_SE
	ds_load_b128 v[32:35], v23
	ds_load_2addr_b64 v[36:39], v22 offset1:16
	ds_load_b128 v[40:43], v23 offset:1024
	ds_load_b128 v[44:47], v23 offset:16
	ds_load_b128 v[48:51], v23 offset:32
	ds_load_b128 v[52:55], v23 offset:48
	ds_load_2addr_b64 v[56:59], v22 offset0:32 offset1:48
	ds_load_b128 v[60:63], v23 offset:1040
	v_add_co_u32 v14, vcc_lo, v14, 64
	s_wait_alu 0xfffd
	v_add_co_ci_u32_e64 v15, null, 0, v15, vcc_lo
	v_add_co_u32 v16, vcc_lo, v16, 64
	s_wait_alu 0xfffd
	v_add_co_ci_u32_e64 v17, null, 0, v17, vcc_lo
	s_add_co_i32 s0, s0, 8
	s_wait_alu 0xfffe
	s_cmp_lt_i32 s0, s5
	s_wait_dscnt 0x6
	v_dual_mul_f32 v1, v33, v37 :: v_dual_mul_f32 v66, v32, v39
	v_dual_mul_f32 v64, v32, v37 :: v_dual_mul_f32 v65, v33, v39
	s_wait_dscnt 0x5
	v_mul_f32_e32 v68, v41, v39
	s_delay_alu instid0(VALU_DEP_3) | instskip(SKIP_3) | instid1(VALU_DEP_4)
	v_fma_f32 v1, v32, v36, -v1
	v_dual_mul_f32 v39, v40, v39 :: v_dual_fmac_f32 v66, v33, v38
	v_fmac_f32_e32 v64, v33, v36
	v_fma_f32 v32, v32, v38, -v65
	v_add_f32_e32 v1, v30, v1
	v_mul_f32_e32 v67, v41, v37
	s_delay_alu instid0(VALU_DEP_4) | instskip(NEXT) | instid1(VALU_DEP_4)
	v_dual_mul_f32 v37, v40, v37 :: v_dual_add_f32 v30, v31, v64
	v_add_f32_e32 v31, v28, v32
	v_fmac_f32_e32 v39, v41, v38
	s_delay_alu instid0(VALU_DEP_4) | instskip(NEXT) | instid1(VALU_DEP_4)
	v_fma_f32 v33, v40, v36, -v67
	v_fmac_f32_e32 v37, v41, v36
	v_fma_f32 v36, v40, v38, -v68
	s_wait_dscnt 0x1
	v_dual_mul_f32 v38, v34, v57 :: v_dual_add_f32 v29, v29, v66
	v_mul_f32_e32 v40, v35, v59
	v_add_f32_e32 v32, v26, v33
	v_dual_add_f32 v33, v27, v37 :: v_dual_add_f32 v36, v25, v36
	ds_load_2addr_b64 v[25:28], v22 offset0:64 offset1:80
	v_fmac_f32_e32 v38, v35, v56
	v_dual_mul_f32 v37, v35, v57 :: v_dual_add_f32 v24, v24, v39
	v_mul_f32_e32 v39, v34, v59
	s_delay_alu instid0(VALU_DEP_3) | instskip(NEXT) | instid1(VALU_DEP_3)
	v_add_f32_e32 v38, v30, v38
	v_fma_f32 v37, v34, v56, -v37
	v_fma_f32 v34, v34, v58, -v40
	v_mul_f32_e32 v30, v42, v57
	s_delay_alu instid0(VALU_DEP_3) | instskip(SKIP_1) | instid1(VALU_DEP_4)
	v_add_f32_e32 v1, v1, v37
	v_mul_f32_e32 v37, v43, v57
	v_add_f32_e32 v34, v31, v34
	v_fmac_f32_e32 v39, v35, v58
	v_mul_f32_e32 v35, v43, v59
	v_fmac_f32_e32 v30, v43, v56
	v_fma_f32 v31, v42, v56, -v37
	s_delay_alu instid0(VALU_DEP_4) | instskip(SKIP_4) | instid1(VALU_DEP_3)
	v_add_f32_e32 v37, v29, v39
	v_mul_f32_e32 v39, v42, v59
	v_fma_f32 v29, v42, v58, -v35
	s_wait_dscnt 0x0
	v_dual_add_f32 v40, v32, v31 :: v_dual_mul_f32 v31, v45, v26
	v_dual_mul_f32 v42, v45, v28 :: v_dual_fmac_f32 v39, v43, v58
	v_mul_f32_e32 v35, v44, v26
	v_add_f32_e32 v36, v36, v29
	s_delay_alu instid0(VALU_DEP_3) | instskip(SKIP_3) | instid1(VALU_DEP_3)
	v_add_f32_e32 v39, v24, v39
	v_mul_f32_e32 v24, v44, v28
	v_fma_f32 v41, v44, v25, -v31
	v_fmac_f32_e32 v35, v45, v25
	v_fmac_f32_e32 v24, v45, v27
	s_delay_alu instid0(VALU_DEP_3)
	v_add_f32_e32 v1, v1, v41
	v_fma_f32 v41, v44, v27, -v42
	v_add_f32_e32 v33, v33, v30
	ds_load_2addr_b64 v[29:32], v22 offset0:96 offset1:112
	v_dual_add_f32 v35, v38, v35 :: v_dual_mul_f32 v38, v61, v26
	v_mul_f32_e32 v26, v60, v26
	v_dual_add_f32 v34, v34, v41 :: v_dual_mul_f32 v41, v61, v28
	v_mul_f32_e32 v28, v60, v28
	s_delay_alu instid0(VALU_DEP_4) | instskip(NEXT) | instid1(VALU_DEP_4)
	v_fma_f32 v38, v60, v25, -v38
	v_fmac_f32_e32 v26, v61, v25
	v_add_f32_e32 v37, v37, v24
	v_fma_f32 v24, v60, v27, -v41
	v_fmac_f32_e32 v28, v61, v27
	v_add_f32_e32 v38, v40, v38
	s_delay_alu instid0(VALU_DEP_3) | instskip(SKIP_4) | instid1(VALU_DEP_2)
	v_dual_add_f32 v40, v33, v26 :: v_dual_add_f32 v41, v36, v24
	ds_load_2addr_b64 v[24:27], v22 offset0:128 offset1:144
	s_wait_dscnt 0x1
	v_mul_f32_e32 v33, v47, v30
	v_dual_mul_f32 v36, v46, v30 :: v_dual_mul_f32 v45, v63, v32
	v_fma_f32 v33, v46, v29, -v33
	v_mul_f32_e32 v42, v47, v32
	s_delay_alu instid0(VALU_DEP_3) | instskip(NEXT) | instid1(VALU_DEP_3)
	v_fmac_f32_e32 v36, v47, v29
	v_add_f32_e32 v1, v1, v33
	s_delay_alu instid0(VALU_DEP_3) | instskip(SKIP_3) | instid1(VALU_DEP_4)
	v_fma_f32 v42, v46, v31, -v42
	v_add_f32_e32 v39, v39, v28
	v_dual_mul_f32 v28, v46, v32 :: v_dual_mul_f32 v33, v63, v30
	v_dual_add_f32 v43, v35, v36 :: v_dual_mul_f32 v30, v62, v30
	v_add_f32_e32 v42, v34, v42
	s_delay_alu instid0(VALU_DEP_3) | instskip(NEXT) | instid1(VALU_DEP_4)
	v_fmac_f32_e32 v28, v47, v31
	v_fma_f32 v44, v62, v29, -v33
	ds_load_b128 v[33:36], v23 offset:1056
	v_fmac_f32_e32 v30, v63, v29
	s_wait_dscnt 0x1
	v_mul_f32_e32 v29, v49, v25
	v_add_f32_e32 v46, v37, v28
	v_dual_mul_f32 v32, v62, v32 :: v_dual_mul_f32 v47, v48, v25
	v_mul_f32_e32 v56, v48, v27
	s_delay_alu instid0(VALU_DEP_4)
	v_fma_f32 v37, v48, v24, -v29
	v_add_f32_e32 v44, v38, v44
	v_mul_f32_e32 v38, v49, v27
	v_fma_f32 v28, v62, v31, -v45
	v_dual_fmac_f32 v32, v63, v31 :: v_dual_fmac_f32 v47, v49, v24
	v_add_f32_e32 v1, v1, v37
	s_delay_alu instid0(VALU_DEP_4) | instskip(NEXT) | instid1(VALU_DEP_4)
	v_fma_f32 v48, v48, v26, -v38
	v_add_f32_e32 v41, v41, v28
	v_add_f32_e32 v45, v40, v30
	ds_load_2addr_b64 v[28:31], v22 offset0:160 offset1:176
	v_add_f32_e32 v32, v39, v32
	ds_load_b128 v[37:40], v23 offset:1072
	s_wait_dscnt 0x2
	v_mul_f32_e32 v57, v34, v25
	v_dual_mul_f32 v25, v33, v25 :: v_dual_add_f32 v42, v42, v48
	v_mul_f32_e32 v48, v34, v27
	v_dual_add_f32 v43, v43, v47 :: v_dual_fmac_f32 v56, v49, v26
	s_delay_alu instid0(VALU_DEP_4) | instskip(NEXT) | instid1(VALU_DEP_4)
	v_fma_f32 v47, v33, v24, -v57
	v_fmac_f32_e32 v25, v34, v24
	v_mul_f32_e32 v49, v33, v27
	s_delay_alu instid0(VALU_DEP_3) | instskip(SKIP_1) | instid1(VALU_DEP_3)
	v_add_f32_e32 v44, v44, v47
	v_add_f32_e32 v46, v46, v56
	v_fmac_f32_e32 v49, v34, v26
	s_wait_dscnt 0x1
	v_mul_f32_e32 v27, v51, v29
	v_fma_f32 v24, v33, v26, -v48
	v_add_f32_e32 v33, v45, v25
	v_mul_f32_e32 v34, v50, v29
	s_delay_alu instid0(VALU_DEP_4) | instskip(NEXT) | instid1(VALU_DEP_4)
	v_fma_f32 v45, v50, v28, -v27
	v_add_f32_e32 v41, v41, v24
	ds_load_2addr_b64 v[24:27], v22 offset0:192 offset1:208
	v_fmac_f32_e32 v34, v51, v28
	v_dual_mul_f32 v47, v51, v31 :: v_dual_add_f32 v48, v32, v49
	v_dual_add_f32 v1, v1, v45 :: v_dual_mul_f32 v32, v50, v31
	s_delay_alu instid0(VALU_DEP_3) | instskip(NEXT) | instid1(VALU_DEP_3)
	v_dual_add_f32 v43, v43, v34 :: v_dual_mul_f32 v34, v36, v29
	v_fma_f32 v45, v50, v30, -v47
	s_delay_alu instid0(VALU_DEP_3) | instskip(NEXT) | instid1(VALU_DEP_3)
	v_fmac_f32_e32 v32, v51, v30
	v_fma_f32 v34, v35, v28, -v34
	s_delay_alu instid0(VALU_DEP_3) | instskip(SKIP_1) | instid1(VALU_DEP_3)
	v_dual_add_f32 v42, v42, v45 :: v_dual_mul_f32 v45, v36, v31
	v_mul_f32_e32 v29, v35, v29
	v_dual_mul_f32 v31, v35, v31 :: v_dual_add_f32 v44, v44, v34
	s_delay_alu instid0(VALU_DEP_2) | instskip(SKIP_2) | instid1(VALU_DEP_4)
	v_fmac_f32_e32 v29, v36, v28
	v_add_f32_e32 v28, v46, v32
	v_fma_f32 v32, v35, v30, -v45
	v_fmac_f32_e32 v31, v36, v30
	s_wait_dscnt 0x0
	v_mul_f32_e32 v36, v52, v25
	v_dual_add_f32 v29, v33, v29 :: v_dual_mul_f32 v46, v52, v27
	v_add_f32_e32 v30, v41, v32
	ds_load_2addr_b64 v[32:35], v22 offset0:224 offset1:240
	v_dual_add_f32 v31, v48, v31 :: v_dual_fmac_f32 v36, v53, v24
	v_mul_f32_e32 v45, v53, v25
	v_fmac_f32_e32 v46, v53, v26
	s_wait_loadcnt_dscnt 0x0
	s_barrier_signal -1
	v_add_f32_e32 v36, v43, v36
	v_fma_f32 v41, v52, v24, -v45
	v_mul_f32_e32 v45, v53, v27
	v_mul_f32_e32 v43, v38, v27
	;; [unrolled: 1-line block ×3, first 2 shown]
	s_barrier_wait -1
	global_inv scope:SCOPE_SE
	v_fma_f32 v45, v52, v26, -v45
	v_fmac_f32_e32 v27, v38, v26
	s_delay_alu instid0(VALU_DEP_2) | instskip(SKIP_4) | instid1(VALU_DEP_1)
	v_dual_add_f32 v42, v42, v45 :: v_dual_add_f32 v45, v28, v46
	v_fma_f32 v28, v37, v26, -v43
	v_add_f32_e32 v1, v1, v41
	v_mul_f32_e32 v41, v38, v25
	v_mul_f32_e32 v25, v37, v25
	v_fmac_f32_e32 v25, v38, v24
	v_add_f32_e32 v38, v30, v28
	v_mul_f32_e32 v28, v55, v35
	v_fma_f32 v41, v37, v24, -v41
	v_mul_f32_e32 v37, v55, v33
	s_delay_alu instid0(VALU_DEP_2) | instskip(NEXT) | instid1(VALU_DEP_2)
	v_add_f32_e32 v24, v44, v41
	v_fma_f32 v26, v54, v32, -v37
	v_add_f32_e32 v25, v29, v25
	s_delay_alu instid0(VALU_DEP_2) | instskip(SKIP_1) | instid1(VALU_DEP_2)
	v_dual_mul_f32 v29, v54, v35 :: v_dual_add_f32 v30, v1, v26
	v_fma_f32 v1, v54, v34, -v28
	v_dual_mul_f32 v26, v40, v33 :: v_dual_fmac_f32 v29, v55, v34
	s_delay_alu instid0(VALU_DEP_2) | instskip(NEXT) | instid1(VALU_DEP_2)
	v_add_f32_e32 v28, v42, v1
	v_fma_f32 v1, v39, v32, -v26
	s_delay_alu instid0(VALU_DEP_3) | instskip(NEXT) | instid1(VALU_DEP_2)
	v_add_f32_e32 v29, v45, v29
	v_dual_add_f32 v26, v24, v1 :: v_dual_add_f32 v37, v31, v27
	v_mul_f32_e32 v41, v54, v33
	v_mul_f32_e32 v27, v39, v33
	;; [unrolled: 1-line block ×4, first 2 shown]
	s_delay_alu instid0(VALU_DEP_3) | instskip(NEXT) | instid1(VALU_DEP_2)
	v_fmac_f32_e32 v27, v40, v32
	v_fmac_f32_e32 v35, v40, v34
	s_delay_alu instid0(VALU_DEP_2) | instskip(NEXT) | instid1(VALU_DEP_2)
	v_add_f32_e32 v27, v25, v27
	v_dual_add_f32 v24, v37, v35 :: v_dual_fmac_f32 v41, v55, v32
	v_fma_f32 v32, v39, v34, -v33
	s_delay_alu instid0(VALU_DEP_2) | instskip(NEXT) | instid1(VALU_DEP_2)
	v_add_f32_e32 v31, v36, v41
	v_add_f32_e32 v25, v38, v32
	s_cbranch_scc0 .LBB93_19
.LBB93_11:                              ;   Parent Loop BB93_8 Depth=1
                                        ; =>  This Inner Loop Header: Depth=2
	s_wait_alu 0xfffe
	v_add_nc_u32_e32 v1, s0, v19
	s_delay_alu instid0(VALU_DEP_1) | instskip(SKIP_3) | instid1(SALU_CYCLE_1)
	v_cmp_le_i32_e32 vcc_lo, s5, v1
	s_or_b32 s1, s16, vcc_lo
	s_wait_alu 0xfffe
	s_and_saveexec_b32 s26, s1
	s_xor_b32 s1, exec_lo, s26
; %bb.12:                               ;   in Loop: Header=BB93_11 Depth=2
	v_mov_b32_e32 v1, v0
	ds_store_b64 v20, v[0:1]
; %bb.13:                               ;   in Loop: Header=BB93_11 Depth=2
	s_wait_alu 0xfffe
	s_and_not1_saveexec_b32 s1, s1
	s_cbranch_execz .LBB93_15
; %bb.14:                               ;   in Loop: Header=BB93_11 Depth=2
	global_load_b64 v[32:33], v[14:15], off
	s_wait_loadcnt 0x0
	ds_store_b64 v20, v[32:33]
.LBB93_15:                              ;   in Loop: Header=BB93_11 Depth=2
	s_wait_alu 0xfffe
	s_or_b32 exec_lo, exec_lo, s1
	v_add_nc_u32_e32 v1, s0, v18
	s_delay_alu instid0(VALU_DEP_1) | instskip(SKIP_3) | instid1(SALU_CYCLE_1)
	v_cmp_le_i32_e32 vcc_lo, s5, v1
	s_or_b32 s1, vcc_lo, s17
	s_wait_alu 0xfffe
	s_and_saveexec_b32 s26, s1
	s_xor_b32 s1, exec_lo, s26
; %bb.16:                               ;   in Loop: Header=BB93_11 Depth=2
	v_mov_b32_e32 v1, v0
	ds_store_b64 v21, v[0:1]
; %bb.17:                               ;   in Loop: Header=BB93_11 Depth=2
	s_wait_alu 0xfffe
	s_and_not1_saveexec_b32 s1, s1
	s_cbranch_execz .LBB93_10
; %bb.18:                               ;   in Loop: Header=BB93_11 Depth=2
	global_load_b64 v[32:33], v[16:17], off
	s_wait_loadcnt 0x0
	ds_store_b64 v21, v[32:33]
	s_branch .LBB93_10
.LBB93_19:                              ;   in Loop: Header=BB93_8 Depth=1
	s_mul_u64 s[0:1], s[24:25], s[22:23]
	s_wait_alu 0xfffe
	s_lshl_b64 s[0:1], s[0:1], 3
	s_wait_alu 0xfffe
	s_add_nc_u64 s[0:1], s[12:13], s[0:1]
	s_wait_alu 0xfffe
	v_add_co_u32 v1, vcc_lo, s0, v6
	s_wait_alu 0xfffd
	v_add_co_ci_u32_e64 v16, null, s1, v7, vcc_lo
	s_and_saveexec_b32 s26, s19
	s_cbranch_execz .LBB93_24
; %bb.20:                               ;   in Loop: Header=BB93_8 Depth=1
	v_mul_f32_e32 v15, s6, v31
	v_mul_f32_e32 v14, s7, v31
	s_and_b32 vcc_lo, exec_lo, s11
	s_mov_b32 s27, -1
	s_delay_alu instid0(VALU_DEP_2) | instskip(NEXT) | instid1(VALU_DEP_2)
	v_fmac_f32_e32 v15, s7, v30
	v_fma_f32 v14, v30, s6, -v14
	s_wait_alu 0xfffe
	s_cbranch_vccz .LBB93_22
; %bb.21:                               ;   in Loop: Header=BB93_8 Depth=1
	v_add_co_u32 v30, vcc_lo, v1, v10
	s_wait_alu 0xfffd
	v_add_co_ci_u32_e64 v31, null, v16, v11, vcc_lo
	s_mov_b32 s27, 0
	global_load_b64 v[32:33], v[30:31], off
	s_wait_loadcnt 0x0
	v_mul_f32_e32 v17, s21, v33
	v_mul_f32_e32 v33, s20, v33
	s_delay_alu instid0(VALU_DEP_2) | instskip(NEXT) | instid1(VALU_DEP_1)
	v_fma_f32 v17, v32, s20, -v17
	v_dual_fmac_f32 v33, s21, v32 :: v_dual_add_f32 v32, v14, v17
	s_delay_alu instid0(VALU_DEP_1)
	v_add_f32_e32 v33, v15, v33
	global_store_b64 v[30:31], v[32:33], off
.LBB93_22:                              ;   in Loop: Header=BB93_8 Depth=1
	s_and_not1_b32 vcc_lo, exec_lo, s27
	s_wait_alu 0xfffe
	s_cbranch_vccnz .LBB93_24
; %bb.23:                               ;   in Loop: Header=BB93_8 Depth=1
	v_add_co_u32 v30, vcc_lo, v1, v10
	s_wait_alu 0xfffd
	v_add_co_ci_u32_e64 v31, null, v16, v11, vcc_lo
	global_store_b64 v[30:31], v[14:15], off
.LBB93_24:                              ;   in Loop: Header=BB93_8 Depth=1
	s_or_b32 exec_lo, exec_lo, s26
	s_and_saveexec_b32 s26, s18
	s_cbranch_execz .LBB93_29
; %bb.25:                               ;   in Loop: Header=BB93_8 Depth=1
	v_mul_f32_e32 v15, s6, v29
	v_mul_f32_e32 v14, s7, v29
	s_and_not1_b32 vcc_lo, exec_lo, s11
	s_mov_b32 s27, -1
	s_delay_alu instid0(VALU_DEP_2) | instskip(NEXT) | instid1(VALU_DEP_2)
	v_fmac_f32_e32 v15, s7, v28
	v_fma_f32 v14, v28, s6, -v14
	s_wait_alu 0xfffe
	s_cbranch_vccnz .LBB93_27
; %bb.26:                               ;   in Loop: Header=BB93_8 Depth=1
	v_add_co_u32 v28, vcc_lo, v1, v12
	s_wait_alu 0xfffd
	v_add_co_ci_u32_e64 v29, null, v16, v13, vcc_lo
	s_mov_b32 s27, 0
	global_load_b64 v[30:31], v[28:29], off
	s_wait_loadcnt 0x0
	v_mul_f32_e32 v17, s21, v31
	s_delay_alu instid0(VALU_DEP_1) | instskip(SKIP_1) | instid1(VALU_DEP_1)
	v_fma_f32 v17, v30, s20, -v17
	v_mul_f32_e32 v31, s20, v31
	v_dual_fmac_f32 v31, s21, v30 :: v_dual_add_f32 v30, v14, v17
	s_delay_alu instid0(VALU_DEP_1)
	v_add_f32_e32 v31, v15, v31
	global_store_b64 v[28:29], v[30:31], off
.LBB93_27:                              ;   in Loop: Header=BB93_8 Depth=1
	s_and_not1_b32 vcc_lo, exec_lo, s27
	s_wait_alu 0xfffe
	s_cbranch_vccnz .LBB93_29
; %bb.28:                               ;   in Loop: Header=BB93_8 Depth=1
	v_add_co_u32 v28, vcc_lo, v1, v12
	s_wait_alu 0xfffd
	v_add_co_ci_u32_e64 v29, null, v16, v13, vcc_lo
	global_store_b64 v[28:29], v[14:15], off
.LBB93_29:                              ;   in Loop: Header=BB93_8 Depth=1
	s_or_b32 exec_lo, exec_lo, s26
	v_add_co_u32 v1, vcc_lo, s0, v8
	s_wait_alu 0xfffd
	v_add_co_ci_u32_e64 v16, null, s1, v9, vcc_lo
	s_and_saveexec_b32 s0, s4
	s_cbranch_execz .LBB93_34
; %bb.30:                               ;   in Loop: Header=BB93_8 Depth=1
	v_mul_f32_e32 v15, s6, v27
	v_mul_f32_e32 v14, s7, v27
	s_and_not1_b32 vcc_lo, exec_lo, s11
	s_mov_b32 s1, -1
	s_delay_alu instid0(VALU_DEP_2) | instskip(NEXT) | instid1(VALU_DEP_2)
	v_fmac_f32_e32 v15, s7, v26
	v_fma_f32 v14, v26, s6, -v14
	s_wait_alu 0xfffe
	s_cbranch_vccnz .LBB93_32
; %bb.31:                               ;   in Loop: Header=BB93_8 Depth=1
	v_add_co_u32 v26, vcc_lo, v1, v10
	s_wait_alu 0xfffd
	v_add_co_ci_u32_e64 v27, null, v16, v11, vcc_lo
	s_mov_b32 s1, 0
	global_load_b64 v[28:29], v[26:27], off
	s_wait_loadcnt 0x0
	v_mul_f32_e32 v17, s21, v29
	v_mul_f32_e32 v29, s20, v29
	s_delay_alu instid0(VALU_DEP_2) | instskip(NEXT) | instid1(VALU_DEP_1)
	v_fma_f32 v17, v28, s20, -v17
	v_dual_fmac_f32 v29, s21, v28 :: v_dual_add_f32 v28, v14, v17
	s_delay_alu instid0(VALU_DEP_1)
	v_add_f32_e32 v29, v15, v29
	global_store_b64 v[26:27], v[28:29], off
.LBB93_32:                              ;   in Loop: Header=BB93_8 Depth=1
	s_wait_alu 0xfffe
	s_and_not1_b32 vcc_lo, exec_lo, s1
	s_wait_alu 0xfffe
	s_cbranch_vccnz .LBB93_34
; %bb.33:                               ;   in Loop: Header=BB93_8 Depth=1
	v_add_co_u32 v26, vcc_lo, v1, v10
	s_wait_alu 0xfffd
	v_add_co_ci_u32_e64 v27, null, v16, v11, vcc_lo
	global_store_b64 v[26:27], v[14:15], off
.LBB93_34:                              ;   in Loop: Header=BB93_8 Depth=1
	s_wait_alu 0xfffe
	s_or_b32 exec_lo, exec_lo, s0
	s_and_saveexec_b32 s0, s14
	s_cbranch_execz .LBB93_7
; %bb.35:                               ;   in Loop: Header=BB93_8 Depth=1
	v_mul_f32_e32 v15, s6, v24
	v_mul_f32_e32 v14, s7, v24
	s_and_not1_b32 vcc_lo, exec_lo, s11
	s_mov_b32 s1, -1
	s_delay_alu instid0(VALU_DEP_2) | instskip(NEXT) | instid1(VALU_DEP_2)
	v_fmac_f32_e32 v15, s7, v25
	v_fma_f32 v14, v25, s6, -v14
	s_wait_alu 0xfffe
	s_cbranch_vccnz .LBB93_37
; %bb.36:                               ;   in Loop: Header=BB93_8 Depth=1
	v_add_co_u32 v24, vcc_lo, v1, v12
	s_wait_alu 0xfffd
	v_add_co_ci_u32_e64 v25, null, v16, v13, vcc_lo
	s_mov_b32 s1, 0
	global_load_b64 v[26:27], v[24:25], off
	s_wait_loadcnt 0x0
	v_mul_f32_e32 v17, s21, v27
	s_delay_alu instid0(VALU_DEP_1) | instskip(SKIP_1) | instid1(VALU_DEP_1)
	v_fma_f32 v17, v26, s20, -v17
	v_mul_f32_e32 v27, s20, v27
	v_dual_fmac_f32 v27, s21, v26 :: v_dual_add_f32 v26, v14, v17
	s_delay_alu instid0(VALU_DEP_1)
	v_add_f32_e32 v27, v15, v27
	global_store_b64 v[24:25], v[26:27], off
.LBB93_37:                              ;   in Loop: Header=BB93_8 Depth=1
	s_wait_alu 0xfffe
	s_and_not1_b32 vcc_lo, exec_lo, s1
	s_wait_alu 0xfffe
	s_cbranch_vccnz .LBB93_7
; %bb.38:                               ;   in Loop: Header=BB93_8 Depth=1
	v_add_co_u32 v24, vcc_lo, v1, v12
	s_wait_alu 0xfffd
	v_add_co_ci_u32_e64 v25, null, v16, v13, vcc_lo
	global_store_b64 v[24:25], v[14:15], off
	s_branch .LBB93_7
.LBB93_39:
	s_endpgm
	.section	.rodata,"a",@progbits
	.p2align	6, 0x0
	.amdhsa_kernel _ZL29rocblas_internal_gemmt_kernelIiLi16ELi32ELi8ELc84ELc78ELc85ELb0ELb0E19rocblas_complex_numIfES1_PKS1_PS1_EviT_T9_T10_S5_lS7_S5_lS6_T11_S5_li
		.amdhsa_group_segment_fixed_size 4096
		.amdhsa_private_segment_fixed_size 0
		.amdhsa_kernarg_size 100
		.amdhsa_user_sgpr_count 2
		.amdhsa_user_sgpr_dispatch_ptr 0
		.amdhsa_user_sgpr_queue_ptr 0
		.amdhsa_user_sgpr_kernarg_segment_ptr 1
		.amdhsa_user_sgpr_dispatch_id 0
		.amdhsa_user_sgpr_private_segment_size 0
		.amdhsa_wavefront_size32 1
		.amdhsa_uses_dynamic_stack 0
		.amdhsa_enable_private_segment 0
		.amdhsa_system_sgpr_workgroup_id_x 1
		.amdhsa_system_sgpr_workgroup_id_y 1
		.amdhsa_system_sgpr_workgroup_id_z 1
		.amdhsa_system_sgpr_workgroup_info 0
		.amdhsa_system_vgpr_workitem_id 1
		.amdhsa_next_free_vgpr 69
		.amdhsa_next_free_sgpr 34
		.amdhsa_reserve_vcc 1
		.amdhsa_float_round_mode_32 0
		.amdhsa_float_round_mode_16_64 0
		.amdhsa_float_denorm_mode_32 3
		.amdhsa_float_denorm_mode_16_64 3
		.amdhsa_fp16_overflow 0
		.amdhsa_workgroup_processor_mode 1
		.amdhsa_memory_ordered 1
		.amdhsa_forward_progress 1
		.amdhsa_inst_pref_size 25
		.amdhsa_round_robin_scheduling 0
		.amdhsa_exception_fp_ieee_invalid_op 0
		.amdhsa_exception_fp_denorm_src 0
		.amdhsa_exception_fp_ieee_div_zero 0
		.amdhsa_exception_fp_ieee_overflow 0
		.amdhsa_exception_fp_ieee_underflow 0
		.amdhsa_exception_fp_ieee_inexact 0
		.amdhsa_exception_int_div_zero 0
	.end_amdhsa_kernel
	.section	.text._ZL29rocblas_internal_gemmt_kernelIiLi16ELi32ELi8ELc84ELc78ELc85ELb0ELb0E19rocblas_complex_numIfES1_PKS1_PS1_EviT_T9_T10_S5_lS7_S5_lS6_T11_S5_li,"axG",@progbits,_ZL29rocblas_internal_gemmt_kernelIiLi16ELi32ELi8ELc84ELc78ELc85ELb0ELb0E19rocblas_complex_numIfES1_PKS1_PS1_EviT_T9_T10_S5_lS7_S5_lS6_T11_S5_li,comdat
.Lfunc_end93:
	.size	_ZL29rocblas_internal_gemmt_kernelIiLi16ELi32ELi8ELc84ELc78ELc85ELb0ELb0E19rocblas_complex_numIfES1_PKS1_PS1_EviT_T9_T10_S5_lS7_S5_lS6_T11_S5_li, .Lfunc_end93-_ZL29rocblas_internal_gemmt_kernelIiLi16ELi32ELi8ELc84ELc78ELc85ELb0ELb0E19rocblas_complex_numIfES1_PKS1_PS1_EviT_T9_T10_S5_lS7_S5_lS6_T11_S5_li
                                        ; -- End function
	.set _ZL29rocblas_internal_gemmt_kernelIiLi16ELi32ELi8ELc84ELc78ELc85ELb0ELb0E19rocblas_complex_numIfES1_PKS1_PS1_EviT_T9_T10_S5_lS7_S5_lS6_T11_S5_li.num_vgpr, 69
	.set _ZL29rocblas_internal_gemmt_kernelIiLi16ELi32ELi8ELc84ELc78ELc85ELb0ELb0E19rocblas_complex_numIfES1_PKS1_PS1_EviT_T9_T10_S5_lS7_S5_lS6_T11_S5_li.num_agpr, 0
	.set _ZL29rocblas_internal_gemmt_kernelIiLi16ELi32ELi8ELc84ELc78ELc85ELb0ELb0E19rocblas_complex_numIfES1_PKS1_PS1_EviT_T9_T10_S5_lS7_S5_lS6_T11_S5_li.numbered_sgpr, 34
	.set _ZL29rocblas_internal_gemmt_kernelIiLi16ELi32ELi8ELc84ELc78ELc85ELb0ELb0E19rocblas_complex_numIfES1_PKS1_PS1_EviT_T9_T10_S5_lS7_S5_lS6_T11_S5_li.num_named_barrier, 0
	.set _ZL29rocblas_internal_gemmt_kernelIiLi16ELi32ELi8ELc84ELc78ELc85ELb0ELb0E19rocblas_complex_numIfES1_PKS1_PS1_EviT_T9_T10_S5_lS7_S5_lS6_T11_S5_li.private_seg_size, 0
	.set _ZL29rocblas_internal_gemmt_kernelIiLi16ELi32ELi8ELc84ELc78ELc85ELb0ELb0E19rocblas_complex_numIfES1_PKS1_PS1_EviT_T9_T10_S5_lS7_S5_lS6_T11_S5_li.uses_vcc, 1
	.set _ZL29rocblas_internal_gemmt_kernelIiLi16ELi32ELi8ELc84ELc78ELc85ELb0ELb0E19rocblas_complex_numIfES1_PKS1_PS1_EviT_T9_T10_S5_lS7_S5_lS6_T11_S5_li.uses_flat_scratch, 0
	.set _ZL29rocblas_internal_gemmt_kernelIiLi16ELi32ELi8ELc84ELc78ELc85ELb0ELb0E19rocblas_complex_numIfES1_PKS1_PS1_EviT_T9_T10_S5_lS7_S5_lS6_T11_S5_li.has_dyn_sized_stack, 0
	.set _ZL29rocblas_internal_gemmt_kernelIiLi16ELi32ELi8ELc84ELc78ELc85ELb0ELb0E19rocblas_complex_numIfES1_PKS1_PS1_EviT_T9_T10_S5_lS7_S5_lS6_T11_S5_li.has_recursion, 0
	.set _ZL29rocblas_internal_gemmt_kernelIiLi16ELi32ELi8ELc84ELc78ELc85ELb0ELb0E19rocblas_complex_numIfES1_PKS1_PS1_EviT_T9_T10_S5_lS7_S5_lS6_T11_S5_li.has_indirect_call, 0
	.section	.AMDGPU.csdata,"",@progbits
; Kernel info:
; codeLenInByte = 3084
; TotalNumSgprs: 36
; NumVgprs: 69
; ScratchSize: 0
; MemoryBound: 1
; FloatMode: 240
; IeeeMode: 1
; LDSByteSize: 4096 bytes/workgroup (compile time only)
; SGPRBlocks: 0
; VGPRBlocks: 8
; NumSGPRsForWavesPerEU: 36
; NumVGPRsForWavesPerEU: 69
; Occupancy: 16
; WaveLimiterHint : 0
; COMPUTE_PGM_RSRC2:SCRATCH_EN: 0
; COMPUTE_PGM_RSRC2:USER_SGPR: 2
; COMPUTE_PGM_RSRC2:TRAP_HANDLER: 0
; COMPUTE_PGM_RSRC2:TGID_X_EN: 1
; COMPUTE_PGM_RSRC2:TGID_Y_EN: 1
; COMPUTE_PGM_RSRC2:TGID_Z_EN: 1
; COMPUTE_PGM_RSRC2:TIDIG_COMP_CNT: 1
	.section	.text._ZL29rocblas_internal_gemmt_kernelIiLi16ELi32ELi8ELc84ELc84ELc85ELb0ELb0E19rocblas_complex_numIfES1_PKS1_PS1_EviT_T9_T10_S5_lS7_S5_lS6_T11_S5_li,"axG",@progbits,_ZL29rocblas_internal_gemmt_kernelIiLi16ELi32ELi8ELc84ELc84ELc85ELb0ELb0E19rocblas_complex_numIfES1_PKS1_PS1_EviT_T9_T10_S5_lS7_S5_lS6_T11_S5_li,comdat
	.globl	_ZL29rocblas_internal_gemmt_kernelIiLi16ELi32ELi8ELc84ELc84ELc85ELb0ELb0E19rocblas_complex_numIfES1_PKS1_PS1_EviT_T9_T10_S5_lS7_S5_lS6_T11_S5_li ; -- Begin function _ZL29rocblas_internal_gemmt_kernelIiLi16ELi32ELi8ELc84ELc84ELc85ELb0ELb0E19rocblas_complex_numIfES1_PKS1_PS1_EviT_T9_T10_S5_lS7_S5_lS6_T11_S5_li
	.p2align	8
	.type	_ZL29rocblas_internal_gemmt_kernelIiLi16ELi32ELi8ELc84ELc84ELc85ELb0ELb0E19rocblas_complex_numIfES1_PKS1_PS1_EviT_T9_T10_S5_lS7_S5_lS6_T11_S5_li,@function
_ZL29rocblas_internal_gemmt_kernelIiLi16ELi32ELi8ELc84ELc84ELc85ELb0ELb0E19rocblas_complex_numIfES1_PKS1_PS1_EviT_T9_T10_S5_lS7_S5_lS6_T11_S5_li: ; @_ZL29rocblas_internal_gemmt_kernelIiLi16ELi32ELi8ELc84ELc84ELc85ELb0ELb0E19rocblas_complex_numIfES1_PKS1_PS1_EviT_T9_T10_S5_lS7_S5_lS6_T11_S5_li
; %bb.0:
	s_clause 0x1
	s_load_b64 s[20:21], s[0:1], 0x40
	s_load_b128 s[4:7], s[0:1], 0x0
	s_wait_kmcnt 0x0
	s_cmp_eq_f32 s20, 1.0
	s_cselect_b32 s2, -1, 0
	s_and_b32 s3, s21, 0x7fffffff
	s_delay_alu instid0(SALU_CYCLE_1) | instskip(SKIP_1) | instid1(SALU_CYCLE_1)
	s_cmp_eq_u32 s3, 0
	s_cselect_b32 s3, -1, 0
	s_and_b32 s8, s2, s3
	s_mov_b32 s2, 0
	s_and_not1_b32 vcc_lo, exec_lo, s8
	s_mov_b32 s8, -1
	s_cbranch_vccnz .LBB94_4
; %bb.1:
	s_cmp_lg_u32 s5, 0
	s_cbranch_scc0 .LBB94_3
; %bb.2:
	s_cmp_neq_f32 s6, 0
	s_cselect_b32 s2, -1, 0
	s_cmp_neq_f32 s7, 0
	s_cselect_b32 s8, -1, 0
	s_delay_alu instid0(SALU_CYCLE_1)
	s_or_b32 s2, s2, s8
.LBB94_3:
	s_delay_alu instid0(SALU_CYCLE_1)
	s_mov_b32 s8, s2
.LBB94_4:
	s_delay_alu instid0(SALU_CYCLE_1)
	s_and_b32 vcc_lo, exec_lo, s8
	s_cbranch_vccz .LBB94_39
; %bb.5:
	s_load_b32 s15, s[0:1], 0x60
	s_lshr_b32 s22, ttmp7, 16
	s_wait_kmcnt 0x0
	s_cmp_ge_u32 s22, s15
	s_cbranch_scc1 .LBB94_39
; %bb.6:
	s_load_b32 s26, s[0:1], 0x30
	v_and_b32_e32 v1, 0x3ff, v0
	v_bfe_u32 v2, v0, 10, 10
	s_clause 0x4
	s_load_b96 s[16:18], s[0:1], 0x10
	s_load_b128 s[8:11], s[0:1], 0x20
	s_load_b64 s[28:29], s[0:1], 0x38
	s_load_b96 s[12:14], s[0:1], 0x48
	s_load_b64 s[24:25], s[0:1], 0x58
	s_lshl_b32 s0, ttmp7, 5
	v_and_b32_e32 v18, 7, v0
	s_lshl_b32 s1, ttmp9, 5
	v_lshl_add_u32 v0, v2, 4, v1
	s_and_b32 s0, s0, 0x1fffe0
	v_add_nc_u32_e32 v10, s1, v1
	v_add_nc_u32_e32 v4, s0, v2
	v_lshlrev_b32_e32 v3, 3, v18
	v_and_b32_e32 v5, 31, v0
	v_lshrrev_b32_e32 v6, 3, v0
	v_lshrrev_b32_e32 v19, 5, v0
	v_add_nc_u32_e32 v12, 16, v10
	v_lshlrev_b32_e32 v22, 3, v1
	v_or_b32_e32 v0, s1, v5
	v_cmp_gt_i32_e64 s1, s4, v4
	v_lshl_or_b32 v3, v6, 6, v3
	s_wait_kmcnt 0x0
	s_ashr_i32 s27, s26, 31
	s_cmp_neq_f32 s6, 0
	v_cmp_gt_i32_e32 vcc_lo, s4, v0
	v_mad_co_i64_i32 v[0:1], null, s18, v0, 0
	s_cselect_b32 s2, -1, 0
	s_cmp_neq_f32 s7, 0
	v_lshl_add_u32 v23, v2, 6, 0x800
	v_add_nc_u32_e32 v2, 16, v4
	v_lshlrev_b32_e32 v5, 3, v5
	s_cselect_b32 s19, -1, 0
	v_add_nc_u32_e32 v14, s0, v6
	s_wait_alu 0xfffe
	s_or_b32 s30, s2, s19
	s_cmp_gt_i32 s5, 0
	v_cmp_le_i32_e64 s2, v10, v4
	s_cselect_b32 s31, -1, 0
	s_cmp_neq_f32 s20, 0
	v_add_nc_u32_e32 v21, 0x800, v3
	v_mad_co_i64_i32 v[6:7], null, v4, s14, 0
	s_cselect_b32 s33, -1, 0
	s_and_b32 s19, s1, s2
	v_cmp_le_i32_e64 s2, v12, v4
	v_mad_co_i64_i32 v[3:4], null, s26, v18, 0
	s_xor_b32 s34, s3, -1
	v_mad_co_i64_i32 v[8:9], null, v2, s14, 0
	s_and_b32 s18, s1, s2
	v_cmp_gt_i32_e64 s1, s4, v2
	v_cmp_le_i32_e64 s2, v10, v2
	v_cmp_le_i32_e64 s3, v12, v2
	v_lshlrev_b64_e32 v[1:2], 3, v[0:1]
	v_lshl_or_b32 v20, v19, 8, v5
	v_lshlrev_b32_e32 v5, 3, v19
	v_cmp_gt_i32_e64 s0, s4, v14
	s_and_b32 s4, s1, s2
	s_and_b32 s14, s1, s3
	v_lshlrev_b32_e32 v14, 3, v14
	v_add_co_u32 v1, s1, v1, v5
	v_lshlrev_b64_e32 v[4:5], 3, v[3:4]
	s_wait_alu 0xf1ff
	v_add_co_ci_u32_e64 v15, null, 0, v2, s1
	s_delay_alu instid0(VALU_DEP_3) | instskip(SKIP_2) | instid1(VALU_DEP_3)
	v_add_co_u32 v2, s1, s16, v1
	v_ashrrev_i32_e32 v11, 31, v10
	s_wait_alu 0xf1ff
	v_add_co_ci_u32_e64 v3, null, s17, v15, s1
	v_add_co_u32 v1, s1, v4, v14
	v_ashrrev_i32_e32 v13, 31, v12
	s_wait_alu 0xf1ff
	v_add_co_ci_u32_e64 v5, null, 0, v5, s1
	s_delay_alu instid0(VALU_DEP_3)
	v_add_co_u32 v4, s1, s10, v1
	v_lshlrev_b64_e32 v[6:7], 3, v[6:7]
	v_lshlrev_b64_e32 v[8:9], 3, v[8:9]
	;; [unrolled: 1-line block ×4, first 2 shown]
	v_mov_b32_e32 v0, 0
	s_wait_alu 0xf1ff
	v_add_co_ci_u32_e64 v5, null, s11, v5, s1
	s_mov_b32 s23, 0
	s_lshl_b64 s[2:3], s[8:9], 3
	s_lshl_b64 s[8:9], s[28:29], 3
	s_and_b32 s16, s30, s31
	s_or_b32 s17, s33, s34
	s_lshl_b64 s[10:11], s[26:27], 6
	s_xor_b32 s26, vcc_lo, -1
	s_xor_b32 s27, s0, -1
	s_branch .LBB94_8
.LBB94_7:                               ;   in Loop: Header=BB94_8 Depth=1
	s_wait_alu 0xfffe
	s_or_b32 exec_lo, exec_lo, s0
	s_add_co_i32 s22, s22, 0x10000
	s_wait_alu 0xfffe
	s_cmp_lt_u32 s22, s15
	s_cbranch_scc0 .LBB94_39
.LBB94_8:                               ; =>This Loop Header: Depth=1
                                        ;     Child Loop BB94_11 Depth 2
	v_dual_mov_b32 v30, v0 :: v_dual_mov_b32 v31, v0
	v_dual_mov_b32 v28, v0 :: v_dual_mov_b32 v29, v0
	;; [unrolled: 1-line block ×4, first 2 shown]
	s_wait_alu 0xfffe
	s_and_not1_b32 vcc_lo, exec_lo, s16
	s_wait_alu 0xfffe
	s_cbranch_vccnz .LBB94_19
; %bb.9:                                ;   in Loop: Header=BB94_8 Depth=1
	v_mad_co_u64_u32 v[14:15], null, s2, s22, v[2:3]
	v_mad_co_u64_u32 v[16:17], null, s8, s22, v[4:5]
	v_dual_mov_b32 v25, 0 :: v_dual_mov_b32 v28, 0
	v_mov_b32_e32 v27, 0
	v_mov_b32_e32 v29, 0
	v_dual_mov_b32 v1, v15 :: v_dual_mov_b32 v24, 0
	v_dual_mov_b32 v15, v17 :: v_dual_mov_b32 v26, 0
	s_mov_b32 s0, 0
	s_delay_alu instid0(VALU_DEP_2) | instskip(NEXT) | instid1(VALU_DEP_2)
	v_mad_co_u64_u32 v[30:31], null, s3, s22, v[1:2]
	v_mad_co_u64_u32 v[32:33], null, s9, s22, v[15:16]
	v_mov_b32_e32 v31, 0
	s_delay_alu instid0(VALU_DEP_3) | instskip(NEXT) | instid1(VALU_DEP_3)
	v_dual_mov_b32 v15, v30 :: v_dual_mov_b32 v30, 0
	v_mov_b32_e32 v17, v32
	s_branch .LBB94_11
.LBB94_10:                              ;   in Loop: Header=BB94_11 Depth=2
	s_wait_alu 0xfffe
	s_or_b32 exec_lo, exec_lo, s1
	s_wait_dscnt 0x0
	s_barrier_signal -1
	s_barrier_wait -1
	global_inv scope:SCOPE_SE
	ds_load_b128 v[32:35], v23
	ds_load_2addr_b64 v[36:39], v22 offset1:16
	ds_load_b128 v[40:43], v23 offset:1024
	ds_load_b128 v[44:47], v23 offset:16
	;; [unrolled: 1-line block ×4, first 2 shown]
	ds_load_2addr_b64 v[56:59], v22 offset0:32 offset1:48
	ds_load_b128 v[60:63], v23 offset:1040
	v_add_co_u32 v14, vcc_lo, v14, 64
	s_wait_alu 0xfffd
	v_add_co_ci_u32_e64 v15, null, 0, v15, vcc_lo
	v_add_co_u32 v16, vcc_lo, v16, s10
	s_wait_alu 0xfffd
	v_add_co_ci_u32_e64 v17, null, s11, v17, vcc_lo
	s_add_co_i32 s0, s0, 8
	s_wait_alu 0xfffe
	s_cmp_lt_i32 s0, s5
	s_wait_dscnt 0x6
	v_dual_mul_f32 v1, v33, v37 :: v_dual_mul_f32 v66, v32, v39
	v_dual_mul_f32 v64, v32, v37 :: v_dual_mul_f32 v65, v33, v39
	s_wait_dscnt 0x5
	v_mul_f32_e32 v68, v41, v39
	s_delay_alu instid0(VALU_DEP_3) | instskip(SKIP_3) | instid1(VALU_DEP_4)
	v_fma_f32 v1, v32, v36, -v1
	v_dual_mul_f32 v39, v40, v39 :: v_dual_fmac_f32 v66, v33, v38
	v_fmac_f32_e32 v64, v33, v36
	v_fma_f32 v32, v32, v38, -v65
	v_add_f32_e32 v1, v30, v1
	v_mul_f32_e32 v67, v41, v37
	s_delay_alu instid0(VALU_DEP_4) | instskip(NEXT) | instid1(VALU_DEP_4)
	v_dual_mul_f32 v37, v40, v37 :: v_dual_add_f32 v30, v31, v64
	v_add_f32_e32 v31, v28, v32
	v_fmac_f32_e32 v39, v41, v38
	s_delay_alu instid0(VALU_DEP_4) | instskip(NEXT) | instid1(VALU_DEP_4)
	v_fma_f32 v33, v40, v36, -v67
	v_fmac_f32_e32 v37, v41, v36
	v_fma_f32 v36, v40, v38, -v68
	s_wait_dscnt 0x1
	v_dual_mul_f32 v38, v34, v57 :: v_dual_add_f32 v29, v29, v66
	v_mul_f32_e32 v40, v35, v59
	v_add_f32_e32 v32, v26, v33
	v_dual_add_f32 v33, v27, v37 :: v_dual_add_f32 v36, v25, v36
	ds_load_2addr_b64 v[25:28], v22 offset0:64 offset1:80
	v_fmac_f32_e32 v38, v35, v56
	v_dual_mul_f32 v37, v35, v57 :: v_dual_add_f32 v24, v24, v39
	v_mul_f32_e32 v39, v34, v59
	s_delay_alu instid0(VALU_DEP_3) | instskip(NEXT) | instid1(VALU_DEP_3)
	v_add_f32_e32 v38, v30, v38
	v_fma_f32 v37, v34, v56, -v37
	v_fma_f32 v34, v34, v58, -v40
	v_mul_f32_e32 v30, v42, v57
	s_delay_alu instid0(VALU_DEP_3) | instskip(SKIP_1) | instid1(VALU_DEP_4)
	v_add_f32_e32 v1, v1, v37
	v_mul_f32_e32 v37, v43, v57
	v_add_f32_e32 v34, v31, v34
	v_fmac_f32_e32 v39, v35, v58
	v_mul_f32_e32 v35, v43, v59
	v_fmac_f32_e32 v30, v43, v56
	v_fma_f32 v31, v42, v56, -v37
	s_delay_alu instid0(VALU_DEP_4) | instskip(SKIP_4) | instid1(VALU_DEP_3)
	v_add_f32_e32 v37, v29, v39
	v_mul_f32_e32 v39, v42, v59
	v_fma_f32 v29, v42, v58, -v35
	s_wait_dscnt 0x0
	v_dual_add_f32 v40, v32, v31 :: v_dual_mul_f32 v31, v45, v26
	v_dual_mul_f32 v42, v45, v28 :: v_dual_fmac_f32 v39, v43, v58
	v_mul_f32_e32 v35, v44, v26
	v_add_f32_e32 v36, v36, v29
	s_delay_alu instid0(VALU_DEP_3) | instskip(SKIP_3) | instid1(VALU_DEP_3)
	v_add_f32_e32 v39, v24, v39
	v_mul_f32_e32 v24, v44, v28
	v_fma_f32 v41, v44, v25, -v31
	v_fmac_f32_e32 v35, v45, v25
	v_fmac_f32_e32 v24, v45, v27
	s_delay_alu instid0(VALU_DEP_3)
	v_add_f32_e32 v1, v1, v41
	v_fma_f32 v41, v44, v27, -v42
	v_add_f32_e32 v33, v33, v30
	ds_load_2addr_b64 v[29:32], v22 offset0:96 offset1:112
	v_dual_add_f32 v35, v38, v35 :: v_dual_mul_f32 v38, v61, v26
	v_mul_f32_e32 v26, v60, v26
	v_dual_add_f32 v34, v34, v41 :: v_dual_mul_f32 v41, v61, v28
	v_mul_f32_e32 v28, v60, v28
	s_delay_alu instid0(VALU_DEP_4) | instskip(NEXT) | instid1(VALU_DEP_4)
	v_fma_f32 v38, v60, v25, -v38
	v_fmac_f32_e32 v26, v61, v25
	v_add_f32_e32 v37, v37, v24
	v_fma_f32 v24, v60, v27, -v41
	v_fmac_f32_e32 v28, v61, v27
	v_add_f32_e32 v38, v40, v38
	s_delay_alu instid0(VALU_DEP_3) | instskip(SKIP_4) | instid1(VALU_DEP_2)
	v_dual_add_f32 v40, v33, v26 :: v_dual_add_f32 v41, v36, v24
	ds_load_2addr_b64 v[24:27], v22 offset0:128 offset1:144
	s_wait_dscnt 0x1
	v_mul_f32_e32 v33, v47, v30
	v_dual_mul_f32 v36, v46, v30 :: v_dual_mul_f32 v45, v63, v32
	v_fma_f32 v33, v46, v29, -v33
	v_mul_f32_e32 v42, v47, v32
	s_delay_alu instid0(VALU_DEP_3) | instskip(NEXT) | instid1(VALU_DEP_3)
	v_fmac_f32_e32 v36, v47, v29
	v_add_f32_e32 v1, v1, v33
	s_delay_alu instid0(VALU_DEP_3) | instskip(SKIP_3) | instid1(VALU_DEP_4)
	v_fma_f32 v42, v46, v31, -v42
	v_add_f32_e32 v39, v39, v28
	v_dual_mul_f32 v28, v46, v32 :: v_dual_mul_f32 v33, v63, v30
	v_dual_add_f32 v43, v35, v36 :: v_dual_mul_f32 v30, v62, v30
	v_add_f32_e32 v42, v34, v42
	s_delay_alu instid0(VALU_DEP_3) | instskip(NEXT) | instid1(VALU_DEP_4)
	v_fmac_f32_e32 v28, v47, v31
	v_fma_f32 v44, v62, v29, -v33
	ds_load_b128 v[33:36], v23 offset:1056
	v_fmac_f32_e32 v30, v63, v29
	s_wait_dscnt 0x1
	v_mul_f32_e32 v29, v49, v25
	v_add_f32_e32 v46, v37, v28
	v_dual_mul_f32 v32, v62, v32 :: v_dual_mul_f32 v47, v48, v25
	v_mul_f32_e32 v56, v48, v27
	s_delay_alu instid0(VALU_DEP_4)
	v_fma_f32 v37, v48, v24, -v29
	v_add_f32_e32 v44, v38, v44
	v_mul_f32_e32 v38, v49, v27
	v_fma_f32 v28, v62, v31, -v45
	v_dual_fmac_f32 v32, v63, v31 :: v_dual_fmac_f32 v47, v49, v24
	v_add_f32_e32 v1, v1, v37
	s_delay_alu instid0(VALU_DEP_4) | instskip(NEXT) | instid1(VALU_DEP_4)
	v_fma_f32 v48, v48, v26, -v38
	v_add_f32_e32 v41, v41, v28
	v_add_f32_e32 v45, v40, v30
	ds_load_2addr_b64 v[28:31], v22 offset0:160 offset1:176
	v_add_f32_e32 v32, v39, v32
	ds_load_b128 v[37:40], v23 offset:1072
	s_wait_dscnt 0x2
	v_mul_f32_e32 v57, v34, v25
	v_dual_mul_f32 v25, v33, v25 :: v_dual_add_f32 v42, v42, v48
	v_mul_f32_e32 v48, v34, v27
	v_dual_add_f32 v43, v43, v47 :: v_dual_fmac_f32 v56, v49, v26
	s_delay_alu instid0(VALU_DEP_4) | instskip(NEXT) | instid1(VALU_DEP_4)
	v_fma_f32 v47, v33, v24, -v57
	v_fmac_f32_e32 v25, v34, v24
	v_mul_f32_e32 v49, v33, v27
	s_delay_alu instid0(VALU_DEP_3) | instskip(SKIP_1) | instid1(VALU_DEP_3)
	v_add_f32_e32 v44, v44, v47
	v_add_f32_e32 v46, v46, v56
	v_fmac_f32_e32 v49, v34, v26
	s_wait_dscnt 0x1
	v_mul_f32_e32 v27, v51, v29
	v_fma_f32 v24, v33, v26, -v48
	v_add_f32_e32 v33, v45, v25
	v_mul_f32_e32 v34, v50, v29
	s_delay_alu instid0(VALU_DEP_4) | instskip(NEXT) | instid1(VALU_DEP_4)
	v_fma_f32 v45, v50, v28, -v27
	v_add_f32_e32 v41, v41, v24
	ds_load_2addr_b64 v[24:27], v22 offset0:192 offset1:208
	v_fmac_f32_e32 v34, v51, v28
	v_dual_mul_f32 v47, v51, v31 :: v_dual_add_f32 v48, v32, v49
	v_dual_add_f32 v1, v1, v45 :: v_dual_mul_f32 v32, v50, v31
	s_delay_alu instid0(VALU_DEP_3) | instskip(NEXT) | instid1(VALU_DEP_3)
	v_dual_add_f32 v43, v43, v34 :: v_dual_mul_f32 v34, v36, v29
	v_fma_f32 v45, v50, v30, -v47
	s_delay_alu instid0(VALU_DEP_3) | instskip(NEXT) | instid1(VALU_DEP_3)
	v_fmac_f32_e32 v32, v51, v30
	v_fma_f32 v34, v35, v28, -v34
	s_delay_alu instid0(VALU_DEP_3) | instskip(SKIP_1) | instid1(VALU_DEP_3)
	v_dual_add_f32 v42, v42, v45 :: v_dual_mul_f32 v45, v36, v31
	v_mul_f32_e32 v29, v35, v29
	v_dual_mul_f32 v31, v35, v31 :: v_dual_add_f32 v44, v44, v34
	s_delay_alu instid0(VALU_DEP_2) | instskip(SKIP_2) | instid1(VALU_DEP_4)
	v_fmac_f32_e32 v29, v36, v28
	v_add_f32_e32 v28, v46, v32
	v_fma_f32 v32, v35, v30, -v45
	v_fmac_f32_e32 v31, v36, v30
	s_wait_dscnt 0x0
	v_mul_f32_e32 v36, v52, v25
	v_dual_add_f32 v29, v33, v29 :: v_dual_mul_f32 v46, v52, v27
	v_add_f32_e32 v30, v41, v32
	ds_load_2addr_b64 v[32:35], v22 offset0:224 offset1:240
	v_dual_add_f32 v31, v48, v31 :: v_dual_fmac_f32 v36, v53, v24
	v_mul_f32_e32 v45, v53, v25
	v_fmac_f32_e32 v46, v53, v26
	s_wait_loadcnt_dscnt 0x0
	s_barrier_signal -1
	v_add_f32_e32 v36, v43, v36
	v_fma_f32 v41, v52, v24, -v45
	v_mul_f32_e32 v45, v53, v27
	v_mul_f32_e32 v43, v38, v27
	;; [unrolled: 1-line block ×3, first 2 shown]
	s_barrier_wait -1
	global_inv scope:SCOPE_SE
	v_fma_f32 v45, v52, v26, -v45
	v_fmac_f32_e32 v27, v38, v26
	s_delay_alu instid0(VALU_DEP_2) | instskip(SKIP_4) | instid1(VALU_DEP_1)
	v_dual_add_f32 v42, v42, v45 :: v_dual_add_f32 v45, v28, v46
	v_fma_f32 v28, v37, v26, -v43
	v_add_f32_e32 v1, v1, v41
	v_mul_f32_e32 v41, v38, v25
	v_mul_f32_e32 v25, v37, v25
	v_fmac_f32_e32 v25, v38, v24
	v_add_f32_e32 v38, v30, v28
	v_mul_f32_e32 v28, v55, v35
	v_fma_f32 v41, v37, v24, -v41
	v_mul_f32_e32 v37, v55, v33
	s_delay_alu instid0(VALU_DEP_2) | instskip(NEXT) | instid1(VALU_DEP_2)
	v_add_f32_e32 v24, v44, v41
	v_fma_f32 v26, v54, v32, -v37
	v_add_f32_e32 v25, v29, v25
	s_delay_alu instid0(VALU_DEP_2) | instskip(SKIP_1) | instid1(VALU_DEP_2)
	v_dual_mul_f32 v29, v54, v35 :: v_dual_add_f32 v30, v1, v26
	v_fma_f32 v1, v54, v34, -v28
	v_dual_mul_f32 v26, v40, v33 :: v_dual_fmac_f32 v29, v55, v34
	s_delay_alu instid0(VALU_DEP_2) | instskip(NEXT) | instid1(VALU_DEP_2)
	v_add_f32_e32 v28, v42, v1
	v_fma_f32 v1, v39, v32, -v26
	s_delay_alu instid0(VALU_DEP_3) | instskip(NEXT) | instid1(VALU_DEP_2)
	v_add_f32_e32 v29, v45, v29
	v_dual_add_f32 v26, v24, v1 :: v_dual_add_f32 v37, v31, v27
	v_mul_f32_e32 v41, v54, v33
	v_mul_f32_e32 v27, v39, v33
	;; [unrolled: 1-line block ×4, first 2 shown]
	s_delay_alu instid0(VALU_DEP_3) | instskip(NEXT) | instid1(VALU_DEP_2)
	v_fmac_f32_e32 v27, v40, v32
	v_fmac_f32_e32 v35, v40, v34
	s_delay_alu instid0(VALU_DEP_2) | instskip(NEXT) | instid1(VALU_DEP_2)
	v_add_f32_e32 v27, v25, v27
	v_dual_add_f32 v24, v37, v35 :: v_dual_fmac_f32 v41, v55, v32
	v_fma_f32 v32, v39, v34, -v33
	s_delay_alu instid0(VALU_DEP_2) | instskip(NEXT) | instid1(VALU_DEP_2)
	v_add_f32_e32 v31, v36, v41
	v_add_f32_e32 v25, v38, v32
	s_cbranch_scc0 .LBB94_19
.LBB94_11:                              ;   Parent Loop BB94_8 Depth=1
                                        ; =>  This Inner Loop Header: Depth=2
	s_wait_alu 0xfffe
	v_add_nc_u32_e32 v1, s0, v19
	s_delay_alu instid0(VALU_DEP_1) | instskip(SKIP_3) | instid1(SALU_CYCLE_1)
	v_cmp_le_i32_e32 vcc_lo, s5, v1
	s_or_b32 s1, s26, vcc_lo
	s_wait_alu 0xfffe
	s_and_saveexec_b32 s28, s1
	s_xor_b32 s1, exec_lo, s28
; %bb.12:                               ;   in Loop: Header=BB94_11 Depth=2
	v_mov_b32_e32 v1, v0
	ds_store_b64 v20, v[0:1]
; %bb.13:                               ;   in Loop: Header=BB94_11 Depth=2
	s_wait_alu 0xfffe
	s_and_not1_saveexec_b32 s1, s1
	s_cbranch_execz .LBB94_15
; %bb.14:                               ;   in Loop: Header=BB94_11 Depth=2
	global_load_b64 v[32:33], v[14:15], off
	s_wait_loadcnt 0x0
	ds_store_b64 v20, v[32:33]
.LBB94_15:                              ;   in Loop: Header=BB94_11 Depth=2
	s_wait_alu 0xfffe
	s_or_b32 exec_lo, exec_lo, s1
	v_add_nc_u32_e32 v1, s0, v18
	s_delay_alu instid0(VALU_DEP_1) | instskip(SKIP_3) | instid1(SALU_CYCLE_1)
	v_cmp_le_i32_e32 vcc_lo, s5, v1
	s_or_b32 s1, vcc_lo, s27
	s_wait_alu 0xfffe
	s_and_saveexec_b32 s28, s1
	s_xor_b32 s1, exec_lo, s28
; %bb.16:                               ;   in Loop: Header=BB94_11 Depth=2
	v_mov_b32_e32 v1, v0
	ds_store_b64 v21, v[0:1]
; %bb.17:                               ;   in Loop: Header=BB94_11 Depth=2
	s_wait_alu 0xfffe
	s_and_not1_saveexec_b32 s1, s1
	s_cbranch_execz .LBB94_10
; %bb.18:                               ;   in Loop: Header=BB94_11 Depth=2
	global_load_b64 v[32:33], v[16:17], off
	s_wait_loadcnt 0x0
	ds_store_b64 v21, v[32:33]
	s_branch .LBB94_10
.LBB94_19:                              ;   in Loop: Header=BB94_8 Depth=1
	s_mul_u64 s[0:1], s[24:25], s[22:23]
	s_wait_alu 0xfffe
	s_lshl_b64 s[0:1], s[0:1], 3
	s_wait_alu 0xfffe
	s_add_nc_u64 s[0:1], s[12:13], s[0:1]
	s_wait_alu 0xfffe
	v_add_co_u32 v1, vcc_lo, s0, v6
	s_wait_alu 0xfffd
	v_add_co_ci_u32_e64 v16, null, s1, v7, vcc_lo
	s_and_saveexec_b32 s28, s19
	s_cbranch_execz .LBB94_24
; %bb.20:                               ;   in Loop: Header=BB94_8 Depth=1
	v_mul_f32_e32 v15, s6, v31
	v_mul_f32_e32 v14, s7, v31
	s_and_b32 vcc_lo, exec_lo, s17
	s_mov_b32 s29, -1
	s_delay_alu instid0(VALU_DEP_2) | instskip(NEXT) | instid1(VALU_DEP_2)
	v_fmac_f32_e32 v15, s7, v30
	v_fma_f32 v14, v30, s6, -v14
	s_wait_alu 0xfffe
	s_cbranch_vccz .LBB94_22
; %bb.21:                               ;   in Loop: Header=BB94_8 Depth=1
	v_add_co_u32 v30, vcc_lo, v1, v10
	s_wait_alu 0xfffd
	v_add_co_ci_u32_e64 v31, null, v16, v11, vcc_lo
	s_mov_b32 s29, 0
	global_load_b64 v[32:33], v[30:31], off
	s_wait_loadcnt 0x0
	v_mul_f32_e32 v17, s21, v33
	v_mul_f32_e32 v33, s20, v33
	s_delay_alu instid0(VALU_DEP_2) | instskip(NEXT) | instid1(VALU_DEP_1)
	v_fma_f32 v17, v32, s20, -v17
	v_dual_fmac_f32 v33, s21, v32 :: v_dual_add_f32 v32, v14, v17
	s_delay_alu instid0(VALU_DEP_1)
	v_add_f32_e32 v33, v15, v33
	global_store_b64 v[30:31], v[32:33], off
.LBB94_22:                              ;   in Loop: Header=BB94_8 Depth=1
	s_and_not1_b32 vcc_lo, exec_lo, s29
	s_wait_alu 0xfffe
	s_cbranch_vccnz .LBB94_24
; %bb.23:                               ;   in Loop: Header=BB94_8 Depth=1
	v_add_co_u32 v30, vcc_lo, v1, v10
	s_wait_alu 0xfffd
	v_add_co_ci_u32_e64 v31, null, v16, v11, vcc_lo
	global_store_b64 v[30:31], v[14:15], off
.LBB94_24:                              ;   in Loop: Header=BB94_8 Depth=1
	s_or_b32 exec_lo, exec_lo, s28
	s_and_saveexec_b32 s28, s18
	s_cbranch_execz .LBB94_29
; %bb.25:                               ;   in Loop: Header=BB94_8 Depth=1
	v_mul_f32_e32 v15, s6, v29
	v_mul_f32_e32 v14, s7, v29
	s_and_not1_b32 vcc_lo, exec_lo, s17
	s_mov_b32 s29, -1
	s_delay_alu instid0(VALU_DEP_2) | instskip(NEXT) | instid1(VALU_DEP_2)
	v_fmac_f32_e32 v15, s7, v28
	v_fma_f32 v14, v28, s6, -v14
	s_wait_alu 0xfffe
	s_cbranch_vccnz .LBB94_27
; %bb.26:                               ;   in Loop: Header=BB94_8 Depth=1
	v_add_co_u32 v28, vcc_lo, v1, v12
	s_wait_alu 0xfffd
	v_add_co_ci_u32_e64 v29, null, v16, v13, vcc_lo
	s_mov_b32 s29, 0
	global_load_b64 v[30:31], v[28:29], off
	s_wait_loadcnt 0x0
	v_mul_f32_e32 v17, s21, v31
	s_delay_alu instid0(VALU_DEP_1) | instskip(SKIP_1) | instid1(VALU_DEP_1)
	v_fma_f32 v17, v30, s20, -v17
	v_mul_f32_e32 v31, s20, v31
	v_dual_fmac_f32 v31, s21, v30 :: v_dual_add_f32 v30, v14, v17
	s_delay_alu instid0(VALU_DEP_1)
	v_add_f32_e32 v31, v15, v31
	global_store_b64 v[28:29], v[30:31], off
.LBB94_27:                              ;   in Loop: Header=BB94_8 Depth=1
	s_and_not1_b32 vcc_lo, exec_lo, s29
	s_wait_alu 0xfffe
	s_cbranch_vccnz .LBB94_29
; %bb.28:                               ;   in Loop: Header=BB94_8 Depth=1
	v_add_co_u32 v28, vcc_lo, v1, v12
	s_wait_alu 0xfffd
	v_add_co_ci_u32_e64 v29, null, v16, v13, vcc_lo
	global_store_b64 v[28:29], v[14:15], off
.LBB94_29:                              ;   in Loop: Header=BB94_8 Depth=1
	s_or_b32 exec_lo, exec_lo, s28
	v_add_co_u32 v1, vcc_lo, s0, v8
	s_wait_alu 0xfffd
	v_add_co_ci_u32_e64 v16, null, s1, v9, vcc_lo
	s_and_saveexec_b32 s0, s4
	s_cbranch_execz .LBB94_34
; %bb.30:                               ;   in Loop: Header=BB94_8 Depth=1
	v_mul_f32_e32 v15, s6, v27
	v_mul_f32_e32 v14, s7, v27
	s_and_not1_b32 vcc_lo, exec_lo, s17
	s_mov_b32 s1, -1
	s_delay_alu instid0(VALU_DEP_2) | instskip(NEXT) | instid1(VALU_DEP_2)
	v_fmac_f32_e32 v15, s7, v26
	v_fma_f32 v14, v26, s6, -v14
	s_wait_alu 0xfffe
	s_cbranch_vccnz .LBB94_32
; %bb.31:                               ;   in Loop: Header=BB94_8 Depth=1
	v_add_co_u32 v26, vcc_lo, v1, v10
	s_wait_alu 0xfffd
	v_add_co_ci_u32_e64 v27, null, v16, v11, vcc_lo
	s_mov_b32 s1, 0
	global_load_b64 v[28:29], v[26:27], off
	s_wait_loadcnt 0x0
	v_mul_f32_e32 v17, s21, v29
	v_mul_f32_e32 v29, s20, v29
	s_delay_alu instid0(VALU_DEP_2) | instskip(NEXT) | instid1(VALU_DEP_1)
	v_fma_f32 v17, v28, s20, -v17
	v_dual_fmac_f32 v29, s21, v28 :: v_dual_add_f32 v28, v14, v17
	s_delay_alu instid0(VALU_DEP_1)
	v_add_f32_e32 v29, v15, v29
	global_store_b64 v[26:27], v[28:29], off
.LBB94_32:                              ;   in Loop: Header=BB94_8 Depth=1
	s_wait_alu 0xfffe
	s_and_not1_b32 vcc_lo, exec_lo, s1
	s_wait_alu 0xfffe
	s_cbranch_vccnz .LBB94_34
; %bb.33:                               ;   in Loop: Header=BB94_8 Depth=1
	v_add_co_u32 v26, vcc_lo, v1, v10
	s_wait_alu 0xfffd
	v_add_co_ci_u32_e64 v27, null, v16, v11, vcc_lo
	global_store_b64 v[26:27], v[14:15], off
.LBB94_34:                              ;   in Loop: Header=BB94_8 Depth=1
	s_wait_alu 0xfffe
	s_or_b32 exec_lo, exec_lo, s0
	s_and_saveexec_b32 s0, s14
	s_cbranch_execz .LBB94_7
; %bb.35:                               ;   in Loop: Header=BB94_8 Depth=1
	v_mul_f32_e32 v15, s6, v24
	v_mul_f32_e32 v14, s7, v24
	s_and_not1_b32 vcc_lo, exec_lo, s17
	s_mov_b32 s1, -1
	s_delay_alu instid0(VALU_DEP_2) | instskip(NEXT) | instid1(VALU_DEP_2)
	v_fmac_f32_e32 v15, s7, v25
	v_fma_f32 v14, v25, s6, -v14
	s_wait_alu 0xfffe
	s_cbranch_vccnz .LBB94_37
; %bb.36:                               ;   in Loop: Header=BB94_8 Depth=1
	v_add_co_u32 v24, vcc_lo, v1, v12
	s_wait_alu 0xfffd
	v_add_co_ci_u32_e64 v25, null, v16, v13, vcc_lo
	s_mov_b32 s1, 0
	global_load_b64 v[26:27], v[24:25], off
	s_wait_loadcnt 0x0
	v_mul_f32_e32 v17, s21, v27
	s_delay_alu instid0(VALU_DEP_1) | instskip(SKIP_1) | instid1(VALU_DEP_1)
	v_fma_f32 v17, v26, s20, -v17
	v_mul_f32_e32 v27, s20, v27
	v_dual_fmac_f32 v27, s21, v26 :: v_dual_add_f32 v26, v14, v17
	s_delay_alu instid0(VALU_DEP_1)
	v_add_f32_e32 v27, v15, v27
	global_store_b64 v[24:25], v[26:27], off
.LBB94_37:                              ;   in Loop: Header=BB94_8 Depth=1
	s_wait_alu 0xfffe
	s_and_not1_b32 vcc_lo, exec_lo, s1
	s_wait_alu 0xfffe
	s_cbranch_vccnz .LBB94_7
; %bb.38:                               ;   in Loop: Header=BB94_8 Depth=1
	v_add_co_u32 v24, vcc_lo, v1, v12
	s_wait_alu 0xfffd
	v_add_co_ci_u32_e64 v25, null, v16, v13, vcc_lo
	global_store_b64 v[24:25], v[14:15], off
	s_branch .LBB94_7
.LBB94_39:
	s_endpgm
	.section	.rodata,"a",@progbits
	.p2align	6, 0x0
	.amdhsa_kernel _ZL29rocblas_internal_gemmt_kernelIiLi16ELi32ELi8ELc84ELc84ELc85ELb0ELb0E19rocblas_complex_numIfES1_PKS1_PS1_EviT_T9_T10_S5_lS7_S5_lS6_T11_S5_li
		.amdhsa_group_segment_fixed_size 4096
		.amdhsa_private_segment_fixed_size 0
		.amdhsa_kernarg_size 100
		.amdhsa_user_sgpr_count 2
		.amdhsa_user_sgpr_dispatch_ptr 0
		.amdhsa_user_sgpr_queue_ptr 0
		.amdhsa_user_sgpr_kernarg_segment_ptr 1
		.amdhsa_user_sgpr_dispatch_id 0
		.amdhsa_user_sgpr_private_segment_size 0
		.amdhsa_wavefront_size32 1
		.amdhsa_uses_dynamic_stack 0
		.amdhsa_enable_private_segment 0
		.amdhsa_system_sgpr_workgroup_id_x 1
		.amdhsa_system_sgpr_workgroup_id_y 1
		.amdhsa_system_sgpr_workgroup_id_z 1
		.amdhsa_system_sgpr_workgroup_info 0
		.amdhsa_system_vgpr_workitem_id 1
		.amdhsa_next_free_vgpr 69
		.amdhsa_next_free_sgpr 35
		.amdhsa_reserve_vcc 1
		.amdhsa_float_round_mode_32 0
		.amdhsa_float_round_mode_16_64 0
		.amdhsa_float_denorm_mode_32 3
		.amdhsa_float_denorm_mode_16_64 3
		.amdhsa_fp16_overflow 0
		.amdhsa_workgroup_processor_mode 1
		.amdhsa_memory_ordered 1
		.amdhsa_forward_progress 1
		.amdhsa_inst_pref_size 25
		.amdhsa_round_robin_scheduling 0
		.amdhsa_exception_fp_ieee_invalid_op 0
		.amdhsa_exception_fp_denorm_src 0
		.amdhsa_exception_fp_ieee_div_zero 0
		.amdhsa_exception_fp_ieee_overflow 0
		.amdhsa_exception_fp_ieee_underflow 0
		.amdhsa_exception_fp_ieee_inexact 0
		.amdhsa_exception_int_div_zero 0
	.end_amdhsa_kernel
	.section	.text._ZL29rocblas_internal_gemmt_kernelIiLi16ELi32ELi8ELc84ELc84ELc85ELb0ELb0E19rocblas_complex_numIfES1_PKS1_PS1_EviT_T9_T10_S5_lS7_S5_lS6_T11_S5_li,"axG",@progbits,_ZL29rocblas_internal_gemmt_kernelIiLi16ELi32ELi8ELc84ELc84ELc85ELb0ELb0E19rocblas_complex_numIfES1_PKS1_PS1_EviT_T9_T10_S5_lS7_S5_lS6_T11_S5_li,comdat
.Lfunc_end94:
	.size	_ZL29rocblas_internal_gemmt_kernelIiLi16ELi32ELi8ELc84ELc84ELc85ELb0ELb0E19rocblas_complex_numIfES1_PKS1_PS1_EviT_T9_T10_S5_lS7_S5_lS6_T11_S5_li, .Lfunc_end94-_ZL29rocblas_internal_gemmt_kernelIiLi16ELi32ELi8ELc84ELc84ELc85ELb0ELb0E19rocblas_complex_numIfES1_PKS1_PS1_EviT_T9_T10_S5_lS7_S5_lS6_T11_S5_li
                                        ; -- End function
	.set _ZL29rocblas_internal_gemmt_kernelIiLi16ELi32ELi8ELc84ELc84ELc85ELb0ELb0E19rocblas_complex_numIfES1_PKS1_PS1_EviT_T9_T10_S5_lS7_S5_lS6_T11_S5_li.num_vgpr, 69
	.set _ZL29rocblas_internal_gemmt_kernelIiLi16ELi32ELi8ELc84ELc84ELc85ELb0ELb0E19rocblas_complex_numIfES1_PKS1_PS1_EviT_T9_T10_S5_lS7_S5_lS6_T11_S5_li.num_agpr, 0
	.set _ZL29rocblas_internal_gemmt_kernelIiLi16ELi32ELi8ELc84ELc84ELc85ELb0ELb0E19rocblas_complex_numIfES1_PKS1_PS1_EviT_T9_T10_S5_lS7_S5_lS6_T11_S5_li.numbered_sgpr, 35
	.set _ZL29rocblas_internal_gemmt_kernelIiLi16ELi32ELi8ELc84ELc84ELc85ELb0ELb0E19rocblas_complex_numIfES1_PKS1_PS1_EviT_T9_T10_S5_lS7_S5_lS6_T11_S5_li.num_named_barrier, 0
	.set _ZL29rocblas_internal_gemmt_kernelIiLi16ELi32ELi8ELc84ELc84ELc85ELb0ELb0E19rocblas_complex_numIfES1_PKS1_PS1_EviT_T9_T10_S5_lS7_S5_lS6_T11_S5_li.private_seg_size, 0
	.set _ZL29rocblas_internal_gemmt_kernelIiLi16ELi32ELi8ELc84ELc84ELc85ELb0ELb0E19rocblas_complex_numIfES1_PKS1_PS1_EviT_T9_T10_S5_lS7_S5_lS6_T11_S5_li.uses_vcc, 1
	.set _ZL29rocblas_internal_gemmt_kernelIiLi16ELi32ELi8ELc84ELc84ELc85ELb0ELb0E19rocblas_complex_numIfES1_PKS1_PS1_EviT_T9_T10_S5_lS7_S5_lS6_T11_S5_li.uses_flat_scratch, 0
	.set _ZL29rocblas_internal_gemmt_kernelIiLi16ELi32ELi8ELc84ELc84ELc85ELb0ELb0E19rocblas_complex_numIfES1_PKS1_PS1_EviT_T9_T10_S5_lS7_S5_lS6_T11_S5_li.has_dyn_sized_stack, 0
	.set _ZL29rocblas_internal_gemmt_kernelIiLi16ELi32ELi8ELc84ELc84ELc85ELb0ELb0E19rocblas_complex_numIfES1_PKS1_PS1_EviT_T9_T10_S5_lS7_S5_lS6_T11_S5_li.has_recursion, 0
	.set _ZL29rocblas_internal_gemmt_kernelIiLi16ELi32ELi8ELc84ELc84ELc85ELb0ELb0E19rocblas_complex_numIfES1_PKS1_PS1_EviT_T9_T10_S5_lS7_S5_lS6_T11_S5_li.has_indirect_call, 0
	.section	.AMDGPU.csdata,"",@progbits
; Kernel info:
; codeLenInByte = 3104
; TotalNumSgprs: 37
; NumVgprs: 69
; ScratchSize: 0
; MemoryBound: 1
; FloatMode: 240
; IeeeMode: 1
; LDSByteSize: 4096 bytes/workgroup (compile time only)
; SGPRBlocks: 0
; VGPRBlocks: 8
; NumSGPRsForWavesPerEU: 37
; NumVGPRsForWavesPerEU: 69
; Occupancy: 16
; WaveLimiterHint : 0
; COMPUTE_PGM_RSRC2:SCRATCH_EN: 0
; COMPUTE_PGM_RSRC2:USER_SGPR: 2
; COMPUTE_PGM_RSRC2:TRAP_HANDLER: 0
; COMPUTE_PGM_RSRC2:TGID_X_EN: 1
; COMPUTE_PGM_RSRC2:TGID_Y_EN: 1
; COMPUTE_PGM_RSRC2:TGID_Z_EN: 1
; COMPUTE_PGM_RSRC2:TIDIG_COMP_CNT: 1
	.section	.text._ZL29rocblas_internal_gemmt_kernelIiLi16ELi32ELi8ELc84ELc67ELc85ELb0ELb1E19rocblas_complex_numIfES1_PKS1_PS1_EviT_T9_T10_S5_lS7_S5_lS6_T11_S5_li,"axG",@progbits,_ZL29rocblas_internal_gemmt_kernelIiLi16ELi32ELi8ELc84ELc67ELc85ELb0ELb1E19rocblas_complex_numIfES1_PKS1_PS1_EviT_T9_T10_S5_lS7_S5_lS6_T11_S5_li,comdat
	.globl	_ZL29rocblas_internal_gemmt_kernelIiLi16ELi32ELi8ELc84ELc67ELc85ELb0ELb1E19rocblas_complex_numIfES1_PKS1_PS1_EviT_T9_T10_S5_lS7_S5_lS6_T11_S5_li ; -- Begin function _ZL29rocblas_internal_gemmt_kernelIiLi16ELi32ELi8ELc84ELc67ELc85ELb0ELb1E19rocblas_complex_numIfES1_PKS1_PS1_EviT_T9_T10_S5_lS7_S5_lS6_T11_S5_li
	.p2align	8
	.type	_ZL29rocblas_internal_gemmt_kernelIiLi16ELi32ELi8ELc84ELc67ELc85ELb0ELb1E19rocblas_complex_numIfES1_PKS1_PS1_EviT_T9_T10_S5_lS7_S5_lS6_T11_S5_li,@function
_ZL29rocblas_internal_gemmt_kernelIiLi16ELi32ELi8ELc84ELc67ELc85ELb0ELb1E19rocblas_complex_numIfES1_PKS1_PS1_EviT_T9_T10_S5_lS7_S5_lS6_T11_S5_li: ; @_ZL29rocblas_internal_gemmt_kernelIiLi16ELi32ELi8ELc84ELc67ELc85ELb0ELb1E19rocblas_complex_numIfES1_PKS1_PS1_EviT_T9_T10_S5_lS7_S5_lS6_T11_S5_li
; %bb.0:
	s_clause 0x1
	s_load_b64 s[20:21], s[0:1], 0x40
	s_load_b128 s[4:7], s[0:1], 0x0
	s_wait_kmcnt 0x0
	s_cmp_eq_f32 s20, 1.0
	s_cselect_b32 s3, -1, 0
	s_and_b32 s2, s21, 0x7fffffff
	s_delay_alu instid0(SALU_CYCLE_1) | instskip(SKIP_1) | instid1(SALU_CYCLE_1)
	s_cmp_eq_u32 s2, 0
	s_cselect_b32 s2, -1, 0
	s_and_b32 s8, s3, s2
	s_mov_b32 s3, 0
	s_and_not1_b32 vcc_lo, exec_lo, s8
	s_mov_b32 s8, -1
	s_cbranch_vccnz .LBB95_4
; %bb.1:
	s_cmp_lg_u32 s5, 0
	s_cbranch_scc0 .LBB95_3
; %bb.2:
	s_cmp_neq_f32 s6, 0
	s_cselect_b32 s3, -1, 0
	s_cmp_neq_f32 s7, 0
	s_cselect_b32 s8, -1, 0
	s_delay_alu instid0(SALU_CYCLE_1)
	s_or_b32 s3, s3, s8
.LBB95_3:
	s_delay_alu instid0(SALU_CYCLE_1)
	s_mov_b32 s8, s3
.LBB95_4:
	s_delay_alu instid0(SALU_CYCLE_1)
	s_and_b32 vcc_lo, exec_lo, s8
	s_cbranch_vccz .LBB95_39
; %bb.5:
	s_load_b32 s15, s[0:1], 0x60
	s_lshr_b32 s22, ttmp7, 16
	s_wait_kmcnt 0x0
	s_cmp_ge_u32 s22, s15
	s_cbranch_scc1 .LBB95_39
; %bb.6:
	s_load_b32 s26, s[0:1], 0x30
	v_and_b32_e32 v1, 0x3ff, v0
	v_bfe_u32 v2, v0, 10, 10
	s_clause 0x4
	s_load_b96 s[16:18], s[0:1], 0x10
	s_load_b128 s[8:11], s[0:1], 0x20
	s_load_b64 s[28:29], s[0:1], 0x38
	s_load_b96 s[12:14], s[0:1], 0x48
	s_load_b64 s[24:25], s[0:1], 0x58
	s_lshl_b32 s1, ttmp7, 5
	s_lshl_b32 s0, ttmp9, 5
	s_and_b32 s1, s1, 0x1fffe0
	v_and_b32_e32 v18, 7, v0
	v_lshl_add_u32 v0, v2, 4, v1
	v_add_nc_u32_e32 v10, s0, v1
	v_lshlrev_b32_e32 v22, 3, v1
	v_add_nc_u32_e32 v1, s1, v2
	v_lshlrev_b32_e32 v3, 3, v18
	v_and_b32_e32 v4, 31, v0
	v_lshrrev_b32_e32 v5, 3, v0
	v_lshrrev_b32_e32 v19, 5, v0
	v_add_nc_u32_e32 v12, 16, v10
	v_lshl_add_u32 v23, v2, 6, 0x800
	v_or_b32_e32 v0, s0, v4
	v_lshlrev_b32_e32 v4, 3, v4
	s_wait_kmcnt 0x0
	s_ashr_i32 s27, s26, 31
	s_cmp_neq_f32 s6, 0
	v_lshl_or_b32 v3, v5, 6, v3
	v_add_nc_u32_e32 v14, s1, v5
	v_cmp_gt_i32_e32 vcc_lo, s4, v0
	s_cselect_b32 s3, -1, 0
	s_cmp_neq_f32 s7, 0
	v_lshl_or_b32 v20, v19, 8, v4
	v_cmp_gt_i32_e64 s1, s4, v1
	v_mad_co_i64_i32 v[6:7], null, v1, s14, 0
	s_cselect_b32 s19, -1, 0
	v_add_nc_u32_e32 v4, 16, v1
	s_or_b32 s31, s3, s19
	s_cmp_gt_i32 s5, 0
	v_cmp_le_i32_e64 s3, v12, v1
	s_cselect_b32 s33, -1, 0
	s_cmp_neq_f32 s20, 0
	v_add_nc_u32_e32 v21, 0x800, v3
	v_mad_co_i64_i32 v[2:3], null, s26, v18, 0
	s_cselect_b32 s34, -1, 0
	s_xor_b32 s35, s2, -1
	v_cmp_le_i32_e64 s2, v10, v1
	v_mad_co_i64_i32 v[0:1], null, s18, v0, 0
	s_and_b32 s30, s1, s3
	v_cmp_le_i32_e64 s3, v12, v4
	s_and_b32 s19, s1, s2
	v_cmp_gt_i32_e64 s1, s4, v4
	v_cmp_le_i32_e64 s2, v10, v4
	v_mad_co_i64_i32 v[8:9], null, v4, s14, 0
	v_lshlrev_b64_e32 v[4:5], 3, v[0:1]
	v_lshlrev_b32_e32 v15, 3, v19
	v_lshlrev_b64_e32 v[1:2], 3, v[2:3]
	v_lshlrev_b32_e32 v3, 3, v14
	v_cmp_gt_i32_e64 s0, s4, v14
	s_and_b32 s4, s1, s2
	s_and_b32 s14, s1, s3
	v_add_co_u32 v4, s1, v4, v15
	s_wait_alu 0xf1ff
	v_add_co_ci_u32_e64 v5, null, 0, v5, s1
	v_add_co_u32 v1, s1, v1, v3
	s_wait_alu 0xf1ff
	v_add_co_ci_u32_e64 v14, null, 0, v2, s1
	;; [unrolled: 3-line block ×3, first 2 shown]
	v_add_co_u32 v1, s1, s10, v1
	v_ashrrev_i32_e32 v11, 31, v10
	v_ashrrev_i32_e32 v13, 31, v12
	s_wait_alu 0xf1ff
	v_add_co_ci_u32_e64 v5, null, s11, v14, s1
	v_add_co_u32 v4, s1, v1, 4
	v_lshlrev_b64_e32 v[6:7], 3, v[6:7]
	v_lshlrev_b64_e32 v[8:9], 3, v[8:9]
	;; [unrolled: 1-line block ×4, first 2 shown]
	v_mov_b32_e32 v0, 0
	s_wait_alu 0xf1ff
	v_add_co_ci_u32_e64 v5, null, 0, v5, s1
	s_mov_b32 s23, 0
	s_lshl_b64 s[2:3], s[8:9], 3
	s_lshl_b64 s[8:9], s[28:29], 3
	s_and_b32 s16, s31, s33
	s_or_b32 s17, s34, s35
	s_lshl_b64 s[10:11], s[26:27], 6
	s_xor_b32 s18, vcc_lo, -1
	s_xor_b32 s26, s0, -1
	s_branch .LBB95_8
.LBB95_7:                               ;   in Loop: Header=BB95_8 Depth=1
	s_wait_alu 0xfffe
	s_or_b32 exec_lo, exec_lo, s0
	s_add_co_i32 s22, s22, 0x10000
	s_wait_alu 0xfffe
	s_cmp_lt_u32 s22, s15
	s_cbranch_scc0 .LBB95_39
.LBB95_8:                               ; =>This Loop Header: Depth=1
                                        ;     Child Loop BB95_11 Depth 2
	v_dual_mov_b32 v30, v0 :: v_dual_mov_b32 v31, v0
	v_dual_mov_b32 v28, v0 :: v_dual_mov_b32 v29, v0
	;; [unrolled: 1-line block ×4, first 2 shown]
	s_wait_alu 0xfffe
	s_and_not1_b32 vcc_lo, exec_lo, s16
	s_wait_alu 0xfffe
	s_cbranch_vccnz .LBB95_19
; %bb.9:                                ;   in Loop: Header=BB95_8 Depth=1
	v_mad_co_u64_u32 v[14:15], null, s2, s22, v[2:3]
	v_mad_co_u64_u32 v[16:17], null, s8, s22, v[4:5]
	v_dual_mov_b32 v25, 0 :: v_dual_mov_b32 v28, 0
	v_mov_b32_e32 v27, 0
	v_mov_b32_e32 v29, 0
	v_dual_mov_b32 v1, v15 :: v_dual_mov_b32 v24, 0
	v_dual_mov_b32 v15, v17 :: v_dual_mov_b32 v26, 0
	s_mov_b32 s0, 0
	s_delay_alu instid0(VALU_DEP_2) | instskip(NEXT) | instid1(VALU_DEP_2)
	v_mad_co_u64_u32 v[30:31], null, s3, s22, v[1:2]
	v_mad_co_u64_u32 v[32:33], null, s9, s22, v[15:16]
	v_mov_b32_e32 v31, 0
	s_delay_alu instid0(VALU_DEP_3) | instskip(NEXT) | instid1(VALU_DEP_3)
	v_dual_mov_b32 v15, v30 :: v_dual_mov_b32 v30, 0
	v_mov_b32_e32 v17, v32
	s_branch .LBB95_11
.LBB95_10:                              ;   in Loop: Header=BB95_11 Depth=2
	s_or_b32 exec_lo, exec_lo, s1
	ds_store_b32 v21, v1 offset:4
	s_wait_dscnt 0x0
	s_barrier_signal -1
	s_barrier_wait -1
	global_inv scope:SCOPE_SE
	ds_load_b128 v[32:35], v23
	ds_load_2addr_b64 v[36:39], v22 offset1:16
	ds_load_b128 v[40:43], v23 offset:1024
	ds_load_b128 v[44:47], v23 offset:16
	;; [unrolled: 1-line block ×4, first 2 shown]
	ds_load_2addr_b64 v[56:59], v22 offset0:32 offset1:48
	ds_load_b128 v[60:63], v23 offset:1040
	v_add_co_u32 v14, vcc_lo, v14, 64
	s_wait_alu 0xfffd
	v_add_co_ci_u32_e64 v15, null, 0, v15, vcc_lo
	v_add_co_u32 v16, vcc_lo, v16, s10
	s_wait_alu 0xfffd
	v_add_co_ci_u32_e64 v17, null, s11, v17, vcc_lo
	s_add_co_i32 s0, s0, 8
	s_wait_alu 0xfffe
	s_cmp_lt_i32 s0, s5
	s_wait_dscnt 0x6
	v_dual_mul_f32 v1, v33, v37 :: v_dual_mul_f32 v66, v32, v39
	v_dual_mul_f32 v64, v32, v37 :: v_dual_mul_f32 v65, v33, v39
	s_wait_dscnt 0x5
	v_mul_f32_e32 v68, v41, v39
	s_delay_alu instid0(VALU_DEP_3) | instskip(SKIP_3) | instid1(VALU_DEP_4)
	v_fma_f32 v1, v32, v36, -v1
	v_dual_mul_f32 v39, v40, v39 :: v_dual_fmac_f32 v66, v33, v38
	v_fmac_f32_e32 v64, v33, v36
	v_fma_f32 v32, v32, v38, -v65
	v_add_f32_e32 v1, v30, v1
	v_mul_f32_e32 v67, v41, v37
	s_delay_alu instid0(VALU_DEP_4) | instskip(NEXT) | instid1(VALU_DEP_4)
	v_dual_mul_f32 v37, v40, v37 :: v_dual_add_f32 v30, v31, v64
	v_add_f32_e32 v31, v28, v32
	v_fma_f32 v28, v40, v38, -v68
	s_delay_alu instid0(VALU_DEP_4) | instskip(NEXT) | instid1(VALU_DEP_4)
	v_fma_f32 v33, v40, v36, -v67
	v_fmac_f32_e32 v37, v41, v36
	s_wait_dscnt 0x1
	v_dual_add_f32 v29, v29, v66 :: v_dual_mul_f32 v36, v35, v57
	v_dual_fmac_f32 v39, v41, v38 :: v_dual_mul_f32 v40, v35, v59
	v_add_f32_e32 v32, v26, v33
	v_add_f32_e32 v33, v27, v37
	v_dual_add_f32 v37, v25, v28 :: v_dual_mul_f32 v38, v34, v57
	ds_load_2addr_b64 v[25:28], v22 offset0:64 offset1:80
	v_fma_f32 v36, v34, v56, -v36
	v_add_f32_e32 v24, v24, v39
	v_dual_mul_f32 v39, v34, v59 :: v_dual_fmac_f32 v38, v35, v56
	v_fma_f32 v34, v34, v58, -v40
	s_delay_alu instid0(VALU_DEP_4) | instskip(NEXT) | instid1(VALU_DEP_3)
	v_dual_add_f32 v1, v1, v36 :: v_dual_mul_f32 v36, v43, v57
	v_fmac_f32_e32 v39, v35, v58
	s_delay_alu instid0(VALU_DEP_4)
	v_add_f32_e32 v38, v30, v38
	v_mul_f32_e32 v30, v42, v57
	v_add_f32_e32 v34, v31, v34
	v_fma_f32 v31, v42, v56, -v36
	v_mul_f32_e32 v35, v43, v59
	v_add_f32_e32 v36, v29, v39
	v_dual_mul_f32 v39, v42, v59 :: v_dual_fmac_f32 v30, v43, v56
	s_delay_alu instid0(VALU_DEP_4) | instskip(NEXT) | instid1(VALU_DEP_4)
	v_add_f32_e32 v40, v32, v31
	v_fma_f32 v29, v42, v58, -v35
	s_wait_dscnt 0x0
	v_mul_f32_e32 v31, v45, v26
	v_dual_fmac_f32 v39, v43, v58 :: v_dual_mul_f32 v42, v45, v28
	s_delay_alu instid0(VALU_DEP_3) | instskip(SKIP_1) | instid1(VALU_DEP_4)
	v_add_f32_e32 v37, v37, v29
	v_add_f32_e32 v33, v33, v30
	v_fma_f32 v41, v44, v25, -v31
	s_delay_alu instid0(VALU_DEP_4)
	v_add_f32_e32 v39, v24, v39
	v_mul_f32_e32 v24, v44, v28
	v_mul_f32_e32 v35, v44, v26
	ds_load_2addr_b64 v[29:32], v22 offset0:96 offset1:112
	v_add_f32_e32 v1, v1, v41
	v_fma_f32 v41, v44, v27, -v42
	v_fmac_f32_e32 v24, v45, v27
	v_fmac_f32_e32 v35, v45, v25
	s_delay_alu instid0(VALU_DEP_3) | instskip(NEXT) | instid1(VALU_DEP_2)
	v_dual_add_f32 v34, v34, v41 :: v_dual_mul_f32 v41, v61, v28
	v_dual_add_f32 v35, v38, v35 :: v_dual_mul_f32 v38, v61, v26
	v_mul_f32_e32 v26, v60, v26
	v_mul_f32_e32 v28, v60, v28
	v_add_f32_e32 v42, v36, v24
	v_fma_f32 v24, v60, v27, -v41
	v_fma_f32 v38, v60, v25, -v38
	v_fmac_f32_e32 v26, v61, v25
	v_fmac_f32_e32 v28, v61, v27
	s_delay_alu instid0(VALU_DEP_3) | instskip(SKIP_1) | instid1(VALU_DEP_3)
	v_dual_add_f32 v37, v37, v24 :: v_dual_add_f32 v38, v40, v38
	s_wait_dscnt 0x0
	v_dual_add_f32 v40, v33, v26 :: v_dual_mul_f32 v41, v47, v32
	ds_load_2addr_b64 v[24:27], v22 offset0:128 offset1:144
	v_mul_f32_e32 v33, v47, v30
	v_mul_f32_e32 v45, v63, v32
	v_fma_f32 v41, v46, v31, -v41
	s_delay_alu instid0(VALU_DEP_3) | instskip(NEXT) | instid1(VALU_DEP_1)
	v_fma_f32 v33, v46, v29, -v33
	v_add_f32_e32 v1, v1, v33
	v_mul_f32_e32 v33, v63, v30
	v_dual_mul_f32 v36, v46, v30 :: v_dual_add_f32 v39, v39, v28
	v_mul_f32_e32 v28, v46, v32
	v_mul_f32_e32 v30, v62, v30
	s_delay_alu instid0(VALU_DEP_4) | instskip(NEXT) | instid1(VALU_DEP_2)
	v_fma_f32 v44, v62, v29, -v33
	v_fmac_f32_e32 v30, v63, v29
	v_fmac_f32_e32 v36, v47, v29
	s_wait_dscnt 0x0
	v_dual_mul_f32 v29, v49, v25 :: v_dual_fmac_f32 v28, v47, v31
	s_delay_alu instid0(VALU_DEP_1) | instskip(SKIP_1) | instid1(VALU_DEP_2)
	v_dual_mul_f32 v47, v48, v25 :: v_dual_add_f32 v42, v42, v28
	v_fma_f32 v28, v62, v31, -v45
	v_fmac_f32_e32 v47, v49, v24
	v_add_f32_e32 v45, v40, v30
	v_add_f32_e32 v43, v35, v36
	;; [unrolled: 1-line block ×4, first 2 shown]
	v_fma_f32 v37, v48, v24, -v29
	v_mul_f32_e32 v32, v62, v32
	v_mul_f32_e32 v38, v49, v27
	v_add_f32_e32 v43, v43, v47
	s_delay_alu instid0(VALU_DEP_4) | instskip(NEXT) | instid1(VALU_DEP_4)
	v_add_f32_e32 v1, v1, v37
	v_dual_add_f32 v41, v34, v41 :: v_dual_fmac_f32 v32, v63, v31
	ds_load_b128 v[33:36], v23 offset:1056
	ds_load_2addr_b64 v[28:31], v22 offset0:160 offset1:176
	v_mul_f32_e32 v56, v48, v27
	v_fma_f32 v48, v48, v26, -v38
	v_add_f32_e32 v32, v39, v32
	ds_load_b128 v[37:40], v23 offset:1072
	v_add_f32_e32 v41, v41, v48
	s_wait_dscnt 0x2
	v_mul_f32_e32 v57, v34, v25
	v_mul_f32_e32 v25, v33, v25
	v_fmac_f32_e32 v56, v49, v26
	v_mul_f32_e32 v48, v34, v27
	v_mul_f32_e32 v49, v33, v27
	v_fma_f32 v47, v33, v24, -v57
	v_fmac_f32_e32 v25, v34, v24
	s_wait_dscnt 0x1
	v_dual_add_f32 v42, v42, v56 :: v_dual_mul_f32 v27, v51, v29
	v_fma_f32 v24, v33, v26, -v48
	v_fmac_f32_e32 v49, v34, v26
	v_mul_f32_e32 v34, v50, v29
	v_dual_add_f32 v44, v44, v47 :: v_dual_add_f32 v33, v45, v25
	v_mul_f32_e32 v47, v51, v31
	s_delay_alu instid0(VALU_DEP_3)
	v_fmac_f32_e32 v34, v51, v28
	v_dual_add_f32 v45, v46, v24 :: v_dual_add_f32 v48, v32, v49
	v_fma_f32 v46, v50, v28, -v27
	ds_load_2addr_b64 v[24:27], v22 offset0:192 offset1:208
	v_dual_mul_f32 v32, v50, v31 :: v_dual_add_f32 v43, v43, v34
	v_dual_mul_f32 v34, v36, v29 :: v_dual_add_f32 v1, v1, v46
	v_fma_f32 v46, v50, v30, -v47
	v_mul_f32_e32 v29, v35, v29
	s_delay_alu instid0(VALU_DEP_3) | instskip(NEXT) | instid1(VALU_DEP_3)
	v_fma_f32 v34, v35, v28, -v34
	v_dual_add_f32 v41, v41, v46 :: v_dual_mul_f32 v46, v36, v31
	s_delay_alu instid0(VALU_DEP_3) | instskip(NEXT) | instid1(VALU_DEP_1)
	v_dual_fmac_f32 v32, v51, v30 :: v_dual_fmac_f32 v29, v36, v28
	v_dual_mul_f32 v31, v35, v31 :: v_dual_add_f32 v28, v42, v32
	s_delay_alu instid0(VALU_DEP_3) | instskip(NEXT) | instid1(VALU_DEP_3)
	v_fma_f32 v32, v35, v30, -v46
	v_dual_add_f32 v42, v44, v34 :: v_dual_add_f32 v29, v33, v29
	s_wait_dscnt 0x0
	v_mul_f32_e32 v46, v52, v27
	v_dual_mul_f32 v44, v53, v25 :: v_dual_fmac_f32 v31, v36, v30
	v_add_f32_e32 v30, v45, v32
	ds_load_2addr_b64 v[32:35], v22 offset0:224 offset1:240
	v_dual_mul_f32 v36, v52, v25 :: v_dual_mul_f32 v45, v53, v27
	v_fma_f32 v44, v52, v24, -v44
	v_dual_fmac_f32 v46, v53, v26 :: v_dual_add_f32 v31, v48, v31
	s_delay_alu instid0(VALU_DEP_3) | instskip(NEXT) | instid1(VALU_DEP_4)
	v_fmac_f32_e32 v36, v53, v24
	v_fma_f32 v45, v52, v26, -v45
	s_delay_alu instid0(VALU_DEP_4) | instskip(SKIP_2) | instid1(VALU_DEP_3)
	v_dual_add_f32 v1, v1, v44 :: v_dual_mul_f32 v44, v38, v25
	v_mul_f32_e32 v25, v37, v25
	s_wait_loadcnt_dscnt 0x0
	v_add_f32_e32 v41, v41, v45
	v_dual_add_f32 v45, v28, v46 :: v_dual_add_f32 v36, v43, v36
	v_fma_f32 v43, v37, v24, -v44
	v_mul_f32_e32 v44, v38, v27
	v_fmac_f32_e32 v25, v38, v24
	v_mul_f32_e32 v27, v37, v27
	s_barrier_signal -1
	v_add_f32_e32 v24, v42, v43
	v_fma_f32 v28, v37, v26, -v44
	v_mul_f32_e32 v37, v55, v33
	v_mul_f32_e32 v42, v54, v33
	v_add_f32_e32 v25, v29, v25
	v_fmac_f32_e32 v27, v38, v26
	v_add_f32_e32 v38, v30, v28
	v_fma_f32 v26, v54, v32, -v37
	v_fmac_f32_e32 v42, v55, v32
	v_mul_f32_e32 v28, v55, v35
	v_mul_f32_e32 v29, v54, v35
	s_delay_alu instid0(VALU_DEP_4) | instskip(NEXT) | instid1(VALU_DEP_4)
	v_dual_add_f32 v37, v31, v27 :: v_dual_add_f32 v30, v1, v26
	v_add_f32_e32 v31, v36, v42
	s_delay_alu instid0(VALU_DEP_4) | instskip(NEXT) | instid1(VALU_DEP_4)
	v_fma_f32 v1, v54, v34, -v28
	v_dual_mul_f32 v26, v40, v33 :: v_dual_fmac_f32 v29, v55, v34
	v_mul_f32_e32 v27, v39, v33
	s_delay_alu instid0(VALU_DEP_3) | instskip(NEXT) | instid1(VALU_DEP_3)
	v_dual_mul_f32 v33, v40, v35 :: v_dual_add_f32 v28, v41, v1
	v_fma_f32 v1, v39, v32, -v26
	v_mul_f32_e32 v35, v39, v35
	v_add_f32_e32 v29, v45, v29
	s_barrier_wait -1
	global_inv scope:SCOPE_SE
	v_add_f32_e32 v26, v24, v1
	v_fmac_f32_e32 v35, v40, v34
	s_delay_alu instid0(VALU_DEP_1) | instskip(SKIP_1) | instid1(VALU_DEP_2)
	v_dual_add_f32 v24, v37, v35 :: v_dual_fmac_f32 v27, v40, v32
	v_fma_f32 v32, v39, v34, -v33
	v_add_f32_e32 v27, v25, v27
	s_delay_alu instid0(VALU_DEP_2)
	v_add_f32_e32 v25, v38, v32
	s_cbranch_scc0 .LBB95_19
.LBB95_11:                              ;   Parent Loop BB95_8 Depth=1
                                        ; =>  This Inner Loop Header: Depth=2
	s_wait_alu 0xfffe
	v_add_nc_u32_e32 v1, s0, v19
	s_delay_alu instid0(VALU_DEP_1)
	v_cmp_le_i32_e32 vcc_lo, s5, v1
	s_or_b32 s1, s18, vcc_lo
	s_wait_alu 0xfffe
	s_and_saveexec_b32 s27, s1
	s_wait_alu 0xfffe
	s_xor_b32 s1, exec_lo, s27
; %bb.12:                               ;   in Loop: Header=BB95_11 Depth=2
	v_mov_b32_e32 v1, v0
	ds_store_b64 v20, v[0:1]
; %bb.13:                               ;   in Loop: Header=BB95_11 Depth=2
	s_wait_alu 0xfffe
	s_and_not1_saveexec_b32 s1, s1
	s_cbranch_execz .LBB95_15
; %bb.14:                               ;   in Loop: Header=BB95_11 Depth=2
	global_load_b64 v[32:33], v[14:15], off
	s_wait_loadcnt 0x0
	ds_store_b64 v20, v[32:33]
.LBB95_15:                              ;   in Loop: Header=BB95_11 Depth=2
	s_wait_alu 0xfffe
	s_or_b32 exec_lo, exec_lo, s1
	v_add_nc_u32_e32 v1, s0, v18
	s_delay_alu instid0(VALU_DEP_1)
	v_cmp_le_i32_e32 vcc_lo, s5, v1
	s_or_b32 s1, vcc_lo, s26
	s_wait_alu 0xfffe
	s_and_saveexec_b32 s27, s1
	s_wait_alu 0xfffe
	s_xor_b32 s1, exec_lo, s27
; %bb.16:                               ;   in Loop: Header=BB95_11 Depth=2
	ds_store_b32 v21, v0
; %bb.17:                               ;   in Loop: Header=BB95_11 Depth=2
	s_wait_alu 0xfffe
	s_or_saveexec_b32 s1, s1
	v_mov_b32_e32 v1, 0
	s_wait_alu 0xfffe
	s_xor_b32 exec_lo, exec_lo, s1
	s_cbranch_execz .LBB95_10
; %bb.18:                               ;   in Loop: Header=BB95_11 Depth=2
	global_load_b64 v[32:33], v[16:17], off offset:-4
	s_wait_loadcnt 0x0
	v_xor_b32_e32 v1, 0x80000000, v33
	ds_store_b32 v21, v32
	s_branch .LBB95_10
.LBB95_19:                              ;   in Loop: Header=BB95_8 Depth=1
	s_mul_u64 s[0:1], s[24:25], s[22:23]
	s_wait_alu 0xfffe
	s_lshl_b64 s[0:1], s[0:1], 3
	s_wait_alu 0xfffe
	s_add_nc_u64 s[0:1], s[12:13], s[0:1]
	s_wait_alu 0xfffe
	v_add_co_u32 v1, vcc_lo, s0, v6
	s_wait_alu 0xfffd
	v_add_co_ci_u32_e64 v16, null, s1, v7, vcc_lo
	s_and_saveexec_b32 s27, s19
	s_cbranch_execz .LBB95_24
; %bb.20:                               ;   in Loop: Header=BB95_8 Depth=1
	v_mul_f32_e32 v15, s6, v31
	v_mul_f32_e32 v14, s7, v31
	s_and_b32 vcc_lo, exec_lo, s17
	s_mov_b32 s28, -1
	s_delay_alu instid0(VALU_DEP_2) | instskip(NEXT) | instid1(VALU_DEP_2)
	v_fmac_f32_e32 v15, s7, v30
	v_fma_f32 v14, v30, s6, -v14
	s_wait_alu 0xfffe
	s_cbranch_vccz .LBB95_22
; %bb.21:                               ;   in Loop: Header=BB95_8 Depth=1
	v_add_co_u32 v30, vcc_lo, v1, v10
	s_wait_alu 0xfffd
	v_add_co_ci_u32_e64 v31, null, v16, v11, vcc_lo
	s_mov_b32 s28, 0
	global_load_b64 v[32:33], v[30:31], off
	s_wait_loadcnt 0x0
	v_mul_f32_e32 v17, s21, v33
	v_mul_f32_e32 v33, s20, v33
	s_delay_alu instid0(VALU_DEP_2) | instskip(NEXT) | instid1(VALU_DEP_1)
	v_fma_f32 v17, v32, s20, -v17
	v_dual_fmac_f32 v33, s21, v32 :: v_dual_add_f32 v32, v14, v17
	s_delay_alu instid0(VALU_DEP_1)
	v_add_f32_e32 v33, v15, v33
	global_store_b64 v[30:31], v[32:33], off
.LBB95_22:                              ;   in Loop: Header=BB95_8 Depth=1
	s_and_not1_b32 vcc_lo, exec_lo, s28
	s_wait_alu 0xfffe
	s_cbranch_vccnz .LBB95_24
; %bb.23:                               ;   in Loop: Header=BB95_8 Depth=1
	v_add_co_u32 v30, vcc_lo, v1, v10
	s_wait_alu 0xfffd
	v_add_co_ci_u32_e64 v31, null, v16, v11, vcc_lo
	global_store_b64 v[30:31], v[14:15], off
.LBB95_24:                              ;   in Loop: Header=BB95_8 Depth=1
	s_wait_alu 0xfffe
	s_or_b32 exec_lo, exec_lo, s27
	s_and_saveexec_b32 s27, s30
	s_cbranch_execz .LBB95_29
; %bb.25:                               ;   in Loop: Header=BB95_8 Depth=1
	v_mul_f32_e32 v15, s6, v29
	v_mul_f32_e32 v14, s7, v29
	s_and_not1_b32 vcc_lo, exec_lo, s17
	s_mov_b32 s28, -1
	s_delay_alu instid0(VALU_DEP_2) | instskip(NEXT) | instid1(VALU_DEP_2)
	v_fmac_f32_e32 v15, s7, v28
	v_fma_f32 v14, v28, s6, -v14
	s_wait_alu 0xfffe
	s_cbranch_vccnz .LBB95_27
; %bb.26:                               ;   in Loop: Header=BB95_8 Depth=1
	v_add_co_u32 v28, vcc_lo, v1, v12
	s_wait_alu 0xfffd
	v_add_co_ci_u32_e64 v29, null, v16, v13, vcc_lo
	s_mov_b32 s28, 0
	global_load_b64 v[30:31], v[28:29], off
	s_wait_loadcnt 0x0
	v_mul_f32_e32 v17, s21, v31
	s_delay_alu instid0(VALU_DEP_1) | instskip(SKIP_1) | instid1(VALU_DEP_1)
	v_fma_f32 v17, v30, s20, -v17
	v_mul_f32_e32 v31, s20, v31
	v_dual_fmac_f32 v31, s21, v30 :: v_dual_add_f32 v30, v14, v17
	s_delay_alu instid0(VALU_DEP_1)
	v_add_f32_e32 v31, v15, v31
	global_store_b64 v[28:29], v[30:31], off
.LBB95_27:                              ;   in Loop: Header=BB95_8 Depth=1
	s_and_not1_b32 vcc_lo, exec_lo, s28
	s_wait_alu 0xfffe
	s_cbranch_vccnz .LBB95_29
; %bb.28:                               ;   in Loop: Header=BB95_8 Depth=1
	v_add_co_u32 v28, vcc_lo, v1, v12
	s_wait_alu 0xfffd
	v_add_co_ci_u32_e64 v29, null, v16, v13, vcc_lo
	global_store_b64 v[28:29], v[14:15], off
.LBB95_29:                              ;   in Loop: Header=BB95_8 Depth=1
	s_wait_alu 0xfffe
	s_or_b32 exec_lo, exec_lo, s27
	v_add_co_u32 v1, vcc_lo, s0, v8
	s_wait_alu 0xfffd
	v_add_co_ci_u32_e64 v16, null, s1, v9, vcc_lo
	s_and_saveexec_b32 s0, s4
	s_cbranch_execz .LBB95_34
; %bb.30:                               ;   in Loop: Header=BB95_8 Depth=1
	v_mul_f32_e32 v15, s6, v27
	v_mul_f32_e32 v14, s7, v27
	s_and_not1_b32 vcc_lo, exec_lo, s17
	s_mov_b32 s1, -1
	s_delay_alu instid0(VALU_DEP_2) | instskip(NEXT) | instid1(VALU_DEP_2)
	v_fmac_f32_e32 v15, s7, v26
	v_fma_f32 v14, v26, s6, -v14
	s_wait_alu 0xfffe
	s_cbranch_vccnz .LBB95_32
; %bb.31:                               ;   in Loop: Header=BB95_8 Depth=1
	v_add_co_u32 v26, vcc_lo, v1, v10
	s_wait_alu 0xfffd
	v_add_co_ci_u32_e64 v27, null, v16, v11, vcc_lo
	s_mov_b32 s1, 0
	global_load_b64 v[28:29], v[26:27], off
	s_wait_loadcnt 0x0
	v_mul_f32_e32 v17, s21, v29
	v_mul_f32_e32 v29, s20, v29
	s_delay_alu instid0(VALU_DEP_2) | instskip(NEXT) | instid1(VALU_DEP_1)
	v_fma_f32 v17, v28, s20, -v17
	v_dual_fmac_f32 v29, s21, v28 :: v_dual_add_f32 v28, v14, v17
	s_delay_alu instid0(VALU_DEP_1)
	v_add_f32_e32 v29, v15, v29
	global_store_b64 v[26:27], v[28:29], off
.LBB95_32:                              ;   in Loop: Header=BB95_8 Depth=1
	s_wait_alu 0xfffe
	s_and_not1_b32 vcc_lo, exec_lo, s1
	s_wait_alu 0xfffe
	s_cbranch_vccnz .LBB95_34
; %bb.33:                               ;   in Loop: Header=BB95_8 Depth=1
	v_add_co_u32 v26, vcc_lo, v1, v10
	s_wait_alu 0xfffd
	v_add_co_ci_u32_e64 v27, null, v16, v11, vcc_lo
	global_store_b64 v[26:27], v[14:15], off
.LBB95_34:                              ;   in Loop: Header=BB95_8 Depth=1
	s_wait_alu 0xfffe
	s_or_b32 exec_lo, exec_lo, s0
	s_and_saveexec_b32 s0, s14
	s_cbranch_execz .LBB95_7
; %bb.35:                               ;   in Loop: Header=BB95_8 Depth=1
	v_mul_f32_e32 v15, s6, v24
	v_mul_f32_e32 v14, s7, v24
	s_and_not1_b32 vcc_lo, exec_lo, s17
	s_mov_b32 s1, -1
	s_delay_alu instid0(VALU_DEP_2) | instskip(NEXT) | instid1(VALU_DEP_2)
	v_fmac_f32_e32 v15, s7, v25
	v_fma_f32 v14, v25, s6, -v14
	s_wait_alu 0xfffe
	s_cbranch_vccnz .LBB95_37
; %bb.36:                               ;   in Loop: Header=BB95_8 Depth=1
	v_add_co_u32 v24, vcc_lo, v1, v12
	s_wait_alu 0xfffd
	v_add_co_ci_u32_e64 v25, null, v16, v13, vcc_lo
	s_mov_b32 s1, 0
	global_load_b64 v[26:27], v[24:25], off
	s_wait_loadcnt 0x0
	v_mul_f32_e32 v17, s21, v27
	s_delay_alu instid0(VALU_DEP_1) | instskip(SKIP_1) | instid1(VALU_DEP_1)
	v_fma_f32 v17, v26, s20, -v17
	v_mul_f32_e32 v27, s20, v27
	v_dual_fmac_f32 v27, s21, v26 :: v_dual_add_f32 v26, v14, v17
	s_delay_alu instid0(VALU_DEP_1)
	v_add_f32_e32 v27, v15, v27
	global_store_b64 v[24:25], v[26:27], off
.LBB95_37:                              ;   in Loop: Header=BB95_8 Depth=1
	s_wait_alu 0xfffe
	s_and_not1_b32 vcc_lo, exec_lo, s1
	s_wait_alu 0xfffe
	s_cbranch_vccnz .LBB95_7
; %bb.38:                               ;   in Loop: Header=BB95_8 Depth=1
	v_add_co_u32 v24, vcc_lo, v1, v12
	s_wait_alu 0xfffd
	v_add_co_ci_u32_e64 v25, null, v16, v13, vcc_lo
	global_store_b64 v[24:25], v[14:15], off
	s_branch .LBB95_7
.LBB95_39:
	s_endpgm
	.section	.rodata,"a",@progbits
	.p2align	6, 0x0
	.amdhsa_kernel _ZL29rocblas_internal_gemmt_kernelIiLi16ELi32ELi8ELc84ELc67ELc85ELb0ELb1E19rocblas_complex_numIfES1_PKS1_PS1_EviT_T9_T10_S5_lS7_S5_lS6_T11_S5_li
		.amdhsa_group_segment_fixed_size 4096
		.amdhsa_private_segment_fixed_size 0
		.amdhsa_kernarg_size 100
		.amdhsa_user_sgpr_count 2
		.amdhsa_user_sgpr_dispatch_ptr 0
		.amdhsa_user_sgpr_queue_ptr 0
		.amdhsa_user_sgpr_kernarg_segment_ptr 1
		.amdhsa_user_sgpr_dispatch_id 0
		.amdhsa_user_sgpr_private_segment_size 0
		.amdhsa_wavefront_size32 1
		.amdhsa_uses_dynamic_stack 0
		.amdhsa_enable_private_segment 0
		.amdhsa_system_sgpr_workgroup_id_x 1
		.amdhsa_system_sgpr_workgroup_id_y 1
		.amdhsa_system_sgpr_workgroup_id_z 1
		.amdhsa_system_sgpr_workgroup_info 0
		.amdhsa_system_vgpr_workitem_id 1
		.amdhsa_next_free_vgpr 69
		.amdhsa_next_free_sgpr 36
		.amdhsa_reserve_vcc 1
		.amdhsa_float_round_mode_32 0
		.amdhsa_float_round_mode_16_64 0
		.amdhsa_float_denorm_mode_32 3
		.amdhsa_float_denorm_mode_16_64 3
		.amdhsa_fp16_overflow 0
		.amdhsa_workgroup_processor_mode 1
		.amdhsa_memory_ordered 1
		.amdhsa_forward_progress 1
		.amdhsa_inst_pref_size 25
		.amdhsa_round_robin_scheduling 0
		.amdhsa_exception_fp_ieee_invalid_op 0
		.amdhsa_exception_fp_denorm_src 0
		.amdhsa_exception_fp_ieee_div_zero 0
		.amdhsa_exception_fp_ieee_overflow 0
		.amdhsa_exception_fp_ieee_underflow 0
		.amdhsa_exception_fp_ieee_inexact 0
		.amdhsa_exception_int_div_zero 0
	.end_amdhsa_kernel
	.section	.text._ZL29rocblas_internal_gemmt_kernelIiLi16ELi32ELi8ELc84ELc67ELc85ELb0ELb1E19rocblas_complex_numIfES1_PKS1_PS1_EviT_T9_T10_S5_lS7_S5_lS6_T11_S5_li,"axG",@progbits,_ZL29rocblas_internal_gemmt_kernelIiLi16ELi32ELi8ELc84ELc67ELc85ELb0ELb1E19rocblas_complex_numIfES1_PKS1_PS1_EviT_T9_T10_S5_lS7_S5_lS6_T11_S5_li,comdat
.Lfunc_end95:
	.size	_ZL29rocblas_internal_gemmt_kernelIiLi16ELi32ELi8ELc84ELc67ELc85ELb0ELb1E19rocblas_complex_numIfES1_PKS1_PS1_EviT_T9_T10_S5_lS7_S5_lS6_T11_S5_li, .Lfunc_end95-_ZL29rocblas_internal_gemmt_kernelIiLi16ELi32ELi8ELc84ELc67ELc85ELb0ELb1E19rocblas_complex_numIfES1_PKS1_PS1_EviT_T9_T10_S5_lS7_S5_lS6_T11_S5_li
                                        ; -- End function
	.set _ZL29rocblas_internal_gemmt_kernelIiLi16ELi32ELi8ELc84ELc67ELc85ELb0ELb1E19rocblas_complex_numIfES1_PKS1_PS1_EviT_T9_T10_S5_lS7_S5_lS6_T11_S5_li.num_vgpr, 69
	.set _ZL29rocblas_internal_gemmt_kernelIiLi16ELi32ELi8ELc84ELc67ELc85ELb0ELb1E19rocblas_complex_numIfES1_PKS1_PS1_EviT_T9_T10_S5_lS7_S5_lS6_T11_S5_li.num_agpr, 0
	.set _ZL29rocblas_internal_gemmt_kernelIiLi16ELi32ELi8ELc84ELc67ELc85ELb0ELb1E19rocblas_complex_numIfES1_PKS1_PS1_EviT_T9_T10_S5_lS7_S5_lS6_T11_S5_li.numbered_sgpr, 36
	.set _ZL29rocblas_internal_gemmt_kernelIiLi16ELi32ELi8ELc84ELc67ELc85ELb0ELb1E19rocblas_complex_numIfES1_PKS1_PS1_EviT_T9_T10_S5_lS7_S5_lS6_T11_S5_li.num_named_barrier, 0
	.set _ZL29rocblas_internal_gemmt_kernelIiLi16ELi32ELi8ELc84ELc67ELc85ELb0ELb1E19rocblas_complex_numIfES1_PKS1_PS1_EviT_T9_T10_S5_lS7_S5_lS6_T11_S5_li.private_seg_size, 0
	.set _ZL29rocblas_internal_gemmt_kernelIiLi16ELi32ELi8ELc84ELc67ELc85ELb0ELb1E19rocblas_complex_numIfES1_PKS1_PS1_EviT_T9_T10_S5_lS7_S5_lS6_T11_S5_li.uses_vcc, 1
	.set _ZL29rocblas_internal_gemmt_kernelIiLi16ELi32ELi8ELc84ELc67ELc85ELb0ELb1E19rocblas_complex_numIfES1_PKS1_PS1_EviT_T9_T10_S5_lS7_S5_lS6_T11_S5_li.uses_flat_scratch, 0
	.set _ZL29rocblas_internal_gemmt_kernelIiLi16ELi32ELi8ELc84ELc67ELc85ELb0ELb1E19rocblas_complex_numIfES1_PKS1_PS1_EviT_T9_T10_S5_lS7_S5_lS6_T11_S5_li.has_dyn_sized_stack, 0
	.set _ZL29rocblas_internal_gemmt_kernelIiLi16ELi32ELi8ELc84ELc67ELc85ELb0ELb1E19rocblas_complex_numIfES1_PKS1_PS1_EviT_T9_T10_S5_lS7_S5_lS6_T11_S5_li.has_recursion, 0
	.set _ZL29rocblas_internal_gemmt_kernelIiLi16ELi32ELi8ELc84ELc67ELc85ELb0ELb1E19rocblas_complex_numIfES1_PKS1_PS1_EviT_T9_T10_S5_lS7_S5_lS6_T11_S5_li.has_indirect_call, 0
	.section	.AMDGPU.csdata,"",@progbits
; Kernel info:
; codeLenInByte = 3128
; TotalNumSgprs: 38
; NumVgprs: 69
; ScratchSize: 0
; MemoryBound: 1
; FloatMode: 240
; IeeeMode: 1
; LDSByteSize: 4096 bytes/workgroup (compile time only)
; SGPRBlocks: 0
; VGPRBlocks: 8
; NumSGPRsForWavesPerEU: 38
; NumVGPRsForWavesPerEU: 69
; Occupancy: 16
; WaveLimiterHint : 0
; COMPUTE_PGM_RSRC2:SCRATCH_EN: 0
; COMPUTE_PGM_RSRC2:USER_SGPR: 2
; COMPUTE_PGM_RSRC2:TRAP_HANDLER: 0
; COMPUTE_PGM_RSRC2:TGID_X_EN: 1
; COMPUTE_PGM_RSRC2:TGID_Y_EN: 1
; COMPUTE_PGM_RSRC2:TGID_Z_EN: 1
; COMPUTE_PGM_RSRC2:TIDIG_COMP_CNT: 1
	.section	.text._ZL29rocblas_internal_gemmt_kernelIiLi16ELi32ELi8ELc67ELc78ELc85ELb1ELb0E19rocblas_complex_numIfES1_PKS1_PS1_EviT_T9_T10_S5_lS7_S5_lS6_T11_S5_li,"axG",@progbits,_ZL29rocblas_internal_gemmt_kernelIiLi16ELi32ELi8ELc67ELc78ELc85ELb1ELb0E19rocblas_complex_numIfES1_PKS1_PS1_EviT_T9_T10_S5_lS7_S5_lS6_T11_S5_li,comdat
	.globl	_ZL29rocblas_internal_gemmt_kernelIiLi16ELi32ELi8ELc67ELc78ELc85ELb1ELb0E19rocblas_complex_numIfES1_PKS1_PS1_EviT_T9_T10_S5_lS7_S5_lS6_T11_S5_li ; -- Begin function _ZL29rocblas_internal_gemmt_kernelIiLi16ELi32ELi8ELc67ELc78ELc85ELb1ELb0E19rocblas_complex_numIfES1_PKS1_PS1_EviT_T9_T10_S5_lS7_S5_lS6_T11_S5_li
	.p2align	8
	.type	_ZL29rocblas_internal_gemmt_kernelIiLi16ELi32ELi8ELc67ELc78ELc85ELb1ELb0E19rocblas_complex_numIfES1_PKS1_PS1_EviT_T9_T10_S5_lS7_S5_lS6_T11_S5_li,@function
_ZL29rocblas_internal_gemmt_kernelIiLi16ELi32ELi8ELc67ELc78ELc85ELb1ELb0E19rocblas_complex_numIfES1_PKS1_PS1_EviT_T9_T10_S5_lS7_S5_lS6_T11_S5_li: ; @_ZL29rocblas_internal_gemmt_kernelIiLi16ELi32ELi8ELc67ELc78ELc85ELb1ELb0E19rocblas_complex_numIfES1_PKS1_PS1_EviT_T9_T10_S5_lS7_S5_lS6_T11_S5_li
; %bb.0:
	s_clause 0x1
	s_load_b64 s[20:21], s[0:1], 0x40
	s_load_b128 s[4:7], s[0:1], 0x0
	s_wait_kmcnt 0x0
	s_cmp_eq_f32 s20, 1.0
	s_cselect_b32 s2, -1, 0
	s_and_b32 s3, s21, 0x7fffffff
	s_delay_alu instid0(SALU_CYCLE_1) | instskip(SKIP_1) | instid1(SALU_CYCLE_1)
	s_cmp_eq_u32 s3, 0
	s_cselect_b32 s3, -1, 0
	s_and_b32 s8, s2, s3
	s_mov_b32 s2, 0
	s_and_not1_b32 vcc_lo, exec_lo, s8
	s_mov_b32 s8, -1
	s_cbranch_vccnz .LBB96_4
; %bb.1:
	s_cmp_lg_u32 s5, 0
	s_cbranch_scc0 .LBB96_3
; %bb.2:
	s_cmp_neq_f32 s6, 0
	s_cselect_b32 s2, -1, 0
	s_cmp_neq_f32 s7, 0
	s_cselect_b32 s8, -1, 0
	s_delay_alu instid0(SALU_CYCLE_1)
	s_or_b32 s2, s2, s8
.LBB96_3:
	s_delay_alu instid0(SALU_CYCLE_1)
	s_mov_b32 s8, s2
.LBB96_4:
	s_delay_alu instid0(SALU_CYCLE_1)
	s_and_b32 vcc_lo, exec_lo, s8
	s_cbranch_vccz .LBB96_39
; %bb.5:
	s_load_b32 s15, s[0:1], 0x60
	s_lshr_b32 s22, ttmp7, 16
	s_wait_kmcnt 0x0
	s_cmp_ge_u32 s22, s15
	s_cbranch_scc1 .LBB96_39
; %bb.6:
	v_and_b32_e32 v1, 0x3ff, v0
	v_bfe_u32 v2, v0, 10, 10
	v_and_b32_e32 v18, 7, v0
	s_lshl_b32 s2, ttmp7, 5
	s_clause 0x5
	s_load_b96 s[16:18], s[0:1], 0x10
	s_load_b128 s[8:11], s[0:1], 0x20
	s_load_b32 s29, s[0:1], 0x30
	s_load_b64 s[26:27], s[0:1], 0x38
	s_load_b96 s[12:14], s[0:1], 0x48
	s_load_b64 s[24:25], s[0:1], 0x58
	v_lshl_add_u32 v0, v2, 4, v1
	s_lshl_b32 s19, ttmp9, 5
	s_and_b32 s2, s2, 0x1fffe0
	s_cmp_neq_f32 s6, 0
	v_add_nc_u32_e32 v10, s19, v1
	v_lshrrev_b32_e32 v19, 5, v0
	v_lshrrev_b32_e32 v3, 3, v0
	v_and_b32_e32 v0, 31, v0
	s_cselect_b32 s28, -1, 0
	s_cmp_neq_f32 s7, 0
	v_add_nc_u32_e32 v12, 16, v10
	v_add_nc_u32_e32 v5, s2, v3
	v_or_b32_e32 v4, s19, v0
	v_lshlrev_b32_e32 v0, 3, v0
	s_cselect_b32 s0, -1, 0
	v_lshlrev_b32_e32 v22, 3, v1
	s_or_b32 s30, s28, s0
	s_cmp_gt_i32 s5, 0
	v_lshl_or_b32 v20, v19, 8, v0
	v_add_nc_u32_e32 v0, s2, v2
	s_cselect_b32 s31, -1, 0
	s_cmp_neq_f32 s20, 0
	v_lshl_add_u32 v23, v2, 6, 0x800
	v_lshlrev_b32_e32 v14, 3, v18
	v_cmp_gt_i32_e64 s1, s4, v0
	s_cselect_b32 s33, -1, 0
	v_cmp_le_i32_e64 s2, v10, v0
	s_xor_b32 s34, s3, -1
	v_cmp_le_i32_e64 s3, v12, v0
	s_wait_kmcnt 0x0
	v_mad_co_i64_i32 v[6:7], null, v0, s14, 0
	v_add_nc_u32_e32 v2, 16, v0
	v_mad_co_i64_i32 v[0:1], null, s18, v4, 0
	v_lshl_or_b32 v3, v3, 6, v14
	v_cmp_gt_i32_e32 vcc_lo, s4, v4
	s_and_b32 s19, s1, s2
	s_and_b32 s28, s1, s3
	v_cmp_gt_i32_e64 s1, s4, v2
	v_cmp_le_i32_e64 s2, v10, v2
	v_lshlrev_b64_e32 v[0:1], 3, v[0:1]
	v_cmp_le_i32_e64 s3, v12, v2
	v_lshlrev_b32_e32 v4, 3, v19
	v_add_nc_u32_e32 v21, 0x800, v3
	v_mad_co_i64_i32 v[8:9], null, v2, s14, 0
	v_mad_co_i64_i32 v[2:3], null, s29, v5, 0
	v_cmp_gt_i32_e64 s0, s4, v5
	s_and_b32 s4, s1, s2
	s_and_b32 s14, s1, s3
	v_add_co_u32 v4, s1, v0, v4
	s_delay_alu instid0(VALU_DEP_1) | instskip(SKIP_1) | instid1(VALU_DEP_3)
	v_add_co_ci_u32_e64 v1, null, 0, v1, s1
	v_ashrrev_i32_e32 v11, 31, v10
	v_add_co_u32 v15, s1, s16, v4
	v_lshlrev_b64_e32 v[4:5], 3, v[2:3]
	s_wait_alu 0xf1ff
	v_add_co_ci_u32_e64 v1, null, s17, v1, s1
	s_delay_alu instid0(VALU_DEP_3) | instskip(SKIP_2) | instid1(VALU_DEP_3)
	v_add_co_u32 v2, s1, v15, 4
	v_ashrrev_i32_e32 v13, 31, v12
	s_wait_alu 0xf1ff
	v_add_co_ci_u32_e64 v3, null, 0, v1, s1
	v_add_co_u32 v1, s1, v4, v14
	s_wait_alu 0xf1ff
	v_add_co_ci_u32_e64 v5, null, 0, v5, s1
	v_lshlrev_b64_e32 v[6:7], 3, v[6:7]
	s_delay_alu instid0(VALU_DEP_3)
	v_add_co_u32 v4, s1, s10, v1
	v_lshlrev_b64_e32 v[8:9], 3, v[8:9]
	v_lshlrev_b64_e32 v[10:11], 3, v[10:11]
	;; [unrolled: 1-line block ×3, first 2 shown]
	v_mov_b32_e32 v0, 0
	s_wait_alu 0xf1ff
	v_add_co_ci_u32_e64 v5, null, s11, v5, s1
	s_mov_b32 s23, 0
	s_lshl_b64 s[2:3], s[8:9], 3
	s_and_b32 s10, s30, s31
	s_or_b32 s11, s33, s34
	s_lshl_b64 s[8:9], s[26:27], 3
	s_xor_b32 s16, vcc_lo, -1
	s_xor_b32 s17, s0, -1
	s_branch .LBB96_8
.LBB96_7:                               ;   in Loop: Header=BB96_8 Depth=1
	s_wait_alu 0xfffe
	s_or_b32 exec_lo, exec_lo, s0
	s_add_co_i32 s22, s22, 0x10000
	s_wait_alu 0xfffe
	s_cmp_lt_u32 s22, s15
	s_cbranch_scc0 .LBB96_39
.LBB96_8:                               ; =>This Loop Header: Depth=1
                                        ;     Child Loop BB96_11 Depth 2
	v_dual_mov_b32 v30, v0 :: v_dual_mov_b32 v31, v0
	v_dual_mov_b32 v28, v0 :: v_dual_mov_b32 v29, v0
	;; [unrolled: 1-line block ×4, first 2 shown]
	s_wait_alu 0xfffe
	s_and_not1_b32 vcc_lo, exec_lo, s10
	s_wait_alu 0xfffe
	s_cbranch_vccnz .LBB96_19
; %bb.9:                                ;   in Loop: Header=BB96_8 Depth=1
	v_mad_co_u64_u32 v[14:15], null, s2, s22, v[2:3]
	v_mad_co_u64_u32 v[16:17], null, s8, s22, v[4:5]
	v_dual_mov_b32 v25, 0 :: v_dual_mov_b32 v28, 0
	v_mov_b32_e32 v27, 0
	v_mov_b32_e32 v29, 0
	v_dual_mov_b32 v1, v15 :: v_dual_mov_b32 v24, 0
	v_dual_mov_b32 v15, v17 :: v_dual_mov_b32 v26, 0
	s_mov_b32 s0, 0
	s_delay_alu instid0(VALU_DEP_2) | instskip(NEXT) | instid1(VALU_DEP_2)
	v_mad_co_u64_u32 v[30:31], null, s3, s22, v[1:2]
	v_mad_co_u64_u32 v[32:33], null, s9, s22, v[15:16]
	v_mov_b32_e32 v31, 0
	s_delay_alu instid0(VALU_DEP_3) | instskip(NEXT) | instid1(VALU_DEP_3)
	v_dual_mov_b32 v15, v30 :: v_dual_mov_b32 v30, 0
	v_mov_b32_e32 v17, v32
	s_branch .LBB96_11
.LBB96_10:                              ;   in Loop: Header=BB96_11 Depth=2
	s_wait_alu 0xfffe
	s_or_b32 exec_lo, exec_lo, s1
	s_wait_dscnt 0x0
	s_barrier_signal -1
	s_barrier_wait -1
	global_inv scope:SCOPE_SE
	ds_load_b128 v[32:35], v23
	ds_load_2addr_b64 v[36:39], v22 offset1:16
	ds_load_b128 v[40:43], v23 offset:1024
	ds_load_b128 v[44:47], v23 offset:16
	;; [unrolled: 1-line block ×4, first 2 shown]
	ds_load_2addr_b64 v[56:59], v22 offset0:32 offset1:48
	ds_load_b128 v[60:63], v23 offset:1040
	v_add_co_u32 v14, vcc_lo, v14, 64
	s_wait_alu 0xfffd
	v_add_co_ci_u32_e64 v15, null, 0, v15, vcc_lo
	v_add_co_u32 v16, vcc_lo, v16, 64
	s_wait_alu 0xfffd
	v_add_co_ci_u32_e64 v17, null, 0, v17, vcc_lo
	s_add_co_i32 s0, s0, 8
	s_wait_alu 0xfffe
	s_cmp_lt_i32 s0, s5
	s_wait_dscnt 0x6
	v_dual_mul_f32 v1, v33, v37 :: v_dual_mul_f32 v66, v32, v39
	v_dual_mul_f32 v64, v32, v37 :: v_dual_mul_f32 v65, v33, v39
	s_wait_dscnt 0x5
	v_mul_f32_e32 v68, v41, v39
	s_delay_alu instid0(VALU_DEP_3) | instskip(SKIP_3) | instid1(VALU_DEP_4)
	v_fma_f32 v1, v32, v36, -v1
	v_dual_mul_f32 v39, v40, v39 :: v_dual_fmac_f32 v66, v33, v38
	v_fmac_f32_e32 v64, v33, v36
	v_fma_f32 v32, v32, v38, -v65
	v_add_f32_e32 v1, v30, v1
	v_mul_f32_e32 v67, v41, v37
	s_delay_alu instid0(VALU_DEP_4) | instskip(NEXT) | instid1(VALU_DEP_4)
	v_dual_mul_f32 v37, v40, v37 :: v_dual_add_f32 v30, v31, v64
	v_add_f32_e32 v31, v28, v32
	v_fmac_f32_e32 v39, v41, v38
	s_delay_alu instid0(VALU_DEP_4) | instskip(NEXT) | instid1(VALU_DEP_4)
	v_fma_f32 v33, v40, v36, -v67
	v_fmac_f32_e32 v37, v41, v36
	v_fma_f32 v36, v40, v38, -v68
	s_wait_dscnt 0x1
	v_dual_mul_f32 v38, v34, v57 :: v_dual_add_f32 v29, v29, v66
	v_mul_f32_e32 v40, v35, v59
	v_add_f32_e32 v32, v26, v33
	v_dual_add_f32 v33, v27, v37 :: v_dual_add_f32 v36, v25, v36
	ds_load_2addr_b64 v[25:28], v22 offset0:64 offset1:80
	v_fmac_f32_e32 v38, v35, v56
	v_dual_mul_f32 v37, v35, v57 :: v_dual_add_f32 v24, v24, v39
	v_mul_f32_e32 v39, v34, v59
	s_delay_alu instid0(VALU_DEP_3) | instskip(NEXT) | instid1(VALU_DEP_3)
	v_add_f32_e32 v38, v30, v38
	v_fma_f32 v37, v34, v56, -v37
	v_fma_f32 v34, v34, v58, -v40
	v_mul_f32_e32 v30, v42, v57
	s_delay_alu instid0(VALU_DEP_3) | instskip(SKIP_1) | instid1(VALU_DEP_4)
	v_add_f32_e32 v1, v1, v37
	v_mul_f32_e32 v37, v43, v57
	v_add_f32_e32 v34, v31, v34
	v_fmac_f32_e32 v39, v35, v58
	v_mul_f32_e32 v35, v43, v59
	v_fmac_f32_e32 v30, v43, v56
	v_fma_f32 v31, v42, v56, -v37
	s_delay_alu instid0(VALU_DEP_4) | instskip(SKIP_4) | instid1(VALU_DEP_3)
	v_add_f32_e32 v37, v29, v39
	v_mul_f32_e32 v39, v42, v59
	v_fma_f32 v29, v42, v58, -v35
	s_wait_dscnt 0x0
	v_dual_add_f32 v40, v32, v31 :: v_dual_mul_f32 v31, v45, v26
	v_dual_mul_f32 v42, v45, v28 :: v_dual_fmac_f32 v39, v43, v58
	v_mul_f32_e32 v35, v44, v26
	v_add_f32_e32 v36, v36, v29
	s_delay_alu instid0(VALU_DEP_3) | instskip(SKIP_3) | instid1(VALU_DEP_3)
	v_add_f32_e32 v39, v24, v39
	v_mul_f32_e32 v24, v44, v28
	v_fma_f32 v41, v44, v25, -v31
	v_fmac_f32_e32 v35, v45, v25
	v_fmac_f32_e32 v24, v45, v27
	s_delay_alu instid0(VALU_DEP_3)
	v_add_f32_e32 v1, v1, v41
	v_fma_f32 v41, v44, v27, -v42
	v_add_f32_e32 v33, v33, v30
	ds_load_2addr_b64 v[29:32], v22 offset0:96 offset1:112
	v_dual_add_f32 v35, v38, v35 :: v_dual_mul_f32 v38, v61, v26
	v_mul_f32_e32 v26, v60, v26
	v_dual_add_f32 v34, v34, v41 :: v_dual_mul_f32 v41, v61, v28
	v_mul_f32_e32 v28, v60, v28
	s_delay_alu instid0(VALU_DEP_4) | instskip(NEXT) | instid1(VALU_DEP_4)
	v_fma_f32 v38, v60, v25, -v38
	v_fmac_f32_e32 v26, v61, v25
	v_add_f32_e32 v37, v37, v24
	v_fma_f32 v24, v60, v27, -v41
	v_fmac_f32_e32 v28, v61, v27
	v_add_f32_e32 v38, v40, v38
	s_delay_alu instid0(VALU_DEP_3) | instskip(SKIP_4) | instid1(VALU_DEP_2)
	v_dual_add_f32 v40, v33, v26 :: v_dual_add_f32 v41, v36, v24
	ds_load_2addr_b64 v[24:27], v22 offset0:128 offset1:144
	s_wait_dscnt 0x1
	v_mul_f32_e32 v33, v47, v30
	v_dual_mul_f32 v36, v46, v30 :: v_dual_mul_f32 v45, v63, v32
	v_fma_f32 v33, v46, v29, -v33
	v_mul_f32_e32 v42, v47, v32
	s_delay_alu instid0(VALU_DEP_3) | instskip(NEXT) | instid1(VALU_DEP_3)
	v_fmac_f32_e32 v36, v47, v29
	v_add_f32_e32 v1, v1, v33
	s_delay_alu instid0(VALU_DEP_3) | instskip(SKIP_3) | instid1(VALU_DEP_4)
	v_fma_f32 v42, v46, v31, -v42
	v_add_f32_e32 v39, v39, v28
	v_dual_mul_f32 v28, v46, v32 :: v_dual_mul_f32 v33, v63, v30
	v_dual_add_f32 v43, v35, v36 :: v_dual_mul_f32 v30, v62, v30
	v_add_f32_e32 v42, v34, v42
	s_delay_alu instid0(VALU_DEP_3) | instskip(NEXT) | instid1(VALU_DEP_4)
	v_fmac_f32_e32 v28, v47, v31
	v_fma_f32 v44, v62, v29, -v33
	ds_load_b128 v[33:36], v23 offset:1056
	v_fmac_f32_e32 v30, v63, v29
	s_wait_dscnt 0x1
	v_mul_f32_e32 v29, v49, v25
	v_add_f32_e32 v46, v37, v28
	v_dual_mul_f32 v32, v62, v32 :: v_dual_mul_f32 v47, v48, v25
	v_mul_f32_e32 v56, v48, v27
	s_delay_alu instid0(VALU_DEP_4)
	v_fma_f32 v37, v48, v24, -v29
	v_add_f32_e32 v44, v38, v44
	v_mul_f32_e32 v38, v49, v27
	v_fma_f32 v28, v62, v31, -v45
	v_dual_fmac_f32 v32, v63, v31 :: v_dual_fmac_f32 v47, v49, v24
	v_add_f32_e32 v1, v1, v37
	s_delay_alu instid0(VALU_DEP_4) | instskip(NEXT) | instid1(VALU_DEP_4)
	v_fma_f32 v48, v48, v26, -v38
	v_add_f32_e32 v41, v41, v28
	v_add_f32_e32 v45, v40, v30
	ds_load_2addr_b64 v[28:31], v22 offset0:160 offset1:176
	v_add_f32_e32 v32, v39, v32
	ds_load_b128 v[37:40], v23 offset:1072
	s_wait_dscnt 0x2
	v_mul_f32_e32 v57, v34, v25
	v_dual_mul_f32 v25, v33, v25 :: v_dual_add_f32 v42, v42, v48
	v_mul_f32_e32 v48, v34, v27
	v_dual_add_f32 v43, v43, v47 :: v_dual_fmac_f32 v56, v49, v26
	s_delay_alu instid0(VALU_DEP_4) | instskip(NEXT) | instid1(VALU_DEP_4)
	v_fma_f32 v47, v33, v24, -v57
	v_fmac_f32_e32 v25, v34, v24
	v_mul_f32_e32 v49, v33, v27
	s_delay_alu instid0(VALU_DEP_3) | instskip(SKIP_1) | instid1(VALU_DEP_3)
	v_add_f32_e32 v44, v44, v47
	v_add_f32_e32 v46, v46, v56
	v_fmac_f32_e32 v49, v34, v26
	s_wait_dscnt 0x1
	v_mul_f32_e32 v27, v51, v29
	v_fma_f32 v24, v33, v26, -v48
	v_add_f32_e32 v33, v45, v25
	v_mul_f32_e32 v34, v50, v29
	s_delay_alu instid0(VALU_DEP_4) | instskip(NEXT) | instid1(VALU_DEP_4)
	v_fma_f32 v45, v50, v28, -v27
	v_add_f32_e32 v41, v41, v24
	ds_load_2addr_b64 v[24:27], v22 offset0:192 offset1:208
	v_fmac_f32_e32 v34, v51, v28
	v_dual_mul_f32 v47, v51, v31 :: v_dual_add_f32 v48, v32, v49
	v_dual_add_f32 v1, v1, v45 :: v_dual_mul_f32 v32, v50, v31
	s_delay_alu instid0(VALU_DEP_3) | instskip(NEXT) | instid1(VALU_DEP_3)
	v_dual_add_f32 v43, v43, v34 :: v_dual_mul_f32 v34, v36, v29
	v_fma_f32 v45, v50, v30, -v47
	s_delay_alu instid0(VALU_DEP_3) | instskip(NEXT) | instid1(VALU_DEP_3)
	v_fmac_f32_e32 v32, v51, v30
	v_fma_f32 v34, v35, v28, -v34
	s_delay_alu instid0(VALU_DEP_3) | instskip(SKIP_1) | instid1(VALU_DEP_3)
	v_dual_add_f32 v42, v42, v45 :: v_dual_mul_f32 v45, v36, v31
	v_mul_f32_e32 v29, v35, v29
	v_dual_mul_f32 v31, v35, v31 :: v_dual_add_f32 v44, v44, v34
	s_delay_alu instid0(VALU_DEP_2) | instskip(SKIP_2) | instid1(VALU_DEP_4)
	v_fmac_f32_e32 v29, v36, v28
	v_add_f32_e32 v28, v46, v32
	v_fma_f32 v32, v35, v30, -v45
	v_fmac_f32_e32 v31, v36, v30
	s_wait_dscnt 0x0
	v_mul_f32_e32 v36, v52, v25
	v_dual_add_f32 v29, v33, v29 :: v_dual_mul_f32 v46, v52, v27
	v_add_f32_e32 v30, v41, v32
	ds_load_2addr_b64 v[32:35], v22 offset0:224 offset1:240
	v_dual_add_f32 v31, v48, v31 :: v_dual_fmac_f32 v36, v53, v24
	v_mul_f32_e32 v45, v53, v25
	v_fmac_f32_e32 v46, v53, v26
	s_wait_loadcnt_dscnt 0x0
	s_barrier_signal -1
	v_add_f32_e32 v36, v43, v36
	v_fma_f32 v41, v52, v24, -v45
	v_mul_f32_e32 v45, v53, v27
	v_mul_f32_e32 v43, v38, v27
	;; [unrolled: 1-line block ×3, first 2 shown]
	s_barrier_wait -1
	global_inv scope:SCOPE_SE
	v_fma_f32 v45, v52, v26, -v45
	v_fmac_f32_e32 v27, v38, v26
	s_delay_alu instid0(VALU_DEP_2) | instskip(SKIP_4) | instid1(VALU_DEP_1)
	v_dual_add_f32 v42, v42, v45 :: v_dual_add_f32 v45, v28, v46
	v_fma_f32 v28, v37, v26, -v43
	v_add_f32_e32 v1, v1, v41
	v_mul_f32_e32 v41, v38, v25
	v_mul_f32_e32 v25, v37, v25
	v_fmac_f32_e32 v25, v38, v24
	v_add_f32_e32 v38, v30, v28
	v_mul_f32_e32 v28, v55, v35
	v_fma_f32 v41, v37, v24, -v41
	v_mul_f32_e32 v37, v55, v33
	s_delay_alu instid0(VALU_DEP_2) | instskip(NEXT) | instid1(VALU_DEP_2)
	v_add_f32_e32 v24, v44, v41
	v_fma_f32 v26, v54, v32, -v37
	v_add_f32_e32 v25, v29, v25
	s_delay_alu instid0(VALU_DEP_2) | instskip(SKIP_1) | instid1(VALU_DEP_2)
	v_dual_mul_f32 v29, v54, v35 :: v_dual_add_f32 v30, v1, v26
	v_fma_f32 v1, v54, v34, -v28
	v_dual_mul_f32 v26, v40, v33 :: v_dual_fmac_f32 v29, v55, v34
	s_delay_alu instid0(VALU_DEP_2) | instskip(NEXT) | instid1(VALU_DEP_2)
	v_add_f32_e32 v28, v42, v1
	v_fma_f32 v1, v39, v32, -v26
	s_delay_alu instid0(VALU_DEP_3) | instskip(NEXT) | instid1(VALU_DEP_2)
	v_add_f32_e32 v29, v45, v29
	v_dual_add_f32 v26, v24, v1 :: v_dual_add_f32 v37, v31, v27
	v_mul_f32_e32 v41, v54, v33
	v_mul_f32_e32 v27, v39, v33
	;; [unrolled: 1-line block ×4, first 2 shown]
	s_delay_alu instid0(VALU_DEP_3) | instskip(NEXT) | instid1(VALU_DEP_2)
	v_fmac_f32_e32 v27, v40, v32
	v_fmac_f32_e32 v35, v40, v34
	s_delay_alu instid0(VALU_DEP_2) | instskip(NEXT) | instid1(VALU_DEP_2)
	v_add_f32_e32 v27, v25, v27
	v_dual_add_f32 v24, v37, v35 :: v_dual_fmac_f32 v41, v55, v32
	v_fma_f32 v32, v39, v34, -v33
	s_delay_alu instid0(VALU_DEP_2) | instskip(NEXT) | instid1(VALU_DEP_2)
	v_add_f32_e32 v31, v36, v41
	v_add_f32_e32 v25, v38, v32
	s_cbranch_scc0 .LBB96_19
.LBB96_11:                              ;   Parent Loop BB96_8 Depth=1
                                        ; =>  This Inner Loop Header: Depth=2
	s_wait_alu 0xfffe
	v_add_nc_u32_e32 v1, s0, v19
	s_delay_alu instid0(VALU_DEP_1)
	v_cmp_le_i32_e32 vcc_lo, s5, v1
	s_or_b32 s1, s16, vcc_lo
	s_wait_alu 0xfffe
	s_and_saveexec_b32 s18, s1
	s_wait_alu 0xfffe
	s_xor_b32 s1, exec_lo, s18
; %bb.12:                               ;   in Loop: Header=BB96_11 Depth=2
	ds_store_b32 v20, v0
; %bb.13:                               ;   in Loop: Header=BB96_11 Depth=2
	s_wait_alu 0xfffe
	s_or_saveexec_b32 s1, s1
	v_mov_b32_e32 v1, 0
	s_wait_alu 0xfffe
	s_xor_b32 exec_lo, exec_lo, s1
	s_cbranch_execz .LBB96_15
; %bb.14:                               ;   in Loop: Header=BB96_11 Depth=2
	global_load_b64 v[32:33], v[14:15], off offset:-4
	s_wait_loadcnt 0x0
	v_xor_b32_e32 v1, 0x80000000, v33
	ds_store_b32 v20, v32
.LBB96_15:                              ;   in Loop: Header=BB96_11 Depth=2
	s_or_b32 exec_lo, exec_lo, s1
	v_add_nc_u32_e32 v32, s0, v18
	ds_store_b32 v20, v1 offset:4
	v_cmp_le_i32_e32 vcc_lo, s5, v32
	s_or_b32 s1, vcc_lo, s17
	s_wait_alu 0xfffe
	s_and_saveexec_b32 s18, s1
	s_wait_alu 0xfffe
	s_xor_b32 s1, exec_lo, s18
; %bb.16:                               ;   in Loop: Header=BB96_11 Depth=2
	v_mov_b32_e32 v1, v0
	ds_store_b64 v21, v[0:1]
; %bb.17:                               ;   in Loop: Header=BB96_11 Depth=2
	s_wait_alu 0xfffe
	s_and_not1_saveexec_b32 s1, s1
	s_cbranch_execz .LBB96_10
; %bb.18:                               ;   in Loop: Header=BB96_11 Depth=2
	global_load_b64 v[32:33], v[16:17], off
	s_wait_loadcnt 0x0
	ds_store_b64 v21, v[32:33]
	s_branch .LBB96_10
.LBB96_19:                              ;   in Loop: Header=BB96_8 Depth=1
	s_mul_u64 s[0:1], s[24:25], s[22:23]
	s_wait_alu 0xfffe
	s_lshl_b64 s[0:1], s[0:1], 3
	s_wait_alu 0xfffe
	s_add_nc_u64 s[0:1], s[12:13], s[0:1]
	s_wait_alu 0xfffe
	v_add_co_u32 v1, vcc_lo, s0, v6
	s_wait_alu 0xfffd
	v_add_co_ci_u32_e64 v16, null, s1, v7, vcc_lo
	s_and_saveexec_b32 s18, s19
	s_cbranch_execz .LBB96_24
; %bb.20:                               ;   in Loop: Header=BB96_8 Depth=1
	v_mul_f32_e32 v15, s6, v31
	v_mul_f32_e32 v14, s7, v31
	s_and_b32 vcc_lo, exec_lo, s11
	s_mov_b32 s26, -1
	s_delay_alu instid0(VALU_DEP_2) | instskip(NEXT) | instid1(VALU_DEP_2)
	v_fmac_f32_e32 v15, s7, v30
	v_fma_f32 v14, v30, s6, -v14
	s_wait_alu 0xfffe
	s_cbranch_vccz .LBB96_22
; %bb.21:                               ;   in Loop: Header=BB96_8 Depth=1
	v_add_co_u32 v30, vcc_lo, v1, v10
	s_wait_alu 0xfffd
	v_add_co_ci_u32_e64 v31, null, v16, v11, vcc_lo
	s_mov_b32 s26, 0
	global_load_b64 v[32:33], v[30:31], off
	s_wait_loadcnt 0x0
	v_mul_f32_e32 v17, s21, v33
	v_mul_f32_e32 v33, s20, v33
	s_delay_alu instid0(VALU_DEP_2) | instskip(NEXT) | instid1(VALU_DEP_1)
	v_fma_f32 v17, v32, s20, -v17
	v_dual_fmac_f32 v33, s21, v32 :: v_dual_add_f32 v32, v14, v17
	s_delay_alu instid0(VALU_DEP_1)
	v_add_f32_e32 v33, v15, v33
	global_store_b64 v[30:31], v[32:33], off
.LBB96_22:                              ;   in Loop: Header=BB96_8 Depth=1
	s_and_not1_b32 vcc_lo, exec_lo, s26
	s_wait_alu 0xfffe
	s_cbranch_vccnz .LBB96_24
; %bb.23:                               ;   in Loop: Header=BB96_8 Depth=1
	v_add_co_u32 v30, vcc_lo, v1, v10
	s_wait_alu 0xfffd
	v_add_co_ci_u32_e64 v31, null, v16, v11, vcc_lo
	global_store_b64 v[30:31], v[14:15], off
.LBB96_24:                              ;   in Loop: Header=BB96_8 Depth=1
	s_wait_alu 0xfffe
	s_or_b32 exec_lo, exec_lo, s18
	s_and_saveexec_b32 s18, s28
	s_cbranch_execz .LBB96_29
; %bb.25:                               ;   in Loop: Header=BB96_8 Depth=1
	v_mul_f32_e32 v15, s6, v29
	v_mul_f32_e32 v14, s7, v29
	s_and_not1_b32 vcc_lo, exec_lo, s11
	s_mov_b32 s26, -1
	s_delay_alu instid0(VALU_DEP_2) | instskip(NEXT) | instid1(VALU_DEP_2)
	v_fmac_f32_e32 v15, s7, v28
	v_fma_f32 v14, v28, s6, -v14
	s_wait_alu 0xfffe
	s_cbranch_vccnz .LBB96_27
; %bb.26:                               ;   in Loop: Header=BB96_8 Depth=1
	v_add_co_u32 v28, vcc_lo, v1, v12
	s_wait_alu 0xfffd
	v_add_co_ci_u32_e64 v29, null, v16, v13, vcc_lo
	s_mov_b32 s26, 0
	global_load_b64 v[30:31], v[28:29], off
	s_wait_loadcnt 0x0
	v_mul_f32_e32 v17, s21, v31
	s_delay_alu instid0(VALU_DEP_1) | instskip(SKIP_1) | instid1(VALU_DEP_1)
	v_fma_f32 v17, v30, s20, -v17
	v_mul_f32_e32 v31, s20, v31
	v_dual_fmac_f32 v31, s21, v30 :: v_dual_add_f32 v30, v14, v17
	s_delay_alu instid0(VALU_DEP_1)
	v_add_f32_e32 v31, v15, v31
	global_store_b64 v[28:29], v[30:31], off
.LBB96_27:                              ;   in Loop: Header=BB96_8 Depth=1
	s_and_not1_b32 vcc_lo, exec_lo, s26
	s_wait_alu 0xfffe
	s_cbranch_vccnz .LBB96_29
; %bb.28:                               ;   in Loop: Header=BB96_8 Depth=1
	v_add_co_u32 v28, vcc_lo, v1, v12
	s_wait_alu 0xfffd
	v_add_co_ci_u32_e64 v29, null, v16, v13, vcc_lo
	global_store_b64 v[28:29], v[14:15], off
.LBB96_29:                              ;   in Loop: Header=BB96_8 Depth=1
	s_wait_alu 0xfffe
	s_or_b32 exec_lo, exec_lo, s18
	v_add_co_u32 v1, vcc_lo, s0, v8
	s_wait_alu 0xfffd
	v_add_co_ci_u32_e64 v16, null, s1, v9, vcc_lo
	s_and_saveexec_b32 s0, s4
	s_cbranch_execz .LBB96_34
; %bb.30:                               ;   in Loop: Header=BB96_8 Depth=1
	v_mul_f32_e32 v15, s6, v27
	v_mul_f32_e32 v14, s7, v27
	s_and_not1_b32 vcc_lo, exec_lo, s11
	s_mov_b32 s1, -1
	s_delay_alu instid0(VALU_DEP_2) | instskip(NEXT) | instid1(VALU_DEP_2)
	v_fmac_f32_e32 v15, s7, v26
	v_fma_f32 v14, v26, s6, -v14
	s_wait_alu 0xfffe
	s_cbranch_vccnz .LBB96_32
; %bb.31:                               ;   in Loop: Header=BB96_8 Depth=1
	v_add_co_u32 v26, vcc_lo, v1, v10
	s_wait_alu 0xfffd
	v_add_co_ci_u32_e64 v27, null, v16, v11, vcc_lo
	s_mov_b32 s1, 0
	global_load_b64 v[28:29], v[26:27], off
	s_wait_loadcnt 0x0
	v_mul_f32_e32 v17, s21, v29
	v_mul_f32_e32 v29, s20, v29
	s_delay_alu instid0(VALU_DEP_2) | instskip(NEXT) | instid1(VALU_DEP_1)
	v_fma_f32 v17, v28, s20, -v17
	v_dual_fmac_f32 v29, s21, v28 :: v_dual_add_f32 v28, v14, v17
	s_delay_alu instid0(VALU_DEP_1)
	v_add_f32_e32 v29, v15, v29
	global_store_b64 v[26:27], v[28:29], off
.LBB96_32:                              ;   in Loop: Header=BB96_8 Depth=1
	s_wait_alu 0xfffe
	s_and_not1_b32 vcc_lo, exec_lo, s1
	s_wait_alu 0xfffe
	s_cbranch_vccnz .LBB96_34
; %bb.33:                               ;   in Loop: Header=BB96_8 Depth=1
	v_add_co_u32 v26, vcc_lo, v1, v10
	s_wait_alu 0xfffd
	v_add_co_ci_u32_e64 v27, null, v16, v11, vcc_lo
	global_store_b64 v[26:27], v[14:15], off
.LBB96_34:                              ;   in Loop: Header=BB96_8 Depth=1
	s_wait_alu 0xfffe
	s_or_b32 exec_lo, exec_lo, s0
	s_and_saveexec_b32 s0, s14
	s_cbranch_execz .LBB96_7
; %bb.35:                               ;   in Loop: Header=BB96_8 Depth=1
	v_mul_f32_e32 v15, s6, v24
	v_mul_f32_e32 v14, s7, v24
	s_and_not1_b32 vcc_lo, exec_lo, s11
	s_mov_b32 s1, -1
	s_delay_alu instid0(VALU_DEP_2) | instskip(NEXT) | instid1(VALU_DEP_2)
	v_fmac_f32_e32 v15, s7, v25
	v_fma_f32 v14, v25, s6, -v14
	s_wait_alu 0xfffe
	s_cbranch_vccnz .LBB96_37
; %bb.36:                               ;   in Loop: Header=BB96_8 Depth=1
	v_add_co_u32 v24, vcc_lo, v1, v12
	s_wait_alu 0xfffd
	v_add_co_ci_u32_e64 v25, null, v16, v13, vcc_lo
	s_mov_b32 s1, 0
	global_load_b64 v[26:27], v[24:25], off
	s_wait_loadcnt 0x0
	v_mul_f32_e32 v17, s21, v27
	s_delay_alu instid0(VALU_DEP_1) | instskip(SKIP_1) | instid1(VALU_DEP_1)
	v_fma_f32 v17, v26, s20, -v17
	v_mul_f32_e32 v27, s20, v27
	v_dual_fmac_f32 v27, s21, v26 :: v_dual_add_f32 v26, v14, v17
	s_delay_alu instid0(VALU_DEP_1)
	v_add_f32_e32 v27, v15, v27
	global_store_b64 v[24:25], v[26:27], off
.LBB96_37:                              ;   in Loop: Header=BB96_8 Depth=1
	s_wait_alu 0xfffe
	s_and_not1_b32 vcc_lo, exec_lo, s1
	s_wait_alu 0xfffe
	s_cbranch_vccnz .LBB96_7
; %bb.38:                               ;   in Loop: Header=BB96_8 Depth=1
	v_add_co_u32 v24, vcc_lo, v1, v12
	s_wait_alu 0xfffd
	v_add_co_ci_u32_e64 v25, null, v16, v13, vcc_lo
	global_store_b64 v[24:25], v[14:15], off
	s_branch .LBB96_7
.LBB96_39:
	s_endpgm
	.section	.rodata,"a",@progbits
	.p2align	6, 0x0
	.amdhsa_kernel _ZL29rocblas_internal_gemmt_kernelIiLi16ELi32ELi8ELc67ELc78ELc85ELb1ELb0E19rocblas_complex_numIfES1_PKS1_PS1_EviT_T9_T10_S5_lS7_S5_lS6_T11_S5_li
		.amdhsa_group_segment_fixed_size 4096
		.amdhsa_private_segment_fixed_size 0
		.amdhsa_kernarg_size 100
		.amdhsa_user_sgpr_count 2
		.amdhsa_user_sgpr_dispatch_ptr 0
		.amdhsa_user_sgpr_queue_ptr 0
		.amdhsa_user_sgpr_kernarg_segment_ptr 1
		.amdhsa_user_sgpr_dispatch_id 0
		.amdhsa_user_sgpr_private_segment_size 0
		.amdhsa_wavefront_size32 1
		.amdhsa_uses_dynamic_stack 0
		.amdhsa_enable_private_segment 0
		.amdhsa_system_sgpr_workgroup_id_x 1
		.amdhsa_system_sgpr_workgroup_id_y 1
		.amdhsa_system_sgpr_workgroup_id_z 1
		.amdhsa_system_sgpr_workgroup_info 0
		.amdhsa_system_vgpr_workitem_id 1
		.amdhsa_next_free_vgpr 69
		.amdhsa_next_free_sgpr 35
		.amdhsa_reserve_vcc 1
		.amdhsa_float_round_mode_32 0
		.amdhsa_float_round_mode_16_64 0
		.amdhsa_float_denorm_mode_32 3
		.amdhsa_float_denorm_mode_16_64 3
		.amdhsa_fp16_overflow 0
		.amdhsa_workgroup_processor_mode 1
		.amdhsa_memory_ordered 1
		.amdhsa_forward_progress 1
		.amdhsa_inst_pref_size 25
		.amdhsa_round_robin_scheduling 0
		.amdhsa_exception_fp_ieee_invalid_op 0
		.amdhsa_exception_fp_denorm_src 0
		.amdhsa_exception_fp_ieee_div_zero 0
		.amdhsa_exception_fp_ieee_overflow 0
		.amdhsa_exception_fp_ieee_underflow 0
		.amdhsa_exception_fp_ieee_inexact 0
		.amdhsa_exception_int_div_zero 0
	.end_amdhsa_kernel
	.section	.text._ZL29rocblas_internal_gemmt_kernelIiLi16ELi32ELi8ELc67ELc78ELc85ELb1ELb0E19rocblas_complex_numIfES1_PKS1_PS1_EviT_T9_T10_S5_lS7_S5_lS6_T11_S5_li,"axG",@progbits,_ZL29rocblas_internal_gemmt_kernelIiLi16ELi32ELi8ELc67ELc78ELc85ELb1ELb0E19rocblas_complex_numIfES1_PKS1_PS1_EviT_T9_T10_S5_lS7_S5_lS6_T11_S5_li,comdat
.Lfunc_end96:
	.size	_ZL29rocblas_internal_gemmt_kernelIiLi16ELi32ELi8ELc67ELc78ELc85ELb1ELb0E19rocblas_complex_numIfES1_PKS1_PS1_EviT_T9_T10_S5_lS7_S5_lS6_T11_S5_li, .Lfunc_end96-_ZL29rocblas_internal_gemmt_kernelIiLi16ELi32ELi8ELc67ELc78ELc85ELb1ELb0E19rocblas_complex_numIfES1_PKS1_PS1_EviT_T9_T10_S5_lS7_S5_lS6_T11_S5_li
                                        ; -- End function
	.set _ZL29rocblas_internal_gemmt_kernelIiLi16ELi32ELi8ELc67ELc78ELc85ELb1ELb0E19rocblas_complex_numIfES1_PKS1_PS1_EviT_T9_T10_S5_lS7_S5_lS6_T11_S5_li.num_vgpr, 69
	.set _ZL29rocblas_internal_gemmt_kernelIiLi16ELi32ELi8ELc67ELc78ELc85ELb1ELb0E19rocblas_complex_numIfES1_PKS1_PS1_EviT_T9_T10_S5_lS7_S5_lS6_T11_S5_li.num_agpr, 0
	.set _ZL29rocblas_internal_gemmt_kernelIiLi16ELi32ELi8ELc67ELc78ELc85ELb1ELb0E19rocblas_complex_numIfES1_PKS1_PS1_EviT_T9_T10_S5_lS7_S5_lS6_T11_S5_li.numbered_sgpr, 35
	.set _ZL29rocblas_internal_gemmt_kernelIiLi16ELi32ELi8ELc67ELc78ELc85ELb1ELb0E19rocblas_complex_numIfES1_PKS1_PS1_EviT_T9_T10_S5_lS7_S5_lS6_T11_S5_li.num_named_barrier, 0
	.set _ZL29rocblas_internal_gemmt_kernelIiLi16ELi32ELi8ELc67ELc78ELc85ELb1ELb0E19rocblas_complex_numIfES1_PKS1_PS1_EviT_T9_T10_S5_lS7_S5_lS6_T11_S5_li.private_seg_size, 0
	.set _ZL29rocblas_internal_gemmt_kernelIiLi16ELi32ELi8ELc67ELc78ELc85ELb1ELb0E19rocblas_complex_numIfES1_PKS1_PS1_EviT_T9_T10_S5_lS7_S5_lS6_T11_S5_li.uses_vcc, 1
	.set _ZL29rocblas_internal_gemmt_kernelIiLi16ELi32ELi8ELc67ELc78ELc85ELb1ELb0E19rocblas_complex_numIfES1_PKS1_PS1_EviT_T9_T10_S5_lS7_S5_lS6_T11_S5_li.uses_flat_scratch, 0
	.set _ZL29rocblas_internal_gemmt_kernelIiLi16ELi32ELi8ELc67ELc78ELc85ELb1ELb0E19rocblas_complex_numIfES1_PKS1_PS1_EviT_T9_T10_S5_lS7_S5_lS6_T11_S5_li.has_dyn_sized_stack, 0
	.set _ZL29rocblas_internal_gemmt_kernelIiLi16ELi32ELi8ELc67ELc78ELc85ELb1ELb0E19rocblas_complex_numIfES1_PKS1_PS1_EviT_T9_T10_S5_lS7_S5_lS6_T11_S5_li.has_recursion, 0
	.set _ZL29rocblas_internal_gemmt_kernelIiLi16ELi32ELi8ELc67ELc78ELc85ELb1ELb0E19rocblas_complex_numIfES1_PKS1_PS1_EviT_T9_T10_S5_lS7_S5_lS6_T11_S5_li.has_indirect_call, 0
	.section	.AMDGPU.csdata,"",@progbits
; Kernel info:
; codeLenInByte = 3140
; TotalNumSgprs: 37
; NumVgprs: 69
; ScratchSize: 0
; MemoryBound: 1
; FloatMode: 240
; IeeeMode: 1
; LDSByteSize: 4096 bytes/workgroup (compile time only)
; SGPRBlocks: 0
; VGPRBlocks: 8
; NumSGPRsForWavesPerEU: 37
; NumVGPRsForWavesPerEU: 69
; Occupancy: 16
; WaveLimiterHint : 0
; COMPUTE_PGM_RSRC2:SCRATCH_EN: 0
; COMPUTE_PGM_RSRC2:USER_SGPR: 2
; COMPUTE_PGM_RSRC2:TRAP_HANDLER: 0
; COMPUTE_PGM_RSRC2:TGID_X_EN: 1
; COMPUTE_PGM_RSRC2:TGID_Y_EN: 1
; COMPUTE_PGM_RSRC2:TGID_Z_EN: 1
; COMPUTE_PGM_RSRC2:TIDIG_COMP_CNT: 1
	.section	.text._ZL29rocblas_internal_gemmt_kernelIiLi16ELi32ELi8ELc67ELc84ELc85ELb1ELb0E19rocblas_complex_numIfES1_PKS1_PS1_EviT_T9_T10_S5_lS7_S5_lS6_T11_S5_li,"axG",@progbits,_ZL29rocblas_internal_gemmt_kernelIiLi16ELi32ELi8ELc67ELc84ELc85ELb1ELb0E19rocblas_complex_numIfES1_PKS1_PS1_EviT_T9_T10_S5_lS7_S5_lS6_T11_S5_li,comdat
	.globl	_ZL29rocblas_internal_gemmt_kernelIiLi16ELi32ELi8ELc67ELc84ELc85ELb1ELb0E19rocblas_complex_numIfES1_PKS1_PS1_EviT_T9_T10_S5_lS7_S5_lS6_T11_S5_li ; -- Begin function _ZL29rocblas_internal_gemmt_kernelIiLi16ELi32ELi8ELc67ELc84ELc85ELb1ELb0E19rocblas_complex_numIfES1_PKS1_PS1_EviT_T9_T10_S5_lS7_S5_lS6_T11_S5_li
	.p2align	8
	.type	_ZL29rocblas_internal_gemmt_kernelIiLi16ELi32ELi8ELc67ELc84ELc85ELb1ELb0E19rocblas_complex_numIfES1_PKS1_PS1_EviT_T9_T10_S5_lS7_S5_lS6_T11_S5_li,@function
_ZL29rocblas_internal_gemmt_kernelIiLi16ELi32ELi8ELc67ELc84ELc85ELb1ELb0E19rocblas_complex_numIfES1_PKS1_PS1_EviT_T9_T10_S5_lS7_S5_lS6_T11_S5_li: ; @_ZL29rocblas_internal_gemmt_kernelIiLi16ELi32ELi8ELc67ELc84ELc85ELb1ELb0E19rocblas_complex_numIfES1_PKS1_PS1_EviT_T9_T10_S5_lS7_S5_lS6_T11_S5_li
; %bb.0:
	s_clause 0x1
	s_load_b64 s[20:21], s[0:1], 0x40
	s_load_b128 s[4:7], s[0:1], 0x0
	s_wait_kmcnt 0x0
	s_cmp_eq_f32 s20, 1.0
	s_cselect_b32 s2, -1, 0
	s_and_b32 s3, s21, 0x7fffffff
	s_delay_alu instid0(SALU_CYCLE_1) | instskip(SKIP_1) | instid1(SALU_CYCLE_1)
	s_cmp_eq_u32 s3, 0
	s_cselect_b32 s3, -1, 0
	s_and_b32 s8, s2, s3
	s_mov_b32 s2, 0
	s_and_not1_b32 vcc_lo, exec_lo, s8
	s_mov_b32 s8, -1
	s_cbranch_vccnz .LBB97_4
; %bb.1:
	s_cmp_lg_u32 s5, 0
	s_cbranch_scc0 .LBB97_3
; %bb.2:
	s_cmp_neq_f32 s6, 0
	s_cselect_b32 s2, -1, 0
	s_cmp_neq_f32 s7, 0
	s_cselect_b32 s8, -1, 0
	s_delay_alu instid0(SALU_CYCLE_1)
	s_or_b32 s2, s2, s8
.LBB97_3:
	s_delay_alu instid0(SALU_CYCLE_1)
	s_mov_b32 s8, s2
.LBB97_4:
	s_delay_alu instid0(SALU_CYCLE_1)
	s_and_b32 vcc_lo, exec_lo, s8
	s_cbranch_vccz .LBB97_39
; %bb.5:
	s_load_b32 s15, s[0:1], 0x60
	s_lshr_b32 s22, ttmp7, 16
	s_wait_kmcnt 0x0
	s_cmp_ge_u32 s22, s15
	s_cbranch_scc1 .LBB97_39
; %bb.6:
	s_load_b32 s26, s[0:1], 0x30
	v_and_b32_e32 v1, 0x3ff, v0
	v_bfe_u32 v2, v0, 10, 10
	v_and_b32_e32 v18, 7, v0
	s_clause 0x4
	s_load_b96 s[16:18], s[0:1], 0x10
	s_load_b128 s[8:11], s[0:1], 0x20
	s_load_b64 s[28:29], s[0:1], 0x38
	s_load_b96 s[12:14], s[0:1], 0x48
	s_load_b64 s[24:25], s[0:1], 0x58
	s_lshl_b32 s1, ttmp7, 5
	s_lshl_b32 s0, ttmp9, 5
	v_lshl_add_u32 v0, v2, 4, v1
	s_and_b32 s1, s1, 0x1fffe0
	v_lshlrev_b32_e32 v3, 3, v18
	v_add_nc_u32_e32 v10, s0, v1
	v_lshlrev_b32_e32 v22, 3, v1
	v_lshrrev_b32_e32 v5, 3, v0
	v_and_b32_e32 v4, 31, v0
	v_lshrrev_b32_e32 v19, 5, v0
	v_add_nc_u32_e32 v12, 16, v10
	v_lshl_add_u32 v23, v2, 6, 0x800
	v_lshl_or_b32 v3, v5, 6, v3
	v_or_b32_e32 v0, s0, v4
	v_add_nc_u32_e32 v14, s1, v5
	s_wait_kmcnt 0x0
	s_ashr_i32 s27, s26, 31
	s_cmp_neq_f32 s6, 0
	v_add_nc_u32_e32 v21, 0x800, v3
	v_add_nc_u32_e32 v3, s1, v2
	v_cmp_gt_i32_e32 vcc_lo, s4, v0
	s_cselect_b32 s2, -1, 0
	s_cmp_neq_f32 s7, 0
	v_mad_co_i64_i32 v[0:1], null, s18, v0, 0
	v_lshlrev_b32_e32 v4, 3, v4
	s_cselect_b32 s19, -1, 0
	v_cmp_gt_i32_e64 s1, s4, v3
	s_wait_alu 0xfffe
	s_or_b32 s31, s2, s19
	s_cmp_gt_i32 s5, 0
	v_cmp_le_i32_e64 s2, v10, v3
	s_cselect_b32 s33, -1, 0
	s_cmp_neq_f32 s20, 0
	v_add_nc_u32_e32 v2, 16, v3
	v_lshlrev_b64_e32 v[0:1], 3, v[0:1]
	v_lshl_or_b32 v20, v19, 8, v4
	s_cselect_b32 s34, -1, 0
	s_xor_b32 s35, s3, -1
	v_cmp_le_i32_e64 s3, v12, v3
	s_and_b32 s19, s1, s2
	v_cmp_le_i32_e64 s2, v10, v2
	v_lshlrev_b32_e32 v4, 3, v19
	v_mad_co_i64_i32 v[6:7], null, v3, s14, 0
	s_and_b32 s30, s1, s3
	v_cmp_gt_i32_e64 s1, s4, v2
	v_cmp_le_i32_e64 s3, v12, v2
	v_mad_co_i64_i32 v[8:9], null, v2, s14, 0
	v_mad_co_i64_i32 v[2:3], null, s26, v18, 0
	v_cmp_gt_i32_e64 s0, s4, v14
	s_and_b32 s4, s1, s2
	s_and_b32 s14, s1, s3
	v_add_co_u32 v4, s1, v0, v4
	s_wait_alu 0xf1ff
	v_add_co_ci_u32_e64 v1, null, 0, v1, s1
	v_lshlrev_b32_e32 v14, 3, v14
	s_delay_alu instid0(VALU_DEP_3) | instskip(SKIP_3) | instid1(VALU_DEP_3)
	v_add_co_u32 v15, s1, s16, v4
	v_lshlrev_b64_e32 v[4:5], 3, v[2:3]
	s_wait_alu 0xf1ff
	v_add_co_ci_u32_e64 v1, null, s17, v1, s1
	v_add_co_u32 v2, s1, v15, 4
	v_ashrrev_i32_e32 v11, 31, v10
	s_wait_alu 0xf1ff
	s_delay_alu instid0(VALU_DEP_3) | instskip(SKIP_4) | instid1(VALU_DEP_3)
	v_add_co_ci_u32_e64 v3, null, 0, v1, s1
	v_add_co_u32 v1, s1, v4, v14
	v_ashrrev_i32_e32 v13, 31, v12
	s_wait_alu 0xf1ff
	v_add_co_ci_u32_e64 v5, null, 0, v5, s1
	v_add_co_u32 v4, s1, s10, v1
	v_lshlrev_b64_e32 v[6:7], 3, v[6:7]
	v_lshlrev_b64_e32 v[8:9], 3, v[8:9]
	;; [unrolled: 1-line block ×4, first 2 shown]
	v_mov_b32_e32 v0, 0
	s_wait_alu 0xf1ff
	v_add_co_ci_u32_e64 v5, null, s11, v5, s1
	s_mov_b32 s23, 0
	s_lshl_b64 s[2:3], s[8:9], 3
	s_lshl_b64 s[8:9], s[28:29], 3
	s_and_b32 s16, s31, s33
	s_or_b32 s17, s34, s35
	s_lshl_b64 s[10:11], s[26:27], 6
	s_xor_b32 s18, vcc_lo, -1
	s_xor_b32 s26, s0, -1
	s_branch .LBB97_8
.LBB97_7:                               ;   in Loop: Header=BB97_8 Depth=1
	s_wait_alu 0xfffe
	s_or_b32 exec_lo, exec_lo, s0
	s_add_co_i32 s22, s22, 0x10000
	s_wait_alu 0xfffe
	s_cmp_lt_u32 s22, s15
	s_cbranch_scc0 .LBB97_39
.LBB97_8:                               ; =>This Loop Header: Depth=1
                                        ;     Child Loop BB97_11 Depth 2
	v_dual_mov_b32 v30, v0 :: v_dual_mov_b32 v31, v0
	v_dual_mov_b32 v28, v0 :: v_dual_mov_b32 v29, v0
	;; [unrolled: 1-line block ×4, first 2 shown]
	s_wait_alu 0xfffe
	s_and_not1_b32 vcc_lo, exec_lo, s16
	s_wait_alu 0xfffe
	s_cbranch_vccnz .LBB97_19
; %bb.9:                                ;   in Loop: Header=BB97_8 Depth=1
	v_mad_co_u64_u32 v[14:15], null, s2, s22, v[2:3]
	v_mad_co_u64_u32 v[16:17], null, s8, s22, v[4:5]
	v_dual_mov_b32 v25, 0 :: v_dual_mov_b32 v28, 0
	v_mov_b32_e32 v27, 0
	v_mov_b32_e32 v29, 0
	v_dual_mov_b32 v1, v15 :: v_dual_mov_b32 v24, 0
	v_dual_mov_b32 v15, v17 :: v_dual_mov_b32 v26, 0
	s_mov_b32 s0, 0
	s_delay_alu instid0(VALU_DEP_2) | instskip(NEXT) | instid1(VALU_DEP_2)
	v_mad_co_u64_u32 v[30:31], null, s3, s22, v[1:2]
	v_mad_co_u64_u32 v[32:33], null, s9, s22, v[15:16]
	v_mov_b32_e32 v31, 0
	s_delay_alu instid0(VALU_DEP_3) | instskip(NEXT) | instid1(VALU_DEP_3)
	v_dual_mov_b32 v15, v30 :: v_dual_mov_b32 v30, 0
	v_mov_b32_e32 v17, v32
	s_branch .LBB97_11
.LBB97_10:                              ;   in Loop: Header=BB97_11 Depth=2
	s_wait_alu 0xfffe
	s_or_b32 exec_lo, exec_lo, s1
	s_wait_dscnt 0x0
	s_barrier_signal -1
	s_barrier_wait -1
	global_inv scope:SCOPE_SE
	ds_load_b128 v[32:35], v23
	ds_load_2addr_b64 v[36:39], v22 offset1:16
	ds_load_b128 v[40:43], v23 offset:1024
	ds_load_b128 v[44:47], v23 offset:16
	;; [unrolled: 1-line block ×4, first 2 shown]
	ds_load_2addr_b64 v[56:59], v22 offset0:32 offset1:48
	ds_load_b128 v[60:63], v23 offset:1040
	v_add_co_u32 v14, vcc_lo, v14, 64
	s_wait_alu 0xfffd
	v_add_co_ci_u32_e64 v15, null, 0, v15, vcc_lo
	v_add_co_u32 v16, vcc_lo, v16, s10
	s_wait_alu 0xfffd
	v_add_co_ci_u32_e64 v17, null, s11, v17, vcc_lo
	s_add_co_i32 s0, s0, 8
	s_wait_alu 0xfffe
	s_cmp_lt_i32 s0, s5
	s_wait_dscnt 0x6
	v_dual_mul_f32 v1, v33, v37 :: v_dual_mul_f32 v66, v32, v39
	v_dual_mul_f32 v64, v32, v37 :: v_dual_mul_f32 v65, v33, v39
	s_wait_dscnt 0x5
	v_mul_f32_e32 v68, v41, v39
	s_delay_alu instid0(VALU_DEP_3) | instskip(SKIP_3) | instid1(VALU_DEP_4)
	v_fma_f32 v1, v32, v36, -v1
	v_dual_mul_f32 v39, v40, v39 :: v_dual_fmac_f32 v66, v33, v38
	v_fmac_f32_e32 v64, v33, v36
	v_fma_f32 v32, v32, v38, -v65
	v_add_f32_e32 v1, v30, v1
	v_mul_f32_e32 v67, v41, v37
	s_delay_alu instid0(VALU_DEP_4) | instskip(NEXT) | instid1(VALU_DEP_4)
	v_dual_mul_f32 v37, v40, v37 :: v_dual_add_f32 v30, v31, v64
	v_add_f32_e32 v31, v28, v32
	v_fmac_f32_e32 v39, v41, v38
	s_delay_alu instid0(VALU_DEP_4) | instskip(NEXT) | instid1(VALU_DEP_4)
	v_fma_f32 v33, v40, v36, -v67
	v_fmac_f32_e32 v37, v41, v36
	v_fma_f32 v36, v40, v38, -v68
	s_wait_dscnt 0x1
	v_dual_mul_f32 v38, v34, v57 :: v_dual_add_f32 v29, v29, v66
	v_mul_f32_e32 v40, v35, v59
	v_add_f32_e32 v32, v26, v33
	v_dual_add_f32 v33, v27, v37 :: v_dual_add_f32 v36, v25, v36
	ds_load_2addr_b64 v[25:28], v22 offset0:64 offset1:80
	v_fmac_f32_e32 v38, v35, v56
	v_dual_mul_f32 v37, v35, v57 :: v_dual_add_f32 v24, v24, v39
	v_mul_f32_e32 v39, v34, v59
	s_delay_alu instid0(VALU_DEP_3) | instskip(NEXT) | instid1(VALU_DEP_3)
	v_add_f32_e32 v38, v30, v38
	v_fma_f32 v37, v34, v56, -v37
	v_fma_f32 v34, v34, v58, -v40
	v_mul_f32_e32 v30, v42, v57
	s_delay_alu instid0(VALU_DEP_3) | instskip(SKIP_1) | instid1(VALU_DEP_4)
	v_add_f32_e32 v1, v1, v37
	v_mul_f32_e32 v37, v43, v57
	v_add_f32_e32 v34, v31, v34
	v_fmac_f32_e32 v39, v35, v58
	v_mul_f32_e32 v35, v43, v59
	v_fmac_f32_e32 v30, v43, v56
	v_fma_f32 v31, v42, v56, -v37
	s_delay_alu instid0(VALU_DEP_4) | instskip(SKIP_4) | instid1(VALU_DEP_3)
	v_add_f32_e32 v37, v29, v39
	v_mul_f32_e32 v39, v42, v59
	v_fma_f32 v29, v42, v58, -v35
	s_wait_dscnt 0x0
	v_dual_add_f32 v40, v32, v31 :: v_dual_mul_f32 v31, v45, v26
	v_dual_mul_f32 v42, v45, v28 :: v_dual_fmac_f32 v39, v43, v58
	v_mul_f32_e32 v35, v44, v26
	v_add_f32_e32 v36, v36, v29
	s_delay_alu instid0(VALU_DEP_3) | instskip(SKIP_3) | instid1(VALU_DEP_3)
	v_add_f32_e32 v39, v24, v39
	v_mul_f32_e32 v24, v44, v28
	v_fma_f32 v41, v44, v25, -v31
	v_fmac_f32_e32 v35, v45, v25
	v_fmac_f32_e32 v24, v45, v27
	s_delay_alu instid0(VALU_DEP_3)
	v_add_f32_e32 v1, v1, v41
	v_fma_f32 v41, v44, v27, -v42
	v_add_f32_e32 v33, v33, v30
	ds_load_2addr_b64 v[29:32], v22 offset0:96 offset1:112
	v_dual_add_f32 v35, v38, v35 :: v_dual_mul_f32 v38, v61, v26
	v_mul_f32_e32 v26, v60, v26
	v_dual_add_f32 v34, v34, v41 :: v_dual_mul_f32 v41, v61, v28
	v_mul_f32_e32 v28, v60, v28
	s_delay_alu instid0(VALU_DEP_4) | instskip(NEXT) | instid1(VALU_DEP_4)
	v_fma_f32 v38, v60, v25, -v38
	v_fmac_f32_e32 v26, v61, v25
	v_add_f32_e32 v37, v37, v24
	v_fma_f32 v24, v60, v27, -v41
	v_fmac_f32_e32 v28, v61, v27
	v_add_f32_e32 v38, v40, v38
	s_delay_alu instid0(VALU_DEP_3) | instskip(SKIP_4) | instid1(VALU_DEP_2)
	v_dual_add_f32 v40, v33, v26 :: v_dual_add_f32 v41, v36, v24
	ds_load_2addr_b64 v[24:27], v22 offset0:128 offset1:144
	s_wait_dscnt 0x1
	v_mul_f32_e32 v33, v47, v30
	v_dual_mul_f32 v36, v46, v30 :: v_dual_mul_f32 v45, v63, v32
	v_fma_f32 v33, v46, v29, -v33
	v_mul_f32_e32 v42, v47, v32
	s_delay_alu instid0(VALU_DEP_3) | instskip(NEXT) | instid1(VALU_DEP_3)
	v_fmac_f32_e32 v36, v47, v29
	v_add_f32_e32 v1, v1, v33
	s_delay_alu instid0(VALU_DEP_3) | instskip(SKIP_3) | instid1(VALU_DEP_4)
	v_fma_f32 v42, v46, v31, -v42
	v_add_f32_e32 v39, v39, v28
	v_dual_mul_f32 v28, v46, v32 :: v_dual_mul_f32 v33, v63, v30
	v_dual_add_f32 v43, v35, v36 :: v_dual_mul_f32 v30, v62, v30
	v_add_f32_e32 v42, v34, v42
	s_delay_alu instid0(VALU_DEP_3) | instskip(NEXT) | instid1(VALU_DEP_4)
	v_fmac_f32_e32 v28, v47, v31
	v_fma_f32 v44, v62, v29, -v33
	ds_load_b128 v[33:36], v23 offset:1056
	v_fmac_f32_e32 v30, v63, v29
	s_wait_dscnt 0x1
	v_mul_f32_e32 v29, v49, v25
	v_add_f32_e32 v46, v37, v28
	v_dual_mul_f32 v32, v62, v32 :: v_dual_mul_f32 v47, v48, v25
	v_mul_f32_e32 v56, v48, v27
	s_delay_alu instid0(VALU_DEP_4)
	v_fma_f32 v37, v48, v24, -v29
	v_add_f32_e32 v44, v38, v44
	v_mul_f32_e32 v38, v49, v27
	v_fma_f32 v28, v62, v31, -v45
	v_dual_fmac_f32 v32, v63, v31 :: v_dual_fmac_f32 v47, v49, v24
	v_add_f32_e32 v1, v1, v37
	s_delay_alu instid0(VALU_DEP_4) | instskip(NEXT) | instid1(VALU_DEP_4)
	v_fma_f32 v48, v48, v26, -v38
	v_add_f32_e32 v41, v41, v28
	v_add_f32_e32 v45, v40, v30
	ds_load_2addr_b64 v[28:31], v22 offset0:160 offset1:176
	v_add_f32_e32 v32, v39, v32
	ds_load_b128 v[37:40], v23 offset:1072
	s_wait_dscnt 0x2
	v_mul_f32_e32 v57, v34, v25
	v_dual_mul_f32 v25, v33, v25 :: v_dual_add_f32 v42, v42, v48
	v_mul_f32_e32 v48, v34, v27
	v_dual_add_f32 v43, v43, v47 :: v_dual_fmac_f32 v56, v49, v26
	s_delay_alu instid0(VALU_DEP_4) | instskip(NEXT) | instid1(VALU_DEP_4)
	v_fma_f32 v47, v33, v24, -v57
	v_fmac_f32_e32 v25, v34, v24
	v_mul_f32_e32 v49, v33, v27
	s_delay_alu instid0(VALU_DEP_3) | instskip(SKIP_1) | instid1(VALU_DEP_3)
	v_add_f32_e32 v44, v44, v47
	v_add_f32_e32 v46, v46, v56
	v_fmac_f32_e32 v49, v34, v26
	s_wait_dscnt 0x1
	v_mul_f32_e32 v27, v51, v29
	v_fma_f32 v24, v33, v26, -v48
	v_add_f32_e32 v33, v45, v25
	v_mul_f32_e32 v34, v50, v29
	s_delay_alu instid0(VALU_DEP_4) | instskip(NEXT) | instid1(VALU_DEP_4)
	v_fma_f32 v45, v50, v28, -v27
	v_add_f32_e32 v41, v41, v24
	ds_load_2addr_b64 v[24:27], v22 offset0:192 offset1:208
	v_fmac_f32_e32 v34, v51, v28
	v_dual_mul_f32 v47, v51, v31 :: v_dual_add_f32 v48, v32, v49
	v_dual_add_f32 v1, v1, v45 :: v_dual_mul_f32 v32, v50, v31
	s_delay_alu instid0(VALU_DEP_3) | instskip(NEXT) | instid1(VALU_DEP_3)
	v_dual_add_f32 v43, v43, v34 :: v_dual_mul_f32 v34, v36, v29
	v_fma_f32 v45, v50, v30, -v47
	s_delay_alu instid0(VALU_DEP_3) | instskip(NEXT) | instid1(VALU_DEP_3)
	v_fmac_f32_e32 v32, v51, v30
	v_fma_f32 v34, v35, v28, -v34
	s_delay_alu instid0(VALU_DEP_3) | instskip(SKIP_1) | instid1(VALU_DEP_3)
	v_dual_add_f32 v42, v42, v45 :: v_dual_mul_f32 v45, v36, v31
	v_mul_f32_e32 v29, v35, v29
	v_dual_mul_f32 v31, v35, v31 :: v_dual_add_f32 v44, v44, v34
	s_delay_alu instid0(VALU_DEP_2) | instskip(SKIP_2) | instid1(VALU_DEP_4)
	v_fmac_f32_e32 v29, v36, v28
	v_add_f32_e32 v28, v46, v32
	v_fma_f32 v32, v35, v30, -v45
	v_fmac_f32_e32 v31, v36, v30
	s_wait_dscnt 0x0
	v_mul_f32_e32 v36, v52, v25
	v_dual_add_f32 v29, v33, v29 :: v_dual_mul_f32 v46, v52, v27
	v_add_f32_e32 v30, v41, v32
	ds_load_2addr_b64 v[32:35], v22 offset0:224 offset1:240
	v_dual_add_f32 v31, v48, v31 :: v_dual_fmac_f32 v36, v53, v24
	v_mul_f32_e32 v45, v53, v25
	v_fmac_f32_e32 v46, v53, v26
	s_wait_loadcnt_dscnt 0x0
	s_barrier_signal -1
	v_add_f32_e32 v36, v43, v36
	v_fma_f32 v41, v52, v24, -v45
	v_mul_f32_e32 v45, v53, v27
	v_mul_f32_e32 v43, v38, v27
	;; [unrolled: 1-line block ×3, first 2 shown]
	s_barrier_wait -1
	global_inv scope:SCOPE_SE
	v_fma_f32 v45, v52, v26, -v45
	v_fmac_f32_e32 v27, v38, v26
	s_delay_alu instid0(VALU_DEP_2) | instskip(SKIP_4) | instid1(VALU_DEP_1)
	v_dual_add_f32 v42, v42, v45 :: v_dual_add_f32 v45, v28, v46
	v_fma_f32 v28, v37, v26, -v43
	v_add_f32_e32 v1, v1, v41
	v_mul_f32_e32 v41, v38, v25
	v_mul_f32_e32 v25, v37, v25
	v_fmac_f32_e32 v25, v38, v24
	v_add_f32_e32 v38, v30, v28
	v_mul_f32_e32 v28, v55, v35
	v_fma_f32 v41, v37, v24, -v41
	v_mul_f32_e32 v37, v55, v33
	s_delay_alu instid0(VALU_DEP_2) | instskip(NEXT) | instid1(VALU_DEP_2)
	v_add_f32_e32 v24, v44, v41
	v_fma_f32 v26, v54, v32, -v37
	v_add_f32_e32 v25, v29, v25
	s_delay_alu instid0(VALU_DEP_2) | instskip(SKIP_1) | instid1(VALU_DEP_2)
	v_dual_mul_f32 v29, v54, v35 :: v_dual_add_f32 v30, v1, v26
	v_fma_f32 v1, v54, v34, -v28
	v_dual_mul_f32 v26, v40, v33 :: v_dual_fmac_f32 v29, v55, v34
	s_delay_alu instid0(VALU_DEP_2) | instskip(NEXT) | instid1(VALU_DEP_2)
	v_add_f32_e32 v28, v42, v1
	v_fma_f32 v1, v39, v32, -v26
	s_delay_alu instid0(VALU_DEP_3) | instskip(NEXT) | instid1(VALU_DEP_2)
	v_add_f32_e32 v29, v45, v29
	v_dual_add_f32 v26, v24, v1 :: v_dual_add_f32 v37, v31, v27
	v_mul_f32_e32 v41, v54, v33
	v_mul_f32_e32 v27, v39, v33
	;; [unrolled: 1-line block ×4, first 2 shown]
	s_delay_alu instid0(VALU_DEP_3) | instskip(NEXT) | instid1(VALU_DEP_2)
	v_fmac_f32_e32 v27, v40, v32
	v_fmac_f32_e32 v35, v40, v34
	s_delay_alu instid0(VALU_DEP_2) | instskip(NEXT) | instid1(VALU_DEP_2)
	v_add_f32_e32 v27, v25, v27
	v_dual_add_f32 v24, v37, v35 :: v_dual_fmac_f32 v41, v55, v32
	v_fma_f32 v32, v39, v34, -v33
	s_delay_alu instid0(VALU_DEP_2) | instskip(NEXT) | instid1(VALU_DEP_2)
	v_add_f32_e32 v31, v36, v41
	v_add_f32_e32 v25, v38, v32
	s_cbranch_scc0 .LBB97_19
.LBB97_11:                              ;   Parent Loop BB97_8 Depth=1
                                        ; =>  This Inner Loop Header: Depth=2
	s_wait_alu 0xfffe
	v_add_nc_u32_e32 v1, s0, v19
	s_delay_alu instid0(VALU_DEP_1)
	v_cmp_le_i32_e32 vcc_lo, s5, v1
	s_or_b32 s1, s18, vcc_lo
	s_wait_alu 0xfffe
	s_and_saveexec_b32 s27, s1
	s_wait_alu 0xfffe
	s_xor_b32 s1, exec_lo, s27
; %bb.12:                               ;   in Loop: Header=BB97_11 Depth=2
	ds_store_b32 v20, v0
; %bb.13:                               ;   in Loop: Header=BB97_11 Depth=2
	s_wait_alu 0xfffe
	s_or_saveexec_b32 s1, s1
	v_mov_b32_e32 v1, 0
	s_wait_alu 0xfffe
	s_xor_b32 exec_lo, exec_lo, s1
	s_cbranch_execz .LBB97_15
; %bb.14:                               ;   in Loop: Header=BB97_11 Depth=2
	global_load_b64 v[32:33], v[14:15], off offset:-4
	s_wait_loadcnt 0x0
	v_xor_b32_e32 v1, 0x80000000, v33
	ds_store_b32 v20, v32
.LBB97_15:                              ;   in Loop: Header=BB97_11 Depth=2
	s_or_b32 exec_lo, exec_lo, s1
	v_add_nc_u32_e32 v32, s0, v18
	ds_store_b32 v20, v1 offset:4
	v_cmp_le_i32_e32 vcc_lo, s5, v32
	s_or_b32 s1, vcc_lo, s26
	s_wait_alu 0xfffe
	s_and_saveexec_b32 s27, s1
	s_wait_alu 0xfffe
	s_xor_b32 s1, exec_lo, s27
; %bb.16:                               ;   in Loop: Header=BB97_11 Depth=2
	v_mov_b32_e32 v1, v0
	ds_store_b64 v21, v[0:1]
; %bb.17:                               ;   in Loop: Header=BB97_11 Depth=2
	s_wait_alu 0xfffe
	s_and_not1_saveexec_b32 s1, s1
	s_cbranch_execz .LBB97_10
; %bb.18:                               ;   in Loop: Header=BB97_11 Depth=2
	global_load_b64 v[32:33], v[16:17], off
	s_wait_loadcnt 0x0
	ds_store_b64 v21, v[32:33]
	s_branch .LBB97_10
.LBB97_19:                              ;   in Loop: Header=BB97_8 Depth=1
	s_mul_u64 s[0:1], s[24:25], s[22:23]
	s_wait_alu 0xfffe
	s_lshl_b64 s[0:1], s[0:1], 3
	s_wait_alu 0xfffe
	s_add_nc_u64 s[0:1], s[12:13], s[0:1]
	s_wait_alu 0xfffe
	v_add_co_u32 v1, vcc_lo, s0, v6
	s_wait_alu 0xfffd
	v_add_co_ci_u32_e64 v16, null, s1, v7, vcc_lo
	s_and_saveexec_b32 s27, s19
	s_cbranch_execz .LBB97_24
; %bb.20:                               ;   in Loop: Header=BB97_8 Depth=1
	v_mul_f32_e32 v15, s6, v31
	v_mul_f32_e32 v14, s7, v31
	s_and_b32 vcc_lo, exec_lo, s17
	s_mov_b32 s28, -1
	s_delay_alu instid0(VALU_DEP_2) | instskip(NEXT) | instid1(VALU_DEP_2)
	v_fmac_f32_e32 v15, s7, v30
	v_fma_f32 v14, v30, s6, -v14
	s_wait_alu 0xfffe
	s_cbranch_vccz .LBB97_22
; %bb.21:                               ;   in Loop: Header=BB97_8 Depth=1
	v_add_co_u32 v30, vcc_lo, v1, v10
	s_wait_alu 0xfffd
	v_add_co_ci_u32_e64 v31, null, v16, v11, vcc_lo
	s_mov_b32 s28, 0
	global_load_b64 v[32:33], v[30:31], off
	s_wait_loadcnt 0x0
	v_mul_f32_e32 v17, s21, v33
	v_mul_f32_e32 v33, s20, v33
	s_delay_alu instid0(VALU_DEP_2) | instskip(NEXT) | instid1(VALU_DEP_1)
	v_fma_f32 v17, v32, s20, -v17
	v_dual_fmac_f32 v33, s21, v32 :: v_dual_add_f32 v32, v14, v17
	s_delay_alu instid0(VALU_DEP_1)
	v_add_f32_e32 v33, v15, v33
	global_store_b64 v[30:31], v[32:33], off
.LBB97_22:                              ;   in Loop: Header=BB97_8 Depth=1
	s_and_not1_b32 vcc_lo, exec_lo, s28
	s_wait_alu 0xfffe
	s_cbranch_vccnz .LBB97_24
; %bb.23:                               ;   in Loop: Header=BB97_8 Depth=1
	v_add_co_u32 v30, vcc_lo, v1, v10
	s_wait_alu 0xfffd
	v_add_co_ci_u32_e64 v31, null, v16, v11, vcc_lo
	global_store_b64 v[30:31], v[14:15], off
.LBB97_24:                              ;   in Loop: Header=BB97_8 Depth=1
	s_wait_alu 0xfffe
	s_or_b32 exec_lo, exec_lo, s27
	s_and_saveexec_b32 s27, s30
	s_cbranch_execz .LBB97_29
; %bb.25:                               ;   in Loop: Header=BB97_8 Depth=1
	v_mul_f32_e32 v15, s6, v29
	v_mul_f32_e32 v14, s7, v29
	s_and_not1_b32 vcc_lo, exec_lo, s17
	s_mov_b32 s28, -1
	s_delay_alu instid0(VALU_DEP_2) | instskip(NEXT) | instid1(VALU_DEP_2)
	v_fmac_f32_e32 v15, s7, v28
	v_fma_f32 v14, v28, s6, -v14
	s_wait_alu 0xfffe
	s_cbranch_vccnz .LBB97_27
; %bb.26:                               ;   in Loop: Header=BB97_8 Depth=1
	v_add_co_u32 v28, vcc_lo, v1, v12
	s_wait_alu 0xfffd
	v_add_co_ci_u32_e64 v29, null, v16, v13, vcc_lo
	s_mov_b32 s28, 0
	global_load_b64 v[30:31], v[28:29], off
	s_wait_loadcnt 0x0
	v_mul_f32_e32 v17, s21, v31
	s_delay_alu instid0(VALU_DEP_1) | instskip(SKIP_1) | instid1(VALU_DEP_1)
	v_fma_f32 v17, v30, s20, -v17
	v_mul_f32_e32 v31, s20, v31
	v_dual_fmac_f32 v31, s21, v30 :: v_dual_add_f32 v30, v14, v17
	s_delay_alu instid0(VALU_DEP_1)
	v_add_f32_e32 v31, v15, v31
	global_store_b64 v[28:29], v[30:31], off
.LBB97_27:                              ;   in Loop: Header=BB97_8 Depth=1
	s_and_not1_b32 vcc_lo, exec_lo, s28
	s_wait_alu 0xfffe
	s_cbranch_vccnz .LBB97_29
; %bb.28:                               ;   in Loop: Header=BB97_8 Depth=1
	v_add_co_u32 v28, vcc_lo, v1, v12
	s_wait_alu 0xfffd
	v_add_co_ci_u32_e64 v29, null, v16, v13, vcc_lo
	global_store_b64 v[28:29], v[14:15], off
.LBB97_29:                              ;   in Loop: Header=BB97_8 Depth=1
	s_wait_alu 0xfffe
	s_or_b32 exec_lo, exec_lo, s27
	v_add_co_u32 v1, vcc_lo, s0, v8
	s_wait_alu 0xfffd
	v_add_co_ci_u32_e64 v16, null, s1, v9, vcc_lo
	s_and_saveexec_b32 s0, s4
	s_cbranch_execz .LBB97_34
; %bb.30:                               ;   in Loop: Header=BB97_8 Depth=1
	v_mul_f32_e32 v15, s6, v27
	v_mul_f32_e32 v14, s7, v27
	s_and_not1_b32 vcc_lo, exec_lo, s17
	s_mov_b32 s1, -1
	s_delay_alu instid0(VALU_DEP_2) | instskip(NEXT) | instid1(VALU_DEP_2)
	v_fmac_f32_e32 v15, s7, v26
	v_fma_f32 v14, v26, s6, -v14
	s_wait_alu 0xfffe
	s_cbranch_vccnz .LBB97_32
; %bb.31:                               ;   in Loop: Header=BB97_8 Depth=1
	v_add_co_u32 v26, vcc_lo, v1, v10
	s_wait_alu 0xfffd
	v_add_co_ci_u32_e64 v27, null, v16, v11, vcc_lo
	s_mov_b32 s1, 0
	global_load_b64 v[28:29], v[26:27], off
	s_wait_loadcnt 0x0
	v_mul_f32_e32 v17, s21, v29
	v_mul_f32_e32 v29, s20, v29
	s_delay_alu instid0(VALU_DEP_2) | instskip(NEXT) | instid1(VALU_DEP_1)
	v_fma_f32 v17, v28, s20, -v17
	v_dual_fmac_f32 v29, s21, v28 :: v_dual_add_f32 v28, v14, v17
	s_delay_alu instid0(VALU_DEP_1)
	v_add_f32_e32 v29, v15, v29
	global_store_b64 v[26:27], v[28:29], off
.LBB97_32:                              ;   in Loop: Header=BB97_8 Depth=1
	s_wait_alu 0xfffe
	s_and_not1_b32 vcc_lo, exec_lo, s1
	s_wait_alu 0xfffe
	s_cbranch_vccnz .LBB97_34
; %bb.33:                               ;   in Loop: Header=BB97_8 Depth=1
	v_add_co_u32 v26, vcc_lo, v1, v10
	s_wait_alu 0xfffd
	v_add_co_ci_u32_e64 v27, null, v16, v11, vcc_lo
	global_store_b64 v[26:27], v[14:15], off
.LBB97_34:                              ;   in Loop: Header=BB97_8 Depth=1
	s_wait_alu 0xfffe
	s_or_b32 exec_lo, exec_lo, s0
	s_and_saveexec_b32 s0, s14
	s_cbranch_execz .LBB97_7
; %bb.35:                               ;   in Loop: Header=BB97_8 Depth=1
	v_mul_f32_e32 v15, s6, v24
	v_mul_f32_e32 v14, s7, v24
	s_and_not1_b32 vcc_lo, exec_lo, s17
	s_mov_b32 s1, -1
	s_delay_alu instid0(VALU_DEP_2) | instskip(NEXT) | instid1(VALU_DEP_2)
	v_fmac_f32_e32 v15, s7, v25
	v_fma_f32 v14, v25, s6, -v14
	s_wait_alu 0xfffe
	s_cbranch_vccnz .LBB97_37
; %bb.36:                               ;   in Loop: Header=BB97_8 Depth=1
	v_add_co_u32 v24, vcc_lo, v1, v12
	s_wait_alu 0xfffd
	v_add_co_ci_u32_e64 v25, null, v16, v13, vcc_lo
	s_mov_b32 s1, 0
	global_load_b64 v[26:27], v[24:25], off
	s_wait_loadcnt 0x0
	v_mul_f32_e32 v17, s21, v27
	s_delay_alu instid0(VALU_DEP_1) | instskip(SKIP_1) | instid1(VALU_DEP_1)
	v_fma_f32 v17, v26, s20, -v17
	v_mul_f32_e32 v27, s20, v27
	v_dual_fmac_f32 v27, s21, v26 :: v_dual_add_f32 v26, v14, v17
	s_delay_alu instid0(VALU_DEP_1)
	v_add_f32_e32 v27, v15, v27
	global_store_b64 v[24:25], v[26:27], off
.LBB97_37:                              ;   in Loop: Header=BB97_8 Depth=1
	s_wait_alu 0xfffe
	s_and_not1_b32 vcc_lo, exec_lo, s1
	s_wait_alu 0xfffe
	s_cbranch_vccnz .LBB97_7
; %bb.38:                               ;   in Loop: Header=BB97_8 Depth=1
	v_add_co_u32 v24, vcc_lo, v1, v12
	s_wait_alu 0xfffd
	v_add_co_ci_u32_e64 v25, null, v16, v13, vcc_lo
	global_store_b64 v[24:25], v[14:15], off
	s_branch .LBB97_7
.LBB97_39:
	s_endpgm
	.section	.rodata,"a",@progbits
	.p2align	6, 0x0
	.amdhsa_kernel _ZL29rocblas_internal_gemmt_kernelIiLi16ELi32ELi8ELc67ELc84ELc85ELb1ELb0E19rocblas_complex_numIfES1_PKS1_PS1_EviT_T9_T10_S5_lS7_S5_lS6_T11_S5_li
		.amdhsa_group_segment_fixed_size 4096
		.amdhsa_private_segment_fixed_size 0
		.amdhsa_kernarg_size 100
		.amdhsa_user_sgpr_count 2
		.amdhsa_user_sgpr_dispatch_ptr 0
		.amdhsa_user_sgpr_queue_ptr 0
		.amdhsa_user_sgpr_kernarg_segment_ptr 1
		.amdhsa_user_sgpr_dispatch_id 0
		.amdhsa_user_sgpr_private_segment_size 0
		.amdhsa_wavefront_size32 1
		.amdhsa_uses_dynamic_stack 0
		.amdhsa_enable_private_segment 0
		.amdhsa_system_sgpr_workgroup_id_x 1
		.amdhsa_system_sgpr_workgroup_id_y 1
		.amdhsa_system_sgpr_workgroup_id_z 1
		.amdhsa_system_sgpr_workgroup_info 0
		.amdhsa_system_vgpr_workitem_id 1
		.amdhsa_next_free_vgpr 69
		.amdhsa_next_free_sgpr 36
		.amdhsa_reserve_vcc 1
		.amdhsa_float_round_mode_32 0
		.amdhsa_float_round_mode_16_64 0
		.amdhsa_float_denorm_mode_32 3
		.amdhsa_float_denorm_mode_16_64 3
		.amdhsa_fp16_overflow 0
		.amdhsa_workgroup_processor_mode 1
		.amdhsa_memory_ordered 1
		.amdhsa_forward_progress 1
		.amdhsa_inst_pref_size 25
		.amdhsa_round_robin_scheduling 0
		.amdhsa_exception_fp_ieee_invalid_op 0
		.amdhsa_exception_fp_denorm_src 0
		.amdhsa_exception_fp_ieee_div_zero 0
		.amdhsa_exception_fp_ieee_overflow 0
		.amdhsa_exception_fp_ieee_underflow 0
		.amdhsa_exception_fp_ieee_inexact 0
		.amdhsa_exception_int_div_zero 0
	.end_amdhsa_kernel
	.section	.text._ZL29rocblas_internal_gemmt_kernelIiLi16ELi32ELi8ELc67ELc84ELc85ELb1ELb0E19rocblas_complex_numIfES1_PKS1_PS1_EviT_T9_T10_S5_lS7_S5_lS6_T11_S5_li,"axG",@progbits,_ZL29rocblas_internal_gemmt_kernelIiLi16ELi32ELi8ELc67ELc84ELc85ELb1ELb0E19rocblas_complex_numIfES1_PKS1_PS1_EviT_T9_T10_S5_lS7_S5_lS6_T11_S5_li,comdat
.Lfunc_end97:
	.size	_ZL29rocblas_internal_gemmt_kernelIiLi16ELi32ELi8ELc67ELc84ELc85ELb1ELb0E19rocblas_complex_numIfES1_PKS1_PS1_EviT_T9_T10_S5_lS7_S5_lS6_T11_S5_li, .Lfunc_end97-_ZL29rocblas_internal_gemmt_kernelIiLi16ELi32ELi8ELc67ELc84ELc85ELb1ELb0E19rocblas_complex_numIfES1_PKS1_PS1_EviT_T9_T10_S5_lS7_S5_lS6_T11_S5_li
                                        ; -- End function
	.set _ZL29rocblas_internal_gemmt_kernelIiLi16ELi32ELi8ELc67ELc84ELc85ELb1ELb0E19rocblas_complex_numIfES1_PKS1_PS1_EviT_T9_T10_S5_lS7_S5_lS6_T11_S5_li.num_vgpr, 69
	.set _ZL29rocblas_internal_gemmt_kernelIiLi16ELi32ELi8ELc67ELc84ELc85ELb1ELb0E19rocblas_complex_numIfES1_PKS1_PS1_EviT_T9_T10_S5_lS7_S5_lS6_T11_S5_li.num_agpr, 0
	.set _ZL29rocblas_internal_gemmt_kernelIiLi16ELi32ELi8ELc67ELc84ELc85ELb1ELb0E19rocblas_complex_numIfES1_PKS1_PS1_EviT_T9_T10_S5_lS7_S5_lS6_T11_S5_li.numbered_sgpr, 36
	.set _ZL29rocblas_internal_gemmt_kernelIiLi16ELi32ELi8ELc67ELc84ELc85ELb1ELb0E19rocblas_complex_numIfES1_PKS1_PS1_EviT_T9_T10_S5_lS7_S5_lS6_T11_S5_li.num_named_barrier, 0
	.set _ZL29rocblas_internal_gemmt_kernelIiLi16ELi32ELi8ELc67ELc84ELc85ELb1ELb0E19rocblas_complex_numIfES1_PKS1_PS1_EviT_T9_T10_S5_lS7_S5_lS6_T11_S5_li.private_seg_size, 0
	.set _ZL29rocblas_internal_gemmt_kernelIiLi16ELi32ELi8ELc67ELc84ELc85ELb1ELb0E19rocblas_complex_numIfES1_PKS1_PS1_EviT_T9_T10_S5_lS7_S5_lS6_T11_S5_li.uses_vcc, 1
	.set _ZL29rocblas_internal_gemmt_kernelIiLi16ELi32ELi8ELc67ELc84ELc85ELb1ELb0E19rocblas_complex_numIfES1_PKS1_PS1_EviT_T9_T10_S5_lS7_S5_lS6_T11_S5_li.uses_flat_scratch, 0
	.set _ZL29rocblas_internal_gemmt_kernelIiLi16ELi32ELi8ELc67ELc84ELc85ELb1ELb0E19rocblas_complex_numIfES1_PKS1_PS1_EviT_T9_T10_S5_lS7_S5_lS6_T11_S5_li.has_dyn_sized_stack, 0
	.set _ZL29rocblas_internal_gemmt_kernelIiLi16ELi32ELi8ELc67ELc84ELc85ELb1ELb0E19rocblas_complex_numIfES1_PKS1_PS1_EviT_T9_T10_S5_lS7_S5_lS6_T11_S5_li.has_recursion, 0
	.set _ZL29rocblas_internal_gemmt_kernelIiLi16ELi32ELi8ELc67ELc84ELc85ELb1ELb0E19rocblas_complex_numIfES1_PKS1_PS1_EviT_T9_T10_S5_lS7_S5_lS6_T11_S5_li.has_indirect_call, 0
	.section	.AMDGPU.csdata,"",@progbits
; Kernel info:
; codeLenInByte = 3156
; TotalNumSgprs: 38
; NumVgprs: 69
; ScratchSize: 0
; MemoryBound: 1
; FloatMode: 240
; IeeeMode: 1
; LDSByteSize: 4096 bytes/workgroup (compile time only)
; SGPRBlocks: 0
; VGPRBlocks: 8
; NumSGPRsForWavesPerEU: 38
; NumVGPRsForWavesPerEU: 69
; Occupancy: 16
; WaveLimiterHint : 0
; COMPUTE_PGM_RSRC2:SCRATCH_EN: 0
; COMPUTE_PGM_RSRC2:USER_SGPR: 2
; COMPUTE_PGM_RSRC2:TRAP_HANDLER: 0
; COMPUTE_PGM_RSRC2:TGID_X_EN: 1
; COMPUTE_PGM_RSRC2:TGID_Y_EN: 1
; COMPUTE_PGM_RSRC2:TGID_Z_EN: 1
; COMPUTE_PGM_RSRC2:TIDIG_COMP_CNT: 1
	.section	.text._ZL29rocblas_internal_gemmt_kernelIiLi16ELi32ELi8ELc67ELc67ELc85ELb1ELb1E19rocblas_complex_numIfES1_PKS1_PS1_EviT_T9_T10_S5_lS7_S5_lS6_T11_S5_li,"axG",@progbits,_ZL29rocblas_internal_gemmt_kernelIiLi16ELi32ELi8ELc67ELc67ELc85ELb1ELb1E19rocblas_complex_numIfES1_PKS1_PS1_EviT_T9_T10_S5_lS7_S5_lS6_T11_S5_li,comdat
	.globl	_ZL29rocblas_internal_gemmt_kernelIiLi16ELi32ELi8ELc67ELc67ELc85ELb1ELb1E19rocblas_complex_numIfES1_PKS1_PS1_EviT_T9_T10_S5_lS7_S5_lS6_T11_S5_li ; -- Begin function _ZL29rocblas_internal_gemmt_kernelIiLi16ELi32ELi8ELc67ELc67ELc85ELb1ELb1E19rocblas_complex_numIfES1_PKS1_PS1_EviT_T9_T10_S5_lS7_S5_lS6_T11_S5_li
	.p2align	8
	.type	_ZL29rocblas_internal_gemmt_kernelIiLi16ELi32ELi8ELc67ELc67ELc85ELb1ELb1E19rocblas_complex_numIfES1_PKS1_PS1_EviT_T9_T10_S5_lS7_S5_lS6_T11_S5_li,@function
_ZL29rocblas_internal_gemmt_kernelIiLi16ELi32ELi8ELc67ELc67ELc85ELb1ELb1E19rocblas_complex_numIfES1_PKS1_PS1_EviT_T9_T10_S5_lS7_S5_lS6_T11_S5_li: ; @_ZL29rocblas_internal_gemmt_kernelIiLi16ELi32ELi8ELc67ELc67ELc85ELb1ELb1E19rocblas_complex_numIfES1_PKS1_PS1_EviT_T9_T10_S5_lS7_S5_lS6_T11_S5_li
; %bb.0:
	s_clause 0x1
	s_load_b64 s[20:21], s[0:1], 0x40
	s_load_b128 s[4:7], s[0:1], 0x0
	s_wait_kmcnt 0x0
	s_cmp_eq_f32 s20, 1.0
	s_cselect_b32 s3, -1, 0
	s_and_b32 s2, s21, 0x7fffffff
	s_delay_alu instid0(SALU_CYCLE_1) | instskip(SKIP_1) | instid1(SALU_CYCLE_1)
	s_cmp_eq_u32 s2, 0
	s_cselect_b32 s2, -1, 0
	s_and_b32 s8, s3, s2
	s_mov_b32 s3, 0
	s_and_not1_b32 vcc_lo, exec_lo, s8
	s_mov_b32 s8, -1
	s_cbranch_vccnz .LBB98_4
; %bb.1:
	s_cmp_lg_u32 s5, 0
	s_cbranch_scc0 .LBB98_3
; %bb.2:
	s_cmp_neq_f32 s6, 0
	s_cselect_b32 s3, -1, 0
	s_cmp_neq_f32 s7, 0
	s_cselect_b32 s8, -1, 0
	s_delay_alu instid0(SALU_CYCLE_1)
	s_or_b32 s3, s3, s8
.LBB98_3:
	s_delay_alu instid0(SALU_CYCLE_1)
	s_mov_b32 s8, s3
.LBB98_4:
	s_delay_alu instid0(SALU_CYCLE_1)
	s_and_b32 vcc_lo, exec_lo, s8
	s_cbranch_vccz .LBB98_39
; %bb.5:
	s_load_b32 s15, s[0:1], 0x60
	s_lshr_b32 s22, ttmp7, 16
	s_wait_kmcnt 0x0
	s_cmp_ge_u32 s22, s15
	s_cbranch_scc1 .LBB98_39
; %bb.6:
	s_load_b32 s26, s[0:1], 0x30
	v_dual_mov_b32 v22, 0 :: v_dual_and_b32 v1, 0x3ff, v0
	v_bfe_u32 v2, v0, 10, 10
	s_clause 0x4
	s_load_b96 s[16:18], s[0:1], 0x10
	s_load_b128 s[8:11], s[0:1], 0x20
	s_load_b64 s[28:29], s[0:1], 0x38
	s_load_b96 s[12:14], s[0:1], 0x48
	s_load_b64 s[24:25], s[0:1], 0x58
	s_lshl_b32 s1, ttmp7, 5
	s_lshl_b32 s0, ttmp9, 5
	s_and_b32 s1, s1, 0x1fffe0
	v_and_b32_e32 v16, 7, v0
	v_lshl_add_u32 v0, v2, 4, v1
	v_add_nc_u32_e32 v8, s0, v1
	v_lshlrev_b32_e32 v20, 3, v1
	v_add_nc_u32_e32 v1, s1, v2
	v_lshlrev_b32_e32 v3, 3, v16
	v_and_b32_e32 v4, 31, v0
	v_lshrrev_b32_e32 v5, 3, v0
	v_lshrrev_b32_e32 v17, 5, v0
	v_add_nc_u32_e32 v10, 16, v8
	v_add_nc_u32_e32 v6, 16, v1
	v_or_b32_e32 v0, s0, v4
	s_wait_kmcnt 0x0
	s_ashr_i32 s27, s26, 31
	s_cmp_neq_f32 s6, 0
	v_lshlrev_b32_e32 v4, 3, v4
	v_lshl_or_b32 v3, v5, 6, v3
	v_add_nc_u32_e32 v12, s1, v5
	s_cselect_b32 s3, -1, 0
	s_cmp_neq_f32 s7, 0
	v_cmp_gt_i32_e32 vcc_lo, s4, v0
	v_lshl_or_b32 v18, v17, 8, v4
	v_cmp_gt_i32_e64 s1, s4, v1
	s_cselect_b32 s19, -1, 0
	v_mad_co_i64_i32 v[4:5], null, v1, s14, 0
	s_or_b32 s31, s3, s19
	s_cmp_gt_i32 s5, 0
	v_cmp_le_i32_e64 s3, v10, v1
	s_cselect_b32 s33, -1, 0
	s_cmp_neq_f32 s20, 0
	v_add_nc_u32_e32 v19, 0x800, v3
	v_lshl_add_u32 v21, v2, 6, 0x800
	v_mad_co_i64_i32 v[2:3], null, s26, v16, 0
	s_cselect_b32 s34, -1, 0
	s_xor_b32 s35, s2, -1
	v_cmp_le_i32_e64 s2, v8, v1
	v_mad_co_i64_i32 v[0:1], null, s18, v0, 0
	s_and_b32 s30, s1, s3
	v_cmp_le_i32_e64 s3, v10, v6
	s_and_b32 s19, s1, s2
	v_cmp_gt_i32_e64 s1, s4, v6
	v_cmp_le_i32_e64 s2, v8, v6
	v_lshlrev_b32_e32 v13, 3, v17
	v_lshlrev_b64_e32 v[0:1], 3, v[0:1]
	v_lshlrev_b64_e32 v[2:3], 3, v[2:3]
	v_cmp_gt_i32_e64 s0, s4, v12
	v_lshlrev_b32_e32 v12, 3, v12
	v_mad_co_i64_i32 v[6:7], null, v6, s14, 0
	s_and_b32 s4, s1, s2
	s_and_b32 s14, s1, s3
	v_add_co_u32 v0, s1, v0, v13
	s_wait_alu 0xf1ff
	v_add_co_ci_u32_e64 v1, null, 0, v1, s1
	v_add_co_u32 v2, s1, v2, v12
	s_wait_alu 0xf1ff
	v_add_co_ci_u32_e64 v3, null, 0, v3, s1
	;; [unrolled: 3-line block ×3, first 2 shown]
	v_add_co_u32 v2, s1, s10, v2
	v_ashrrev_i32_e32 v9, 31, v8
	v_ashrrev_i32_e32 v11, 31, v10
	s_wait_alu 0xf1ff
	v_add_co_ci_u32_e64 v3, null, s11, v3, s1
	v_add_co_u32 v2, s1, v2, 4
	v_lshlrev_b64_e32 v[4:5], 3, v[4:5]
	v_lshlrev_b64_e32 v[6:7], 3, v[6:7]
	;; [unrolled: 1-line block ×4, first 2 shown]
	s_wait_alu 0xf1ff
	v_add_co_ci_u32_e64 v3, null, 0, v3, s1
	s_mov_b32 s23, 0
	s_lshl_b64 s[2:3], s[8:9], 3
	s_lshl_b64 s[8:9], s[28:29], 3
	s_and_b32 s16, s31, s33
	s_or_b32 s17, s34, s35
	s_lshl_b64 s[10:11], s[26:27], 6
	s_xor_b32 s18, vcc_lo, -1
	s_xor_b32 s26, s0, -1
	s_branch .LBB98_8
.LBB98_7:                               ;   in Loop: Header=BB98_8 Depth=1
	s_wait_alu 0xfffe
	s_or_b32 exec_lo, exec_lo, s0
	s_add_co_i32 s22, s22, 0x10000
	s_wait_alu 0xfffe
	s_cmp_lt_u32 s22, s15
	s_cbranch_scc0 .LBB98_39
.LBB98_8:                               ; =>This Loop Header: Depth=1
                                        ;     Child Loop BB98_11 Depth 2
	v_dual_mov_b32 v29, 0 :: v_dual_mov_b32 v30, 0
	v_dual_mov_b32 v27, 0 :: v_dual_mov_b32 v28, 0
	;; [unrolled: 1-line block ×4, first 2 shown]
	s_wait_alu 0xfffe
	s_and_not1_b32 vcc_lo, exec_lo, s16
	s_wait_alu 0xfffe
	s_cbranch_vccnz .LBB98_19
; %bb.9:                                ;   in Loop: Header=BB98_8 Depth=1
	v_mad_co_u64_u32 v[12:13], null, s2, s22, v[0:1]
	v_mad_co_u64_u32 v[14:15], null, s8, s22, v[2:3]
	v_dual_mov_b32 v23, 0 :: v_dual_mov_b32 v24, 0
	v_dual_mov_b32 v26, 0 :: v_dual_mov_b32 v25, 0
	;; [unrolled: 1-line block ×3, first 2 shown]
	s_delay_alu instid0(VALU_DEP_4) | instskip(SKIP_3) | instid1(VALU_DEP_3)
	v_mad_co_u64_u32 v[29:30], null, s3, s22, v[13:14]
	v_mad_co_u64_u32 v[31:32], null, s9, s22, v[15:16]
	v_mov_b32_e32 v30, 0
	s_mov_b32 s0, 0
	v_mov_b32_e32 v13, v29
	v_mov_b32_e32 v29, 0
	s_delay_alu instid0(VALU_DEP_4)
	v_mov_b32_e32 v15, v31
	s_branch .LBB98_11
.LBB98_10:                              ;   in Loop: Header=BB98_11 Depth=2
	s_or_b32 exec_lo, exec_lo, s1
	ds_store_b32 v19, v31 offset:4
	s_wait_dscnt 0x0
	s_barrier_signal -1
	s_barrier_wait -1
	global_inv scope:SCOPE_SE
	ds_load_b128 v[31:34], v21
	ds_load_2addr_b64 v[35:38], v20 offset1:16
	ds_load_b128 v[39:42], v21 offset:1024
	ds_load_b128 v[43:46], v21 offset:16
	;; [unrolled: 1-line block ×4, first 2 shown]
	ds_load_2addr_b64 v[55:58], v20 offset0:32 offset1:48
	ds_load_b128 v[59:62], v21 offset:1040
	v_add_co_u32 v12, vcc_lo, v12, 64
	s_wait_alu 0xfffd
	v_add_co_ci_u32_e64 v13, null, 0, v13, vcc_lo
	v_add_co_u32 v14, vcc_lo, v14, s10
	s_wait_alu 0xfffd
	v_add_co_ci_u32_e64 v15, null, s11, v15, vcc_lo
	s_add_co_i32 s0, s0, 8
	s_wait_alu 0xfffe
	s_cmp_lt_i32 s0, s5
	s_wait_dscnt 0x6
	v_dual_mul_f32 v63, v32, v36 :: v_dual_mul_f32 v66, v31, v38
	v_dual_mul_f32 v64, v31, v36 :: v_dual_mul_f32 v65, v32, v38
	s_wait_dscnt 0x5
	v_mul_f32_e32 v67, v40, v36
	s_delay_alu instid0(VALU_DEP_3)
	v_fma_f32 v63, v31, v35, -v63
	v_mul_f32_e32 v36, v39, v36
	v_fmac_f32_e32 v66, v32, v37
	v_fma_f32 v31, v31, v37, -v65
	v_mul_f32_e32 v68, v40, v38
	v_dual_mul_f32 v38, v39, v38 :: v_dual_add_f32 v29, v29, v63
	s_delay_alu instid0(VALU_DEP_3) | instskip(NEXT) | instid1(VALU_DEP_3)
	v_add_f32_e32 v31, v27, v31
	v_fma_f32 v27, v39, v37, -v68
	s_delay_alu instid0(VALU_DEP_3) | instskip(SKIP_1) | instid1(VALU_DEP_3)
	v_fmac_f32_e32 v38, v40, v37
	v_fmac_f32_e32 v36, v40, v35
	v_add_f32_e32 v37, v24, v27
	s_delay_alu instid0(VALU_DEP_3)
	v_dual_add_f32 v23, v23, v38 :: v_dual_fmac_f32 v64, v32, v35
	v_fma_f32 v32, v39, v35, -v67
	s_wait_dscnt 0x1
	v_dual_mul_f32 v39, v33, v56 :: v_dual_add_f32 v28, v28, v66
	v_add_f32_e32 v35, v26, v36
	v_add_f32_e32 v30, v30, v64
	s_delay_alu instid0(VALU_DEP_3) | instskip(SKIP_4) | instid1(VALU_DEP_1)
	v_dual_fmac_f32 v39, v34, v55 :: v_dual_add_f32 v32, v25, v32
	ds_load_2addr_b64 v[24:27], v20 offset0:64 offset1:80
	v_mul_f32_e32 v38, v33, v58
	v_mul_f32_e32 v40, v34, v58
	v_dual_add_f32 v39, v30, v39 :: v_dual_mul_f32 v30, v41, v56
	v_fmac_f32_e32 v30, v42, v55
	s_delay_alu instid0(VALU_DEP_1) | instskip(SKIP_1) | instid1(VALU_DEP_1)
	v_dual_fmac_f32 v38, v34, v57 :: v_dual_add_f32 v35, v35, v30
	v_mul_f32_e32 v36, v34, v56
	v_fma_f32 v36, v33, v55, -v36
	s_delay_alu instid0(VALU_DEP_1) | instskip(SKIP_3) | instid1(VALU_DEP_2)
	v_add_f32_e32 v36, v29, v36
	v_fma_f32 v29, v33, v57, -v40
	s_wait_dscnt 0x0
	v_dual_mul_f32 v33, v42, v56 :: v_dual_mul_f32 v40, v43, v25
	v_add_f32_e32 v34, v31, v29
	s_delay_alu instid0(VALU_DEP_2) | instskip(SKIP_3) | instid1(VALU_DEP_4)
	v_fma_f32 v29, v41, v55, -v33
	v_mul_f32_e32 v31, v42, v58
	v_add_f32_e32 v33, v28, v38
	v_mul_f32_e32 v38, v41, v58
	v_add_f32_e32 v32, v32, v29
	s_delay_alu instid0(VALU_DEP_4) | instskip(SKIP_1) | instid1(VALU_DEP_2)
	v_fma_f32 v28, v41, v57, -v31
	v_mul_f32_e32 v29, v44, v25
	v_dual_fmac_f32 v38, v42, v57 :: v_dual_add_f32 v37, v37, v28
	s_delay_alu instid0(VALU_DEP_2) | instskip(SKIP_4) | instid1(VALU_DEP_3)
	v_fma_f32 v41, v43, v24, -v29
	ds_load_2addr_b64 v[28:31], v20 offset0:96 offset1:112
	v_fmac_f32_e32 v40, v44, v24
	v_add_f32_e32 v38, v23, v38
	v_dual_mul_f32 v23, v43, v27 :: v_dual_add_f32 v36, v36, v41
	v_dual_add_f32 v39, v39, v40 :: v_dual_mul_f32 v40, v60, v25
	v_mul_f32_e32 v25, v59, v25
	s_delay_alu instid0(VALU_DEP_3) | instskip(NEXT) | instid1(VALU_DEP_2)
	v_fmac_f32_e32 v23, v44, v26
	v_fmac_f32_e32 v25, v60, v24
	v_mul_f32_e32 v42, v44, v27
	s_delay_alu instid0(VALU_DEP_1) | instskip(NEXT) | instid1(VALU_DEP_4)
	v_fma_f32 v41, v43, v26, -v42
	v_add_f32_e32 v42, v33, v23
	s_wait_dscnt 0x0
	v_mul_f32_e32 v33, v45, v29
	s_delay_alu instid0(VALU_DEP_3) | instskip(SKIP_1) | instid1(VALU_DEP_3)
	v_dual_add_f32 v34, v34, v41 :: v_dual_mul_f32 v41, v60, v27
	v_mul_f32_e32 v27, v59, v27
	v_fmac_f32_e32 v33, v46, v28
	v_fma_f32 v40, v59, v24, -v40
	s_delay_alu instid0(VALU_DEP_4) | instskip(NEXT) | instid1(VALU_DEP_4)
	v_fma_f32 v23, v59, v26, -v41
	v_fmac_f32_e32 v27, v60, v26
	s_delay_alu instid0(VALU_DEP_3) | instskip(NEXT) | instid1(VALU_DEP_3)
	v_dual_add_f32 v41, v35, v25 :: v_dual_add_f32 v40, v32, v40
	v_dual_mul_f32 v32, v46, v29 :: v_dual_add_f32 v37, v37, v23
	v_mul_f32_e32 v35, v46, v31
	ds_load_2addr_b64 v[23:26], v20 offset0:128 offset1:144
	v_add_f32_e32 v38, v38, v27
	v_fma_f32 v32, v45, v28, -v32
	v_mul_f32_e32 v27, v45, v31
	v_fma_f32 v35, v45, v30, -v35
	v_mul_f32_e32 v45, v62, v31
	s_delay_alu instid0(VALU_DEP_4) | instskip(NEXT) | instid1(VALU_DEP_4)
	v_dual_add_f32 v43, v39, v33 :: v_dual_add_f32 v36, v36, v32
	v_fmac_f32_e32 v27, v46, v30
	v_mul_f32_e32 v31, v61, v31
	s_delay_alu instid0(VALU_DEP_2) | instskip(SKIP_4) | instid1(VALU_DEP_4)
	v_add_f32_e32 v42, v42, v27
	v_fma_f32 v27, v61, v30, -v45
	v_mul_f32_e32 v32, v62, v29
	v_mul_f32_e32 v29, v61, v29
	v_fmac_f32_e32 v31, v62, v30
	v_add_f32_e32 v45, v37, v27
	s_delay_alu instid0(VALU_DEP_4) | instskip(NEXT) | instid1(VALU_DEP_4)
	v_fma_f32 v39, v61, v28, -v32
	v_fmac_f32_e32 v29, v62, v28
	s_wait_dscnt 0x0
	v_mul_f32_e32 v28, v48, v24
	v_dual_mul_f32 v46, v47, v24 :: v_dual_add_f32 v31, v38, v31
	v_mul_f32_e32 v56, v47, v26
	v_add_f32_e32 v40, v40, v39
	v_dual_add_f32 v44, v34, v35 :: v_dual_add_f32 v41, v41, v29
	ds_load_b128 v[32:35], v21 offset:1056
	v_fma_f32 v37, v47, v23, -v28
	ds_load_2addr_b64 v[27:30], v20 offset0:160 offset1:176
	v_mul_f32_e32 v39, v48, v26
	v_fmac_f32_e32 v56, v48, v25
	v_add_f32_e32 v55, v36, v37
	s_delay_alu instid0(VALU_DEP_3) | instskip(SKIP_4) | instid1(VALU_DEP_2)
	v_fma_f32 v47, v47, v25, -v39
	ds_load_b128 v[36:39], v21 offset:1072
	v_fmac_f32_e32 v46, v48, v23
	s_wait_dscnt 0x2
	v_dual_add_f32 v44, v44, v47 :: v_dual_mul_f32 v57, v33, v24
	v_dual_add_f32 v43, v43, v46 :: v_dual_mul_f32 v24, v32, v24
	v_mul_f32_e32 v47, v33, v26
	v_mul_f32_e32 v48, v32, v26
	s_delay_alu instid0(VALU_DEP_4)
	v_fma_f32 v46, v32, v23, -v57
	v_add_f32_e32 v42, v42, v56
	s_wait_dscnt 0x1
	v_mul_f32_e32 v26, v50, v28
	v_fmac_f32_e32 v48, v33, v25
	v_fmac_f32_e32 v24, v33, v23
	v_fma_f32 v23, v32, v25, -v47
	v_dual_mul_f32 v33, v49, v28 :: v_dual_add_f32 v40, v40, v46
	s_delay_alu instid0(VALU_DEP_4) | instskip(SKIP_1) | instid1(VALU_DEP_3)
	v_add_f32_e32 v47, v31, v48
	v_mul_f32_e32 v31, v49, v30
	v_dual_fmac_f32 v33, v50, v27 :: v_dual_add_f32 v32, v41, v24
	v_add_f32_e32 v41, v45, v23
	v_fma_f32 v45, v49, v27, -v26
	ds_load_2addr_b64 v[23:26], v20 offset0:192 offset1:208
	v_dual_mul_f32 v46, v50, v30 :: v_dual_add_f32 v43, v43, v33
	v_mul_f32_e32 v33, v35, v28
	v_dual_mul_f32 v28, v34, v28 :: v_dual_add_f32 v45, v55, v45
	s_delay_alu instid0(VALU_DEP_3) | instskip(SKIP_1) | instid1(VALU_DEP_4)
	v_fma_f32 v46, v49, v29, -v46
	v_fmac_f32_e32 v31, v50, v29
	v_fma_f32 v33, v34, v27, -v33
	s_delay_alu instid0(VALU_DEP_4) | instskip(NEXT) | instid1(VALU_DEP_4)
	v_fmac_f32_e32 v28, v35, v27
	v_add_f32_e32 v44, v44, v46
	s_delay_alu instid0(VALU_DEP_4) | instskip(SKIP_2) | instid1(VALU_DEP_3)
	v_dual_mul_f32 v46, v35, v30 :: v_dual_add_f32 v27, v42, v31
	v_mul_f32_e32 v30, v34, v30
	v_add_f32_e32 v40, v40, v33
	v_fma_f32 v31, v34, v29, -v46
	s_delay_alu instid0(VALU_DEP_3) | instskip(SKIP_3) | instid1(VALU_DEP_2)
	v_fmac_f32_e32 v30, v35, v29
	s_wait_dscnt 0x0
	v_mul_f32_e32 v46, v51, v26
	v_mul_f32_e32 v35, v51, v24
	v_dual_add_f32 v29, v41, v31 :: v_dual_fmac_f32 v46, v52, v25
	v_mul_f32_e32 v42, v52, v24
	s_delay_alu instid0(VALU_DEP_3) | instskip(NEXT) | instid1(VALU_DEP_2)
	v_fmac_f32_e32 v35, v52, v23
	v_fma_f32 v41, v51, v23, -v42
	s_delay_alu instid0(VALU_DEP_2) | instskip(NEXT) | instid1(VALU_DEP_2)
	v_dual_mul_f32 v42, v52, v26 :: v_dual_add_f32 v35, v43, v35
	v_dual_add_f32 v41, v45, v41 :: v_dual_add_f32 v28, v32, v28
	ds_load_2addr_b64 v[31:34], v20 offset0:224 offset1:240
	v_mul_f32_e32 v45, v37, v24
	v_fma_f32 v42, v51, v25, -v42
	v_mul_f32_e32 v24, v36, v24
	s_wait_loadcnt_dscnt 0x0
	s_barrier_signal -1
	v_fma_f32 v43, v36, v23, -v45
	v_add_f32_e32 v30, v47, v30
	v_dual_fmac_f32 v24, v37, v23 :: v_dual_add_f32 v45, v27, v46
	s_barrier_wait -1
	s_delay_alu instid0(VALU_DEP_3)
	v_add_f32_e32 v23, v40, v43
	v_add_f32_e32 v42, v44, v42
	v_mul_f32_e32 v44, v37, v26
	v_mul_f32_e32 v26, v36, v26
	v_add_f32_e32 v24, v28, v24
	global_inv scope:SCOPE_SE
	v_fma_f32 v27, v36, v25, -v44
	v_fmac_f32_e32 v26, v37, v25
	v_mul_f32_e32 v36, v54, v32
	v_mul_f32_e32 v40, v53, v32
	;; [unrolled: 1-line block ×3, first 2 shown]
	v_add_f32_e32 v37, v29, v27
	v_mul_f32_e32 v27, v54, v34
	v_fma_f32 v25, v53, v31, -v36
	v_fmac_f32_e32 v40, v54, v31
	v_add_f32_e32 v36, v30, v26
	v_mul_f32_e32 v26, v39, v32
	s_delay_alu instid0(VALU_DEP_4) | instskip(NEXT) | instid1(VALU_DEP_4)
	v_dual_mul_f32 v32, v38, v32 :: v_dual_add_f32 v29, v41, v25
	v_add_f32_e32 v30, v35, v40
	v_fma_f32 v25, v53, v33, -v27
	v_mul_f32_e32 v35, v39, v34
	v_mul_f32_e32 v34, v38, v34
	v_fmac_f32_e32 v28, v54, v33
	s_delay_alu instid0(VALU_DEP_4) | instskip(SKIP_4) | instid1(VALU_DEP_4)
	v_dual_fmac_f32 v32, v39, v31 :: v_dual_add_f32 v27, v42, v25
	v_fma_f32 v25, v38, v31, -v26
	v_fma_f32 v31, v38, v33, -v35
	v_fmac_f32_e32 v34, v39, v33
	v_add_f32_e32 v28, v45, v28
	v_dual_add_f32 v26, v24, v32 :: v_dual_add_f32 v25, v23, v25
	s_delay_alu instid0(VALU_DEP_3)
	v_dual_add_f32 v24, v37, v31 :: v_dual_add_f32 v23, v36, v34
	s_cbranch_scc0 .LBB98_19
.LBB98_11:                              ;   Parent Loop BB98_8 Depth=1
                                        ; =>  This Inner Loop Header: Depth=2
	s_wait_alu 0xfffe
	v_add_nc_u32_e32 v31, s0, v17
	s_delay_alu instid0(VALU_DEP_1)
	v_cmp_le_i32_e32 vcc_lo, s5, v31
	s_or_b32 s1, s18, vcc_lo
	s_wait_alu 0xfffe
	s_and_saveexec_b32 s27, s1
	s_wait_alu 0xfffe
	s_xor_b32 s1, exec_lo, s27
; %bb.12:                               ;   in Loop: Header=BB98_11 Depth=2
	ds_store_b32 v18, v22
; %bb.13:                               ;   in Loop: Header=BB98_11 Depth=2
	s_wait_alu 0xfffe
	s_or_saveexec_b32 s1, s1
	v_mov_b32_e32 v31, 0
	s_wait_alu 0xfffe
	s_xor_b32 exec_lo, exec_lo, s1
	s_cbranch_execz .LBB98_15
; %bb.14:                               ;   in Loop: Header=BB98_11 Depth=2
	global_load_b64 v[32:33], v[12:13], off
	s_wait_loadcnt 0x0
	v_xor_b32_e32 v31, 0x80000000, v33
	ds_store_b32 v18, v32
.LBB98_15:                              ;   in Loop: Header=BB98_11 Depth=2
	s_or_b32 exec_lo, exec_lo, s1
	v_add_nc_u32_e32 v32, s0, v16
	ds_store_b32 v18, v31 offset:4
	v_cmp_le_i32_e32 vcc_lo, s5, v32
	s_or_b32 s1, vcc_lo, s26
	s_wait_alu 0xfffe
	s_and_saveexec_b32 s27, s1
	s_wait_alu 0xfffe
	s_xor_b32 s1, exec_lo, s27
; %bb.16:                               ;   in Loop: Header=BB98_11 Depth=2
	ds_store_b32 v19, v22
; %bb.17:                               ;   in Loop: Header=BB98_11 Depth=2
	s_wait_alu 0xfffe
	s_or_saveexec_b32 s1, s1
	v_mov_b32_e32 v31, 0
	s_wait_alu 0xfffe
	s_xor_b32 exec_lo, exec_lo, s1
	s_cbranch_execz .LBB98_10
; %bb.18:                               ;   in Loop: Header=BB98_11 Depth=2
	global_load_b64 v[32:33], v[14:15], off offset:-4
	s_wait_loadcnt 0x0
	v_xor_b32_e32 v31, 0x80000000, v33
	ds_store_b32 v19, v32
	s_branch .LBB98_10
.LBB98_19:                              ;   in Loop: Header=BB98_8 Depth=1
	s_mul_u64 s[0:1], s[24:25], s[22:23]
	s_wait_alu 0xfffe
	s_lshl_b64 s[0:1], s[0:1], 3
	s_wait_alu 0xfffe
	s_add_nc_u64 s[0:1], s[12:13], s[0:1]
	s_wait_alu 0xfffe
	v_add_co_u32 v14, vcc_lo, s0, v4
	s_wait_alu 0xfffd
	v_add_co_ci_u32_e64 v15, null, s1, v5, vcc_lo
	s_and_saveexec_b32 s27, s19
	s_cbranch_execz .LBB98_24
; %bb.20:                               ;   in Loop: Header=BB98_8 Depth=1
	v_mul_f32_e32 v13, s6, v30
	v_mul_f32_e32 v12, s7, v30
	s_and_b32 vcc_lo, exec_lo, s17
	s_mov_b32 s28, -1
	s_delay_alu instid0(VALU_DEP_2) | instskip(NEXT) | instid1(VALU_DEP_2)
	v_fmac_f32_e32 v13, s7, v29
	v_fma_f32 v12, v29, s6, -v12
	s_wait_alu 0xfffe
	s_cbranch_vccz .LBB98_22
; %bb.21:                               ;   in Loop: Header=BB98_8 Depth=1
	v_add_co_u32 v29, vcc_lo, v14, v8
	s_wait_alu 0xfffd
	v_add_co_ci_u32_e64 v30, null, v15, v9, vcc_lo
	s_mov_b32 s28, 0
	global_load_b64 v[31:32], v[29:30], off
	s_wait_loadcnt 0x0
	v_mul_f32_e32 v33, s21, v32
	v_mul_f32_e32 v32, s20, v32
	s_delay_alu instid0(VALU_DEP_1) | instskip(NEXT) | instid1(VALU_DEP_3)
	v_fmac_f32_e32 v32, s21, v31
	v_fma_f32 v33, v31, s20, -v33
	s_delay_alu instid0(VALU_DEP_1)
	v_dual_add_f32 v32, v13, v32 :: v_dual_add_f32 v31, v12, v33
	global_store_b64 v[29:30], v[31:32], off
.LBB98_22:                              ;   in Loop: Header=BB98_8 Depth=1
	s_and_not1_b32 vcc_lo, exec_lo, s28
	s_wait_alu 0xfffe
	s_cbranch_vccnz .LBB98_24
; %bb.23:                               ;   in Loop: Header=BB98_8 Depth=1
	v_add_co_u32 v29, vcc_lo, v14, v8
	s_wait_alu 0xfffd
	v_add_co_ci_u32_e64 v30, null, v15, v9, vcc_lo
	global_store_b64 v[29:30], v[12:13], off
.LBB98_24:                              ;   in Loop: Header=BB98_8 Depth=1
	s_wait_alu 0xfffe
	s_or_b32 exec_lo, exec_lo, s27
	s_and_saveexec_b32 s27, s30
	s_cbranch_execz .LBB98_29
; %bb.25:                               ;   in Loop: Header=BB98_8 Depth=1
	v_mul_f32_e32 v13, s6, v28
	v_mul_f32_e32 v12, s7, v28
	s_and_not1_b32 vcc_lo, exec_lo, s17
	s_mov_b32 s28, -1
	s_delay_alu instid0(VALU_DEP_2) | instskip(NEXT) | instid1(VALU_DEP_2)
	v_fmac_f32_e32 v13, s7, v27
	v_fma_f32 v12, v27, s6, -v12
	s_wait_alu 0xfffe
	s_cbranch_vccnz .LBB98_27
; %bb.26:                               ;   in Loop: Header=BB98_8 Depth=1
	v_add_co_u32 v27, vcc_lo, v14, v10
	s_wait_alu 0xfffd
	v_add_co_ci_u32_e64 v28, null, v15, v11, vcc_lo
	s_mov_b32 s28, 0
	global_load_b64 v[29:30], v[27:28], off
	s_wait_loadcnt 0x0
	v_mul_f32_e32 v31, s21, v30
	v_mul_f32_e32 v30, s20, v30
	s_delay_alu instid0(VALU_DEP_1) | instskip(NEXT) | instid1(VALU_DEP_3)
	v_fmac_f32_e32 v30, s21, v29
	v_fma_f32 v31, v29, s20, -v31
	s_delay_alu instid0(VALU_DEP_1)
	v_dual_add_f32 v30, v13, v30 :: v_dual_add_f32 v29, v12, v31
	global_store_b64 v[27:28], v[29:30], off
.LBB98_27:                              ;   in Loop: Header=BB98_8 Depth=1
	s_and_not1_b32 vcc_lo, exec_lo, s28
	s_wait_alu 0xfffe
	s_cbranch_vccnz .LBB98_29
; %bb.28:                               ;   in Loop: Header=BB98_8 Depth=1
	v_add_co_u32 v14, vcc_lo, v14, v10
	s_wait_alu 0xfffd
	v_add_co_ci_u32_e64 v15, null, v15, v11, vcc_lo
	global_store_b64 v[14:15], v[12:13], off
.LBB98_29:                              ;   in Loop: Header=BB98_8 Depth=1
	s_wait_alu 0xfffe
	s_or_b32 exec_lo, exec_lo, s27
	v_add_co_u32 v14, vcc_lo, s0, v6
	s_wait_alu 0xfffd
	v_add_co_ci_u32_e64 v15, null, s1, v7, vcc_lo
	s_and_saveexec_b32 s0, s4
	s_cbranch_execz .LBB98_34
; %bb.30:                               ;   in Loop: Header=BB98_8 Depth=1
	v_mul_f32_e32 v13, s6, v26
	v_mul_f32_e32 v12, s7, v26
	s_and_not1_b32 vcc_lo, exec_lo, s17
	s_mov_b32 s1, -1
	s_delay_alu instid0(VALU_DEP_2) | instskip(NEXT) | instid1(VALU_DEP_2)
	v_fmac_f32_e32 v13, s7, v25
	v_fma_f32 v12, v25, s6, -v12
	s_wait_alu 0xfffe
	s_cbranch_vccnz .LBB98_32
; %bb.31:                               ;   in Loop: Header=BB98_8 Depth=1
	v_add_co_u32 v25, vcc_lo, v14, v8
	s_wait_alu 0xfffd
	v_add_co_ci_u32_e64 v26, null, v15, v9, vcc_lo
	s_mov_b32 s1, 0
	global_load_b64 v[27:28], v[25:26], off
	s_wait_loadcnt 0x0
	v_mul_f32_e32 v29, s21, v28
	v_mul_f32_e32 v28, s20, v28
	s_delay_alu instid0(VALU_DEP_1) | instskip(NEXT) | instid1(VALU_DEP_3)
	v_fmac_f32_e32 v28, s21, v27
	v_fma_f32 v29, v27, s20, -v29
	s_delay_alu instid0(VALU_DEP_1)
	v_dual_add_f32 v28, v13, v28 :: v_dual_add_f32 v27, v12, v29
	global_store_b64 v[25:26], v[27:28], off
.LBB98_32:                              ;   in Loop: Header=BB98_8 Depth=1
	s_wait_alu 0xfffe
	s_and_not1_b32 vcc_lo, exec_lo, s1
	s_wait_alu 0xfffe
	s_cbranch_vccnz .LBB98_34
; %bb.33:                               ;   in Loop: Header=BB98_8 Depth=1
	v_add_co_u32 v25, vcc_lo, v14, v8
	s_wait_alu 0xfffd
	v_add_co_ci_u32_e64 v26, null, v15, v9, vcc_lo
	global_store_b64 v[25:26], v[12:13], off
.LBB98_34:                              ;   in Loop: Header=BB98_8 Depth=1
	s_wait_alu 0xfffe
	s_or_b32 exec_lo, exec_lo, s0
	s_and_saveexec_b32 s0, s14
	s_cbranch_execz .LBB98_7
; %bb.35:                               ;   in Loop: Header=BB98_8 Depth=1
	v_mul_f32_e32 v13, s6, v23
	v_mul_f32_e32 v12, s7, v23
	s_and_not1_b32 vcc_lo, exec_lo, s17
	s_mov_b32 s1, -1
	s_delay_alu instid0(VALU_DEP_2) | instskip(NEXT) | instid1(VALU_DEP_2)
	v_fmac_f32_e32 v13, s7, v24
	v_fma_f32 v12, v24, s6, -v12
	s_wait_alu 0xfffe
	s_cbranch_vccnz .LBB98_37
; %bb.36:                               ;   in Loop: Header=BB98_8 Depth=1
	v_add_co_u32 v23, vcc_lo, v14, v10
	s_wait_alu 0xfffd
	v_add_co_ci_u32_e64 v24, null, v15, v11, vcc_lo
	s_mov_b32 s1, 0
	global_load_b64 v[25:26], v[23:24], off
	s_wait_loadcnt 0x0
	v_mul_f32_e32 v27, s21, v26
	v_mul_f32_e32 v26, s20, v26
	s_delay_alu instid0(VALU_DEP_1) | instskip(NEXT) | instid1(VALU_DEP_3)
	v_fmac_f32_e32 v26, s21, v25
	v_fma_f32 v27, v25, s20, -v27
	s_delay_alu instid0(VALU_DEP_1)
	v_dual_add_f32 v26, v13, v26 :: v_dual_add_f32 v25, v12, v27
	global_store_b64 v[23:24], v[25:26], off
.LBB98_37:                              ;   in Loop: Header=BB98_8 Depth=1
	s_wait_alu 0xfffe
	s_and_not1_b32 vcc_lo, exec_lo, s1
	s_wait_alu 0xfffe
	s_cbranch_vccnz .LBB98_7
; %bb.38:                               ;   in Loop: Header=BB98_8 Depth=1
	v_add_co_u32 v14, vcc_lo, v14, v10
	s_wait_alu 0xfffd
	v_add_co_ci_u32_e64 v15, null, v15, v11, vcc_lo
	global_store_b64 v[14:15], v[12:13], off
	s_branch .LBB98_7
.LBB98_39:
	s_endpgm
	.section	.rodata,"a",@progbits
	.p2align	6, 0x0
	.amdhsa_kernel _ZL29rocblas_internal_gemmt_kernelIiLi16ELi32ELi8ELc67ELc67ELc85ELb1ELb1E19rocblas_complex_numIfES1_PKS1_PS1_EviT_T9_T10_S5_lS7_S5_lS6_T11_S5_li
		.amdhsa_group_segment_fixed_size 4096
		.amdhsa_private_segment_fixed_size 0
		.amdhsa_kernarg_size 100
		.amdhsa_user_sgpr_count 2
		.amdhsa_user_sgpr_dispatch_ptr 0
		.amdhsa_user_sgpr_queue_ptr 0
		.amdhsa_user_sgpr_kernarg_segment_ptr 1
		.amdhsa_user_sgpr_dispatch_id 0
		.amdhsa_user_sgpr_private_segment_size 0
		.amdhsa_wavefront_size32 1
		.amdhsa_uses_dynamic_stack 0
		.amdhsa_enable_private_segment 0
		.amdhsa_system_sgpr_workgroup_id_x 1
		.amdhsa_system_sgpr_workgroup_id_y 1
		.amdhsa_system_sgpr_workgroup_id_z 1
		.amdhsa_system_sgpr_workgroup_info 0
		.amdhsa_system_vgpr_workitem_id 1
		.amdhsa_next_free_vgpr 69
		.amdhsa_next_free_sgpr 36
		.amdhsa_reserve_vcc 1
		.amdhsa_float_round_mode_32 0
		.amdhsa_float_round_mode_16_64 0
		.amdhsa_float_denorm_mode_32 3
		.amdhsa_float_denorm_mode_16_64 3
		.amdhsa_fp16_overflow 0
		.amdhsa_workgroup_processor_mode 1
		.amdhsa_memory_ordered 1
		.amdhsa_forward_progress 1
		.amdhsa_inst_pref_size 25
		.amdhsa_round_robin_scheduling 0
		.amdhsa_exception_fp_ieee_invalid_op 0
		.amdhsa_exception_fp_denorm_src 0
		.amdhsa_exception_fp_ieee_div_zero 0
		.amdhsa_exception_fp_ieee_overflow 0
		.amdhsa_exception_fp_ieee_underflow 0
		.amdhsa_exception_fp_ieee_inexact 0
		.amdhsa_exception_int_div_zero 0
	.end_amdhsa_kernel
	.section	.text._ZL29rocblas_internal_gemmt_kernelIiLi16ELi32ELi8ELc67ELc67ELc85ELb1ELb1E19rocblas_complex_numIfES1_PKS1_PS1_EviT_T9_T10_S5_lS7_S5_lS6_T11_S5_li,"axG",@progbits,_ZL29rocblas_internal_gemmt_kernelIiLi16ELi32ELi8ELc67ELc67ELc85ELb1ELb1E19rocblas_complex_numIfES1_PKS1_PS1_EviT_T9_T10_S5_lS7_S5_lS6_T11_S5_li,comdat
.Lfunc_end98:
	.size	_ZL29rocblas_internal_gemmt_kernelIiLi16ELi32ELi8ELc67ELc67ELc85ELb1ELb1E19rocblas_complex_numIfES1_PKS1_PS1_EviT_T9_T10_S5_lS7_S5_lS6_T11_S5_li, .Lfunc_end98-_ZL29rocblas_internal_gemmt_kernelIiLi16ELi32ELi8ELc67ELc67ELc85ELb1ELb1E19rocblas_complex_numIfES1_PKS1_PS1_EviT_T9_T10_S5_lS7_S5_lS6_T11_S5_li
                                        ; -- End function
	.set _ZL29rocblas_internal_gemmt_kernelIiLi16ELi32ELi8ELc67ELc67ELc85ELb1ELb1E19rocblas_complex_numIfES1_PKS1_PS1_EviT_T9_T10_S5_lS7_S5_lS6_T11_S5_li.num_vgpr, 69
	.set _ZL29rocblas_internal_gemmt_kernelIiLi16ELi32ELi8ELc67ELc67ELc85ELb1ELb1E19rocblas_complex_numIfES1_PKS1_PS1_EviT_T9_T10_S5_lS7_S5_lS6_T11_S5_li.num_agpr, 0
	.set _ZL29rocblas_internal_gemmt_kernelIiLi16ELi32ELi8ELc67ELc67ELc85ELb1ELb1E19rocblas_complex_numIfES1_PKS1_PS1_EviT_T9_T10_S5_lS7_S5_lS6_T11_S5_li.numbered_sgpr, 36
	.set _ZL29rocblas_internal_gemmt_kernelIiLi16ELi32ELi8ELc67ELc67ELc85ELb1ELb1E19rocblas_complex_numIfES1_PKS1_PS1_EviT_T9_T10_S5_lS7_S5_lS6_T11_S5_li.num_named_barrier, 0
	.set _ZL29rocblas_internal_gemmt_kernelIiLi16ELi32ELi8ELc67ELc67ELc85ELb1ELb1E19rocblas_complex_numIfES1_PKS1_PS1_EviT_T9_T10_S5_lS7_S5_lS6_T11_S5_li.private_seg_size, 0
	.set _ZL29rocblas_internal_gemmt_kernelIiLi16ELi32ELi8ELc67ELc67ELc85ELb1ELb1E19rocblas_complex_numIfES1_PKS1_PS1_EviT_T9_T10_S5_lS7_S5_lS6_T11_S5_li.uses_vcc, 1
	.set _ZL29rocblas_internal_gemmt_kernelIiLi16ELi32ELi8ELc67ELc67ELc85ELb1ELb1E19rocblas_complex_numIfES1_PKS1_PS1_EviT_T9_T10_S5_lS7_S5_lS6_T11_S5_li.uses_flat_scratch, 0
	.set _ZL29rocblas_internal_gemmt_kernelIiLi16ELi32ELi8ELc67ELc67ELc85ELb1ELb1E19rocblas_complex_numIfES1_PKS1_PS1_EviT_T9_T10_S5_lS7_S5_lS6_T11_S5_li.has_dyn_sized_stack, 0
	.set _ZL29rocblas_internal_gemmt_kernelIiLi16ELi32ELi8ELc67ELc67ELc85ELb1ELb1E19rocblas_complex_numIfES1_PKS1_PS1_EviT_T9_T10_S5_lS7_S5_lS6_T11_S5_li.has_recursion, 0
	.set _ZL29rocblas_internal_gemmt_kernelIiLi16ELi32ELi8ELc67ELc67ELc85ELb1ELb1E19rocblas_complex_numIfES1_PKS1_PS1_EviT_T9_T10_S5_lS7_S5_lS6_T11_S5_li.has_indirect_call, 0
	.section	.AMDGPU.csdata,"",@progbits
; Kernel info:
; codeLenInByte = 3160
; TotalNumSgprs: 38
; NumVgprs: 69
; ScratchSize: 0
; MemoryBound: 0
; FloatMode: 240
; IeeeMode: 1
; LDSByteSize: 4096 bytes/workgroup (compile time only)
; SGPRBlocks: 0
; VGPRBlocks: 8
; NumSGPRsForWavesPerEU: 38
; NumVGPRsForWavesPerEU: 69
; Occupancy: 16
; WaveLimiterHint : 0
; COMPUTE_PGM_RSRC2:SCRATCH_EN: 0
; COMPUTE_PGM_RSRC2:USER_SGPR: 2
; COMPUTE_PGM_RSRC2:TRAP_HANDLER: 0
; COMPUTE_PGM_RSRC2:TGID_X_EN: 1
; COMPUTE_PGM_RSRC2:TGID_Y_EN: 1
; COMPUTE_PGM_RSRC2:TGID_Z_EN: 1
; COMPUTE_PGM_RSRC2:TIDIG_COMP_CNT: 1
	.section	.text._ZL29rocblas_internal_gemmt_kernelIiLi16ELi32ELi8ELc78ELc78ELc76ELb0ELb0E19rocblas_complex_numIfES1_PKS1_PS1_EviT_T9_T10_S5_lS7_S5_lS6_T11_S5_li,"axG",@progbits,_ZL29rocblas_internal_gemmt_kernelIiLi16ELi32ELi8ELc78ELc78ELc76ELb0ELb0E19rocblas_complex_numIfES1_PKS1_PS1_EviT_T9_T10_S5_lS7_S5_lS6_T11_S5_li,comdat
	.globl	_ZL29rocblas_internal_gemmt_kernelIiLi16ELi32ELi8ELc78ELc78ELc76ELb0ELb0E19rocblas_complex_numIfES1_PKS1_PS1_EviT_T9_T10_S5_lS7_S5_lS6_T11_S5_li ; -- Begin function _ZL29rocblas_internal_gemmt_kernelIiLi16ELi32ELi8ELc78ELc78ELc76ELb0ELb0E19rocblas_complex_numIfES1_PKS1_PS1_EviT_T9_T10_S5_lS7_S5_lS6_T11_S5_li
	.p2align	8
	.type	_ZL29rocblas_internal_gemmt_kernelIiLi16ELi32ELi8ELc78ELc78ELc76ELb0ELb0E19rocblas_complex_numIfES1_PKS1_PS1_EviT_T9_T10_S5_lS7_S5_lS6_T11_S5_li,@function
_ZL29rocblas_internal_gemmt_kernelIiLi16ELi32ELi8ELc78ELc78ELc76ELb0ELb0E19rocblas_complex_numIfES1_PKS1_PS1_EviT_T9_T10_S5_lS7_S5_lS6_T11_S5_li: ; @_ZL29rocblas_internal_gemmt_kernelIiLi16ELi32ELi8ELc78ELc78ELc76ELb0ELb0E19rocblas_complex_numIfES1_PKS1_PS1_EviT_T9_T10_S5_lS7_S5_lS6_T11_S5_li
; %bb.0:
	s_clause 0x1
	s_load_b64 s[20:21], s[0:1], 0x40
	s_load_b128 s[4:7], s[0:1], 0x0
	s_wait_kmcnt 0x0
	s_cmp_eq_f32 s20, 1.0
	s_cselect_b32 s2, -1, 0
	s_and_b32 s3, s21, 0x7fffffff
	s_delay_alu instid0(SALU_CYCLE_1) | instskip(SKIP_1) | instid1(SALU_CYCLE_1)
	s_cmp_eq_u32 s3, 0
	s_cselect_b32 s3, -1, 0
	s_and_b32 s8, s2, s3
	s_mov_b32 s2, 0
	s_and_not1_b32 vcc_lo, exec_lo, s8
	s_mov_b32 s8, -1
	s_cbranch_vccnz .LBB99_4
; %bb.1:
	s_cmp_lg_u32 s5, 0
	s_cbranch_scc0 .LBB99_3
; %bb.2:
	s_cmp_neq_f32 s6, 0
	s_cselect_b32 s2, -1, 0
	s_cmp_neq_f32 s7, 0
	s_cselect_b32 s8, -1, 0
	s_delay_alu instid0(SALU_CYCLE_1)
	s_or_b32 s2, s2, s8
.LBB99_3:
	s_delay_alu instid0(SALU_CYCLE_1)
	s_mov_b32 s8, s2
.LBB99_4:
	s_delay_alu instid0(SALU_CYCLE_1)
	s_and_b32 vcc_lo, exec_lo, s8
	s_cbranch_vccz .LBB99_39
; %bb.5:
	s_load_b32 s15, s[0:1], 0x60
	s_lshr_b32 s22, ttmp7, 16
	s_wait_kmcnt 0x0
	s_cmp_ge_u32 s22, s15
	s_cbranch_scc1 .LBB99_39
; %bb.6:
	s_load_b96 s[16:18], s[0:1], 0x10
	v_and_b32_e32 v1, 0x3ff, v0
	v_bfe_u32 v2, v0, 10, 10
	v_and_b32_e32 v18, 7, v0
	s_clause 0x4
	s_load_b128 s[8:11], s[0:1], 0x20
	s_load_b32 s30, s[0:1], 0x30
	s_load_b64 s[26:27], s[0:1], 0x38
	s_load_b96 s[12:14], s[0:1], 0x48
	s_load_b64 s[24:25], s[0:1], 0x58
	s_lshl_b32 s1, ttmp7, 5
	s_lshl_b32 s0, ttmp9, 5
	v_lshl_add_u32 v0, v2, 4, v1
	s_and_b32 s1, s1, 0x1fffe0
	v_add_nc_u32_e32 v10, s0, v1
	v_add_nc_u32_e32 v8, s1, v2
	v_lshlrev_b32_e32 v14, 3, v18
	v_and_b32_e32 v3, 31, v0
	v_lshrrev_b32_e32 v4, 3, v0
	v_lshrrev_b32_e32 v19, 5, v0
	v_add_nc_u32_e32 v12, 16, v10
	v_lshl_add_u32 v23, v2, 6, 0x800
	v_or_b32_e32 v0, s0, v3
	v_lshlrev_b32_e32 v3, 3, v3
	v_add_nc_u32_e32 v5, s1, v4
	s_wait_kmcnt 0x0
	s_ashr_i32 s29, s18, 31
	s_cmp_neq_f32 s6, 0
	v_cmp_le_i32_e64 s1, v8, v10
	v_lshl_or_b32 v20, v19, 8, v3
	v_mad_co_i64_i32 v[2:3], null, v19, s18, 0
	s_cselect_b32 s0, -1, 0
	s_cmp_neq_f32 s7, 0
	v_lshl_or_b32 v4, v4, 6, v14
	v_lshlrev_b32_e32 v22, 3, v1
	v_ashrrev_i32_e32 v1, 31, v0
	s_cselect_b32 s2, -1, 0
	v_mad_co_i64_i32 v[6:7], null, v8, s14, 0
	s_wait_alu 0xfffe
	s_or_b32 s31, s0, s2
	s_cmp_gt_i32 s5, 0
	v_cmp_gt_i32_e64 s2, s4, v10
	s_cselect_b32 s33, -1, 0
	s_cmp_neq_f32 s20, 0
	v_cmp_gt_i32_e32 vcc_lo, s4, v0
	v_cmp_gt_i32_e64 s0, s4, v5
	v_add_nc_u32_e32 v21, 0x800, v4
	s_cselect_b32 s34, -1, 0
	s_xor_b32 s35, s3, -1
	s_and_b32 s19, s1, s2
	v_cmp_le_i32_e64 s1, v8, v12
	v_cmp_gt_i32_e64 s3, s4, v12
	v_add_nc_u32_e32 v8, 16, v8
	v_lshlrev_b64_e32 v[2:3], 3, v[2:3]
	v_lshlrev_b64_e32 v[0:1], 3, v[0:1]
	v_mad_co_i64_i32 v[4:5], null, s30, v5, 0
	s_mov_b32 s28, s18
	s_and_b32 s18, s1, s3
	v_cmp_le_i32_e64 s1, v8, v10
	v_cmp_le_i32_e64 s4, v8, v12
	v_mad_co_i64_i32 v[8:9], null, v8, s14, 0
	v_ashrrev_i32_e32 v11, 31, v10
	s_delay_alu instid0(VALU_DEP_4) | instskip(SKIP_4) | instid1(VALU_DEP_3)
	s_and_b32 s14, s1, s2
	v_add_co_u32 v0, s1, v2, v0
	s_wait_alu 0xf1ff
	v_add_co_ci_u32_e64 v1, null, v3, v1, s1
	v_lshlrev_b64_e32 v[2:3], 3, v[4:5]
	v_add_co_u32 v0, s1, s16, v0
	s_wait_alu 0xf1ff
	s_delay_alu instid0(VALU_DEP_3) | instskip(SKIP_1) | instid1(VALU_DEP_4)
	v_add_co_ci_u32_e64 v1, null, s17, v1, s1
	v_ashrrev_i32_e32 v13, 31, v12
	v_add_co_u32 v4, s1, v2, v14
	s_wait_alu 0xf1ff
	v_add_co_ci_u32_e64 v3, null, 0, v3, s1
	v_lshlrev_b64_e32 v[6:7], 3, v[6:7]
	s_delay_alu instid0(VALU_DEP_3)
	v_add_co_u32 v4, s1, s10, v4
	v_lshlrev_b64_e32 v[8:9], 3, v[8:9]
	v_lshlrev_b64_e32 v[10:11], 3, v[10:11]
	;; [unrolled: 1-line block ×3, first 2 shown]
	v_mov_b32_e32 v2, 0
	s_wait_alu 0xf1ff
	v_add_co_ci_u32_e64 v5, null, s11, v3, s1
	s_mov_b32 s23, 0
	s_and_b32 s4, s4, s3
	s_lshl_b64 s[2:3], s[8:9], 3
	s_lshl_b64 s[8:9], s[28:29], 6
	s_and_b32 s16, s31, s33
	s_or_b32 s17, s34, s35
	s_lshl_b64 s[10:11], s[26:27], 3
	s_xor_b32 s26, vcc_lo, -1
	s_xor_b32 s27, s0, -1
	s_branch .LBB99_8
.LBB99_7:                               ;   in Loop: Header=BB99_8 Depth=1
	s_wait_alu 0xfffe
	s_or_b32 exec_lo, exec_lo, s0
	s_add_co_i32 s22, s22, 0x10000
	s_wait_alu 0xfffe
	s_cmp_lt_u32 s22, s15
	s_cbranch_scc0 .LBB99_39
.LBB99_8:                               ; =>This Loop Header: Depth=1
                                        ;     Child Loop BB99_11 Depth 2
	v_dual_mov_b32 v30, v2 :: v_dual_mov_b32 v31, v2
	v_dual_mov_b32 v28, v2 :: v_dual_mov_b32 v29, v2
	;; [unrolled: 1-line block ×4, first 2 shown]
	s_wait_alu 0xfffe
	s_and_not1_b32 vcc_lo, exec_lo, s16
	s_wait_alu 0xfffe
	s_cbranch_vccnz .LBB99_19
; %bb.9:                                ;   in Loop: Header=BB99_8 Depth=1
	v_mad_co_u64_u32 v[14:15], null, s2, s22, v[0:1]
	v_mad_co_u64_u32 v[16:17], null, s10, s22, v[4:5]
	v_dual_mov_b32 v25, 0 :: v_dual_mov_b32 v28, 0
	v_mov_b32_e32 v27, 0
	v_mov_b32_e32 v29, 0
	v_dual_mov_b32 v3, v15 :: v_dual_mov_b32 v24, 0
	v_dual_mov_b32 v15, v17 :: v_dual_mov_b32 v26, 0
	s_mov_b32 s0, 0
	s_delay_alu instid0(VALU_DEP_2) | instskip(NEXT) | instid1(VALU_DEP_2)
	v_mad_co_u64_u32 v[30:31], null, s3, s22, v[3:4]
	v_mad_co_u64_u32 v[32:33], null, s11, s22, v[15:16]
	v_mov_b32_e32 v31, 0
	s_delay_alu instid0(VALU_DEP_3) | instskip(NEXT) | instid1(VALU_DEP_3)
	v_dual_mov_b32 v15, v30 :: v_dual_mov_b32 v30, 0
	v_mov_b32_e32 v17, v32
	s_branch .LBB99_11
.LBB99_10:                              ;   in Loop: Header=BB99_11 Depth=2
	s_wait_alu 0xfffe
	s_or_b32 exec_lo, exec_lo, s1
	s_wait_dscnt 0x0
	s_barrier_signal -1
	s_barrier_wait -1
	global_inv scope:SCOPE_SE
	ds_load_b128 v[32:35], v23
	ds_load_2addr_b64 v[36:39], v22 offset1:16
	ds_load_b128 v[40:43], v23 offset:1024
	ds_load_b128 v[44:47], v23 offset:16
	;; [unrolled: 1-line block ×4, first 2 shown]
	ds_load_2addr_b64 v[56:59], v22 offset0:32 offset1:48
	ds_load_b128 v[60:63], v23 offset:1040
	v_add_co_u32 v14, vcc_lo, v14, s8
	s_wait_alu 0xfffd
	v_add_co_ci_u32_e64 v15, null, s9, v15, vcc_lo
	v_add_co_u32 v16, vcc_lo, v16, 64
	s_wait_alu 0xfffd
	v_add_co_ci_u32_e64 v17, null, 0, v17, vcc_lo
	s_add_co_i32 s0, s0, 8
	s_wait_alu 0xfffe
	s_cmp_lt_i32 s0, s5
	s_wait_dscnt 0x6
	v_dual_mul_f32 v3, v33, v37 :: v_dual_mul_f32 v66, v32, v39
	v_dual_mul_f32 v64, v32, v37 :: v_dual_mul_f32 v65, v33, v39
	s_wait_dscnt 0x5
	v_mul_f32_e32 v68, v41, v39
	s_delay_alu instid0(VALU_DEP_3) | instskip(SKIP_3) | instid1(VALU_DEP_4)
	v_fma_f32 v3, v32, v36, -v3
	v_dual_mul_f32 v39, v40, v39 :: v_dual_fmac_f32 v66, v33, v38
	v_fmac_f32_e32 v64, v33, v36
	v_fma_f32 v32, v32, v38, -v65
	v_add_f32_e32 v3, v30, v3
	v_mul_f32_e32 v67, v41, v37
	s_delay_alu instid0(VALU_DEP_4) | instskip(NEXT) | instid1(VALU_DEP_4)
	v_dual_mul_f32 v37, v40, v37 :: v_dual_add_f32 v30, v31, v64
	v_add_f32_e32 v31, v28, v32
	v_fmac_f32_e32 v39, v41, v38
	s_delay_alu instid0(VALU_DEP_4) | instskip(NEXT) | instid1(VALU_DEP_4)
	v_fma_f32 v33, v40, v36, -v67
	v_fmac_f32_e32 v37, v41, v36
	v_fma_f32 v36, v40, v38, -v68
	s_wait_dscnt 0x1
	v_dual_mul_f32 v38, v34, v57 :: v_dual_add_f32 v29, v29, v66
	v_mul_f32_e32 v40, v35, v59
	v_add_f32_e32 v32, v26, v33
	v_dual_add_f32 v33, v27, v37 :: v_dual_add_f32 v36, v25, v36
	ds_load_2addr_b64 v[25:28], v22 offset0:64 offset1:80
	v_fmac_f32_e32 v38, v35, v56
	v_dual_mul_f32 v37, v35, v57 :: v_dual_add_f32 v24, v24, v39
	v_mul_f32_e32 v39, v34, v59
	s_delay_alu instid0(VALU_DEP_3) | instskip(NEXT) | instid1(VALU_DEP_3)
	v_add_f32_e32 v38, v30, v38
	v_fma_f32 v37, v34, v56, -v37
	v_fma_f32 v34, v34, v58, -v40
	v_mul_f32_e32 v30, v42, v57
	s_delay_alu instid0(VALU_DEP_3) | instskip(SKIP_1) | instid1(VALU_DEP_4)
	v_add_f32_e32 v3, v3, v37
	v_mul_f32_e32 v37, v43, v57
	v_add_f32_e32 v34, v31, v34
	v_fmac_f32_e32 v39, v35, v58
	v_mul_f32_e32 v35, v43, v59
	v_fmac_f32_e32 v30, v43, v56
	v_fma_f32 v31, v42, v56, -v37
	s_delay_alu instid0(VALU_DEP_4) | instskip(SKIP_4) | instid1(VALU_DEP_3)
	v_add_f32_e32 v37, v29, v39
	v_mul_f32_e32 v39, v42, v59
	v_fma_f32 v29, v42, v58, -v35
	s_wait_dscnt 0x0
	v_dual_add_f32 v40, v32, v31 :: v_dual_mul_f32 v31, v45, v26
	v_dual_mul_f32 v42, v45, v28 :: v_dual_fmac_f32 v39, v43, v58
	v_mul_f32_e32 v35, v44, v26
	v_add_f32_e32 v36, v36, v29
	s_delay_alu instid0(VALU_DEP_3) | instskip(SKIP_3) | instid1(VALU_DEP_2)
	v_add_f32_e32 v39, v24, v39
	v_mul_f32_e32 v24, v44, v28
	v_fma_f32 v41, v44, v25, -v31
	v_fmac_f32_e32 v35, v45, v25
	v_dual_fmac_f32 v24, v45, v27 :: v_dual_add_f32 v3, v3, v41
	v_fma_f32 v41, v44, v27, -v42
	v_add_f32_e32 v33, v33, v30
	ds_load_2addr_b64 v[29:32], v22 offset0:96 offset1:112
	v_dual_add_f32 v35, v38, v35 :: v_dual_mul_f32 v38, v61, v26
	v_mul_f32_e32 v26, v60, v26
	v_dual_add_f32 v34, v34, v41 :: v_dual_mul_f32 v41, v61, v28
	v_mul_f32_e32 v28, v60, v28
	s_delay_alu instid0(VALU_DEP_4) | instskip(NEXT) | instid1(VALU_DEP_4)
	v_fma_f32 v38, v60, v25, -v38
	v_fmac_f32_e32 v26, v61, v25
	v_add_f32_e32 v37, v37, v24
	v_fma_f32 v24, v60, v27, -v41
	v_fmac_f32_e32 v28, v61, v27
	v_add_f32_e32 v38, v40, v38
	s_delay_alu instid0(VALU_DEP_3)
	v_dual_add_f32 v40, v33, v26 :: v_dual_add_f32 v41, v36, v24
	ds_load_2addr_b64 v[24:27], v22 offset0:128 offset1:144
	s_wait_dscnt 0x1
	v_mul_f32_e32 v33, v47, v30
	v_mul_f32_e32 v36, v46, v30
	;; [unrolled: 1-line block ×4, first 2 shown]
	s_delay_alu instid0(VALU_DEP_4) | instskip(NEXT) | instid1(VALU_DEP_4)
	v_fma_f32 v33, v46, v29, -v33
	v_fmac_f32_e32 v36, v47, v29
	s_delay_alu instid0(VALU_DEP_2) | instskip(SKIP_1) | instid1(VALU_DEP_3)
	v_add_f32_e32 v3, v3, v33
	v_mul_f32_e32 v33, v63, v30
	v_dual_mul_f32 v30, v62, v30 :: v_dual_add_f32 v43, v35, v36
	s_delay_alu instid0(VALU_DEP_2) | instskip(NEXT) | instid1(VALU_DEP_2)
	v_fma_f32 v44, v62, v29, -v33
	v_fmac_f32_e32 v30, v63, v29
	s_wait_dscnt 0x0
	v_mul_f32_e32 v29, v49, v25
	v_fma_f32 v42, v46, v31, -v42
	v_add_f32_e32 v39, v39, v28
	v_mul_f32_e32 v28, v46, v32
	v_mul_f32_e32 v56, v48, v27
	s_delay_alu instid0(VALU_DEP_4) | instskip(SKIP_2) | instid1(VALU_DEP_1)
	v_add_f32_e32 v42, v34, v42
	ds_load_b128 v[33:36], v23 offset:1056
	v_dual_fmac_f32 v28, v47, v31 :: v_dual_mul_f32 v47, v48, v25
	v_add_f32_e32 v46, v37, v28
	v_fma_f32 v28, v62, v31, -v45
	v_fma_f32 v37, v48, v24, -v29
	v_mul_f32_e32 v32, v62, v32
	v_fmac_f32_e32 v47, v49, v24
	v_add_f32_e32 v44, v38, v44
	v_add_f32_e32 v41, v41, v28
	;; [unrolled: 1-line block ×4, first 2 shown]
	v_fmac_f32_e32 v32, v63, v31
	ds_load_2addr_b64 v[28:31], v22 offset0:160 offset1:176
	v_mul_f32_e32 v38, v49, v27
	v_add_f32_e32 v43, v43, v47
	v_add_f32_e32 v32, v39, v32
	s_delay_alu instid0(VALU_DEP_3)
	v_fma_f32 v48, v48, v26, -v38
	ds_load_b128 v[37:40], v23 offset:1072
	s_wait_dscnt 0x2
	v_mul_f32_e32 v57, v34, v25
	v_dual_mul_f32 v25, v33, v25 :: v_dual_add_f32 v42, v42, v48
	v_fmac_f32_e32 v56, v49, v26
	v_mul_f32_e32 v48, v34, v27
	s_delay_alu instid0(VALU_DEP_4) | instskip(NEXT) | instid1(VALU_DEP_4)
	v_fma_f32 v47, v33, v24, -v57
	v_fmac_f32_e32 v25, v34, v24
	s_delay_alu instid0(VALU_DEP_4) | instskip(SKIP_1) | instid1(VALU_DEP_3)
	v_dual_mul_f32 v49, v33, v27 :: v_dual_add_f32 v46, v46, v56
	s_wait_dscnt 0x1
	v_dual_add_f32 v44, v44, v47 :: v_dual_mul_f32 v27, v51, v29
	v_fma_f32 v24, v33, v26, -v48
	v_add_f32_e32 v33, v45, v25
	v_fmac_f32_e32 v49, v34, v26
	v_mul_f32_e32 v34, v50, v29
	v_fma_f32 v45, v50, v28, -v27
	v_add_f32_e32 v41, v41, v24
	ds_load_2addr_b64 v[24:27], v22 offset0:192 offset1:208
	v_fmac_f32_e32 v34, v51, v28
	v_dual_mul_f32 v47, v51, v31 :: v_dual_add_f32 v48, v32, v49
	v_dual_add_f32 v3, v3, v45 :: v_dual_mul_f32 v32, v50, v31
	s_delay_alu instid0(VALU_DEP_3) | instskip(NEXT) | instid1(VALU_DEP_3)
	v_dual_add_f32 v43, v43, v34 :: v_dual_mul_f32 v34, v36, v29
	v_fma_f32 v45, v50, v30, -v47
	s_delay_alu instid0(VALU_DEP_3) | instskip(NEXT) | instid1(VALU_DEP_3)
	v_fmac_f32_e32 v32, v51, v30
	v_fma_f32 v34, v35, v28, -v34
	s_delay_alu instid0(VALU_DEP_3) | instskip(SKIP_1) | instid1(VALU_DEP_3)
	v_dual_add_f32 v42, v42, v45 :: v_dual_mul_f32 v45, v36, v31
	v_mul_f32_e32 v29, v35, v29
	v_dual_mul_f32 v31, v35, v31 :: v_dual_add_f32 v44, v44, v34
	s_delay_alu instid0(VALU_DEP_2) | instskip(SKIP_2) | instid1(VALU_DEP_4)
	v_fmac_f32_e32 v29, v36, v28
	v_add_f32_e32 v28, v46, v32
	v_fma_f32 v32, v35, v30, -v45
	v_fmac_f32_e32 v31, v36, v30
	s_wait_dscnt 0x0
	v_mul_f32_e32 v36, v52, v25
	v_dual_add_f32 v29, v33, v29 :: v_dual_mul_f32 v46, v52, v27
	v_add_f32_e32 v30, v41, v32
	ds_load_2addr_b64 v[32:35], v22 offset0:224 offset1:240
	v_dual_add_f32 v31, v48, v31 :: v_dual_fmac_f32 v36, v53, v24
	v_mul_f32_e32 v45, v53, v25
	v_fmac_f32_e32 v46, v53, v26
	s_wait_loadcnt_dscnt 0x0
	s_barrier_signal -1
	v_add_f32_e32 v36, v43, v36
	v_fma_f32 v41, v52, v24, -v45
	v_mul_f32_e32 v45, v53, v27
	v_mul_f32_e32 v43, v38, v27
	;; [unrolled: 1-line block ×3, first 2 shown]
	s_barrier_wait -1
	v_add_f32_e32 v3, v3, v41
	v_fma_f32 v45, v52, v26, -v45
	v_mul_f32_e32 v41, v38, v25
	v_fmac_f32_e32 v27, v38, v26
	global_inv scope:SCOPE_SE
	v_dual_add_f32 v42, v42, v45 :: v_dual_add_f32 v45, v28, v46
	v_fma_f32 v28, v37, v26, -v43
	v_mul_f32_e32 v25, v37, v25
	s_delay_alu instid0(VALU_DEP_1) | instskip(NEXT) | instid1(VALU_DEP_3)
	v_fmac_f32_e32 v25, v38, v24
	v_add_f32_e32 v38, v30, v28
	v_mul_f32_e32 v28, v55, v35
	v_fma_f32 v41, v37, v24, -v41
	v_mul_f32_e32 v37, v55, v33
	s_delay_alu instid0(VALU_DEP_2) | instskip(NEXT) | instid1(VALU_DEP_2)
	v_add_f32_e32 v24, v44, v41
	v_fma_f32 v26, v54, v32, -v37
	v_add_f32_e32 v37, v31, v27
	v_mul_f32_e32 v27, v39, v33
	s_delay_alu instid0(VALU_DEP_3) | instskip(SKIP_4) | instid1(VALU_DEP_4)
	v_add_f32_e32 v30, v3, v26
	v_fma_f32 v3, v54, v34, -v28
	v_mul_f32_e32 v26, v40, v33
	v_add_f32_e32 v25, v29, v25
	v_mul_f32_e32 v29, v54, v35
	v_dual_fmac_f32 v27, v40, v32 :: v_dual_add_f32 v28, v42, v3
	s_delay_alu instid0(VALU_DEP_4) | instskip(SKIP_3) | instid1(VALU_DEP_4)
	v_fma_f32 v3, v39, v32, -v26
	v_mul_f32_e32 v41, v54, v33
	v_mul_f32_e32 v33, v40, v35
	;; [unrolled: 1-line block ×3, first 2 shown]
	v_dual_fmac_f32 v29, v55, v34 :: v_dual_add_f32 v26, v24, v3
	s_delay_alu instid0(VALU_DEP_4) | instskip(NEXT) | instid1(VALU_DEP_4)
	v_fmac_f32_e32 v41, v55, v32
	v_fma_f32 v32, v39, v34, -v33
	s_delay_alu instid0(VALU_DEP_4) | instskip(NEXT) | instid1(VALU_DEP_4)
	v_fmac_f32_e32 v35, v40, v34
	v_add_f32_e32 v29, v45, v29
	v_add_f32_e32 v27, v25, v27
	;; [unrolled: 1-line block ×3, first 2 shown]
	s_delay_alu instid0(VALU_DEP_4)
	v_dual_add_f32 v25, v38, v32 :: v_dual_add_f32 v24, v37, v35
	s_cbranch_scc0 .LBB99_19
.LBB99_11:                              ;   Parent Loop BB99_8 Depth=1
                                        ; =>  This Inner Loop Header: Depth=2
	s_wait_alu 0xfffe
	v_add_nc_u32_e32 v3, s0, v19
	s_delay_alu instid0(VALU_DEP_1) | instskip(SKIP_3) | instid1(SALU_CYCLE_1)
	v_cmp_le_i32_e32 vcc_lo, s5, v3
	s_or_b32 s1, s26, vcc_lo
	s_wait_alu 0xfffe
	s_and_saveexec_b32 s28, s1
	s_xor_b32 s1, exec_lo, s28
; %bb.12:                               ;   in Loop: Header=BB99_11 Depth=2
	v_mov_b32_e32 v3, v2
	ds_store_b64 v20, v[2:3]
; %bb.13:                               ;   in Loop: Header=BB99_11 Depth=2
	s_wait_alu 0xfffe
	s_and_not1_saveexec_b32 s1, s1
	s_cbranch_execz .LBB99_15
; %bb.14:                               ;   in Loop: Header=BB99_11 Depth=2
	global_load_b64 v[32:33], v[14:15], off
	s_wait_loadcnt 0x0
	ds_store_b64 v20, v[32:33]
.LBB99_15:                              ;   in Loop: Header=BB99_11 Depth=2
	s_wait_alu 0xfffe
	s_or_b32 exec_lo, exec_lo, s1
	v_add_nc_u32_e32 v3, s0, v18
	s_delay_alu instid0(VALU_DEP_1) | instskip(SKIP_3) | instid1(SALU_CYCLE_1)
	v_cmp_le_i32_e32 vcc_lo, s5, v3
	s_or_b32 s1, vcc_lo, s27
	s_wait_alu 0xfffe
	s_and_saveexec_b32 s28, s1
	s_xor_b32 s1, exec_lo, s28
; %bb.16:                               ;   in Loop: Header=BB99_11 Depth=2
	v_mov_b32_e32 v3, v2
	ds_store_b64 v21, v[2:3]
; %bb.17:                               ;   in Loop: Header=BB99_11 Depth=2
	s_wait_alu 0xfffe
	s_and_not1_saveexec_b32 s1, s1
	s_cbranch_execz .LBB99_10
; %bb.18:                               ;   in Loop: Header=BB99_11 Depth=2
	global_load_b64 v[32:33], v[16:17], off
	s_wait_loadcnt 0x0
	ds_store_b64 v21, v[32:33]
	s_branch .LBB99_10
.LBB99_19:                              ;   in Loop: Header=BB99_8 Depth=1
	s_mul_u64 s[0:1], s[24:25], s[22:23]
	s_wait_alu 0xfffe
	s_lshl_b64 s[0:1], s[0:1], 3
	s_wait_alu 0xfffe
	s_add_nc_u64 s[0:1], s[12:13], s[0:1]
	s_wait_alu 0xfffe
	v_add_co_u32 v3, vcc_lo, s0, v6
	s_wait_alu 0xfffd
	v_add_co_ci_u32_e64 v16, null, s1, v7, vcc_lo
	s_and_saveexec_b32 s28, s19
	s_cbranch_execz .LBB99_24
; %bb.20:                               ;   in Loop: Header=BB99_8 Depth=1
	v_mul_f32_e32 v15, s6, v31
	v_mul_f32_e32 v14, s7, v31
	s_and_b32 vcc_lo, exec_lo, s17
	s_mov_b32 s29, -1
	s_delay_alu instid0(VALU_DEP_2) | instskip(NEXT) | instid1(VALU_DEP_2)
	v_fmac_f32_e32 v15, s7, v30
	v_fma_f32 v14, v30, s6, -v14
	s_wait_alu 0xfffe
	s_cbranch_vccz .LBB99_22
; %bb.21:                               ;   in Loop: Header=BB99_8 Depth=1
	v_add_co_u32 v30, vcc_lo, v3, v10
	s_wait_alu 0xfffd
	v_add_co_ci_u32_e64 v31, null, v16, v11, vcc_lo
	s_mov_b32 s29, 0
	global_load_b64 v[32:33], v[30:31], off
	s_wait_loadcnt 0x0
	v_mul_f32_e32 v17, s21, v33
	v_mul_f32_e32 v33, s20, v33
	s_delay_alu instid0(VALU_DEP_2) | instskip(NEXT) | instid1(VALU_DEP_1)
	v_fma_f32 v17, v32, s20, -v17
	v_dual_fmac_f32 v33, s21, v32 :: v_dual_add_f32 v32, v14, v17
	s_delay_alu instid0(VALU_DEP_1)
	v_add_f32_e32 v33, v15, v33
	global_store_b64 v[30:31], v[32:33], off
.LBB99_22:                              ;   in Loop: Header=BB99_8 Depth=1
	s_and_not1_b32 vcc_lo, exec_lo, s29
	s_wait_alu 0xfffe
	s_cbranch_vccnz .LBB99_24
; %bb.23:                               ;   in Loop: Header=BB99_8 Depth=1
	v_add_co_u32 v30, vcc_lo, v3, v10
	s_wait_alu 0xfffd
	v_add_co_ci_u32_e64 v31, null, v16, v11, vcc_lo
	global_store_b64 v[30:31], v[14:15], off
.LBB99_24:                              ;   in Loop: Header=BB99_8 Depth=1
	s_or_b32 exec_lo, exec_lo, s28
	s_and_saveexec_b32 s28, s18
	s_cbranch_execz .LBB99_29
; %bb.25:                               ;   in Loop: Header=BB99_8 Depth=1
	v_mul_f32_e32 v15, s6, v29
	v_mul_f32_e32 v14, s7, v29
	s_and_not1_b32 vcc_lo, exec_lo, s17
	s_mov_b32 s29, -1
	s_delay_alu instid0(VALU_DEP_2) | instskip(NEXT) | instid1(VALU_DEP_2)
	v_fmac_f32_e32 v15, s7, v28
	v_fma_f32 v14, v28, s6, -v14
	s_wait_alu 0xfffe
	s_cbranch_vccnz .LBB99_27
; %bb.26:                               ;   in Loop: Header=BB99_8 Depth=1
	v_add_co_u32 v28, vcc_lo, v3, v12
	s_wait_alu 0xfffd
	v_add_co_ci_u32_e64 v29, null, v16, v13, vcc_lo
	s_mov_b32 s29, 0
	global_load_b64 v[30:31], v[28:29], off
	s_wait_loadcnt 0x0
	v_mul_f32_e32 v17, s21, v31
	s_delay_alu instid0(VALU_DEP_1) | instskip(SKIP_1) | instid1(VALU_DEP_1)
	v_fma_f32 v17, v30, s20, -v17
	v_mul_f32_e32 v31, s20, v31
	v_dual_fmac_f32 v31, s21, v30 :: v_dual_add_f32 v30, v14, v17
	s_delay_alu instid0(VALU_DEP_1)
	v_add_f32_e32 v31, v15, v31
	global_store_b64 v[28:29], v[30:31], off
.LBB99_27:                              ;   in Loop: Header=BB99_8 Depth=1
	s_and_not1_b32 vcc_lo, exec_lo, s29
	s_wait_alu 0xfffe
	s_cbranch_vccnz .LBB99_29
; %bb.28:                               ;   in Loop: Header=BB99_8 Depth=1
	v_add_co_u32 v28, vcc_lo, v3, v12
	s_wait_alu 0xfffd
	v_add_co_ci_u32_e64 v29, null, v16, v13, vcc_lo
	global_store_b64 v[28:29], v[14:15], off
.LBB99_29:                              ;   in Loop: Header=BB99_8 Depth=1
	s_or_b32 exec_lo, exec_lo, s28
	v_add_co_u32 v3, vcc_lo, s0, v8
	s_wait_alu 0xfffd
	v_add_co_ci_u32_e64 v16, null, s1, v9, vcc_lo
	s_and_saveexec_b32 s0, s14
	s_cbranch_execz .LBB99_34
; %bb.30:                               ;   in Loop: Header=BB99_8 Depth=1
	v_mul_f32_e32 v15, s6, v27
	v_mul_f32_e32 v14, s7, v27
	s_and_not1_b32 vcc_lo, exec_lo, s17
	s_mov_b32 s1, -1
	s_delay_alu instid0(VALU_DEP_2) | instskip(NEXT) | instid1(VALU_DEP_2)
	v_fmac_f32_e32 v15, s7, v26
	v_fma_f32 v14, v26, s6, -v14
	s_wait_alu 0xfffe
	s_cbranch_vccnz .LBB99_32
; %bb.31:                               ;   in Loop: Header=BB99_8 Depth=1
	v_add_co_u32 v26, vcc_lo, v3, v10
	s_wait_alu 0xfffd
	v_add_co_ci_u32_e64 v27, null, v16, v11, vcc_lo
	s_mov_b32 s1, 0
	global_load_b64 v[28:29], v[26:27], off
	s_wait_loadcnt 0x0
	v_mul_f32_e32 v17, s21, v29
	v_mul_f32_e32 v29, s20, v29
	s_delay_alu instid0(VALU_DEP_2) | instskip(NEXT) | instid1(VALU_DEP_1)
	v_fma_f32 v17, v28, s20, -v17
	v_dual_fmac_f32 v29, s21, v28 :: v_dual_add_f32 v28, v14, v17
	s_delay_alu instid0(VALU_DEP_1)
	v_add_f32_e32 v29, v15, v29
	global_store_b64 v[26:27], v[28:29], off
.LBB99_32:                              ;   in Loop: Header=BB99_8 Depth=1
	s_wait_alu 0xfffe
	s_and_not1_b32 vcc_lo, exec_lo, s1
	s_wait_alu 0xfffe
	s_cbranch_vccnz .LBB99_34
; %bb.33:                               ;   in Loop: Header=BB99_8 Depth=1
	v_add_co_u32 v26, vcc_lo, v3, v10
	s_wait_alu 0xfffd
	v_add_co_ci_u32_e64 v27, null, v16, v11, vcc_lo
	global_store_b64 v[26:27], v[14:15], off
.LBB99_34:                              ;   in Loop: Header=BB99_8 Depth=1
	s_wait_alu 0xfffe
	s_or_b32 exec_lo, exec_lo, s0
	s_and_saveexec_b32 s0, s4
	s_cbranch_execz .LBB99_7
; %bb.35:                               ;   in Loop: Header=BB99_8 Depth=1
	v_mul_f32_e32 v15, s6, v24
	v_mul_f32_e32 v14, s7, v24
	s_and_not1_b32 vcc_lo, exec_lo, s17
	s_mov_b32 s1, -1
	s_delay_alu instid0(VALU_DEP_2) | instskip(NEXT) | instid1(VALU_DEP_2)
	v_fmac_f32_e32 v15, s7, v25
	v_fma_f32 v14, v25, s6, -v14
	s_wait_alu 0xfffe
	s_cbranch_vccnz .LBB99_37
; %bb.36:                               ;   in Loop: Header=BB99_8 Depth=1
	v_add_co_u32 v24, vcc_lo, v3, v12
	s_wait_alu 0xfffd
	v_add_co_ci_u32_e64 v25, null, v16, v13, vcc_lo
	s_mov_b32 s1, 0
	global_load_b64 v[26:27], v[24:25], off
	s_wait_loadcnt 0x0
	v_mul_f32_e32 v17, s21, v27
	s_delay_alu instid0(VALU_DEP_1) | instskip(SKIP_1) | instid1(VALU_DEP_1)
	v_fma_f32 v17, v26, s20, -v17
	v_mul_f32_e32 v27, s20, v27
	v_dual_fmac_f32 v27, s21, v26 :: v_dual_add_f32 v26, v14, v17
	s_delay_alu instid0(VALU_DEP_1)
	v_add_f32_e32 v27, v15, v27
	global_store_b64 v[24:25], v[26:27], off
.LBB99_37:                              ;   in Loop: Header=BB99_8 Depth=1
	s_wait_alu 0xfffe
	s_and_not1_b32 vcc_lo, exec_lo, s1
	s_wait_alu 0xfffe
	s_cbranch_vccnz .LBB99_7
; %bb.38:                               ;   in Loop: Header=BB99_8 Depth=1
	v_add_co_u32 v24, vcc_lo, v3, v12
	s_wait_alu 0xfffd
	v_add_co_ci_u32_e64 v25, null, v16, v13, vcc_lo
	global_store_b64 v[24:25], v[14:15], off
	s_branch .LBB99_7
.LBB99_39:
	s_endpgm
	.section	.rodata,"a",@progbits
	.p2align	6, 0x0
	.amdhsa_kernel _ZL29rocblas_internal_gemmt_kernelIiLi16ELi32ELi8ELc78ELc78ELc76ELb0ELb0E19rocblas_complex_numIfES1_PKS1_PS1_EviT_T9_T10_S5_lS7_S5_lS6_T11_S5_li
		.amdhsa_group_segment_fixed_size 4096
		.amdhsa_private_segment_fixed_size 0
		.amdhsa_kernarg_size 100
		.amdhsa_user_sgpr_count 2
		.amdhsa_user_sgpr_dispatch_ptr 0
		.amdhsa_user_sgpr_queue_ptr 0
		.amdhsa_user_sgpr_kernarg_segment_ptr 1
		.amdhsa_user_sgpr_dispatch_id 0
		.amdhsa_user_sgpr_private_segment_size 0
		.amdhsa_wavefront_size32 1
		.amdhsa_uses_dynamic_stack 0
		.amdhsa_enable_private_segment 0
		.amdhsa_system_sgpr_workgroup_id_x 1
		.amdhsa_system_sgpr_workgroup_id_y 1
		.amdhsa_system_sgpr_workgroup_id_z 1
		.amdhsa_system_sgpr_workgroup_info 0
		.amdhsa_system_vgpr_workitem_id 1
		.amdhsa_next_free_vgpr 69
		.amdhsa_next_free_sgpr 36
		.amdhsa_reserve_vcc 1
		.amdhsa_float_round_mode_32 0
		.amdhsa_float_round_mode_16_64 0
		.amdhsa_float_denorm_mode_32 3
		.amdhsa_float_denorm_mode_16_64 3
		.amdhsa_fp16_overflow 0
		.amdhsa_workgroup_processor_mode 1
		.amdhsa_memory_ordered 1
		.amdhsa_forward_progress 1
		.amdhsa_inst_pref_size 25
		.amdhsa_round_robin_scheduling 0
		.amdhsa_exception_fp_ieee_invalid_op 0
		.amdhsa_exception_fp_denorm_src 0
		.amdhsa_exception_fp_ieee_div_zero 0
		.amdhsa_exception_fp_ieee_overflow 0
		.amdhsa_exception_fp_ieee_underflow 0
		.amdhsa_exception_fp_ieee_inexact 0
		.amdhsa_exception_int_div_zero 0
	.end_amdhsa_kernel
	.section	.text._ZL29rocblas_internal_gemmt_kernelIiLi16ELi32ELi8ELc78ELc78ELc76ELb0ELb0E19rocblas_complex_numIfES1_PKS1_PS1_EviT_T9_T10_S5_lS7_S5_lS6_T11_S5_li,"axG",@progbits,_ZL29rocblas_internal_gemmt_kernelIiLi16ELi32ELi8ELc78ELc78ELc76ELb0ELb0E19rocblas_complex_numIfES1_PKS1_PS1_EviT_T9_T10_S5_lS7_S5_lS6_T11_S5_li,comdat
.Lfunc_end99:
	.size	_ZL29rocblas_internal_gemmt_kernelIiLi16ELi32ELi8ELc78ELc78ELc76ELb0ELb0E19rocblas_complex_numIfES1_PKS1_PS1_EviT_T9_T10_S5_lS7_S5_lS6_T11_S5_li, .Lfunc_end99-_ZL29rocblas_internal_gemmt_kernelIiLi16ELi32ELi8ELc78ELc78ELc76ELb0ELb0E19rocblas_complex_numIfES1_PKS1_PS1_EviT_T9_T10_S5_lS7_S5_lS6_T11_S5_li
                                        ; -- End function
	.set _ZL29rocblas_internal_gemmt_kernelIiLi16ELi32ELi8ELc78ELc78ELc76ELb0ELb0E19rocblas_complex_numIfES1_PKS1_PS1_EviT_T9_T10_S5_lS7_S5_lS6_T11_S5_li.num_vgpr, 69
	.set _ZL29rocblas_internal_gemmt_kernelIiLi16ELi32ELi8ELc78ELc78ELc76ELb0ELb0E19rocblas_complex_numIfES1_PKS1_PS1_EviT_T9_T10_S5_lS7_S5_lS6_T11_S5_li.num_agpr, 0
	.set _ZL29rocblas_internal_gemmt_kernelIiLi16ELi32ELi8ELc78ELc78ELc76ELb0ELb0E19rocblas_complex_numIfES1_PKS1_PS1_EviT_T9_T10_S5_lS7_S5_lS6_T11_S5_li.numbered_sgpr, 36
	.set _ZL29rocblas_internal_gemmt_kernelIiLi16ELi32ELi8ELc78ELc78ELc76ELb0ELb0E19rocblas_complex_numIfES1_PKS1_PS1_EviT_T9_T10_S5_lS7_S5_lS6_T11_S5_li.num_named_barrier, 0
	.set _ZL29rocblas_internal_gemmt_kernelIiLi16ELi32ELi8ELc78ELc78ELc76ELb0ELb0E19rocblas_complex_numIfES1_PKS1_PS1_EviT_T9_T10_S5_lS7_S5_lS6_T11_S5_li.private_seg_size, 0
	.set _ZL29rocblas_internal_gemmt_kernelIiLi16ELi32ELi8ELc78ELc78ELc76ELb0ELb0E19rocblas_complex_numIfES1_PKS1_PS1_EviT_T9_T10_S5_lS7_S5_lS6_T11_S5_li.uses_vcc, 1
	.set _ZL29rocblas_internal_gemmt_kernelIiLi16ELi32ELi8ELc78ELc78ELc76ELb0ELb0E19rocblas_complex_numIfES1_PKS1_PS1_EviT_T9_T10_S5_lS7_S5_lS6_T11_S5_li.uses_flat_scratch, 0
	.set _ZL29rocblas_internal_gemmt_kernelIiLi16ELi32ELi8ELc78ELc78ELc76ELb0ELb0E19rocblas_complex_numIfES1_PKS1_PS1_EviT_T9_T10_S5_lS7_S5_lS6_T11_S5_li.has_dyn_sized_stack, 0
	.set _ZL29rocblas_internal_gemmt_kernelIiLi16ELi32ELi8ELc78ELc78ELc76ELb0ELb0E19rocblas_complex_numIfES1_PKS1_PS1_EviT_T9_T10_S5_lS7_S5_lS6_T11_S5_li.has_recursion, 0
	.set _ZL29rocblas_internal_gemmt_kernelIiLi16ELi32ELi8ELc78ELc78ELc76ELb0ELb0E19rocblas_complex_numIfES1_PKS1_PS1_EviT_T9_T10_S5_lS7_S5_lS6_T11_S5_li.has_indirect_call, 0
	.section	.AMDGPU.csdata,"",@progbits
; Kernel info:
; codeLenInByte = 3100
; TotalNumSgprs: 38
; NumVgprs: 69
; ScratchSize: 0
; MemoryBound: 1
; FloatMode: 240
; IeeeMode: 1
; LDSByteSize: 4096 bytes/workgroup (compile time only)
; SGPRBlocks: 0
; VGPRBlocks: 8
; NumSGPRsForWavesPerEU: 38
; NumVGPRsForWavesPerEU: 69
; Occupancy: 16
; WaveLimiterHint : 0
; COMPUTE_PGM_RSRC2:SCRATCH_EN: 0
; COMPUTE_PGM_RSRC2:USER_SGPR: 2
; COMPUTE_PGM_RSRC2:TRAP_HANDLER: 0
; COMPUTE_PGM_RSRC2:TGID_X_EN: 1
; COMPUTE_PGM_RSRC2:TGID_Y_EN: 1
; COMPUTE_PGM_RSRC2:TGID_Z_EN: 1
; COMPUTE_PGM_RSRC2:TIDIG_COMP_CNT: 1
	.section	.text._ZL29rocblas_internal_gemmt_kernelIiLi16ELi32ELi8ELc78ELc84ELc76ELb0ELb0E19rocblas_complex_numIfES1_PKS1_PS1_EviT_T9_T10_S5_lS7_S5_lS6_T11_S5_li,"axG",@progbits,_ZL29rocblas_internal_gemmt_kernelIiLi16ELi32ELi8ELc78ELc84ELc76ELb0ELb0E19rocblas_complex_numIfES1_PKS1_PS1_EviT_T9_T10_S5_lS7_S5_lS6_T11_S5_li,comdat
	.globl	_ZL29rocblas_internal_gemmt_kernelIiLi16ELi32ELi8ELc78ELc84ELc76ELb0ELb0E19rocblas_complex_numIfES1_PKS1_PS1_EviT_T9_T10_S5_lS7_S5_lS6_T11_S5_li ; -- Begin function _ZL29rocblas_internal_gemmt_kernelIiLi16ELi32ELi8ELc78ELc84ELc76ELb0ELb0E19rocblas_complex_numIfES1_PKS1_PS1_EviT_T9_T10_S5_lS7_S5_lS6_T11_S5_li
	.p2align	8
	.type	_ZL29rocblas_internal_gemmt_kernelIiLi16ELi32ELi8ELc78ELc84ELc76ELb0ELb0E19rocblas_complex_numIfES1_PKS1_PS1_EviT_T9_T10_S5_lS7_S5_lS6_T11_S5_li,@function
_ZL29rocblas_internal_gemmt_kernelIiLi16ELi32ELi8ELc78ELc84ELc76ELb0ELb0E19rocblas_complex_numIfES1_PKS1_PS1_EviT_T9_T10_S5_lS7_S5_lS6_T11_S5_li: ; @_ZL29rocblas_internal_gemmt_kernelIiLi16ELi32ELi8ELc78ELc84ELc76ELb0ELb0E19rocblas_complex_numIfES1_PKS1_PS1_EviT_T9_T10_S5_lS7_S5_lS6_T11_S5_li
; %bb.0:
	s_clause 0x1
	s_load_b64 s[20:21], s[0:1], 0x40
	s_load_b128 s[4:7], s[0:1], 0x0
	s_wait_kmcnt 0x0
	s_cmp_eq_f32 s20, 1.0
	s_cselect_b32 s2, -1, 0
	s_and_b32 s3, s21, 0x7fffffff
	s_delay_alu instid0(SALU_CYCLE_1) | instskip(SKIP_1) | instid1(SALU_CYCLE_1)
	s_cmp_eq_u32 s3, 0
	s_cselect_b32 s3, -1, 0
	s_and_b32 s8, s2, s3
	s_mov_b32 s2, 0
	s_and_not1_b32 vcc_lo, exec_lo, s8
	s_mov_b32 s8, -1
	s_cbranch_vccnz .LBB100_4
; %bb.1:
	s_cmp_lg_u32 s5, 0
	s_cbranch_scc0 .LBB100_3
; %bb.2:
	s_cmp_neq_f32 s6, 0
	s_cselect_b32 s2, -1, 0
	s_cmp_neq_f32 s7, 0
	s_cselect_b32 s8, -1, 0
	s_delay_alu instid0(SALU_CYCLE_1)
	s_or_b32 s2, s2, s8
.LBB100_3:
	s_delay_alu instid0(SALU_CYCLE_1)
	s_mov_b32 s8, s2
.LBB100_4:
	s_delay_alu instid0(SALU_CYCLE_1)
	s_and_b32 vcc_lo, exec_lo, s8
	s_cbranch_vccz .LBB100_39
; %bb.5:
	s_load_b32 s19, s[0:1], 0x60
	s_lshr_b32 s22, ttmp7, 16
	s_wait_kmcnt 0x0
	s_cmp_ge_u32 s22, s19
	s_cbranch_scc1 .LBB100_39
; %bb.6:
	s_clause 0x1
	s_load_b96 s[16:18], s[0:1], 0x10
	s_load_b32 s26, s[0:1], 0x30
	v_and_b32_e32 v1, 0x3ff, v0
	v_bfe_u32 v2, v0, 10, 10
	v_and_b32_e32 v18, 7, v0
	s_clause 0x3
	s_load_b128 s[8:11], s[0:1], 0x20
	s_load_b64 s[28:29], s[0:1], 0x38
	s_load_b96 s[12:14], s[0:1], 0x48
	s_load_b64 s[24:25], s[0:1], 0x58
	s_lshl_b32 s0, ttmp7, 5
	s_lshl_b32 s1, ttmp9, 5
	v_lshl_add_u32 v0, v2, 4, v1
	s_and_b32 s2, s0, 0x1fffe0
	v_lshlrev_b32_e32 v3, 3, v18
	v_add_nc_u32_e32 v10, s1, v1
	v_lshl_add_u32 v23, v2, 6, 0x800
	v_and_b32_e32 v4, 31, v0
	v_lshrrev_b32_e32 v19, 5, v0
	v_lshrrev_b32_e32 v5, 3, v0
	v_add_nc_u32_e32 v12, 16, v10
	v_lshlrev_b32_e32 v22, 3, v1
	v_or_b32_e32 v0, s1, v4
	v_lshlrev_b32_e32 v4, 3, v4
	s_wait_kmcnt 0x0
	s_ashr_i32 s35, s18, 31
	s_ashr_i32 s27, s26, 31
	s_cmp_neq_f32 s6, 0
	v_lshl_or_b32 v3, v5, 6, v3
	v_lshl_or_b32 v20, v19, 8, v4
	v_add_nc_u32_e32 v4, s2, v2
	s_cselect_b32 s0, -1, 0
	s_cmp_neq_f32 s7, 0
	v_add_nc_u32_e32 v14, s2, v5
	v_cmp_gt_i32_e64 s2, s4, v10
	v_cmp_le_i32_e64 s1, v4, v10
	s_cselect_b32 s15, -1, 0
	v_add_nc_u32_e32 v21, 0x800, v3
	s_wait_alu 0xfffe
	s_or_b32 s15, s0, s15
	s_cmp_gt_i32 s5, 0
	v_mad_co_i64_i32 v[2:3], null, v19, s18, 0
	s_cselect_b32 s33, -1, 0
	s_cmp_neq_f32 s20, 0
	v_ashrrev_i32_e32 v1, 31, v0
	v_add_nc_u32_e32 v8, 16, v4
	v_cmp_gt_i32_e32 vcc_lo, s4, v0
	s_cselect_b32 s36, -1, 0
	s_xor_b32 s37, s3, -1
	s_and_b32 s30, s1, s2
	v_cmp_le_i32_e64 s1, v4, v12
	v_cmp_gt_i32_e64 s3, s4, v12
	v_mad_co_i64_i32 v[6:7], null, v4, s14, 0
	v_lshlrev_b64_e32 v[2:3], 3, v[2:3]
	v_lshlrev_b64_e32 v[0:1], 3, v[0:1]
	v_mad_co_i64_i32 v[4:5], null, s26, v18, 0
	s_mov_b32 s34, s18
	s_and_b32 s18, s1, s3
	v_cmp_le_i32_e64 s1, v8, v10
	v_cmp_gt_i32_e64 s0, s4, v14
	v_cmp_le_i32_e64 s4, v8, v12
	v_mad_co_i64_i32 v[8:9], null, v8, s14, 0
	s_and_b32 s31, s1, s2
	v_add_co_u32 v0, s1, v2, v0
	s_wait_alu 0xf1ff
	v_add_co_ci_u32_e64 v1, null, v3, v1, s1
	v_lshlrev_b64_e32 v[2:3], 3, v[4:5]
	v_lshlrev_b32_e32 v4, 3, v14
	v_add_co_u32 v0, s1, s16, v0
	s_wait_alu 0xf1ff
	v_add_co_ci_u32_e64 v1, null, s17, v1, s1
	s_delay_alu instid0(VALU_DEP_3)
	v_add_co_u32 v4, s1, v2, v4
	v_ashrrev_i32_e32 v11, 31, v10
	v_ashrrev_i32_e32 v13, 31, v12
	s_wait_alu 0xf1ff
	v_add_co_ci_u32_e64 v3, null, 0, v3, s1
	v_add_co_u32 v4, s1, s10, v4
	v_lshlrev_b64_e32 v[6:7], 3, v[6:7]
	v_lshlrev_b64_e32 v[8:9], 3, v[8:9]
	;; [unrolled: 1-line block ×4, first 2 shown]
	v_mov_b32_e32 v2, 0
	s_wait_alu 0xf1ff
	v_add_co_ci_u32_e64 v5, null, s11, v3, s1
	s_mov_b32 s23, 0
	s_and_b32 s4, s4, s3
	s_lshl_b64 s[2:3], s[8:9], 3
	s_lshl_b64 s[8:9], s[34:35], 6
	;; [unrolled: 1-line block ×3, first 2 shown]
	s_and_b32 s16, s15, s33
	s_or_b32 s17, s36, s37
	s_lshl_b64 s[14:15], s[26:27], 6
	s_xor_b32 s26, vcc_lo, -1
	s_xor_b32 s27, s0, -1
	s_branch .LBB100_8
.LBB100_7:                              ;   in Loop: Header=BB100_8 Depth=1
	s_wait_alu 0xfffe
	s_or_b32 exec_lo, exec_lo, s0
	s_add_co_i32 s22, s22, 0x10000
	s_wait_alu 0xfffe
	s_cmp_lt_u32 s22, s19
	s_cbranch_scc0 .LBB100_39
.LBB100_8:                              ; =>This Loop Header: Depth=1
                                        ;     Child Loop BB100_11 Depth 2
	v_dual_mov_b32 v30, v2 :: v_dual_mov_b32 v31, v2
	v_dual_mov_b32 v28, v2 :: v_dual_mov_b32 v29, v2
	;; [unrolled: 1-line block ×4, first 2 shown]
	s_wait_alu 0xfffe
	s_and_not1_b32 vcc_lo, exec_lo, s16
	s_wait_alu 0xfffe
	s_cbranch_vccnz .LBB100_19
; %bb.9:                                ;   in Loop: Header=BB100_8 Depth=1
	v_mad_co_u64_u32 v[14:15], null, s2, s22, v[0:1]
	v_mad_co_u64_u32 v[16:17], null, s10, s22, v[4:5]
	v_dual_mov_b32 v25, 0 :: v_dual_mov_b32 v28, 0
	v_mov_b32_e32 v27, 0
	v_mov_b32_e32 v29, 0
	v_dual_mov_b32 v3, v15 :: v_dual_mov_b32 v24, 0
	v_dual_mov_b32 v15, v17 :: v_dual_mov_b32 v26, 0
	s_mov_b32 s0, 0
	s_delay_alu instid0(VALU_DEP_2) | instskip(NEXT) | instid1(VALU_DEP_2)
	v_mad_co_u64_u32 v[30:31], null, s3, s22, v[3:4]
	v_mad_co_u64_u32 v[32:33], null, s11, s22, v[15:16]
	v_mov_b32_e32 v31, 0
	s_delay_alu instid0(VALU_DEP_3) | instskip(NEXT) | instid1(VALU_DEP_3)
	v_dual_mov_b32 v15, v30 :: v_dual_mov_b32 v30, 0
	v_mov_b32_e32 v17, v32
	s_branch .LBB100_11
.LBB100_10:                             ;   in Loop: Header=BB100_11 Depth=2
	s_wait_alu 0xfffe
	s_or_b32 exec_lo, exec_lo, s1
	s_wait_dscnt 0x0
	s_barrier_signal -1
	s_barrier_wait -1
	global_inv scope:SCOPE_SE
	ds_load_b128 v[32:35], v23
	ds_load_2addr_b64 v[36:39], v22 offset1:16
	ds_load_b128 v[40:43], v23 offset:1024
	ds_load_b128 v[44:47], v23 offset:16
	;; [unrolled: 1-line block ×4, first 2 shown]
	ds_load_2addr_b64 v[56:59], v22 offset0:32 offset1:48
	ds_load_b128 v[60:63], v23 offset:1040
	v_add_co_u32 v14, vcc_lo, v14, s8
	s_wait_alu 0xfffd
	v_add_co_ci_u32_e64 v15, null, s9, v15, vcc_lo
	v_add_co_u32 v16, vcc_lo, v16, s14
	s_wait_alu 0xfffd
	v_add_co_ci_u32_e64 v17, null, s15, v17, vcc_lo
	s_add_co_i32 s0, s0, 8
	s_wait_alu 0xfffe
	s_cmp_lt_i32 s0, s5
	s_wait_dscnt 0x6
	v_dual_mul_f32 v3, v33, v37 :: v_dual_mul_f32 v66, v32, v39
	v_dual_mul_f32 v64, v32, v37 :: v_dual_mul_f32 v65, v33, v39
	s_wait_dscnt 0x5
	v_mul_f32_e32 v68, v41, v39
	s_delay_alu instid0(VALU_DEP_3) | instskip(SKIP_3) | instid1(VALU_DEP_4)
	v_fma_f32 v3, v32, v36, -v3
	v_dual_mul_f32 v39, v40, v39 :: v_dual_fmac_f32 v66, v33, v38
	v_fmac_f32_e32 v64, v33, v36
	v_fma_f32 v32, v32, v38, -v65
	v_add_f32_e32 v3, v30, v3
	v_mul_f32_e32 v67, v41, v37
	s_delay_alu instid0(VALU_DEP_4) | instskip(NEXT) | instid1(VALU_DEP_4)
	v_dual_mul_f32 v37, v40, v37 :: v_dual_add_f32 v30, v31, v64
	v_add_f32_e32 v31, v28, v32
	v_fmac_f32_e32 v39, v41, v38
	s_delay_alu instid0(VALU_DEP_4) | instskip(NEXT) | instid1(VALU_DEP_4)
	v_fma_f32 v33, v40, v36, -v67
	v_fmac_f32_e32 v37, v41, v36
	v_fma_f32 v36, v40, v38, -v68
	s_wait_dscnt 0x1
	v_dual_mul_f32 v38, v34, v57 :: v_dual_add_f32 v29, v29, v66
	v_mul_f32_e32 v40, v35, v59
	v_add_f32_e32 v32, v26, v33
	v_dual_add_f32 v33, v27, v37 :: v_dual_add_f32 v36, v25, v36
	ds_load_2addr_b64 v[25:28], v22 offset0:64 offset1:80
	v_fmac_f32_e32 v38, v35, v56
	v_dual_mul_f32 v37, v35, v57 :: v_dual_add_f32 v24, v24, v39
	v_mul_f32_e32 v39, v34, v59
	s_delay_alu instid0(VALU_DEP_3) | instskip(NEXT) | instid1(VALU_DEP_3)
	v_add_f32_e32 v38, v30, v38
	v_fma_f32 v37, v34, v56, -v37
	v_fma_f32 v34, v34, v58, -v40
	v_mul_f32_e32 v30, v42, v57
	s_delay_alu instid0(VALU_DEP_3) | instskip(SKIP_1) | instid1(VALU_DEP_4)
	v_add_f32_e32 v3, v3, v37
	v_mul_f32_e32 v37, v43, v57
	v_add_f32_e32 v34, v31, v34
	v_fmac_f32_e32 v39, v35, v58
	v_mul_f32_e32 v35, v43, v59
	v_fmac_f32_e32 v30, v43, v56
	v_fma_f32 v31, v42, v56, -v37
	s_delay_alu instid0(VALU_DEP_4) | instskip(SKIP_4) | instid1(VALU_DEP_3)
	v_add_f32_e32 v37, v29, v39
	v_mul_f32_e32 v39, v42, v59
	v_fma_f32 v29, v42, v58, -v35
	s_wait_dscnt 0x0
	v_dual_add_f32 v40, v32, v31 :: v_dual_mul_f32 v31, v45, v26
	v_dual_mul_f32 v42, v45, v28 :: v_dual_fmac_f32 v39, v43, v58
	v_mul_f32_e32 v35, v44, v26
	v_add_f32_e32 v36, v36, v29
	s_delay_alu instid0(VALU_DEP_3) | instskip(SKIP_3) | instid1(VALU_DEP_2)
	v_add_f32_e32 v39, v24, v39
	v_mul_f32_e32 v24, v44, v28
	v_fma_f32 v41, v44, v25, -v31
	v_fmac_f32_e32 v35, v45, v25
	v_dual_fmac_f32 v24, v45, v27 :: v_dual_add_f32 v3, v3, v41
	v_fma_f32 v41, v44, v27, -v42
	v_add_f32_e32 v33, v33, v30
	ds_load_2addr_b64 v[29:32], v22 offset0:96 offset1:112
	v_dual_add_f32 v35, v38, v35 :: v_dual_mul_f32 v38, v61, v26
	v_mul_f32_e32 v26, v60, v26
	v_dual_add_f32 v34, v34, v41 :: v_dual_mul_f32 v41, v61, v28
	v_mul_f32_e32 v28, v60, v28
	s_delay_alu instid0(VALU_DEP_4) | instskip(NEXT) | instid1(VALU_DEP_4)
	v_fma_f32 v38, v60, v25, -v38
	v_fmac_f32_e32 v26, v61, v25
	v_add_f32_e32 v37, v37, v24
	v_fma_f32 v24, v60, v27, -v41
	v_fmac_f32_e32 v28, v61, v27
	v_add_f32_e32 v38, v40, v38
	s_delay_alu instid0(VALU_DEP_3)
	v_dual_add_f32 v40, v33, v26 :: v_dual_add_f32 v41, v36, v24
	ds_load_2addr_b64 v[24:27], v22 offset0:128 offset1:144
	s_wait_dscnt 0x1
	v_mul_f32_e32 v33, v47, v30
	v_mul_f32_e32 v36, v46, v30
	;; [unrolled: 1-line block ×4, first 2 shown]
	s_delay_alu instid0(VALU_DEP_4) | instskip(NEXT) | instid1(VALU_DEP_4)
	v_fma_f32 v33, v46, v29, -v33
	v_fmac_f32_e32 v36, v47, v29
	s_delay_alu instid0(VALU_DEP_2) | instskip(SKIP_1) | instid1(VALU_DEP_3)
	v_add_f32_e32 v3, v3, v33
	v_mul_f32_e32 v33, v63, v30
	v_dual_mul_f32 v30, v62, v30 :: v_dual_add_f32 v43, v35, v36
	s_delay_alu instid0(VALU_DEP_2) | instskip(NEXT) | instid1(VALU_DEP_2)
	v_fma_f32 v44, v62, v29, -v33
	v_fmac_f32_e32 v30, v63, v29
	s_wait_dscnt 0x0
	v_mul_f32_e32 v29, v49, v25
	v_fma_f32 v42, v46, v31, -v42
	v_add_f32_e32 v39, v39, v28
	v_mul_f32_e32 v28, v46, v32
	v_mul_f32_e32 v56, v48, v27
	s_delay_alu instid0(VALU_DEP_4) | instskip(SKIP_2) | instid1(VALU_DEP_1)
	v_add_f32_e32 v42, v34, v42
	ds_load_b128 v[33:36], v23 offset:1056
	v_dual_fmac_f32 v28, v47, v31 :: v_dual_mul_f32 v47, v48, v25
	v_add_f32_e32 v46, v37, v28
	v_fma_f32 v28, v62, v31, -v45
	v_fma_f32 v37, v48, v24, -v29
	v_mul_f32_e32 v32, v62, v32
	v_fmac_f32_e32 v47, v49, v24
	v_add_f32_e32 v44, v38, v44
	v_add_f32_e32 v41, v41, v28
	;; [unrolled: 1-line block ×4, first 2 shown]
	v_fmac_f32_e32 v32, v63, v31
	ds_load_2addr_b64 v[28:31], v22 offset0:160 offset1:176
	v_mul_f32_e32 v38, v49, v27
	v_add_f32_e32 v43, v43, v47
	v_add_f32_e32 v32, v39, v32
	s_delay_alu instid0(VALU_DEP_3)
	v_fma_f32 v48, v48, v26, -v38
	ds_load_b128 v[37:40], v23 offset:1072
	s_wait_dscnt 0x2
	v_mul_f32_e32 v57, v34, v25
	v_dual_mul_f32 v25, v33, v25 :: v_dual_add_f32 v42, v42, v48
	v_fmac_f32_e32 v56, v49, v26
	v_mul_f32_e32 v48, v34, v27
	s_delay_alu instid0(VALU_DEP_4) | instskip(NEXT) | instid1(VALU_DEP_4)
	v_fma_f32 v47, v33, v24, -v57
	v_fmac_f32_e32 v25, v34, v24
	s_delay_alu instid0(VALU_DEP_4) | instskip(SKIP_1) | instid1(VALU_DEP_3)
	v_dual_mul_f32 v49, v33, v27 :: v_dual_add_f32 v46, v46, v56
	s_wait_dscnt 0x1
	v_dual_add_f32 v44, v44, v47 :: v_dual_mul_f32 v27, v51, v29
	v_fma_f32 v24, v33, v26, -v48
	v_add_f32_e32 v33, v45, v25
	v_fmac_f32_e32 v49, v34, v26
	v_mul_f32_e32 v34, v50, v29
	v_fma_f32 v45, v50, v28, -v27
	v_add_f32_e32 v41, v41, v24
	ds_load_2addr_b64 v[24:27], v22 offset0:192 offset1:208
	v_fmac_f32_e32 v34, v51, v28
	v_dual_mul_f32 v47, v51, v31 :: v_dual_add_f32 v48, v32, v49
	v_dual_add_f32 v3, v3, v45 :: v_dual_mul_f32 v32, v50, v31
	s_delay_alu instid0(VALU_DEP_3) | instskip(NEXT) | instid1(VALU_DEP_3)
	v_dual_add_f32 v43, v43, v34 :: v_dual_mul_f32 v34, v36, v29
	v_fma_f32 v45, v50, v30, -v47
	s_delay_alu instid0(VALU_DEP_3) | instskip(NEXT) | instid1(VALU_DEP_3)
	v_fmac_f32_e32 v32, v51, v30
	v_fma_f32 v34, v35, v28, -v34
	s_delay_alu instid0(VALU_DEP_3) | instskip(SKIP_1) | instid1(VALU_DEP_3)
	v_dual_add_f32 v42, v42, v45 :: v_dual_mul_f32 v45, v36, v31
	v_mul_f32_e32 v29, v35, v29
	v_dual_mul_f32 v31, v35, v31 :: v_dual_add_f32 v44, v44, v34
	s_delay_alu instid0(VALU_DEP_2) | instskip(SKIP_2) | instid1(VALU_DEP_4)
	v_fmac_f32_e32 v29, v36, v28
	v_add_f32_e32 v28, v46, v32
	v_fma_f32 v32, v35, v30, -v45
	v_fmac_f32_e32 v31, v36, v30
	s_wait_dscnt 0x0
	v_mul_f32_e32 v36, v52, v25
	v_dual_add_f32 v29, v33, v29 :: v_dual_mul_f32 v46, v52, v27
	v_add_f32_e32 v30, v41, v32
	ds_load_2addr_b64 v[32:35], v22 offset0:224 offset1:240
	v_dual_add_f32 v31, v48, v31 :: v_dual_fmac_f32 v36, v53, v24
	v_mul_f32_e32 v45, v53, v25
	v_fmac_f32_e32 v46, v53, v26
	s_wait_loadcnt_dscnt 0x0
	s_barrier_signal -1
	v_add_f32_e32 v36, v43, v36
	v_fma_f32 v41, v52, v24, -v45
	v_mul_f32_e32 v45, v53, v27
	v_mul_f32_e32 v43, v38, v27
	;; [unrolled: 1-line block ×3, first 2 shown]
	s_barrier_wait -1
	v_add_f32_e32 v3, v3, v41
	v_fma_f32 v45, v52, v26, -v45
	v_mul_f32_e32 v41, v38, v25
	v_fmac_f32_e32 v27, v38, v26
	global_inv scope:SCOPE_SE
	v_dual_add_f32 v42, v42, v45 :: v_dual_add_f32 v45, v28, v46
	v_fma_f32 v28, v37, v26, -v43
	v_mul_f32_e32 v25, v37, v25
	s_delay_alu instid0(VALU_DEP_1) | instskip(NEXT) | instid1(VALU_DEP_3)
	v_fmac_f32_e32 v25, v38, v24
	v_add_f32_e32 v38, v30, v28
	v_mul_f32_e32 v28, v55, v35
	v_fma_f32 v41, v37, v24, -v41
	v_mul_f32_e32 v37, v55, v33
	s_delay_alu instid0(VALU_DEP_2) | instskip(NEXT) | instid1(VALU_DEP_2)
	v_add_f32_e32 v24, v44, v41
	v_fma_f32 v26, v54, v32, -v37
	v_add_f32_e32 v37, v31, v27
	v_mul_f32_e32 v27, v39, v33
	s_delay_alu instid0(VALU_DEP_3) | instskip(SKIP_4) | instid1(VALU_DEP_4)
	v_add_f32_e32 v30, v3, v26
	v_fma_f32 v3, v54, v34, -v28
	v_mul_f32_e32 v26, v40, v33
	v_add_f32_e32 v25, v29, v25
	v_mul_f32_e32 v29, v54, v35
	v_dual_fmac_f32 v27, v40, v32 :: v_dual_add_f32 v28, v42, v3
	s_delay_alu instid0(VALU_DEP_4) | instskip(SKIP_3) | instid1(VALU_DEP_4)
	v_fma_f32 v3, v39, v32, -v26
	v_mul_f32_e32 v41, v54, v33
	v_mul_f32_e32 v33, v40, v35
	;; [unrolled: 1-line block ×3, first 2 shown]
	v_dual_fmac_f32 v29, v55, v34 :: v_dual_add_f32 v26, v24, v3
	s_delay_alu instid0(VALU_DEP_4) | instskip(NEXT) | instid1(VALU_DEP_4)
	v_fmac_f32_e32 v41, v55, v32
	v_fma_f32 v32, v39, v34, -v33
	s_delay_alu instid0(VALU_DEP_4) | instskip(NEXT) | instid1(VALU_DEP_4)
	v_fmac_f32_e32 v35, v40, v34
	v_add_f32_e32 v29, v45, v29
	v_add_f32_e32 v27, v25, v27
	;; [unrolled: 1-line block ×3, first 2 shown]
	s_delay_alu instid0(VALU_DEP_4)
	v_dual_add_f32 v25, v38, v32 :: v_dual_add_f32 v24, v37, v35
	s_cbranch_scc0 .LBB100_19
.LBB100_11:                             ;   Parent Loop BB100_8 Depth=1
                                        ; =>  This Inner Loop Header: Depth=2
	s_wait_alu 0xfffe
	v_add_nc_u32_e32 v3, s0, v19
	s_delay_alu instid0(VALU_DEP_1) | instskip(SKIP_3) | instid1(SALU_CYCLE_1)
	v_cmp_le_i32_e32 vcc_lo, s5, v3
	s_or_b32 s1, s26, vcc_lo
	s_wait_alu 0xfffe
	s_and_saveexec_b32 s28, s1
	s_xor_b32 s1, exec_lo, s28
; %bb.12:                               ;   in Loop: Header=BB100_11 Depth=2
	v_mov_b32_e32 v3, v2
	ds_store_b64 v20, v[2:3]
; %bb.13:                               ;   in Loop: Header=BB100_11 Depth=2
	s_wait_alu 0xfffe
	s_and_not1_saveexec_b32 s1, s1
	s_cbranch_execz .LBB100_15
; %bb.14:                               ;   in Loop: Header=BB100_11 Depth=2
	global_load_b64 v[32:33], v[14:15], off
	s_wait_loadcnt 0x0
	ds_store_b64 v20, v[32:33]
.LBB100_15:                             ;   in Loop: Header=BB100_11 Depth=2
	s_wait_alu 0xfffe
	s_or_b32 exec_lo, exec_lo, s1
	v_add_nc_u32_e32 v3, s0, v18
	s_delay_alu instid0(VALU_DEP_1) | instskip(SKIP_3) | instid1(SALU_CYCLE_1)
	v_cmp_le_i32_e32 vcc_lo, s5, v3
	s_or_b32 s1, vcc_lo, s27
	s_wait_alu 0xfffe
	s_and_saveexec_b32 s28, s1
	s_xor_b32 s1, exec_lo, s28
; %bb.16:                               ;   in Loop: Header=BB100_11 Depth=2
	v_mov_b32_e32 v3, v2
	ds_store_b64 v21, v[2:3]
; %bb.17:                               ;   in Loop: Header=BB100_11 Depth=2
	s_wait_alu 0xfffe
	s_and_not1_saveexec_b32 s1, s1
	s_cbranch_execz .LBB100_10
; %bb.18:                               ;   in Loop: Header=BB100_11 Depth=2
	global_load_b64 v[32:33], v[16:17], off
	s_wait_loadcnt 0x0
	ds_store_b64 v21, v[32:33]
	s_branch .LBB100_10
.LBB100_19:                             ;   in Loop: Header=BB100_8 Depth=1
	s_mul_u64 s[0:1], s[24:25], s[22:23]
	s_wait_alu 0xfffe
	s_lshl_b64 s[0:1], s[0:1], 3
	s_wait_alu 0xfffe
	s_add_nc_u64 s[0:1], s[12:13], s[0:1]
	s_wait_alu 0xfffe
	v_add_co_u32 v3, vcc_lo, s0, v6
	s_wait_alu 0xfffd
	v_add_co_ci_u32_e64 v16, null, s1, v7, vcc_lo
	s_and_saveexec_b32 s28, s30
	s_cbranch_execz .LBB100_24
; %bb.20:                               ;   in Loop: Header=BB100_8 Depth=1
	v_mul_f32_e32 v15, s6, v31
	v_mul_f32_e32 v14, s7, v31
	s_and_b32 vcc_lo, exec_lo, s17
	s_mov_b32 s29, -1
	s_delay_alu instid0(VALU_DEP_2) | instskip(NEXT) | instid1(VALU_DEP_2)
	v_fmac_f32_e32 v15, s7, v30
	v_fma_f32 v14, v30, s6, -v14
	s_wait_alu 0xfffe
	s_cbranch_vccz .LBB100_22
; %bb.21:                               ;   in Loop: Header=BB100_8 Depth=1
	v_add_co_u32 v30, vcc_lo, v3, v10
	s_wait_alu 0xfffd
	v_add_co_ci_u32_e64 v31, null, v16, v11, vcc_lo
	s_mov_b32 s29, 0
	global_load_b64 v[32:33], v[30:31], off
	s_wait_loadcnt 0x0
	v_mul_f32_e32 v17, s21, v33
	v_mul_f32_e32 v33, s20, v33
	s_delay_alu instid0(VALU_DEP_2) | instskip(NEXT) | instid1(VALU_DEP_1)
	v_fma_f32 v17, v32, s20, -v17
	v_dual_fmac_f32 v33, s21, v32 :: v_dual_add_f32 v32, v14, v17
	s_delay_alu instid0(VALU_DEP_1)
	v_add_f32_e32 v33, v15, v33
	global_store_b64 v[30:31], v[32:33], off
.LBB100_22:                             ;   in Loop: Header=BB100_8 Depth=1
	s_and_not1_b32 vcc_lo, exec_lo, s29
	s_wait_alu 0xfffe
	s_cbranch_vccnz .LBB100_24
; %bb.23:                               ;   in Loop: Header=BB100_8 Depth=1
	v_add_co_u32 v30, vcc_lo, v3, v10
	s_wait_alu 0xfffd
	v_add_co_ci_u32_e64 v31, null, v16, v11, vcc_lo
	global_store_b64 v[30:31], v[14:15], off
.LBB100_24:                             ;   in Loop: Header=BB100_8 Depth=1
	s_or_b32 exec_lo, exec_lo, s28
	s_and_saveexec_b32 s28, s18
	s_cbranch_execz .LBB100_29
; %bb.25:                               ;   in Loop: Header=BB100_8 Depth=1
	v_mul_f32_e32 v15, s6, v29
	v_mul_f32_e32 v14, s7, v29
	s_and_not1_b32 vcc_lo, exec_lo, s17
	s_mov_b32 s29, -1
	s_delay_alu instid0(VALU_DEP_2) | instskip(NEXT) | instid1(VALU_DEP_2)
	v_fmac_f32_e32 v15, s7, v28
	v_fma_f32 v14, v28, s6, -v14
	s_wait_alu 0xfffe
	s_cbranch_vccnz .LBB100_27
; %bb.26:                               ;   in Loop: Header=BB100_8 Depth=1
	v_add_co_u32 v28, vcc_lo, v3, v12
	s_wait_alu 0xfffd
	v_add_co_ci_u32_e64 v29, null, v16, v13, vcc_lo
	s_mov_b32 s29, 0
	global_load_b64 v[30:31], v[28:29], off
	s_wait_loadcnt 0x0
	v_mul_f32_e32 v17, s21, v31
	s_delay_alu instid0(VALU_DEP_1) | instskip(SKIP_1) | instid1(VALU_DEP_1)
	v_fma_f32 v17, v30, s20, -v17
	v_mul_f32_e32 v31, s20, v31
	v_dual_fmac_f32 v31, s21, v30 :: v_dual_add_f32 v30, v14, v17
	s_delay_alu instid0(VALU_DEP_1)
	v_add_f32_e32 v31, v15, v31
	global_store_b64 v[28:29], v[30:31], off
.LBB100_27:                             ;   in Loop: Header=BB100_8 Depth=1
	s_and_not1_b32 vcc_lo, exec_lo, s29
	s_wait_alu 0xfffe
	s_cbranch_vccnz .LBB100_29
; %bb.28:                               ;   in Loop: Header=BB100_8 Depth=1
	v_add_co_u32 v28, vcc_lo, v3, v12
	s_wait_alu 0xfffd
	v_add_co_ci_u32_e64 v29, null, v16, v13, vcc_lo
	global_store_b64 v[28:29], v[14:15], off
.LBB100_29:                             ;   in Loop: Header=BB100_8 Depth=1
	s_or_b32 exec_lo, exec_lo, s28
	v_add_co_u32 v3, vcc_lo, s0, v8
	s_wait_alu 0xfffd
	v_add_co_ci_u32_e64 v16, null, s1, v9, vcc_lo
	s_and_saveexec_b32 s0, s31
	s_cbranch_execz .LBB100_34
; %bb.30:                               ;   in Loop: Header=BB100_8 Depth=1
	v_mul_f32_e32 v15, s6, v27
	v_mul_f32_e32 v14, s7, v27
	s_and_not1_b32 vcc_lo, exec_lo, s17
	s_mov_b32 s1, -1
	s_delay_alu instid0(VALU_DEP_2) | instskip(NEXT) | instid1(VALU_DEP_2)
	v_fmac_f32_e32 v15, s7, v26
	v_fma_f32 v14, v26, s6, -v14
	s_wait_alu 0xfffe
	s_cbranch_vccnz .LBB100_32
; %bb.31:                               ;   in Loop: Header=BB100_8 Depth=1
	v_add_co_u32 v26, vcc_lo, v3, v10
	s_wait_alu 0xfffd
	v_add_co_ci_u32_e64 v27, null, v16, v11, vcc_lo
	s_mov_b32 s1, 0
	global_load_b64 v[28:29], v[26:27], off
	s_wait_loadcnt 0x0
	v_mul_f32_e32 v17, s21, v29
	v_mul_f32_e32 v29, s20, v29
	s_delay_alu instid0(VALU_DEP_2) | instskip(NEXT) | instid1(VALU_DEP_1)
	v_fma_f32 v17, v28, s20, -v17
	v_dual_fmac_f32 v29, s21, v28 :: v_dual_add_f32 v28, v14, v17
	s_delay_alu instid0(VALU_DEP_1)
	v_add_f32_e32 v29, v15, v29
	global_store_b64 v[26:27], v[28:29], off
.LBB100_32:                             ;   in Loop: Header=BB100_8 Depth=1
	s_wait_alu 0xfffe
	s_and_not1_b32 vcc_lo, exec_lo, s1
	s_wait_alu 0xfffe
	s_cbranch_vccnz .LBB100_34
; %bb.33:                               ;   in Loop: Header=BB100_8 Depth=1
	v_add_co_u32 v26, vcc_lo, v3, v10
	s_wait_alu 0xfffd
	v_add_co_ci_u32_e64 v27, null, v16, v11, vcc_lo
	global_store_b64 v[26:27], v[14:15], off
.LBB100_34:                             ;   in Loop: Header=BB100_8 Depth=1
	s_wait_alu 0xfffe
	s_or_b32 exec_lo, exec_lo, s0
	s_and_saveexec_b32 s0, s4
	s_cbranch_execz .LBB100_7
; %bb.35:                               ;   in Loop: Header=BB100_8 Depth=1
	v_mul_f32_e32 v15, s6, v24
	v_mul_f32_e32 v14, s7, v24
	s_and_not1_b32 vcc_lo, exec_lo, s17
	s_mov_b32 s1, -1
	s_delay_alu instid0(VALU_DEP_2) | instskip(NEXT) | instid1(VALU_DEP_2)
	v_fmac_f32_e32 v15, s7, v25
	v_fma_f32 v14, v25, s6, -v14
	s_wait_alu 0xfffe
	s_cbranch_vccnz .LBB100_37
; %bb.36:                               ;   in Loop: Header=BB100_8 Depth=1
	v_add_co_u32 v24, vcc_lo, v3, v12
	s_wait_alu 0xfffd
	v_add_co_ci_u32_e64 v25, null, v16, v13, vcc_lo
	s_mov_b32 s1, 0
	global_load_b64 v[26:27], v[24:25], off
	s_wait_loadcnt 0x0
	v_mul_f32_e32 v17, s21, v27
	s_delay_alu instid0(VALU_DEP_1) | instskip(SKIP_1) | instid1(VALU_DEP_1)
	v_fma_f32 v17, v26, s20, -v17
	v_mul_f32_e32 v27, s20, v27
	v_dual_fmac_f32 v27, s21, v26 :: v_dual_add_f32 v26, v14, v17
	s_delay_alu instid0(VALU_DEP_1)
	v_add_f32_e32 v27, v15, v27
	global_store_b64 v[24:25], v[26:27], off
.LBB100_37:                             ;   in Loop: Header=BB100_8 Depth=1
	s_wait_alu 0xfffe
	s_and_not1_b32 vcc_lo, exec_lo, s1
	s_wait_alu 0xfffe
	s_cbranch_vccnz .LBB100_7
; %bb.38:                               ;   in Loop: Header=BB100_8 Depth=1
	v_add_co_u32 v24, vcc_lo, v3, v12
	s_wait_alu 0xfffd
	v_add_co_ci_u32_e64 v25, null, v16, v13, vcc_lo
	global_store_b64 v[24:25], v[14:15], off
	s_branch .LBB100_7
.LBB100_39:
	s_endpgm
	.section	.rodata,"a",@progbits
	.p2align	6, 0x0
	.amdhsa_kernel _ZL29rocblas_internal_gemmt_kernelIiLi16ELi32ELi8ELc78ELc84ELc76ELb0ELb0E19rocblas_complex_numIfES1_PKS1_PS1_EviT_T9_T10_S5_lS7_S5_lS6_T11_S5_li
		.amdhsa_group_segment_fixed_size 4096
		.amdhsa_private_segment_fixed_size 0
		.amdhsa_kernarg_size 100
		.amdhsa_user_sgpr_count 2
		.amdhsa_user_sgpr_dispatch_ptr 0
		.amdhsa_user_sgpr_queue_ptr 0
		.amdhsa_user_sgpr_kernarg_segment_ptr 1
		.amdhsa_user_sgpr_dispatch_id 0
		.amdhsa_user_sgpr_private_segment_size 0
		.amdhsa_wavefront_size32 1
		.amdhsa_uses_dynamic_stack 0
		.amdhsa_enable_private_segment 0
		.amdhsa_system_sgpr_workgroup_id_x 1
		.amdhsa_system_sgpr_workgroup_id_y 1
		.amdhsa_system_sgpr_workgroup_id_z 1
		.amdhsa_system_sgpr_workgroup_info 0
		.amdhsa_system_vgpr_workitem_id 1
		.amdhsa_next_free_vgpr 69
		.amdhsa_next_free_sgpr 38
		.amdhsa_reserve_vcc 1
		.amdhsa_float_round_mode_32 0
		.amdhsa_float_round_mode_16_64 0
		.amdhsa_float_denorm_mode_32 3
		.amdhsa_float_denorm_mode_16_64 3
		.amdhsa_fp16_overflow 0
		.amdhsa_workgroup_processor_mode 1
		.amdhsa_memory_ordered 1
		.amdhsa_forward_progress 1
		.amdhsa_inst_pref_size 25
		.amdhsa_round_robin_scheduling 0
		.amdhsa_exception_fp_ieee_invalid_op 0
		.amdhsa_exception_fp_denorm_src 0
		.amdhsa_exception_fp_ieee_div_zero 0
		.amdhsa_exception_fp_ieee_overflow 0
		.amdhsa_exception_fp_ieee_underflow 0
		.amdhsa_exception_fp_ieee_inexact 0
		.amdhsa_exception_int_div_zero 0
	.end_amdhsa_kernel
	.section	.text._ZL29rocblas_internal_gemmt_kernelIiLi16ELi32ELi8ELc78ELc84ELc76ELb0ELb0E19rocblas_complex_numIfES1_PKS1_PS1_EviT_T9_T10_S5_lS7_S5_lS6_T11_S5_li,"axG",@progbits,_ZL29rocblas_internal_gemmt_kernelIiLi16ELi32ELi8ELc78ELc84ELc76ELb0ELb0E19rocblas_complex_numIfES1_PKS1_PS1_EviT_T9_T10_S5_lS7_S5_lS6_T11_S5_li,comdat
.Lfunc_end100:
	.size	_ZL29rocblas_internal_gemmt_kernelIiLi16ELi32ELi8ELc78ELc84ELc76ELb0ELb0E19rocblas_complex_numIfES1_PKS1_PS1_EviT_T9_T10_S5_lS7_S5_lS6_T11_S5_li, .Lfunc_end100-_ZL29rocblas_internal_gemmt_kernelIiLi16ELi32ELi8ELc78ELc84ELc76ELb0ELb0E19rocblas_complex_numIfES1_PKS1_PS1_EviT_T9_T10_S5_lS7_S5_lS6_T11_S5_li
                                        ; -- End function
	.set _ZL29rocblas_internal_gemmt_kernelIiLi16ELi32ELi8ELc78ELc84ELc76ELb0ELb0E19rocblas_complex_numIfES1_PKS1_PS1_EviT_T9_T10_S5_lS7_S5_lS6_T11_S5_li.num_vgpr, 69
	.set _ZL29rocblas_internal_gemmt_kernelIiLi16ELi32ELi8ELc78ELc84ELc76ELb0ELb0E19rocblas_complex_numIfES1_PKS1_PS1_EviT_T9_T10_S5_lS7_S5_lS6_T11_S5_li.num_agpr, 0
	.set _ZL29rocblas_internal_gemmt_kernelIiLi16ELi32ELi8ELc78ELc84ELc76ELb0ELb0E19rocblas_complex_numIfES1_PKS1_PS1_EviT_T9_T10_S5_lS7_S5_lS6_T11_S5_li.numbered_sgpr, 38
	.set _ZL29rocblas_internal_gemmt_kernelIiLi16ELi32ELi8ELc78ELc84ELc76ELb0ELb0E19rocblas_complex_numIfES1_PKS1_PS1_EviT_T9_T10_S5_lS7_S5_lS6_T11_S5_li.num_named_barrier, 0
	.set _ZL29rocblas_internal_gemmt_kernelIiLi16ELi32ELi8ELc78ELc84ELc76ELb0ELb0E19rocblas_complex_numIfES1_PKS1_PS1_EviT_T9_T10_S5_lS7_S5_lS6_T11_S5_li.private_seg_size, 0
	.set _ZL29rocblas_internal_gemmt_kernelIiLi16ELi32ELi8ELc78ELc84ELc76ELb0ELb0E19rocblas_complex_numIfES1_PKS1_PS1_EviT_T9_T10_S5_lS7_S5_lS6_T11_S5_li.uses_vcc, 1
	.set _ZL29rocblas_internal_gemmt_kernelIiLi16ELi32ELi8ELc78ELc84ELc76ELb0ELb0E19rocblas_complex_numIfES1_PKS1_PS1_EviT_T9_T10_S5_lS7_S5_lS6_T11_S5_li.uses_flat_scratch, 0
	.set _ZL29rocblas_internal_gemmt_kernelIiLi16ELi32ELi8ELc78ELc84ELc76ELb0ELb0E19rocblas_complex_numIfES1_PKS1_PS1_EviT_T9_T10_S5_lS7_S5_lS6_T11_S5_li.has_dyn_sized_stack, 0
	.set _ZL29rocblas_internal_gemmt_kernelIiLi16ELi32ELi8ELc78ELc84ELc76ELb0ELb0E19rocblas_complex_numIfES1_PKS1_PS1_EviT_T9_T10_S5_lS7_S5_lS6_T11_S5_li.has_recursion, 0
	.set _ZL29rocblas_internal_gemmt_kernelIiLi16ELi32ELi8ELc78ELc84ELc76ELb0ELb0E19rocblas_complex_numIfES1_PKS1_PS1_EviT_T9_T10_S5_lS7_S5_lS6_T11_S5_li.has_indirect_call, 0
	.section	.AMDGPU.csdata,"",@progbits
; Kernel info:
; codeLenInByte = 3108
; TotalNumSgprs: 40
; NumVgprs: 69
; ScratchSize: 0
; MemoryBound: 1
; FloatMode: 240
; IeeeMode: 1
; LDSByteSize: 4096 bytes/workgroup (compile time only)
; SGPRBlocks: 0
; VGPRBlocks: 8
; NumSGPRsForWavesPerEU: 40
; NumVGPRsForWavesPerEU: 69
; Occupancy: 16
; WaveLimiterHint : 0
; COMPUTE_PGM_RSRC2:SCRATCH_EN: 0
; COMPUTE_PGM_RSRC2:USER_SGPR: 2
; COMPUTE_PGM_RSRC2:TRAP_HANDLER: 0
; COMPUTE_PGM_RSRC2:TGID_X_EN: 1
; COMPUTE_PGM_RSRC2:TGID_Y_EN: 1
; COMPUTE_PGM_RSRC2:TGID_Z_EN: 1
; COMPUTE_PGM_RSRC2:TIDIG_COMP_CNT: 1
	.section	.text._ZL29rocblas_internal_gemmt_kernelIiLi16ELi32ELi8ELc78ELc67ELc76ELb0ELb1E19rocblas_complex_numIfES1_PKS1_PS1_EviT_T9_T10_S5_lS7_S5_lS6_T11_S5_li,"axG",@progbits,_ZL29rocblas_internal_gemmt_kernelIiLi16ELi32ELi8ELc78ELc67ELc76ELb0ELb1E19rocblas_complex_numIfES1_PKS1_PS1_EviT_T9_T10_S5_lS7_S5_lS6_T11_S5_li,comdat
	.globl	_ZL29rocblas_internal_gemmt_kernelIiLi16ELi32ELi8ELc78ELc67ELc76ELb0ELb1E19rocblas_complex_numIfES1_PKS1_PS1_EviT_T9_T10_S5_lS7_S5_lS6_T11_S5_li ; -- Begin function _ZL29rocblas_internal_gemmt_kernelIiLi16ELi32ELi8ELc78ELc67ELc76ELb0ELb1E19rocblas_complex_numIfES1_PKS1_PS1_EviT_T9_T10_S5_lS7_S5_lS6_T11_S5_li
	.p2align	8
	.type	_ZL29rocblas_internal_gemmt_kernelIiLi16ELi32ELi8ELc78ELc67ELc76ELb0ELb1E19rocblas_complex_numIfES1_PKS1_PS1_EviT_T9_T10_S5_lS7_S5_lS6_T11_S5_li,@function
_ZL29rocblas_internal_gemmt_kernelIiLi16ELi32ELi8ELc78ELc67ELc76ELb0ELb1E19rocblas_complex_numIfES1_PKS1_PS1_EviT_T9_T10_S5_lS7_S5_lS6_T11_S5_li: ; @_ZL29rocblas_internal_gemmt_kernelIiLi16ELi32ELi8ELc78ELc67ELc76ELb0ELb1E19rocblas_complex_numIfES1_PKS1_PS1_EviT_T9_T10_S5_lS7_S5_lS6_T11_S5_li
; %bb.0:
	s_clause 0x1
	s_load_b64 s[20:21], s[0:1], 0x40
	s_load_b128 s[4:7], s[0:1], 0x0
	s_wait_kmcnt 0x0
	s_cmp_eq_f32 s20, 1.0
	s_cselect_b32 s2, -1, 0
	s_and_b32 s3, s21, 0x7fffffff
	s_delay_alu instid0(SALU_CYCLE_1) | instskip(SKIP_1) | instid1(SALU_CYCLE_1)
	s_cmp_eq_u32 s3, 0
	s_cselect_b32 s3, -1, 0
	s_and_b32 s8, s2, s3
	s_mov_b32 s2, 0
	s_and_not1_b32 vcc_lo, exec_lo, s8
	s_mov_b32 s8, -1
	s_cbranch_vccnz .LBB101_4
; %bb.1:
	s_cmp_lg_u32 s5, 0
	s_cbranch_scc0 .LBB101_3
; %bb.2:
	s_cmp_neq_f32 s6, 0
	s_cselect_b32 s2, -1, 0
	s_cmp_neq_f32 s7, 0
	s_cselect_b32 s8, -1, 0
	s_delay_alu instid0(SALU_CYCLE_1)
	s_or_b32 s2, s2, s8
.LBB101_3:
	s_delay_alu instid0(SALU_CYCLE_1)
	s_mov_b32 s8, s2
.LBB101_4:
	s_delay_alu instid0(SALU_CYCLE_1)
	s_and_b32 vcc_lo, exec_lo, s8
	s_cbranch_vccz .LBB101_39
; %bb.5:
	s_load_b32 s19, s[0:1], 0x60
	s_lshr_b32 s22, ttmp7, 16
	s_wait_kmcnt 0x0
	s_cmp_ge_u32 s22, s19
	s_cbranch_scc1 .LBB101_39
; %bb.6:
	s_clause 0x1
	s_load_b96 s[16:18], s[0:1], 0x10
	s_load_b32 s26, s[0:1], 0x30
	v_and_b32_e32 v1, 0x3ff, v0
	v_bfe_u32 v2, v0, 10, 10
	v_and_b32_e32 v18, 7, v0
	s_clause 0x3
	s_load_b128 s[8:11], s[0:1], 0x20
	s_load_b64 s[28:29], s[0:1], 0x38
	s_load_b96 s[12:14], s[0:1], 0x48
	s_load_b64 s[24:25], s[0:1], 0x58
	s_lshl_b32 s0, ttmp7, 5
	s_lshl_b32 s1, ttmp9, 5
	v_lshl_add_u32 v0, v2, 4, v1
	s_and_b32 s2, s0, 0x1fffe0
	v_lshlrev_b32_e32 v3, 3, v18
	v_add_nc_u32_e32 v10, s1, v1
	v_lshl_add_u32 v23, v2, 6, 0x800
	v_and_b32_e32 v4, 31, v0
	v_lshrrev_b32_e32 v19, 5, v0
	v_lshrrev_b32_e32 v5, 3, v0
	v_add_nc_u32_e32 v12, 16, v10
	v_lshlrev_b32_e32 v22, 3, v1
	v_or_b32_e32 v0, s1, v4
	v_lshlrev_b32_e32 v4, 3, v4
	s_wait_kmcnt 0x0
	s_ashr_i32 s35, s18, 31
	s_ashr_i32 s27, s26, 31
	s_cmp_neq_f32 s6, 0
	v_lshl_or_b32 v3, v5, 6, v3
	v_lshl_or_b32 v20, v19, 8, v4
	v_add_nc_u32_e32 v4, s2, v2
	s_cselect_b32 s0, -1, 0
	s_cmp_neq_f32 s7, 0
	v_add_nc_u32_e32 v14, s2, v5
	v_cmp_gt_i32_e64 s2, s4, v10
	v_cmp_le_i32_e64 s1, v4, v10
	s_cselect_b32 s15, -1, 0
	v_add_nc_u32_e32 v21, 0x800, v3
	s_wait_alu 0xfffe
	s_or_b32 s15, s0, s15
	s_cmp_gt_i32 s5, 0
	v_mad_co_i64_i32 v[2:3], null, v19, s18, 0
	s_cselect_b32 s33, -1, 0
	s_cmp_neq_f32 s20, 0
	v_ashrrev_i32_e32 v1, 31, v0
	v_add_nc_u32_e32 v8, 16, v4
	v_cmp_gt_i32_e32 vcc_lo, s4, v0
	s_cselect_b32 s36, -1, 0
	s_xor_b32 s37, s3, -1
	s_and_b32 s30, s1, s2
	v_cmp_le_i32_e64 s1, v4, v12
	v_cmp_gt_i32_e64 s3, s4, v12
	v_mad_co_i64_i32 v[6:7], null, v4, s14, 0
	v_lshlrev_b64_e32 v[2:3], 3, v[2:3]
	v_lshlrev_b64_e32 v[0:1], 3, v[0:1]
	v_mad_co_i64_i32 v[4:5], null, s26, v18, 0
	s_mov_b32 s34, s18
	s_and_b32 s18, s1, s3
	v_cmp_le_i32_e64 s1, v8, v10
	v_cmp_gt_i32_e64 s0, s4, v14
	v_cmp_le_i32_e64 s4, v8, v12
	v_mad_co_i64_i32 v[8:9], null, v8, s14, 0
	s_and_b32 s31, s1, s2
	v_add_co_u32 v0, s1, v2, v0
	s_wait_alu 0xf1ff
	v_add_co_ci_u32_e64 v1, null, v3, v1, s1
	v_lshlrev_b64_e32 v[2:3], 3, v[4:5]
	v_lshlrev_b32_e32 v4, 3, v14
	v_add_co_u32 v0, s1, s16, v0
	s_wait_alu 0xf1ff
	v_add_co_ci_u32_e64 v1, null, s17, v1, s1
	s_delay_alu instid0(VALU_DEP_3) | instskip(SKIP_3) | instid1(VALU_DEP_3)
	v_add_co_u32 v2, s1, v2, v4
	s_wait_alu 0xf1ff
	v_add_co_ci_u32_e64 v3, null, 0, v3, s1
	v_ashrrev_i32_e32 v11, 31, v10
	v_add_co_u32 v4, s1, s10, v2
	v_ashrrev_i32_e32 v13, 31, v12
	s_wait_alu 0xf1ff
	v_add_co_ci_u32_e64 v3, null, s11, v3, s1
	s_delay_alu instid0(VALU_DEP_3)
	v_add_co_u32 v4, s1, v4, 4
	v_lshlrev_b64_e32 v[6:7], 3, v[6:7]
	v_lshlrev_b64_e32 v[8:9], 3, v[8:9]
	;; [unrolled: 1-line block ×4, first 2 shown]
	v_mov_b32_e32 v2, 0
	s_wait_alu 0xf1ff
	v_add_co_ci_u32_e64 v5, null, 0, v3, s1
	s_mov_b32 s23, 0
	s_and_b32 s4, s4, s3
	s_lshl_b64 s[2:3], s[8:9], 3
	s_lshl_b64 s[8:9], s[34:35], 6
	;; [unrolled: 1-line block ×3, first 2 shown]
	s_and_b32 s16, s15, s33
	s_or_b32 s17, s36, s37
	s_lshl_b64 s[14:15], s[26:27], 6
	s_xor_b32 s26, vcc_lo, -1
	s_xor_b32 s27, s0, -1
	s_branch .LBB101_8
.LBB101_7:                              ;   in Loop: Header=BB101_8 Depth=1
	s_wait_alu 0xfffe
	s_or_b32 exec_lo, exec_lo, s0
	s_add_co_i32 s22, s22, 0x10000
	s_wait_alu 0xfffe
	s_cmp_lt_u32 s22, s19
	s_cbranch_scc0 .LBB101_39
.LBB101_8:                              ; =>This Loop Header: Depth=1
                                        ;     Child Loop BB101_11 Depth 2
	v_dual_mov_b32 v30, v2 :: v_dual_mov_b32 v31, v2
	v_dual_mov_b32 v28, v2 :: v_dual_mov_b32 v29, v2
	;; [unrolled: 1-line block ×4, first 2 shown]
	s_wait_alu 0xfffe
	s_and_not1_b32 vcc_lo, exec_lo, s16
	s_wait_alu 0xfffe
	s_cbranch_vccnz .LBB101_19
; %bb.9:                                ;   in Loop: Header=BB101_8 Depth=1
	v_mad_co_u64_u32 v[14:15], null, s2, s22, v[0:1]
	v_mad_co_u64_u32 v[16:17], null, s10, s22, v[4:5]
	v_dual_mov_b32 v25, 0 :: v_dual_mov_b32 v28, 0
	v_mov_b32_e32 v27, 0
	v_mov_b32_e32 v29, 0
	v_dual_mov_b32 v3, v15 :: v_dual_mov_b32 v24, 0
	v_dual_mov_b32 v15, v17 :: v_dual_mov_b32 v26, 0
	s_mov_b32 s0, 0
	s_delay_alu instid0(VALU_DEP_2) | instskip(NEXT) | instid1(VALU_DEP_2)
	v_mad_co_u64_u32 v[30:31], null, s3, s22, v[3:4]
	v_mad_co_u64_u32 v[32:33], null, s11, s22, v[15:16]
	v_mov_b32_e32 v31, 0
	s_delay_alu instid0(VALU_DEP_3) | instskip(NEXT) | instid1(VALU_DEP_3)
	v_dual_mov_b32 v15, v30 :: v_dual_mov_b32 v30, 0
	v_mov_b32_e32 v17, v32
	s_branch .LBB101_11
.LBB101_10:                             ;   in Loop: Header=BB101_11 Depth=2
	s_or_b32 exec_lo, exec_lo, s1
	ds_store_b32 v21, v3 offset:4
	s_wait_dscnt 0x0
	s_barrier_signal -1
	s_barrier_wait -1
	global_inv scope:SCOPE_SE
	ds_load_b128 v[32:35], v23
	ds_load_2addr_b64 v[36:39], v22 offset1:16
	ds_load_b128 v[40:43], v23 offset:1024
	ds_load_b128 v[44:47], v23 offset:16
	;; [unrolled: 1-line block ×4, first 2 shown]
	ds_load_2addr_b64 v[56:59], v22 offset0:32 offset1:48
	ds_load_b128 v[60:63], v23 offset:1040
	v_add_co_u32 v14, vcc_lo, v14, s8
	s_wait_alu 0xfffd
	v_add_co_ci_u32_e64 v15, null, s9, v15, vcc_lo
	v_add_co_u32 v16, vcc_lo, v16, s14
	s_wait_alu 0xfffd
	v_add_co_ci_u32_e64 v17, null, s15, v17, vcc_lo
	s_add_co_i32 s0, s0, 8
	s_wait_alu 0xfffe
	s_cmp_lt_i32 s0, s5
	s_wait_dscnt 0x6
	v_dual_mul_f32 v3, v33, v37 :: v_dual_mul_f32 v66, v32, v39
	v_dual_mul_f32 v64, v32, v37 :: v_dual_mul_f32 v65, v33, v39
	s_wait_dscnt 0x5
	v_mul_f32_e32 v68, v41, v39
	s_delay_alu instid0(VALU_DEP_3) | instskip(SKIP_3) | instid1(VALU_DEP_4)
	v_fma_f32 v3, v32, v36, -v3
	v_dual_mul_f32 v39, v40, v39 :: v_dual_fmac_f32 v66, v33, v38
	v_fmac_f32_e32 v64, v33, v36
	v_fma_f32 v32, v32, v38, -v65
	v_add_f32_e32 v3, v30, v3
	v_mul_f32_e32 v67, v41, v37
	s_delay_alu instid0(VALU_DEP_4) | instskip(NEXT) | instid1(VALU_DEP_4)
	v_dual_mul_f32 v37, v40, v37 :: v_dual_add_f32 v30, v31, v64
	v_add_f32_e32 v31, v28, v32
	v_fma_f32 v28, v40, v38, -v68
	s_delay_alu instid0(VALU_DEP_4) | instskip(NEXT) | instid1(VALU_DEP_4)
	v_fma_f32 v33, v40, v36, -v67
	v_fmac_f32_e32 v37, v41, v36
	s_wait_dscnt 0x1
	v_dual_add_f32 v29, v29, v66 :: v_dual_mul_f32 v36, v35, v57
	v_dual_fmac_f32 v39, v41, v38 :: v_dual_mul_f32 v40, v35, v59
	v_add_f32_e32 v32, v26, v33
	v_add_f32_e32 v33, v27, v37
	v_dual_add_f32 v37, v25, v28 :: v_dual_mul_f32 v38, v34, v57
	ds_load_2addr_b64 v[25:28], v22 offset0:64 offset1:80
	v_fma_f32 v36, v34, v56, -v36
	v_add_f32_e32 v24, v24, v39
	v_dual_mul_f32 v39, v34, v59 :: v_dual_fmac_f32 v38, v35, v56
	v_fma_f32 v34, v34, v58, -v40
	s_delay_alu instid0(VALU_DEP_4) | instskip(SKIP_1) | instid1(VALU_DEP_4)
	v_add_f32_e32 v3, v3, v36
	v_mul_f32_e32 v36, v43, v57
	v_fmac_f32_e32 v39, v35, v58
	v_add_f32_e32 v38, v30, v38
	v_mul_f32_e32 v30, v42, v57
	v_add_f32_e32 v34, v31, v34
	v_fma_f32 v31, v42, v56, -v36
	v_mul_f32_e32 v35, v43, v59
	v_add_f32_e32 v36, v29, v39
	v_dual_mul_f32 v39, v42, v59 :: v_dual_fmac_f32 v30, v43, v56
	s_delay_alu instid0(VALU_DEP_4) | instskip(NEXT) | instid1(VALU_DEP_4)
	v_add_f32_e32 v40, v32, v31
	v_fma_f32 v29, v42, v58, -v35
	s_wait_dscnt 0x0
	v_mul_f32_e32 v31, v45, v26
	v_fmac_f32_e32 v39, v43, v58
	v_add_f32_e32 v33, v33, v30
	v_add_f32_e32 v37, v37, v29
	v_mul_f32_e32 v42, v45, v28
	v_fma_f32 v41, v44, v25, -v31
	ds_load_2addr_b64 v[29:32], v22 offset0:96 offset1:112
	v_add_f32_e32 v39, v24, v39
	v_mul_f32_e32 v24, v44, v28
	v_mul_f32_e32 v35, v44, v26
	v_add_f32_e32 v3, v3, v41
	v_fma_f32 v41, v44, v27, -v42
	s_delay_alu instid0(VALU_DEP_4) | instskip(NEXT) | instid1(VALU_DEP_4)
	v_fmac_f32_e32 v24, v45, v27
	v_fmac_f32_e32 v35, v45, v25
	s_delay_alu instid0(VALU_DEP_3) | instskip(NEXT) | instid1(VALU_DEP_2)
	v_dual_add_f32 v34, v34, v41 :: v_dual_mul_f32 v41, v61, v28
	v_dual_mul_f32 v28, v60, v28 :: v_dual_add_f32 v35, v38, v35
	v_mul_f32_e32 v38, v61, v26
	v_mul_f32_e32 v26, v60, v26
	v_add_f32_e32 v42, v36, v24
	v_fma_f32 v24, v60, v27, -v41
	s_delay_alu instid0(VALU_DEP_4) | instskip(SKIP_2) | instid1(VALU_DEP_3)
	v_fma_f32 v38, v60, v25, -v38
	s_wait_dscnt 0x0
	v_dual_fmac_f32 v26, v61, v25 :: v_dual_mul_f32 v41, v47, v32
	v_add_f32_e32 v37, v37, v24
	s_delay_alu instid0(VALU_DEP_3) | instskip(NEXT) | instid1(VALU_DEP_3)
	v_dual_mul_f32 v45, v63, v32 :: v_dual_add_f32 v38, v40, v38
	v_add_f32_e32 v40, v33, v26
	v_mul_f32_e32 v33, v47, v30
	v_fma_f32 v41, v46, v31, -v41
	s_delay_alu instid0(VALU_DEP_2)
	v_fma_f32 v33, v46, v29, -v33
	v_fmac_f32_e32 v28, v61, v27
	ds_load_2addr_b64 v[24:27], v22 offset0:128 offset1:144
	v_add_f32_e32 v41, v34, v41
	v_dual_add_f32 v3, v3, v33 :: v_dual_mul_f32 v36, v46, v30
	v_add_f32_e32 v39, v39, v28
	v_dual_mul_f32 v28, v46, v32 :: v_dual_mul_f32 v33, v63, v30
	v_mul_f32_e32 v30, v62, v30
	v_mul_f32_e32 v32, v62, v32
	s_delay_alu instid0(VALU_DEP_3) | instskip(NEXT) | instid1(VALU_DEP_4)
	v_fmac_f32_e32 v28, v47, v31
	v_fma_f32 v44, v62, v29, -v33
	s_delay_alu instid0(VALU_DEP_4) | instskip(SKIP_1) | instid1(VALU_DEP_4)
	v_fmac_f32_e32 v30, v63, v29
	v_fmac_f32_e32 v36, v47, v29
	v_add_f32_e32 v42, v42, v28
	v_fma_f32 v28, v62, v31, -v45
	s_wait_dscnt 0x0
	v_mul_f32_e32 v47, v48, v25
	v_dual_mul_f32 v29, v49, v25 :: v_dual_mul_f32 v56, v48, v27
	s_delay_alu instid0(VALU_DEP_2)
	v_fmac_f32_e32 v47, v49, v24
	v_add_f32_e32 v45, v40, v30
	v_add_f32_e32 v43, v35, v36
	ds_load_b128 v[33:36], v23 offset:1056
	v_fmac_f32_e32 v32, v63, v31
	v_add_f32_e32 v46, v37, v28
	v_fma_f32 v37, v48, v24, -v29
	v_add_f32_e32 v44, v38, v44
	ds_load_2addr_b64 v[28:31], v22 offset0:160 offset1:176
	v_mul_f32_e32 v38, v49, v27
	v_add_f32_e32 v32, v39, v32
	v_add_f32_e32 v3, v3, v37
	;; [unrolled: 1-line block ×3, first 2 shown]
	s_delay_alu instid0(VALU_DEP_4)
	v_fma_f32 v48, v48, v26, -v38
	ds_load_b128 v[37:40], v23 offset:1072
	v_add_f32_e32 v41, v41, v48
	s_wait_dscnt 0x2
	v_mul_f32_e32 v57, v34, v25
	v_mul_f32_e32 v25, v33, v25
	v_fmac_f32_e32 v56, v49, v26
	v_mul_f32_e32 v48, v34, v27
	v_mul_f32_e32 v49, v33, v27
	v_fma_f32 v47, v33, v24, -v57
	v_fmac_f32_e32 v25, v34, v24
	s_wait_dscnt 0x1
	v_dual_add_f32 v42, v42, v56 :: v_dual_mul_f32 v27, v51, v29
	v_fma_f32 v24, v33, v26, -v48
	v_fmac_f32_e32 v49, v34, v26
	v_mul_f32_e32 v34, v50, v29
	v_dual_add_f32 v44, v44, v47 :: v_dual_add_f32 v33, v45, v25
	v_mul_f32_e32 v47, v51, v31
	s_delay_alu instid0(VALU_DEP_3)
	v_fmac_f32_e32 v34, v51, v28
	v_dual_add_f32 v45, v46, v24 :: v_dual_add_f32 v48, v32, v49
	v_fma_f32 v46, v50, v28, -v27
	ds_load_2addr_b64 v[24:27], v22 offset0:192 offset1:208
	v_dual_mul_f32 v32, v50, v31 :: v_dual_add_f32 v43, v43, v34
	v_dual_mul_f32 v34, v36, v29 :: v_dual_add_f32 v3, v3, v46
	v_fma_f32 v46, v50, v30, -v47
	v_mul_f32_e32 v29, v35, v29
	s_delay_alu instid0(VALU_DEP_3) | instskip(NEXT) | instid1(VALU_DEP_3)
	v_fma_f32 v34, v35, v28, -v34
	v_dual_add_f32 v41, v41, v46 :: v_dual_mul_f32 v46, v36, v31
	s_delay_alu instid0(VALU_DEP_3) | instskip(NEXT) | instid1(VALU_DEP_1)
	v_dual_fmac_f32 v32, v51, v30 :: v_dual_fmac_f32 v29, v36, v28
	v_dual_mul_f32 v31, v35, v31 :: v_dual_add_f32 v28, v42, v32
	s_delay_alu instid0(VALU_DEP_3) | instskip(NEXT) | instid1(VALU_DEP_3)
	v_fma_f32 v32, v35, v30, -v46
	v_dual_add_f32 v42, v44, v34 :: v_dual_add_f32 v29, v33, v29
	s_wait_dscnt 0x0
	v_mul_f32_e32 v46, v52, v27
	v_dual_mul_f32 v44, v53, v25 :: v_dual_fmac_f32 v31, v36, v30
	v_add_f32_e32 v30, v45, v32
	ds_load_2addr_b64 v[32:35], v22 offset0:224 offset1:240
	v_dual_mul_f32 v36, v52, v25 :: v_dual_mul_f32 v45, v53, v27
	v_fma_f32 v44, v52, v24, -v44
	v_dual_fmac_f32 v46, v53, v26 :: v_dual_add_f32 v31, v48, v31
	s_delay_alu instid0(VALU_DEP_3) | instskip(NEXT) | instid1(VALU_DEP_4)
	v_fmac_f32_e32 v36, v53, v24
	v_fma_f32 v45, v52, v26, -v45
	s_delay_alu instid0(VALU_DEP_4) | instskip(SKIP_2) | instid1(VALU_DEP_3)
	v_dual_add_f32 v3, v3, v44 :: v_dual_mul_f32 v44, v38, v25
	v_mul_f32_e32 v25, v37, v25
	s_wait_loadcnt_dscnt 0x0
	v_add_f32_e32 v41, v41, v45
	v_dual_add_f32 v45, v28, v46 :: v_dual_add_f32 v36, v43, v36
	v_fma_f32 v43, v37, v24, -v44
	v_mul_f32_e32 v44, v38, v27
	v_fmac_f32_e32 v25, v38, v24
	v_mul_f32_e32 v27, v37, v27
	s_barrier_signal -1
	v_add_f32_e32 v24, v42, v43
	v_fma_f32 v28, v37, v26, -v44
	v_mul_f32_e32 v37, v55, v33
	v_mul_f32_e32 v42, v54, v33
	v_add_f32_e32 v25, v29, v25
	v_fmac_f32_e32 v27, v38, v26
	v_add_f32_e32 v38, v30, v28
	v_fma_f32 v26, v54, v32, -v37
	v_fmac_f32_e32 v42, v55, v32
	v_mul_f32_e32 v28, v55, v35
	v_mul_f32_e32 v29, v54, v35
	v_add_f32_e32 v37, v31, v27
	v_add_f32_e32 v30, v3, v26
	;; [unrolled: 1-line block ×3, first 2 shown]
	v_fma_f32 v3, v54, v34, -v28
	v_dual_mul_f32 v26, v40, v33 :: v_dual_fmac_f32 v29, v55, v34
	s_barrier_wait -1
	global_inv scope:SCOPE_SE
	v_add_f32_e32 v28, v41, v3
	v_fma_f32 v3, v39, v32, -v26
	v_mul_f32_e32 v27, v39, v33
	v_mul_f32_e32 v33, v40, v35
	;; [unrolled: 1-line block ×3, first 2 shown]
	s_delay_alu instid0(VALU_DEP_4) | instskip(NEXT) | instid1(VALU_DEP_2)
	v_dual_add_f32 v29, v45, v29 :: v_dual_add_f32 v26, v24, v3
	v_fmac_f32_e32 v35, v40, v34
	v_fmac_f32_e32 v27, v40, v32
	v_fma_f32 v32, v39, v34, -v33
	s_delay_alu instid0(VALU_DEP_3) | instskip(NEXT) | instid1(VALU_DEP_3)
	v_add_f32_e32 v24, v37, v35
	v_add_f32_e32 v27, v25, v27
	s_delay_alu instid0(VALU_DEP_3)
	v_add_f32_e32 v25, v38, v32
	s_cbranch_scc0 .LBB101_19
.LBB101_11:                             ;   Parent Loop BB101_8 Depth=1
                                        ; =>  This Inner Loop Header: Depth=2
	s_wait_alu 0xfffe
	v_add_nc_u32_e32 v3, s0, v19
	s_delay_alu instid0(VALU_DEP_1) | instskip(SKIP_3) | instid1(SALU_CYCLE_1)
	v_cmp_le_i32_e32 vcc_lo, s5, v3
	s_or_b32 s1, s26, vcc_lo
	s_wait_alu 0xfffe
	s_and_saveexec_b32 s28, s1
	s_xor_b32 s1, exec_lo, s28
; %bb.12:                               ;   in Loop: Header=BB101_11 Depth=2
	v_mov_b32_e32 v3, v2
	ds_store_b64 v20, v[2:3]
; %bb.13:                               ;   in Loop: Header=BB101_11 Depth=2
	s_wait_alu 0xfffe
	s_and_not1_saveexec_b32 s1, s1
	s_cbranch_execz .LBB101_15
; %bb.14:                               ;   in Loop: Header=BB101_11 Depth=2
	global_load_b64 v[32:33], v[14:15], off
	s_wait_loadcnt 0x0
	ds_store_b64 v20, v[32:33]
.LBB101_15:                             ;   in Loop: Header=BB101_11 Depth=2
	s_wait_alu 0xfffe
	s_or_b32 exec_lo, exec_lo, s1
	v_add_nc_u32_e32 v3, s0, v18
	s_delay_alu instid0(VALU_DEP_1) | instskip(SKIP_3) | instid1(SALU_CYCLE_1)
	v_cmp_le_i32_e32 vcc_lo, s5, v3
	s_or_b32 s1, vcc_lo, s27
	s_wait_alu 0xfffe
	s_and_saveexec_b32 s28, s1
	s_xor_b32 s1, exec_lo, s28
; %bb.16:                               ;   in Loop: Header=BB101_11 Depth=2
	ds_store_b32 v21, v2
; %bb.17:                               ;   in Loop: Header=BB101_11 Depth=2
	s_wait_alu 0xfffe
	s_or_saveexec_b32 s1, s1
	v_mov_b32_e32 v3, 0
	s_wait_alu 0xfffe
	s_xor_b32 exec_lo, exec_lo, s1
	s_cbranch_execz .LBB101_10
; %bb.18:                               ;   in Loop: Header=BB101_11 Depth=2
	global_load_b64 v[32:33], v[16:17], off offset:-4
	s_wait_loadcnt 0x0
	v_xor_b32_e32 v3, 0x80000000, v33
	ds_store_b32 v21, v32
	s_branch .LBB101_10
.LBB101_19:                             ;   in Loop: Header=BB101_8 Depth=1
	s_mul_u64 s[0:1], s[24:25], s[22:23]
	s_wait_alu 0xfffe
	s_lshl_b64 s[0:1], s[0:1], 3
	s_wait_alu 0xfffe
	s_add_nc_u64 s[0:1], s[12:13], s[0:1]
	s_wait_alu 0xfffe
	v_add_co_u32 v3, vcc_lo, s0, v6
	s_wait_alu 0xfffd
	v_add_co_ci_u32_e64 v16, null, s1, v7, vcc_lo
	s_and_saveexec_b32 s28, s30
	s_cbranch_execz .LBB101_24
; %bb.20:                               ;   in Loop: Header=BB101_8 Depth=1
	v_mul_f32_e32 v15, s6, v31
	v_mul_f32_e32 v14, s7, v31
	s_and_b32 vcc_lo, exec_lo, s17
	s_mov_b32 s29, -1
	s_delay_alu instid0(VALU_DEP_2) | instskip(NEXT) | instid1(VALU_DEP_2)
	v_fmac_f32_e32 v15, s7, v30
	v_fma_f32 v14, v30, s6, -v14
	s_wait_alu 0xfffe
	s_cbranch_vccz .LBB101_22
; %bb.21:                               ;   in Loop: Header=BB101_8 Depth=1
	v_add_co_u32 v30, vcc_lo, v3, v10
	s_wait_alu 0xfffd
	v_add_co_ci_u32_e64 v31, null, v16, v11, vcc_lo
	s_mov_b32 s29, 0
	global_load_b64 v[32:33], v[30:31], off
	s_wait_loadcnt 0x0
	v_mul_f32_e32 v17, s21, v33
	v_mul_f32_e32 v33, s20, v33
	s_delay_alu instid0(VALU_DEP_2) | instskip(NEXT) | instid1(VALU_DEP_1)
	v_fma_f32 v17, v32, s20, -v17
	v_dual_fmac_f32 v33, s21, v32 :: v_dual_add_f32 v32, v14, v17
	s_delay_alu instid0(VALU_DEP_1)
	v_add_f32_e32 v33, v15, v33
	global_store_b64 v[30:31], v[32:33], off
.LBB101_22:                             ;   in Loop: Header=BB101_8 Depth=1
	s_and_not1_b32 vcc_lo, exec_lo, s29
	s_wait_alu 0xfffe
	s_cbranch_vccnz .LBB101_24
; %bb.23:                               ;   in Loop: Header=BB101_8 Depth=1
	v_add_co_u32 v30, vcc_lo, v3, v10
	s_wait_alu 0xfffd
	v_add_co_ci_u32_e64 v31, null, v16, v11, vcc_lo
	global_store_b64 v[30:31], v[14:15], off
.LBB101_24:                             ;   in Loop: Header=BB101_8 Depth=1
	s_or_b32 exec_lo, exec_lo, s28
	s_and_saveexec_b32 s28, s18
	s_cbranch_execz .LBB101_29
; %bb.25:                               ;   in Loop: Header=BB101_8 Depth=1
	v_mul_f32_e32 v15, s6, v29
	v_mul_f32_e32 v14, s7, v29
	s_and_not1_b32 vcc_lo, exec_lo, s17
	s_mov_b32 s29, -1
	s_delay_alu instid0(VALU_DEP_2) | instskip(NEXT) | instid1(VALU_DEP_2)
	v_fmac_f32_e32 v15, s7, v28
	v_fma_f32 v14, v28, s6, -v14
	s_wait_alu 0xfffe
	s_cbranch_vccnz .LBB101_27
; %bb.26:                               ;   in Loop: Header=BB101_8 Depth=1
	v_add_co_u32 v28, vcc_lo, v3, v12
	s_wait_alu 0xfffd
	v_add_co_ci_u32_e64 v29, null, v16, v13, vcc_lo
	s_mov_b32 s29, 0
	global_load_b64 v[30:31], v[28:29], off
	s_wait_loadcnt 0x0
	v_mul_f32_e32 v17, s21, v31
	s_delay_alu instid0(VALU_DEP_1) | instskip(SKIP_1) | instid1(VALU_DEP_1)
	v_fma_f32 v17, v30, s20, -v17
	v_mul_f32_e32 v31, s20, v31
	v_dual_fmac_f32 v31, s21, v30 :: v_dual_add_f32 v30, v14, v17
	s_delay_alu instid0(VALU_DEP_1)
	v_add_f32_e32 v31, v15, v31
	global_store_b64 v[28:29], v[30:31], off
.LBB101_27:                             ;   in Loop: Header=BB101_8 Depth=1
	s_and_not1_b32 vcc_lo, exec_lo, s29
	s_wait_alu 0xfffe
	s_cbranch_vccnz .LBB101_29
; %bb.28:                               ;   in Loop: Header=BB101_8 Depth=1
	v_add_co_u32 v28, vcc_lo, v3, v12
	s_wait_alu 0xfffd
	v_add_co_ci_u32_e64 v29, null, v16, v13, vcc_lo
	global_store_b64 v[28:29], v[14:15], off
.LBB101_29:                             ;   in Loop: Header=BB101_8 Depth=1
	s_or_b32 exec_lo, exec_lo, s28
	v_add_co_u32 v3, vcc_lo, s0, v8
	s_wait_alu 0xfffd
	v_add_co_ci_u32_e64 v16, null, s1, v9, vcc_lo
	s_and_saveexec_b32 s0, s31
	s_cbranch_execz .LBB101_34
; %bb.30:                               ;   in Loop: Header=BB101_8 Depth=1
	v_mul_f32_e32 v15, s6, v27
	v_mul_f32_e32 v14, s7, v27
	s_and_not1_b32 vcc_lo, exec_lo, s17
	s_mov_b32 s1, -1
	s_delay_alu instid0(VALU_DEP_2) | instskip(NEXT) | instid1(VALU_DEP_2)
	v_fmac_f32_e32 v15, s7, v26
	v_fma_f32 v14, v26, s6, -v14
	s_wait_alu 0xfffe
	s_cbranch_vccnz .LBB101_32
; %bb.31:                               ;   in Loop: Header=BB101_8 Depth=1
	v_add_co_u32 v26, vcc_lo, v3, v10
	s_wait_alu 0xfffd
	v_add_co_ci_u32_e64 v27, null, v16, v11, vcc_lo
	s_mov_b32 s1, 0
	global_load_b64 v[28:29], v[26:27], off
	s_wait_loadcnt 0x0
	v_mul_f32_e32 v17, s21, v29
	v_mul_f32_e32 v29, s20, v29
	s_delay_alu instid0(VALU_DEP_2) | instskip(NEXT) | instid1(VALU_DEP_1)
	v_fma_f32 v17, v28, s20, -v17
	v_dual_fmac_f32 v29, s21, v28 :: v_dual_add_f32 v28, v14, v17
	s_delay_alu instid0(VALU_DEP_1)
	v_add_f32_e32 v29, v15, v29
	global_store_b64 v[26:27], v[28:29], off
.LBB101_32:                             ;   in Loop: Header=BB101_8 Depth=1
	s_wait_alu 0xfffe
	s_and_not1_b32 vcc_lo, exec_lo, s1
	s_wait_alu 0xfffe
	s_cbranch_vccnz .LBB101_34
; %bb.33:                               ;   in Loop: Header=BB101_8 Depth=1
	v_add_co_u32 v26, vcc_lo, v3, v10
	s_wait_alu 0xfffd
	v_add_co_ci_u32_e64 v27, null, v16, v11, vcc_lo
	global_store_b64 v[26:27], v[14:15], off
.LBB101_34:                             ;   in Loop: Header=BB101_8 Depth=1
	s_wait_alu 0xfffe
	s_or_b32 exec_lo, exec_lo, s0
	s_and_saveexec_b32 s0, s4
	s_cbranch_execz .LBB101_7
; %bb.35:                               ;   in Loop: Header=BB101_8 Depth=1
	v_mul_f32_e32 v15, s6, v24
	v_mul_f32_e32 v14, s7, v24
	s_and_not1_b32 vcc_lo, exec_lo, s17
	s_mov_b32 s1, -1
	s_delay_alu instid0(VALU_DEP_2) | instskip(NEXT) | instid1(VALU_DEP_2)
	v_fmac_f32_e32 v15, s7, v25
	v_fma_f32 v14, v25, s6, -v14
	s_wait_alu 0xfffe
	s_cbranch_vccnz .LBB101_37
; %bb.36:                               ;   in Loop: Header=BB101_8 Depth=1
	v_add_co_u32 v24, vcc_lo, v3, v12
	s_wait_alu 0xfffd
	v_add_co_ci_u32_e64 v25, null, v16, v13, vcc_lo
	s_mov_b32 s1, 0
	global_load_b64 v[26:27], v[24:25], off
	s_wait_loadcnt 0x0
	v_mul_f32_e32 v17, s21, v27
	s_delay_alu instid0(VALU_DEP_1) | instskip(SKIP_1) | instid1(VALU_DEP_1)
	v_fma_f32 v17, v26, s20, -v17
	v_mul_f32_e32 v27, s20, v27
	v_dual_fmac_f32 v27, s21, v26 :: v_dual_add_f32 v26, v14, v17
	s_delay_alu instid0(VALU_DEP_1)
	v_add_f32_e32 v27, v15, v27
	global_store_b64 v[24:25], v[26:27], off
.LBB101_37:                             ;   in Loop: Header=BB101_8 Depth=1
	s_wait_alu 0xfffe
	s_and_not1_b32 vcc_lo, exec_lo, s1
	s_wait_alu 0xfffe
	s_cbranch_vccnz .LBB101_7
; %bb.38:                               ;   in Loop: Header=BB101_8 Depth=1
	v_add_co_u32 v24, vcc_lo, v3, v12
	s_wait_alu 0xfffd
	v_add_co_ci_u32_e64 v25, null, v16, v13, vcc_lo
	global_store_b64 v[24:25], v[14:15], off
	s_branch .LBB101_7
.LBB101_39:
	s_endpgm
	.section	.rodata,"a",@progbits
	.p2align	6, 0x0
	.amdhsa_kernel _ZL29rocblas_internal_gemmt_kernelIiLi16ELi32ELi8ELc78ELc67ELc76ELb0ELb1E19rocblas_complex_numIfES1_PKS1_PS1_EviT_T9_T10_S5_lS7_S5_lS6_T11_S5_li
		.amdhsa_group_segment_fixed_size 4096
		.amdhsa_private_segment_fixed_size 0
		.amdhsa_kernarg_size 100
		.amdhsa_user_sgpr_count 2
		.amdhsa_user_sgpr_dispatch_ptr 0
		.amdhsa_user_sgpr_queue_ptr 0
		.amdhsa_user_sgpr_kernarg_segment_ptr 1
		.amdhsa_user_sgpr_dispatch_id 0
		.amdhsa_user_sgpr_private_segment_size 0
		.amdhsa_wavefront_size32 1
		.amdhsa_uses_dynamic_stack 0
		.amdhsa_enable_private_segment 0
		.amdhsa_system_sgpr_workgroup_id_x 1
		.amdhsa_system_sgpr_workgroup_id_y 1
		.amdhsa_system_sgpr_workgroup_id_z 1
		.amdhsa_system_sgpr_workgroup_info 0
		.amdhsa_system_vgpr_workitem_id 1
		.amdhsa_next_free_vgpr 69
		.amdhsa_next_free_sgpr 38
		.amdhsa_reserve_vcc 1
		.amdhsa_float_round_mode_32 0
		.amdhsa_float_round_mode_16_64 0
		.amdhsa_float_denorm_mode_32 3
		.amdhsa_float_denorm_mode_16_64 3
		.amdhsa_fp16_overflow 0
		.amdhsa_workgroup_processor_mode 1
		.amdhsa_memory_ordered 1
		.amdhsa_forward_progress 1
		.amdhsa_inst_pref_size 25
		.amdhsa_round_robin_scheduling 0
		.amdhsa_exception_fp_ieee_invalid_op 0
		.amdhsa_exception_fp_denorm_src 0
		.amdhsa_exception_fp_ieee_div_zero 0
		.amdhsa_exception_fp_ieee_overflow 0
		.amdhsa_exception_fp_ieee_underflow 0
		.amdhsa_exception_fp_ieee_inexact 0
		.amdhsa_exception_int_div_zero 0
	.end_amdhsa_kernel
	.section	.text._ZL29rocblas_internal_gemmt_kernelIiLi16ELi32ELi8ELc78ELc67ELc76ELb0ELb1E19rocblas_complex_numIfES1_PKS1_PS1_EviT_T9_T10_S5_lS7_S5_lS6_T11_S5_li,"axG",@progbits,_ZL29rocblas_internal_gemmt_kernelIiLi16ELi32ELi8ELc78ELc67ELc76ELb0ELb1E19rocblas_complex_numIfES1_PKS1_PS1_EviT_T9_T10_S5_lS7_S5_lS6_T11_S5_li,comdat
.Lfunc_end101:
	.size	_ZL29rocblas_internal_gemmt_kernelIiLi16ELi32ELi8ELc78ELc67ELc76ELb0ELb1E19rocblas_complex_numIfES1_PKS1_PS1_EviT_T9_T10_S5_lS7_S5_lS6_T11_S5_li, .Lfunc_end101-_ZL29rocblas_internal_gemmt_kernelIiLi16ELi32ELi8ELc78ELc67ELc76ELb0ELb1E19rocblas_complex_numIfES1_PKS1_PS1_EviT_T9_T10_S5_lS7_S5_lS6_T11_S5_li
                                        ; -- End function
	.set _ZL29rocblas_internal_gemmt_kernelIiLi16ELi32ELi8ELc78ELc67ELc76ELb0ELb1E19rocblas_complex_numIfES1_PKS1_PS1_EviT_T9_T10_S5_lS7_S5_lS6_T11_S5_li.num_vgpr, 69
	.set _ZL29rocblas_internal_gemmt_kernelIiLi16ELi32ELi8ELc78ELc67ELc76ELb0ELb1E19rocblas_complex_numIfES1_PKS1_PS1_EviT_T9_T10_S5_lS7_S5_lS6_T11_S5_li.num_agpr, 0
	.set _ZL29rocblas_internal_gemmt_kernelIiLi16ELi32ELi8ELc78ELc67ELc76ELb0ELb1E19rocblas_complex_numIfES1_PKS1_PS1_EviT_T9_T10_S5_lS7_S5_lS6_T11_S5_li.numbered_sgpr, 38
	.set _ZL29rocblas_internal_gemmt_kernelIiLi16ELi32ELi8ELc78ELc67ELc76ELb0ELb1E19rocblas_complex_numIfES1_PKS1_PS1_EviT_T9_T10_S5_lS7_S5_lS6_T11_S5_li.num_named_barrier, 0
	.set _ZL29rocblas_internal_gemmt_kernelIiLi16ELi32ELi8ELc78ELc67ELc76ELb0ELb1E19rocblas_complex_numIfES1_PKS1_PS1_EviT_T9_T10_S5_lS7_S5_lS6_T11_S5_li.private_seg_size, 0
	.set _ZL29rocblas_internal_gemmt_kernelIiLi16ELi32ELi8ELc78ELc67ELc76ELb0ELb1E19rocblas_complex_numIfES1_PKS1_PS1_EviT_T9_T10_S5_lS7_S5_lS6_T11_S5_li.uses_vcc, 1
	.set _ZL29rocblas_internal_gemmt_kernelIiLi16ELi32ELi8ELc78ELc67ELc76ELb0ELb1E19rocblas_complex_numIfES1_PKS1_PS1_EviT_T9_T10_S5_lS7_S5_lS6_T11_S5_li.uses_flat_scratch, 0
	.set _ZL29rocblas_internal_gemmt_kernelIiLi16ELi32ELi8ELc78ELc67ELc76ELb0ELb1E19rocblas_complex_numIfES1_PKS1_PS1_EviT_T9_T10_S5_lS7_S5_lS6_T11_S5_li.has_dyn_sized_stack, 0
	.set _ZL29rocblas_internal_gemmt_kernelIiLi16ELi32ELi8ELc78ELc67ELc76ELb0ELb1E19rocblas_complex_numIfES1_PKS1_PS1_EviT_T9_T10_S5_lS7_S5_lS6_T11_S5_li.has_recursion, 0
	.set _ZL29rocblas_internal_gemmt_kernelIiLi16ELi32ELi8ELc78ELc67ELc76ELb0ELb1E19rocblas_complex_numIfES1_PKS1_PS1_EviT_T9_T10_S5_lS7_S5_lS6_T11_S5_li.has_indirect_call, 0
	.section	.AMDGPU.csdata,"",@progbits
; Kernel info:
; codeLenInByte = 3136
; TotalNumSgprs: 40
; NumVgprs: 69
; ScratchSize: 0
; MemoryBound: 1
; FloatMode: 240
; IeeeMode: 1
; LDSByteSize: 4096 bytes/workgroup (compile time only)
; SGPRBlocks: 0
; VGPRBlocks: 8
; NumSGPRsForWavesPerEU: 40
; NumVGPRsForWavesPerEU: 69
; Occupancy: 16
; WaveLimiterHint : 0
; COMPUTE_PGM_RSRC2:SCRATCH_EN: 0
; COMPUTE_PGM_RSRC2:USER_SGPR: 2
; COMPUTE_PGM_RSRC2:TRAP_HANDLER: 0
; COMPUTE_PGM_RSRC2:TGID_X_EN: 1
; COMPUTE_PGM_RSRC2:TGID_Y_EN: 1
; COMPUTE_PGM_RSRC2:TGID_Z_EN: 1
; COMPUTE_PGM_RSRC2:TIDIG_COMP_CNT: 1
	.section	.text._ZL29rocblas_internal_gemmt_kernelIiLi16ELi32ELi8ELc84ELc78ELc76ELb0ELb0E19rocblas_complex_numIfES1_PKS1_PS1_EviT_T9_T10_S5_lS7_S5_lS6_T11_S5_li,"axG",@progbits,_ZL29rocblas_internal_gemmt_kernelIiLi16ELi32ELi8ELc84ELc78ELc76ELb0ELb0E19rocblas_complex_numIfES1_PKS1_PS1_EviT_T9_T10_S5_lS7_S5_lS6_T11_S5_li,comdat
	.globl	_ZL29rocblas_internal_gemmt_kernelIiLi16ELi32ELi8ELc84ELc78ELc76ELb0ELb0E19rocblas_complex_numIfES1_PKS1_PS1_EviT_T9_T10_S5_lS7_S5_lS6_T11_S5_li ; -- Begin function _ZL29rocblas_internal_gemmt_kernelIiLi16ELi32ELi8ELc84ELc78ELc76ELb0ELb0E19rocblas_complex_numIfES1_PKS1_PS1_EviT_T9_T10_S5_lS7_S5_lS6_T11_S5_li
	.p2align	8
	.type	_ZL29rocblas_internal_gemmt_kernelIiLi16ELi32ELi8ELc84ELc78ELc76ELb0ELb0E19rocblas_complex_numIfES1_PKS1_PS1_EviT_T9_T10_S5_lS7_S5_lS6_T11_S5_li,@function
_ZL29rocblas_internal_gemmt_kernelIiLi16ELi32ELi8ELc84ELc78ELc76ELb0ELb0E19rocblas_complex_numIfES1_PKS1_PS1_EviT_T9_T10_S5_lS7_S5_lS6_T11_S5_li: ; @_ZL29rocblas_internal_gemmt_kernelIiLi16ELi32ELi8ELc84ELc78ELc76ELb0ELb0E19rocblas_complex_numIfES1_PKS1_PS1_EviT_T9_T10_S5_lS7_S5_lS6_T11_S5_li
; %bb.0:
	s_clause 0x1
	s_load_b64 s[20:21], s[0:1], 0x40
	s_load_b128 s[4:7], s[0:1], 0x0
	s_wait_kmcnt 0x0
	s_cmp_eq_f32 s20, 1.0
	s_cselect_b32 s2, -1, 0
	s_and_b32 s3, s21, 0x7fffffff
	s_delay_alu instid0(SALU_CYCLE_1) | instskip(SKIP_1) | instid1(SALU_CYCLE_1)
	s_cmp_eq_u32 s3, 0
	s_cselect_b32 s3, -1, 0
	s_and_b32 s8, s2, s3
	s_mov_b32 s2, 0
	s_and_not1_b32 vcc_lo, exec_lo, s8
	s_mov_b32 s8, -1
	s_cbranch_vccnz .LBB102_4
; %bb.1:
	s_cmp_lg_u32 s5, 0
	s_cbranch_scc0 .LBB102_3
; %bb.2:
	s_cmp_neq_f32 s6, 0
	s_cselect_b32 s2, -1, 0
	s_cmp_neq_f32 s7, 0
	s_cselect_b32 s8, -1, 0
	s_delay_alu instid0(SALU_CYCLE_1)
	s_or_b32 s2, s2, s8
.LBB102_3:
	s_delay_alu instid0(SALU_CYCLE_1)
	s_mov_b32 s8, s2
.LBB102_4:
	s_delay_alu instid0(SALU_CYCLE_1)
	s_and_b32 vcc_lo, exec_lo, s8
	s_cbranch_vccz .LBB102_39
; %bb.5:
	s_load_b32 s15, s[0:1], 0x60
	s_lshr_b32 s22, ttmp7, 16
	s_wait_kmcnt 0x0
	s_cmp_ge_u32 s22, s15
	s_cbranch_scc1 .LBB102_39
; %bb.6:
	v_and_b32_e32 v1, 0x3ff, v0
	v_bfe_u32 v2, v0, 10, 10
	v_and_b32_e32 v18, 7, v0
	s_clause 0x1
	s_load_b96 s[16:18], s[0:1], 0x10
	s_load_b128 s[8:11], s[0:1], 0x20
	s_lshl_b32 s2, ttmp7, 5
	s_lshl_b32 s19, ttmp9, 5
	v_lshl_add_u32 v0, v2, 4, v1
	s_and_b32 s2, s2, 0x1fffe0
	s_cmp_neq_f32 s6, 0
	s_clause 0x3
	s_load_b32 s28, s[0:1], 0x30
	s_load_b64 s[26:27], s[0:1], 0x38
	s_load_b96 s[12:14], s[0:1], 0x48
	s_load_b64 s[24:25], s[0:1], 0x58
	v_lshlrev_b32_e32 v14, 3, v18
	v_lshrrev_b32_e32 v19, 5, v0
	v_lshrrev_b32_e32 v3, 3, v0
	v_and_b32_e32 v0, 31, v0
	s_cselect_b32 s23, -1, 0
	s_cmp_neq_f32 s7, 0
	v_add_nc_u32_e32 v10, s19, v1
	v_add_nc_u32_e32 v5, s2, v3
	v_or_b32_e32 v4, s19, v0
	v_lshlrev_b32_e32 v0, 3, v0
	s_cselect_b32 s0, -1, 0
	v_add_nc_u32_e32 v12, 16, v10
	s_or_b32 s29, s23, s0
	s_cmp_gt_i32 s5, 0
	v_lshl_or_b32 v20, v19, 8, v0
	v_lshl_or_b32 v0, v3, 6, v14
	v_add_nc_u32_e32 v3, s2, v2
	v_cmp_gt_i32_e64 s2, s4, v10
	s_cselect_b32 s30, -1, 0
	s_cmp_neq_f32 s20, 0
	v_add_nc_u32_e32 v21, 0x800, v0
	v_cmp_le_i32_e64 s1, v3, v10
	v_lshlrev_b32_e32 v22, 3, v1
	s_wait_kmcnt 0x0
	v_mad_co_i64_i32 v[0:1], null, s18, v4, 0
	v_lshl_add_u32 v23, v2, 6, 0x800
	s_cselect_b32 s31, -1, 0
	s_xor_b32 s33, s3, -1
	s_and_b32 s19, s1, s2
	v_cmp_le_i32_e64 s1, v3, v12
	v_cmp_gt_i32_e64 s3, s4, v12
	v_add_nc_u32_e32 v2, 16, v3
	v_cmp_gt_i32_e32 vcc_lo, s4, v4
	v_mad_co_i64_i32 v[6:7], null, v3, s14, 0
	v_mad_co_i64_i32 v[3:4], null, s28, v5, 0
	v_cmp_gt_i32_e64 s0, s4, v5
	s_and_b32 s18, s1, s3
	v_mad_co_i64_i32 v[8:9], null, v2, s14, 0
	v_cmp_le_i32_e64 s1, v2, v10
	v_cmp_le_i32_e64 s4, v2, v12
	v_lshlrev_b64_e32 v[1:2], 3, v[0:1]
	v_lshlrev_b32_e32 v15, 3, v19
	v_lshlrev_b64_e32 v[4:5], 3, v[3:4]
	s_and_b32 s14, s1, s2
	v_ashrrev_i32_e32 v11, 31, v10
	v_ashrrev_i32_e32 v13, 31, v12
	v_add_co_u32 v1, s1, v1, v15
	s_delay_alu instid0(VALU_DEP_1) | instskip(SKIP_1) | instid1(VALU_DEP_3)
	v_add_co_ci_u32_e64 v15, null, 0, v2, s1
	v_lshlrev_b64_e32 v[6:7], 3, v[6:7]
	v_add_co_u32 v2, s1, s16, v1
	s_wait_alu 0xf1ff
	s_delay_alu instid0(VALU_DEP_3) | instskip(SKIP_4) | instid1(VALU_DEP_3)
	v_add_co_ci_u32_e64 v3, null, s17, v15, s1
	v_add_co_u32 v1, s1, v4, v14
	s_wait_alu 0xf1ff
	v_add_co_ci_u32_e64 v5, null, 0, v5, s1
	v_lshlrev_b64_e32 v[8:9], 3, v[8:9]
	v_add_co_u32 v4, s1, s10, v1
	v_lshlrev_b64_e32 v[10:11], 3, v[10:11]
	v_lshlrev_b64_e32 v[12:13], 3, v[12:13]
	v_mov_b32_e32 v0, 0
	s_wait_alu 0xf1ff
	v_add_co_ci_u32_e64 v5, null, s11, v5, s1
	s_mov_b32 s23, 0
	s_and_b32 s4, s4, s3
	s_lshl_b64 s[2:3], s[8:9], 3
	s_and_b32 s10, s29, s30
	s_or_b32 s11, s31, s33
	s_lshl_b64 s[8:9], s[26:27], 3
	s_xor_b32 s16, vcc_lo, -1
	s_xor_b32 s17, s0, -1
	s_branch .LBB102_8
.LBB102_7:                              ;   in Loop: Header=BB102_8 Depth=1
	s_wait_alu 0xfffe
	s_or_b32 exec_lo, exec_lo, s0
	s_add_co_i32 s22, s22, 0x10000
	s_wait_alu 0xfffe
	s_cmp_lt_u32 s22, s15
	s_cbranch_scc0 .LBB102_39
.LBB102_8:                              ; =>This Loop Header: Depth=1
                                        ;     Child Loop BB102_11 Depth 2
	v_dual_mov_b32 v30, v0 :: v_dual_mov_b32 v31, v0
	v_dual_mov_b32 v28, v0 :: v_dual_mov_b32 v29, v0
	;; [unrolled: 1-line block ×4, first 2 shown]
	s_wait_alu 0xfffe
	s_and_not1_b32 vcc_lo, exec_lo, s10
	s_wait_alu 0xfffe
	s_cbranch_vccnz .LBB102_19
; %bb.9:                                ;   in Loop: Header=BB102_8 Depth=1
	v_mad_co_u64_u32 v[14:15], null, s2, s22, v[2:3]
	v_mad_co_u64_u32 v[16:17], null, s8, s22, v[4:5]
	v_dual_mov_b32 v25, 0 :: v_dual_mov_b32 v28, 0
	v_mov_b32_e32 v27, 0
	v_mov_b32_e32 v29, 0
	v_dual_mov_b32 v1, v15 :: v_dual_mov_b32 v24, 0
	v_dual_mov_b32 v15, v17 :: v_dual_mov_b32 v26, 0
	s_mov_b32 s0, 0
	s_delay_alu instid0(VALU_DEP_2) | instskip(NEXT) | instid1(VALU_DEP_2)
	v_mad_co_u64_u32 v[30:31], null, s3, s22, v[1:2]
	v_mad_co_u64_u32 v[32:33], null, s9, s22, v[15:16]
	v_mov_b32_e32 v31, 0
	s_delay_alu instid0(VALU_DEP_3) | instskip(NEXT) | instid1(VALU_DEP_3)
	v_dual_mov_b32 v15, v30 :: v_dual_mov_b32 v30, 0
	v_mov_b32_e32 v17, v32
	s_branch .LBB102_11
.LBB102_10:                             ;   in Loop: Header=BB102_11 Depth=2
	s_wait_alu 0xfffe
	s_or_b32 exec_lo, exec_lo, s1
	s_wait_dscnt 0x0
	s_barrier_signal -1
	s_barrier_wait -1
	global_inv scope:SCOPE_SE
	ds_load_b128 v[32:35], v23
	ds_load_2addr_b64 v[36:39], v22 offset1:16
	ds_load_b128 v[40:43], v23 offset:1024
	ds_load_b128 v[44:47], v23 offset:16
	;; [unrolled: 1-line block ×4, first 2 shown]
	ds_load_2addr_b64 v[56:59], v22 offset0:32 offset1:48
	ds_load_b128 v[60:63], v23 offset:1040
	v_add_co_u32 v14, vcc_lo, v14, 64
	s_wait_alu 0xfffd
	v_add_co_ci_u32_e64 v15, null, 0, v15, vcc_lo
	v_add_co_u32 v16, vcc_lo, v16, 64
	s_wait_alu 0xfffd
	v_add_co_ci_u32_e64 v17, null, 0, v17, vcc_lo
	s_add_co_i32 s0, s0, 8
	s_wait_alu 0xfffe
	s_cmp_lt_i32 s0, s5
	s_wait_dscnt 0x6
	v_dual_mul_f32 v1, v33, v37 :: v_dual_mul_f32 v66, v32, v39
	v_dual_mul_f32 v64, v32, v37 :: v_dual_mul_f32 v65, v33, v39
	s_wait_dscnt 0x5
	v_mul_f32_e32 v68, v41, v39
	s_delay_alu instid0(VALU_DEP_3) | instskip(SKIP_3) | instid1(VALU_DEP_4)
	v_fma_f32 v1, v32, v36, -v1
	v_dual_mul_f32 v39, v40, v39 :: v_dual_fmac_f32 v66, v33, v38
	v_fmac_f32_e32 v64, v33, v36
	v_fma_f32 v32, v32, v38, -v65
	v_add_f32_e32 v1, v30, v1
	v_mul_f32_e32 v67, v41, v37
	s_delay_alu instid0(VALU_DEP_4) | instskip(NEXT) | instid1(VALU_DEP_4)
	v_dual_mul_f32 v37, v40, v37 :: v_dual_add_f32 v30, v31, v64
	v_add_f32_e32 v31, v28, v32
	v_fmac_f32_e32 v39, v41, v38
	s_delay_alu instid0(VALU_DEP_4) | instskip(NEXT) | instid1(VALU_DEP_4)
	v_fma_f32 v33, v40, v36, -v67
	v_fmac_f32_e32 v37, v41, v36
	v_fma_f32 v36, v40, v38, -v68
	s_wait_dscnt 0x1
	v_dual_mul_f32 v38, v34, v57 :: v_dual_add_f32 v29, v29, v66
	v_mul_f32_e32 v40, v35, v59
	v_add_f32_e32 v32, v26, v33
	v_dual_add_f32 v33, v27, v37 :: v_dual_add_f32 v36, v25, v36
	ds_load_2addr_b64 v[25:28], v22 offset0:64 offset1:80
	v_fmac_f32_e32 v38, v35, v56
	v_dual_mul_f32 v37, v35, v57 :: v_dual_add_f32 v24, v24, v39
	v_mul_f32_e32 v39, v34, v59
	s_delay_alu instid0(VALU_DEP_3) | instskip(NEXT) | instid1(VALU_DEP_3)
	v_add_f32_e32 v38, v30, v38
	v_fma_f32 v37, v34, v56, -v37
	v_fma_f32 v34, v34, v58, -v40
	v_mul_f32_e32 v30, v42, v57
	s_delay_alu instid0(VALU_DEP_3) | instskip(SKIP_1) | instid1(VALU_DEP_4)
	v_add_f32_e32 v1, v1, v37
	v_mul_f32_e32 v37, v43, v57
	v_add_f32_e32 v34, v31, v34
	v_fmac_f32_e32 v39, v35, v58
	v_mul_f32_e32 v35, v43, v59
	v_fmac_f32_e32 v30, v43, v56
	v_fma_f32 v31, v42, v56, -v37
	s_delay_alu instid0(VALU_DEP_4) | instskip(SKIP_4) | instid1(VALU_DEP_3)
	v_add_f32_e32 v37, v29, v39
	v_mul_f32_e32 v39, v42, v59
	v_fma_f32 v29, v42, v58, -v35
	s_wait_dscnt 0x0
	v_dual_add_f32 v40, v32, v31 :: v_dual_mul_f32 v31, v45, v26
	v_dual_mul_f32 v42, v45, v28 :: v_dual_fmac_f32 v39, v43, v58
	v_mul_f32_e32 v35, v44, v26
	v_add_f32_e32 v36, v36, v29
	s_delay_alu instid0(VALU_DEP_3) | instskip(SKIP_3) | instid1(VALU_DEP_3)
	v_add_f32_e32 v39, v24, v39
	v_mul_f32_e32 v24, v44, v28
	v_fma_f32 v41, v44, v25, -v31
	v_fmac_f32_e32 v35, v45, v25
	v_fmac_f32_e32 v24, v45, v27
	s_delay_alu instid0(VALU_DEP_3)
	v_add_f32_e32 v1, v1, v41
	v_fma_f32 v41, v44, v27, -v42
	v_add_f32_e32 v33, v33, v30
	ds_load_2addr_b64 v[29:32], v22 offset0:96 offset1:112
	v_dual_add_f32 v35, v38, v35 :: v_dual_mul_f32 v38, v61, v26
	v_mul_f32_e32 v26, v60, v26
	v_dual_add_f32 v34, v34, v41 :: v_dual_mul_f32 v41, v61, v28
	v_mul_f32_e32 v28, v60, v28
	s_delay_alu instid0(VALU_DEP_4) | instskip(NEXT) | instid1(VALU_DEP_4)
	v_fma_f32 v38, v60, v25, -v38
	v_fmac_f32_e32 v26, v61, v25
	v_add_f32_e32 v37, v37, v24
	v_fma_f32 v24, v60, v27, -v41
	v_fmac_f32_e32 v28, v61, v27
	v_add_f32_e32 v38, v40, v38
	s_delay_alu instid0(VALU_DEP_3) | instskip(SKIP_4) | instid1(VALU_DEP_2)
	v_dual_add_f32 v40, v33, v26 :: v_dual_add_f32 v41, v36, v24
	ds_load_2addr_b64 v[24:27], v22 offset0:128 offset1:144
	s_wait_dscnt 0x1
	v_mul_f32_e32 v33, v47, v30
	v_dual_mul_f32 v36, v46, v30 :: v_dual_mul_f32 v45, v63, v32
	v_fma_f32 v33, v46, v29, -v33
	v_mul_f32_e32 v42, v47, v32
	s_delay_alu instid0(VALU_DEP_3) | instskip(NEXT) | instid1(VALU_DEP_3)
	v_fmac_f32_e32 v36, v47, v29
	v_add_f32_e32 v1, v1, v33
	s_delay_alu instid0(VALU_DEP_3) | instskip(SKIP_3) | instid1(VALU_DEP_4)
	v_fma_f32 v42, v46, v31, -v42
	v_add_f32_e32 v39, v39, v28
	v_dual_mul_f32 v28, v46, v32 :: v_dual_mul_f32 v33, v63, v30
	v_dual_add_f32 v43, v35, v36 :: v_dual_mul_f32 v30, v62, v30
	v_add_f32_e32 v42, v34, v42
	s_delay_alu instid0(VALU_DEP_3) | instskip(NEXT) | instid1(VALU_DEP_4)
	v_fmac_f32_e32 v28, v47, v31
	v_fma_f32 v44, v62, v29, -v33
	ds_load_b128 v[33:36], v23 offset:1056
	v_fmac_f32_e32 v30, v63, v29
	s_wait_dscnt 0x1
	v_mul_f32_e32 v29, v49, v25
	v_add_f32_e32 v46, v37, v28
	v_dual_mul_f32 v32, v62, v32 :: v_dual_mul_f32 v47, v48, v25
	v_mul_f32_e32 v56, v48, v27
	s_delay_alu instid0(VALU_DEP_4)
	v_fma_f32 v37, v48, v24, -v29
	v_add_f32_e32 v44, v38, v44
	v_mul_f32_e32 v38, v49, v27
	v_fma_f32 v28, v62, v31, -v45
	v_dual_fmac_f32 v32, v63, v31 :: v_dual_fmac_f32 v47, v49, v24
	v_add_f32_e32 v1, v1, v37
	s_delay_alu instid0(VALU_DEP_4) | instskip(NEXT) | instid1(VALU_DEP_4)
	v_fma_f32 v48, v48, v26, -v38
	v_add_f32_e32 v41, v41, v28
	v_add_f32_e32 v45, v40, v30
	ds_load_2addr_b64 v[28:31], v22 offset0:160 offset1:176
	v_add_f32_e32 v32, v39, v32
	ds_load_b128 v[37:40], v23 offset:1072
	s_wait_dscnt 0x2
	v_mul_f32_e32 v57, v34, v25
	v_dual_mul_f32 v25, v33, v25 :: v_dual_add_f32 v42, v42, v48
	v_mul_f32_e32 v48, v34, v27
	v_dual_add_f32 v43, v43, v47 :: v_dual_fmac_f32 v56, v49, v26
	s_delay_alu instid0(VALU_DEP_4) | instskip(NEXT) | instid1(VALU_DEP_4)
	v_fma_f32 v47, v33, v24, -v57
	v_fmac_f32_e32 v25, v34, v24
	v_mul_f32_e32 v49, v33, v27
	s_delay_alu instid0(VALU_DEP_3) | instskip(SKIP_1) | instid1(VALU_DEP_3)
	v_add_f32_e32 v44, v44, v47
	v_add_f32_e32 v46, v46, v56
	v_fmac_f32_e32 v49, v34, v26
	s_wait_dscnt 0x1
	v_mul_f32_e32 v27, v51, v29
	v_fma_f32 v24, v33, v26, -v48
	v_add_f32_e32 v33, v45, v25
	v_mul_f32_e32 v34, v50, v29
	s_delay_alu instid0(VALU_DEP_4) | instskip(NEXT) | instid1(VALU_DEP_4)
	v_fma_f32 v45, v50, v28, -v27
	v_add_f32_e32 v41, v41, v24
	ds_load_2addr_b64 v[24:27], v22 offset0:192 offset1:208
	v_fmac_f32_e32 v34, v51, v28
	v_dual_mul_f32 v47, v51, v31 :: v_dual_add_f32 v48, v32, v49
	v_dual_add_f32 v1, v1, v45 :: v_dual_mul_f32 v32, v50, v31
	s_delay_alu instid0(VALU_DEP_3) | instskip(NEXT) | instid1(VALU_DEP_3)
	v_dual_add_f32 v43, v43, v34 :: v_dual_mul_f32 v34, v36, v29
	v_fma_f32 v45, v50, v30, -v47
	s_delay_alu instid0(VALU_DEP_3) | instskip(NEXT) | instid1(VALU_DEP_3)
	v_fmac_f32_e32 v32, v51, v30
	v_fma_f32 v34, v35, v28, -v34
	s_delay_alu instid0(VALU_DEP_3) | instskip(SKIP_1) | instid1(VALU_DEP_3)
	v_dual_add_f32 v42, v42, v45 :: v_dual_mul_f32 v45, v36, v31
	v_mul_f32_e32 v29, v35, v29
	v_dual_mul_f32 v31, v35, v31 :: v_dual_add_f32 v44, v44, v34
	s_delay_alu instid0(VALU_DEP_2) | instskip(SKIP_2) | instid1(VALU_DEP_4)
	v_fmac_f32_e32 v29, v36, v28
	v_add_f32_e32 v28, v46, v32
	v_fma_f32 v32, v35, v30, -v45
	v_fmac_f32_e32 v31, v36, v30
	s_wait_dscnt 0x0
	v_mul_f32_e32 v36, v52, v25
	v_dual_add_f32 v29, v33, v29 :: v_dual_mul_f32 v46, v52, v27
	v_add_f32_e32 v30, v41, v32
	ds_load_2addr_b64 v[32:35], v22 offset0:224 offset1:240
	v_dual_add_f32 v31, v48, v31 :: v_dual_fmac_f32 v36, v53, v24
	v_mul_f32_e32 v45, v53, v25
	v_fmac_f32_e32 v46, v53, v26
	s_wait_loadcnt_dscnt 0x0
	s_barrier_signal -1
	v_add_f32_e32 v36, v43, v36
	v_fma_f32 v41, v52, v24, -v45
	v_mul_f32_e32 v45, v53, v27
	v_mul_f32_e32 v43, v38, v27
	;; [unrolled: 1-line block ×3, first 2 shown]
	s_barrier_wait -1
	global_inv scope:SCOPE_SE
	v_fma_f32 v45, v52, v26, -v45
	v_fmac_f32_e32 v27, v38, v26
	s_delay_alu instid0(VALU_DEP_2) | instskip(SKIP_4) | instid1(VALU_DEP_1)
	v_dual_add_f32 v42, v42, v45 :: v_dual_add_f32 v45, v28, v46
	v_fma_f32 v28, v37, v26, -v43
	v_add_f32_e32 v1, v1, v41
	v_mul_f32_e32 v41, v38, v25
	v_mul_f32_e32 v25, v37, v25
	v_fmac_f32_e32 v25, v38, v24
	v_add_f32_e32 v38, v30, v28
	v_mul_f32_e32 v28, v55, v35
	v_fma_f32 v41, v37, v24, -v41
	v_mul_f32_e32 v37, v55, v33
	s_delay_alu instid0(VALU_DEP_2) | instskip(NEXT) | instid1(VALU_DEP_2)
	v_add_f32_e32 v24, v44, v41
	v_fma_f32 v26, v54, v32, -v37
	v_add_f32_e32 v25, v29, v25
	s_delay_alu instid0(VALU_DEP_2) | instskip(SKIP_1) | instid1(VALU_DEP_2)
	v_dual_mul_f32 v29, v54, v35 :: v_dual_add_f32 v30, v1, v26
	v_fma_f32 v1, v54, v34, -v28
	v_dual_mul_f32 v26, v40, v33 :: v_dual_fmac_f32 v29, v55, v34
	s_delay_alu instid0(VALU_DEP_2) | instskip(NEXT) | instid1(VALU_DEP_2)
	v_add_f32_e32 v28, v42, v1
	v_fma_f32 v1, v39, v32, -v26
	s_delay_alu instid0(VALU_DEP_3) | instskip(NEXT) | instid1(VALU_DEP_2)
	v_add_f32_e32 v29, v45, v29
	v_dual_add_f32 v26, v24, v1 :: v_dual_add_f32 v37, v31, v27
	v_mul_f32_e32 v41, v54, v33
	v_mul_f32_e32 v27, v39, v33
	;; [unrolled: 1-line block ×4, first 2 shown]
	s_delay_alu instid0(VALU_DEP_3) | instskip(NEXT) | instid1(VALU_DEP_2)
	v_fmac_f32_e32 v27, v40, v32
	v_fmac_f32_e32 v35, v40, v34
	s_delay_alu instid0(VALU_DEP_2) | instskip(NEXT) | instid1(VALU_DEP_2)
	v_add_f32_e32 v27, v25, v27
	v_dual_add_f32 v24, v37, v35 :: v_dual_fmac_f32 v41, v55, v32
	v_fma_f32 v32, v39, v34, -v33
	s_delay_alu instid0(VALU_DEP_2) | instskip(NEXT) | instid1(VALU_DEP_2)
	v_add_f32_e32 v31, v36, v41
	v_add_f32_e32 v25, v38, v32
	s_cbranch_scc0 .LBB102_19
.LBB102_11:                             ;   Parent Loop BB102_8 Depth=1
                                        ; =>  This Inner Loop Header: Depth=2
	s_wait_alu 0xfffe
	v_add_nc_u32_e32 v1, s0, v19
	s_delay_alu instid0(VALU_DEP_1) | instskip(SKIP_3) | instid1(SALU_CYCLE_1)
	v_cmp_le_i32_e32 vcc_lo, s5, v1
	s_or_b32 s1, s16, vcc_lo
	s_wait_alu 0xfffe
	s_and_saveexec_b32 s26, s1
	s_xor_b32 s1, exec_lo, s26
; %bb.12:                               ;   in Loop: Header=BB102_11 Depth=2
	v_mov_b32_e32 v1, v0
	ds_store_b64 v20, v[0:1]
; %bb.13:                               ;   in Loop: Header=BB102_11 Depth=2
	s_wait_alu 0xfffe
	s_and_not1_saveexec_b32 s1, s1
	s_cbranch_execz .LBB102_15
; %bb.14:                               ;   in Loop: Header=BB102_11 Depth=2
	global_load_b64 v[32:33], v[14:15], off
	s_wait_loadcnt 0x0
	ds_store_b64 v20, v[32:33]
.LBB102_15:                             ;   in Loop: Header=BB102_11 Depth=2
	s_wait_alu 0xfffe
	s_or_b32 exec_lo, exec_lo, s1
	v_add_nc_u32_e32 v1, s0, v18
	s_delay_alu instid0(VALU_DEP_1) | instskip(SKIP_3) | instid1(SALU_CYCLE_1)
	v_cmp_le_i32_e32 vcc_lo, s5, v1
	s_or_b32 s1, vcc_lo, s17
	s_wait_alu 0xfffe
	s_and_saveexec_b32 s26, s1
	s_xor_b32 s1, exec_lo, s26
; %bb.16:                               ;   in Loop: Header=BB102_11 Depth=2
	v_mov_b32_e32 v1, v0
	ds_store_b64 v21, v[0:1]
; %bb.17:                               ;   in Loop: Header=BB102_11 Depth=2
	s_wait_alu 0xfffe
	s_and_not1_saveexec_b32 s1, s1
	s_cbranch_execz .LBB102_10
; %bb.18:                               ;   in Loop: Header=BB102_11 Depth=2
	global_load_b64 v[32:33], v[16:17], off
	s_wait_loadcnt 0x0
	ds_store_b64 v21, v[32:33]
	s_branch .LBB102_10
.LBB102_19:                             ;   in Loop: Header=BB102_8 Depth=1
	s_mul_u64 s[0:1], s[24:25], s[22:23]
	s_wait_alu 0xfffe
	s_lshl_b64 s[0:1], s[0:1], 3
	s_wait_alu 0xfffe
	s_add_nc_u64 s[0:1], s[12:13], s[0:1]
	s_wait_alu 0xfffe
	v_add_co_u32 v1, vcc_lo, s0, v6
	s_wait_alu 0xfffd
	v_add_co_ci_u32_e64 v16, null, s1, v7, vcc_lo
	s_and_saveexec_b32 s26, s19
	s_cbranch_execz .LBB102_24
; %bb.20:                               ;   in Loop: Header=BB102_8 Depth=1
	v_mul_f32_e32 v15, s6, v31
	v_mul_f32_e32 v14, s7, v31
	s_and_b32 vcc_lo, exec_lo, s11
	s_mov_b32 s27, -1
	s_delay_alu instid0(VALU_DEP_2) | instskip(NEXT) | instid1(VALU_DEP_2)
	v_fmac_f32_e32 v15, s7, v30
	v_fma_f32 v14, v30, s6, -v14
	s_wait_alu 0xfffe
	s_cbranch_vccz .LBB102_22
; %bb.21:                               ;   in Loop: Header=BB102_8 Depth=1
	v_add_co_u32 v30, vcc_lo, v1, v10
	s_wait_alu 0xfffd
	v_add_co_ci_u32_e64 v31, null, v16, v11, vcc_lo
	s_mov_b32 s27, 0
	global_load_b64 v[32:33], v[30:31], off
	s_wait_loadcnt 0x0
	v_mul_f32_e32 v17, s21, v33
	v_mul_f32_e32 v33, s20, v33
	s_delay_alu instid0(VALU_DEP_2) | instskip(NEXT) | instid1(VALU_DEP_1)
	v_fma_f32 v17, v32, s20, -v17
	v_dual_fmac_f32 v33, s21, v32 :: v_dual_add_f32 v32, v14, v17
	s_delay_alu instid0(VALU_DEP_1)
	v_add_f32_e32 v33, v15, v33
	global_store_b64 v[30:31], v[32:33], off
.LBB102_22:                             ;   in Loop: Header=BB102_8 Depth=1
	s_and_not1_b32 vcc_lo, exec_lo, s27
	s_wait_alu 0xfffe
	s_cbranch_vccnz .LBB102_24
; %bb.23:                               ;   in Loop: Header=BB102_8 Depth=1
	v_add_co_u32 v30, vcc_lo, v1, v10
	s_wait_alu 0xfffd
	v_add_co_ci_u32_e64 v31, null, v16, v11, vcc_lo
	global_store_b64 v[30:31], v[14:15], off
.LBB102_24:                             ;   in Loop: Header=BB102_8 Depth=1
	s_or_b32 exec_lo, exec_lo, s26
	s_and_saveexec_b32 s26, s18
	s_cbranch_execz .LBB102_29
; %bb.25:                               ;   in Loop: Header=BB102_8 Depth=1
	v_mul_f32_e32 v15, s6, v29
	v_mul_f32_e32 v14, s7, v29
	s_and_not1_b32 vcc_lo, exec_lo, s11
	s_mov_b32 s27, -1
	s_delay_alu instid0(VALU_DEP_2) | instskip(NEXT) | instid1(VALU_DEP_2)
	v_fmac_f32_e32 v15, s7, v28
	v_fma_f32 v14, v28, s6, -v14
	s_wait_alu 0xfffe
	s_cbranch_vccnz .LBB102_27
; %bb.26:                               ;   in Loop: Header=BB102_8 Depth=1
	v_add_co_u32 v28, vcc_lo, v1, v12
	s_wait_alu 0xfffd
	v_add_co_ci_u32_e64 v29, null, v16, v13, vcc_lo
	s_mov_b32 s27, 0
	global_load_b64 v[30:31], v[28:29], off
	s_wait_loadcnt 0x0
	v_mul_f32_e32 v17, s21, v31
	s_delay_alu instid0(VALU_DEP_1) | instskip(SKIP_1) | instid1(VALU_DEP_1)
	v_fma_f32 v17, v30, s20, -v17
	v_mul_f32_e32 v31, s20, v31
	v_dual_fmac_f32 v31, s21, v30 :: v_dual_add_f32 v30, v14, v17
	s_delay_alu instid0(VALU_DEP_1)
	v_add_f32_e32 v31, v15, v31
	global_store_b64 v[28:29], v[30:31], off
.LBB102_27:                             ;   in Loop: Header=BB102_8 Depth=1
	s_and_not1_b32 vcc_lo, exec_lo, s27
	s_wait_alu 0xfffe
	s_cbranch_vccnz .LBB102_29
; %bb.28:                               ;   in Loop: Header=BB102_8 Depth=1
	v_add_co_u32 v28, vcc_lo, v1, v12
	s_wait_alu 0xfffd
	v_add_co_ci_u32_e64 v29, null, v16, v13, vcc_lo
	global_store_b64 v[28:29], v[14:15], off
.LBB102_29:                             ;   in Loop: Header=BB102_8 Depth=1
	s_or_b32 exec_lo, exec_lo, s26
	v_add_co_u32 v1, vcc_lo, s0, v8
	s_wait_alu 0xfffd
	v_add_co_ci_u32_e64 v16, null, s1, v9, vcc_lo
	s_and_saveexec_b32 s0, s14
	s_cbranch_execz .LBB102_34
; %bb.30:                               ;   in Loop: Header=BB102_8 Depth=1
	v_mul_f32_e32 v15, s6, v27
	v_mul_f32_e32 v14, s7, v27
	s_and_not1_b32 vcc_lo, exec_lo, s11
	s_mov_b32 s1, -1
	s_delay_alu instid0(VALU_DEP_2) | instskip(NEXT) | instid1(VALU_DEP_2)
	v_fmac_f32_e32 v15, s7, v26
	v_fma_f32 v14, v26, s6, -v14
	s_wait_alu 0xfffe
	s_cbranch_vccnz .LBB102_32
; %bb.31:                               ;   in Loop: Header=BB102_8 Depth=1
	v_add_co_u32 v26, vcc_lo, v1, v10
	s_wait_alu 0xfffd
	v_add_co_ci_u32_e64 v27, null, v16, v11, vcc_lo
	s_mov_b32 s1, 0
	global_load_b64 v[28:29], v[26:27], off
	s_wait_loadcnt 0x0
	v_mul_f32_e32 v17, s21, v29
	v_mul_f32_e32 v29, s20, v29
	s_delay_alu instid0(VALU_DEP_2) | instskip(NEXT) | instid1(VALU_DEP_1)
	v_fma_f32 v17, v28, s20, -v17
	v_dual_fmac_f32 v29, s21, v28 :: v_dual_add_f32 v28, v14, v17
	s_delay_alu instid0(VALU_DEP_1)
	v_add_f32_e32 v29, v15, v29
	global_store_b64 v[26:27], v[28:29], off
.LBB102_32:                             ;   in Loop: Header=BB102_8 Depth=1
	s_wait_alu 0xfffe
	s_and_not1_b32 vcc_lo, exec_lo, s1
	s_wait_alu 0xfffe
	s_cbranch_vccnz .LBB102_34
; %bb.33:                               ;   in Loop: Header=BB102_8 Depth=1
	v_add_co_u32 v26, vcc_lo, v1, v10
	s_wait_alu 0xfffd
	v_add_co_ci_u32_e64 v27, null, v16, v11, vcc_lo
	global_store_b64 v[26:27], v[14:15], off
.LBB102_34:                             ;   in Loop: Header=BB102_8 Depth=1
	s_wait_alu 0xfffe
	s_or_b32 exec_lo, exec_lo, s0
	s_and_saveexec_b32 s0, s4
	s_cbranch_execz .LBB102_7
; %bb.35:                               ;   in Loop: Header=BB102_8 Depth=1
	v_mul_f32_e32 v15, s6, v24
	v_mul_f32_e32 v14, s7, v24
	s_and_not1_b32 vcc_lo, exec_lo, s11
	s_mov_b32 s1, -1
	s_delay_alu instid0(VALU_DEP_2) | instskip(NEXT) | instid1(VALU_DEP_2)
	v_fmac_f32_e32 v15, s7, v25
	v_fma_f32 v14, v25, s6, -v14
	s_wait_alu 0xfffe
	s_cbranch_vccnz .LBB102_37
; %bb.36:                               ;   in Loop: Header=BB102_8 Depth=1
	v_add_co_u32 v24, vcc_lo, v1, v12
	s_wait_alu 0xfffd
	v_add_co_ci_u32_e64 v25, null, v16, v13, vcc_lo
	s_mov_b32 s1, 0
	global_load_b64 v[26:27], v[24:25], off
	s_wait_loadcnt 0x0
	v_mul_f32_e32 v17, s21, v27
	s_delay_alu instid0(VALU_DEP_1) | instskip(SKIP_1) | instid1(VALU_DEP_1)
	v_fma_f32 v17, v26, s20, -v17
	v_mul_f32_e32 v27, s20, v27
	v_dual_fmac_f32 v27, s21, v26 :: v_dual_add_f32 v26, v14, v17
	s_delay_alu instid0(VALU_DEP_1)
	v_add_f32_e32 v27, v15, v27
	global_store_b64 v[24:25], v[26:27], off
.LBB102_37:                             ;   in Loop: Header=BB102_8 Depth=1
	s_wait_alu 0xfffe
	s_and_not1_b32 vcc_lo, exec_lo, s1
	s_wait_alu 0xfffe
	s_cbranch_vccnz .LBB102_7
; %bb.38:                               ;   in Loop: Header=BB102_8 Depth=1
	v_add_co_u32 v24, vcc_lo, v1, v12
	s_wait_alu 0xfffd
	v_add_co_ci_u32_e64 v25, null, v16, v13, vcc_lo
	global_store_b64 v[24:25], v[14:15], off
	s_branch .LBB102_7
.LBB102_39:
	s_endpgm
	.section	.rodata,"a",@progbits
	.p2align	6, 0x0
	.amdhsa_kernel _ZL29rocblas_internal_gemmt_kernelIiLi16ELi32ELi8ELc84ELc78ELc76ELb0ELb0E19rocblas_complex_numIfES1_PKS1_PS1_EviT_T9_T10_S5_lS7_S5_lS6_T11_S5_li
		.amdhsa_group_segment_fixed_size 4096
		.amdhsa_private_segment_fixed_size 0
		.amdhsa_kernarg_size 100
		.amdhsa_user_sgpr_count 2
		.amdhsa_user_sgpr_dispatch_ptr 0
		.amdhsa_user_sgpr_queue_ptr 0
		.amdhsa_user_sgpr_kernarg_segment_ptr 1
		.amdhsa_user_sgpr_dispatch_id 0
		.amdhsa_user_sgpr_private_segment_size 0
		.amdhsa_wavefront_size32 1
		.amdhsa_uses_dynamic_stack 0
		.amdhsa_enable_private_segment 0
		.amdhsa_system_sgpr_workgroup_id_x 1
		.amdhsa_system_sgpr_workgroup_id_y 1
		.amdhsa_system_sgpr_workgroup_id_z 1
		.amdhsa_system_sgpr_workgroup_info 0
		.amdhsa_system_vgpr_workitem_id 1
		.amdhsa_next_free_vgpr 69
		.amdhsa_next_free_sgpr 34
		.amdhsa_reserve_vcc 1
		.amdhsa_float_round_mode_32 0
		.amdhsa_float_round_mode_16_64 0
		.amdhsa_float_denorm_mode_32 3
		.amdhsa_float_denorm_mode_16_64 3
		.amdhsa_fp16_overflow 0
		.amdhsa_workgroup_processor_mode 1
		.amdhsa_memory_ordered 1
		.amdhsa_forward_progress 1
		.amdhsa_inst_pref_size 25
		.amdhsa_round_robin_scheduling 0
		.amdhsa_exception_fp_ieee_invalid_op 0
		.amdhsa_exception_fp_denorm_src 0
		.amdhsa_exception_fp_ieee_div_zero 0
		.amdhsa_exception_fp_ieee_overflow 0
		.amdhsa_exception_fp_ieee_underflow 0
		.amdhsa_exception_fp_ieee_inexact 0
		.amdhsa_exception_int_div_zero 0
	.end_amdhsa_kernel
	.section	.text._ZL29rocblas_internal_gemmt_kernelIiLi16ELi32ELi8ELc84ELc78ELc76ELb0ELb0E19rocblas_complex_numIfES1_PKS1_PS1_EviT_T9_T10_S5_lS7_S5_lS6_T11_S5_li,"axG",@progbits,_ZL29rocblas_internal_gemmt_kernelIiLi16ELi32ELi8ELc84ELc78ELc76ELb0ELb0E19rocblas_complex_numIfES1_PKS1_PS1_EviT_T9_T10_S5_lS7_S5_lS6_T11_S5_li,comdat
.Lfunc_end102:
	.size	_ZL29rocblas_internal_gemmt_kernelIiLi16ELi32ELi8ELc84ELc78ELc76ELb0ELb0E19rocblas_complex_numIfES1_PKS1_PS1_EviT_T9_T10_S5_lS7_S5_lS6_T11_S5_li, .Lfunc_end102-_ZL29rocblas_internal_gemmt_kernelIiLi16ELi32ELi8ELc84ELc78ELc76ELb0ELb0E19rocblas_complex_numIfES1_PKS1_PS1_EviT_T9_T10_S5_lS7_S5_lS6_T11_S5_li
                                        ; -- End function
	.set _ZL29rocblas_internal_gemmt_kernelIiLi16ELi32ELi8ELc84ELc78ELc76ELb0ELb0E19rocblas_complex_numIfES1_PKS1_PS1_EviT_T9_T10_S5_lS7_S5_lS6_T11_S5_li.num_vgpr, 69
	.set _ZL29rocblas_internal_gemmt_kernelIiLi16ELi32ELi8ELc84ELc78ELc76ELb0ELb0E19rocblas_complex_numIfES1_PKS1_PS1_EviT_T9_T10_S5_lS7_S5_lS6_T11_S5_li.num_agpr, 0
	.set _ZL29rocblas_internal_gemmt_kernelIiLi16ELi32ELi8ELc84ELc78ELc76ELb0ELb0E19rocblas_complex_numIfES1_PKS1_PS1_EviT_T9_T10_S5_lS7_S5_lS6_T11_S5_li.numbered_sgpr, 34
	.set _ZL29rocblas_internal_gemmt_kernelIiLi16ELi32ELi8ELc84ELc78ELc76ELb0ELb0E19rocblas_complex_numIfES1_PKS1_PS1_EviT_T9_T10_S5_lS7_S5_lS6_T11_S5_li.num_named_barrier, 0
	.set _ZL29rocblas_internal_gemmt_kernelIiLi16ELi32ELi8ELc84ELc78ELc76ELb0ELb0E19rocblas_complex_numIfES1_PKS1_PS1_EviT_T9_T10_S5_lS7_S5_lS6_T11_S5_li.private_seg_size, 0
	.set _ZL29rocblas_internal_gemmt_kernelIiLi16ELi32ELi8ELc84ELc78ELc76ELb0ELb0E19rocblas_complex_numIfES1_PKS1_PS1_EviT_T9_T10_S5_lS7_S5_lS6_T11_S5_li.uses_vcc, 1
	.set _ZL29rocblas_internal_gemmt_kernelIiLi16ELi32ELi8ELc84ELc78ELc76ELb0ELb0E19rocblas_complex_numIfES1_PKS1_PS1_EviT_T9_T10_S5_lS7_S5_lS6_T11_S5_li.uses_flat_scratch, 0
	.set _ZL29rocblas_internal_gemmt_kernelIiLi16ELi32ELi8ELc84ELc78ELc76ELb0ELb0E19rocblas_complex_numIfES1_PKS1_PS1_EviT_T9_T10_S5_lS7_S5_lS6_T11_S5_li.has_dyn_sized_stack, 0
	.set _ZL29rocblas_internal_gemmt_kernelIiLi16ELi32ELi8ELc84ELc78ELc76ELb0ELb0E19rocblas_complex_numIfES1_PKS1_PS1_EviT_T9_T10_S5_lS7_S5_lS6_T11_S5_li.has_recursion, 0
	.set _ZL29rocblas_internal_gemmt_kernelIiLi16ELi32ELi8ELc84ELc78ELc76ELb0ELb0E19rocblas_complex_numIfES1_PKS1_PS1_EviT_T9_T10_S5_lS7_S5_lS6_T11_S5_li.has_indirect_call, 0
	.section	.AMDGPU.csdata,"",@progbits
; Kernel info:
; codeLenInByte = 3088
; TotalNumSgprs: 36
; NumVgprs: 69
; ScratchSize: 0
; MemoryBound: 1
; FloatMode: 240
; IeeeMode: 1
; LDSByteSize: 4096 bytes/workgroup (compile time only)
; SGPRBlocks: 0
; VGPRBlocks: 8
; NumSGPRsForWavesPerEU: 36
; NumVGPRsForWavesPerEU: 69
; Occupancy: 16
; WaveLimiterHint : 0
; COMPUTE_PGM_RSRC2:SCRATCH_EN: 0
; COMPUTE_PGM_RSRC2:USER_SGPR: 2
; COMPUTE_PGM_RSRC2:TRAP_HANDLER: 0
; COMPUTE_PGM_RSRC2:TGID_X_EN: 1
; COMPUTE_PGM_RSRC2:TGID_Y_EN: 1
; COMPUTE_PGM_RSRC2:TGID_Z_EN: 1
; COMPUTE_PGM_RSRC2:TIDIG_COMP_CNT: 1
	.section	.text._ZL29rocblas_internal_gemmt_kernelIiLi16ELi32ELi8ELc84ELc84ELc76ELb0ELb0E19rocblas_complex_numIfES1_PKS1_PS1_EviT_T9_T10_S5_lS7_S5_lS6_T11_S5_li,"axG",@progbits,_ZL29rocblas_internal_gemmt_kernelIiLi16ELi32ELi8ELc84ELc84ELc76ELb0ELb0E19rocblas_complex_numIfES1_PKS1_PS1_EviT_T9_T10_S5_lS7_S5_lS6_T11_S5_li,comdat
	.globl	_ZL29rocblas_internal_gemmt_kernelIiLi16ELi32ELi8ELc84ELc84ELc76ELb0ELb0E19rocblas_complex_numIfES1_PKS1_PS1_EviT_T9_T10_S5_lS7_S5_lS6_T11_S5_li ; -- Begin function _ZL29rocblas_internal_gemmt_kernelIiLi16ELi32ELi8ELc84ELc84ELc76ELb0ELb0E19rocblas_complex_numIfES1_PKS1_PS1_EviT_T9_T10_S5_lS7_S5_lS6_T11_S5_li
	.p2align	8
	.type	_ZL29rocblas_internal_gemmt_kernelIiLi16ELi32ELi8ELc84ELc84ELc76ELb0ELb0E19rocblas_complex_numIfES1_PKS1_PS1_EviT_T9_T10_S5_lS7_S5_lS6_T11_S5_li,@function
_ZL29rocblas_internal_gemmt_kernelIiLi16ELi32ELi8ELc84ELc84ELc76ELb0ELb0E19rocblas_complex_numIfES1_PKS1_PS1_EviT_T9_T10_S5_lS7_S5_lS6_T11_S5_li: ; @_ZL29rocblas_internal_gemmt_kernelIiLi16ELi32ELi8ELc84ELc84ELc76ELb0ELb0E19rocblas_complex_numIfES1_PKS1_PS1_EviT_T9_T10_S5_lS7_S5_lS6_T11_S5_li
; %bb.0:
	s_clause 0x1
	s_load_b64 s[20:21], s[0:1], 0x40
	s_load_b128 s[4:7], s[0:1], 0x0
	s_wait_kmcnt 0x0
	s_cmp_eq_f32 s20, 1.0
	s_cselect_b32 s2, -1, 0
	s_and_b32 s3, s21, 0x7fffffff
	s_delay_alu instid0(SALU_CYCLE_1) | instskip(SKIP_1) | instid1(SALU_CYCLE_1)
	s_cmp_eq_u32 s3, 0
	s_cselect_b32 s3, -1, 0
	s_and_b32 s8, s2, s3
	s_mov_b32 s2, 0
	s_and_not1_b32 vcc_lo, exec_lo, s8
	s_mov_b32 s8, -1
	s_cbranch_vccnz .LBB103_4
; %bb.1:
	s_cmp_lg_u32 s5, 0
	s_cbranch_scc0 .LBB103_3
; %bb.2:
	s_cmp_neq_f32 s6, 0
	s_cselect_b32 s2, -1, 0
	s_cmp_neq_f32 s7, 0
	s_cselect_b32 s8, -1, 0
	s_delay_alu instid0(SALU_CYCLE_1)
	s_or_b32 s2, s2, s8
.LBB103_3:
	s_delay_alu instid0(SALU_CYCLE_1)
	s_mov_b32 s8, s2
.LBB103_4:
	s_delay_alu instid0(SALU_CYCLE_1)
	s_and_b32 vcc_lo, exec_lo, s8
	s_cbranch_vccz .LBB103_39
; %bb.5:
	s_load_b32 s15, s[0:1], 0x60
	s_lshr_b32 s22, ttmp7, 16
	s_wait_kmcnt 0x0
	s_cmp_ge_u32 s22, s15
	s_cbranch_scc1 .LBB103_39
; %bb.6:
	s_load_b32 s26, s[0:1], 0x30
	v_and_b32_e32 v1, 0x3ff, v0
	v_bfe_u32 v2, v0, 10, 10
	v_and_b32_e32 v18, 7, v0
	s_clause 0x4
	s_load_b96 s[16:18], s[0:1], 0x10
	s_load_b128 s[8:11], s[0:1], 0x20
	s_load_b64 s[28:29], s[0:1], 0x38
	s_load_b96 s[12:14], s[0:1], 0x48
	s_load_b64 s[24:25], s[0:1], 0x58
	s_lshl_b32 s1, ttmp7, 5
	s_lshl_b32 s0, ttmp9, 5
	v_lshl_add_u32 v0, v2, 4, v1
	s_and_b32 s1, s1, 0x1fffe0
	v_lshlrev_b32_e32 v3, 3, v18
	v_add_nc_u32_e32 v10, s0, v1
	v_add_nc_u32_e32 v4, s1, v2
	v_and_b32_e32 v5, 31, v0
	v_lshrrev_b32_e32 v19, 5, v0
	v_lshrrev_b32_e32 v0, 3, v0
	v_cmp_gt_i32_e64 s2, s4, v10
	v_add_nc_u32_e32 v12, 16, v10
	v_or_b32_e32 v8, s0, v5
	v_lshlrev_b32_e32 v22, 3, v1
	v_add_nc_u32_e32 v14, s1, v0
	s_wait_kmcnt 0x0
	s_ashr_i32 s27, s26, 31
	s_cmp_neq_f32 s6, 0
	v_lshl_or_b32 v0, v0, 6, v3
	v_lshl_add_u32 v23, v2, 6, 0x800
	v_add_nc_u32_e32 v2, 16, v4
	s_cselect_b32 s0, -1, 0
	s_cmp_neq_f32 s7, 0
	v_add_nc_u32_e32 v21, 0x800, v0
	v_mad_co_i64_i32 v[0:1], null, s18, v8, 0
	s_cselect_b32 s1, -1, 0
	v_lshlrev_b32_e32 v5, 3, v5
	s_wait_alu 0xfffe
	s_or_b32 s30, s0, s1
	s_cmp_gt_i32 s5, 0
	v_cmp_le_i32_e64 s1, v4, v10
	s_cselect_b32 s31, -1, 0
	s_cmp_neq_f32 s20, 0
	v_mad_co_i64_i32 v[6:7], null, v4, s14, 0
	v_cmp_gt_i32_e32 vcc_lo, s4, v8
	s_cselect_b32 s33, -1, 0
	s_xor_b32 s34, s3, -1
	s_and_b32 s19, s1, s2
	v_cmp_le_i32_e64 s1, v4, v12
	v_cmp_gt_i32_e64 s3, s4, v12
	v_mad_co_i64_i32 v[3:4], null, s26, v18, 0
	v_cmp_gt_i32_e64 s0, s4, v14
	v_mad_co_i64_i32 v[8:9], null, v2, s14, 0
	s_and_b32 s18, s1, s3
	v_cmp_le_i32_e64 s1, v2, v10
	v_cmp_le_i32_e64 s4, v2, v12
	v_lshlrev_b64_e32 v[1:2], 3, v[0:1]
	v_lshl_or_b32 v20, v19, 8, v5
	v_lshlrev_b32_e32 v5, 3, v19
	s_and_b32 s14, s1, s2
	v_lshlrev_b32_e32 v14, 3, v14
	v_ashrrev_i32_e32 v11, 31, v10
	v_ashrrev_i32_e32 v13, 31, v12
	v_add_co_u32 v1, s1, v1, v5
	v_lshlrev_b64_e32 v[4:5], 3, v[3:4]
	s_wait_alu 0xf1ff
	v_add_co_ci_u32_e64 v15, null, 0, v2, s1
	s_delay_alu instid0(VALU_DEP_3) | instskip(SKIP_2) | instid1(VALU_DEP_3)
	v_add_co_u32 v2, s1, s16, v1
	v_lshlrev_b64_e32 v[6:7], 3, v[6:7]
	s_wait_alu 0xf1ff
	v_add_co_ci_u32_e64 v3, null, s17, v15, s1
	v_add_co_u32 v1, s1, v4, v14
	s_wait_alu 0xf1ff
	v_add_co_ci_u32_e64 v5, null, 0, v5, s1
	v_lshlrev_b64_e32 v[8:9], 3, v[8:9]
	s_delay_alu instid0(VALU_DEP_3)
	v_add_co_u32 v4, s1, s10, v1
	v_lshlrev_b64_e32 v[10:11], 3, v[10:11]
	v_lshlrev_b64_e32 v[12:13], 3, v[12:13]
	v_mov_b32_e32 v0, 0
	s_wait_alu 0xf1ff
	v_add_co_ci_u32_e64 v5, null, s11, v5, s1
	s_mov_b32 s23, 0
	s_and_b32 s4, s4, s3
	s_lshl_b64 s[2:3], s[8:9], 3
	s_lshl_b64 s[8:9], s[28:29], 3
	s_and_b32 s16, s30, s31
	s_or_b32 s17, s33, s34
	s_lshl_b64 s[10:11], s[26:27], 6
	s_xor_b32 s26, vcc_lo, -1
	s_xor_b32 s27, s0, -1
	s_branch .LBB103_8
.LBB103_7:                              ;   in Loop: Header=BB103_8 Depth=1
	s_wait_alu 0xfffe
	s_or_b32 exec_lo, exec_lo, s0
	s_add_co_i32 s22, s22, 0x10000
	s_wait_alu 0xfffe
	s_cmp_lt_u32 s22, s15
	s_cbranch_scc0 .LBB103_39
.LBB103_8:                              ; =>This Loop Header: Depth=1
                                        ;     Child Loop BB103_11 Depth 2
	v_dual_mov_b32 v30, v0 :: v_dual_mov_b32 v31, v0
	v_dual_mov_b32 v28, v0 :: v_dual_mov_b32 v29, v0
	;; [unrolled: 1-line block ×4, first 2 shown]
	s_wait_alu 0xfffe
	s_and_not1_b32 vcc_lo, exec_lo, s16
	s_wait_alu 0xfffe
	s_cbranch_vccnz .LBB103_19
; %bb.9:                                ;   in Loop: Header=BB103_8 Depth=1
	v_mad_co_u64_u32 v[14:15], null, s2, s22, v[2:3]
	v_mad_co_u64_u32 v[16:17], null, s8, s22, v[4:5]
	v_dual_mov_b32 v25, 0 :: v_dual_mov_b32 v28, 0
	v_mov_b32_e32 v27, 0
	v_mov_b32_e32 v29, 0
	v_dual_mov_b32 v1, v15 :: v_dual_mov_b32 v24, 0
	v_dual_mov_b32 v15, v17 :: v_dual_mov_b32 v26, 0
	s_mov_b32 s0, 0
	s_delay_alu instid0(VALU_DEP_2) | instskip(NEXT) | instid1(VALU_DEP_2)
	v_mad_co_u64_u32 v[30:31], null, s3, s22, v[1:2]
	v_mad_co_u64_u32 v[32:33], null, s9, s22, v[15:16]
	v_mov_b32_e32 v31, 0
	s_delay_alu instid0(VALU_DEP_3) | instskip(NEXT) | instid1(VALU_DEP_3)
	v_dual_mov_b32 v15, v30 :: v_dual_mov_b32 v30, 0
	v_mov_b32_e32 v17, v32
	s_branch .LBB103_11
.LBB103_10:                             ;   in Loop: Header=BB103_11 Depth=2
	s_wait_alu 0xfffe
	s_or_b32 exec_lo, exec_lo, s1
	s_wait_dscnt 0x0
	s_barrier_signal -1
	s_barrier_wait -1
	global_inv scope:SCOPE_SE
	ds_load_b128 v[32:35], v23
	ds_load_2addr_b64 v[36:39], v22 offset1:16
	ds_load_b128 v[40:43], v23 offset:1024
	ds_load_b128 v[44:47], v23 offset:16
	;; [unrolled: 1-line block ×4, first 2 shown]
	ds_load_2addr_b64 v[56:59], v22 offset0:32 offset1:48
	ds_load_b128 v[60:63], v23 offset:1040
	v_add_co_u32 v14, vcc_lo, v14, 64
	s_wait_alu 0xfffd
	v_add_co_ci_u32_e64 v15, null, 0, v15, vcc_lo
	v_add_co_u32 v16, vcc_lo, v16, s10
	s_wait_alu 0xfffd
	v_add_co_ci_u32_e64 v17, null, s11, v17, vcc_lo
	s_add_co_i32 s0, s0, 8
	s_wait_alu 0xfffe
	s_cmp_lt_i32 s0, s5
	s_wait_dscnt 0x6
	v_dual_mul_f32 v1, v33, v37 :: v_dual_mul_f32 v66, v32, v39
	v_dual_mul_f32 v64, v32, v37 :: v_dual_mul_f32 v65, v33, v39
	s_wait_dscnt 0x5
	v_mul_f32_e32 v68, v41, v39
	s_delay_alu instid0(VALU_DEP_3) | instskip(SKIP_3) | instid1(VALU_DEP_4)
	v_fma_f32 v1, v32, v36, -v1
	v_dual_mul_f32 v39, v40, v39 :: v_dual_fmac_f32 v66, v33, v38
	v_fmac_f32_e32 v64, v33, v36
	v_fma_f32 v32, v32, v38, -v65
	v_add_f32_e32 v1, v30, v1
	v_mul_f32_e32 v67, v41, v37
	s_delay_alu instid0(VALU_DEP_4) | instskip(NEXT) | instid1(VALU_DEP_4)
	v_dual_mul_f32 v37, v40, v37 :: v_dual_add_f32 v30, v31, v64
	v_add_f32_e32 v31, v28, v32
	v_fmac_f32_e32 v39, v41, v38
	s_delay_alu instid0(VALU_DEP_4) | instskip(NEXT) | instid1(VALU_DEP_4)
	v_fma_f32 v33, v40, v36, -v67
	v_fmac_f32_e32 v37, v41, v36
	v_fma_f32 v36, v40, v38, -v68
	s_wait_dscnt 0x1
	v_dual_mul_f32 v38, v34, v57 :: v_dual_add_f32 v29, v29, v66
	v_mul_f32_e32 v40, v35, v59
	v_add_f32_e32 v32, v26, v33
	v_dual_add_f32 v33, v27, v37 :: v_dual_add_f32 v36, v25, v36
	ds_load_2addr_b64 v[25:28], v22 offset0:64 offset1:80
	v_fmac_f32_e32 v38, v35, v56
	v_dual_mul_f32 v37, v35, v57 :: v_dual_add_f32 v24, v24, v39
	v_mul_f32_e32 v39, v34, v59
	s_delay_alu instid0(VALU_DEP_3) | instskip(NEXT) | instid1(VALU_DEP_3)
	v_add_f32_e32 v38, v30, v38
	v_fma_f32 v37, v34, v56, -v37
	v_fma_f32 v34, v34, v58, -v40
	v_mul_f32_e32 v30, v42, v57
	s_delay_alu instid0(VALU_DEP_3) | instskip(SKIP_1) | instid1(VALU_DEP_4)
	v_add_f32_e32 v1, v1, v37
	v_mul_f32_e32 v37, v43, v57
	v_add_f32_e32 v34, v31, v34
	v_fmac_f32_e32 v39, v35, v58
	v_mul_f32_e32 v35, v43, v59
	v_fmac_f32_e32 v30, v43, v56
	v_fma_f32 v31, v42, v56, -v37
	s_delay_alu instid0(VALU_DEP_4) | instskip(SKIP_4) | instid1(VALU_DEP_3)
	v_add_f32_e32 v37, v29, v39
	v_mul_f32_e32 v39, v42, v59
	v_fma_f32 v29, v42, v58, -v35
	s_wait_dscnt 0x0
	v_dual_add_f32 v40, v32, v31 :: v_dual_mul_f32 v31, v45, v26
	v_dual_mul_f32 v42, v45, v28 :: v_dual_fmac_f32 v39, v43, v58
	v_mul_f32_e32 v35, v44, v26
	v_add_f32_e32 v36, v36, v29
	s_delay_alu instid0(VALU_DEP_3) | instskip(SKIP_3) | instid1(VALU_DEP_3)
	v_add_f32_e32 v39, v24, v39
	v_mul_f32_e32 v24, v44, v28
	v_fma_f32 v41, v44, v25, -v31
	v_fmac_f32_e32 v35, v45, v25
	v_fmac_f32_e32 v24, v45, v27
	s_delay_alu instid0(VALU_DEP_3)
	v_add_f32_e32 v1, v1, v41
	v_fma_f32 v41, v44, v27, -v42
	v_add_f32_e32 v33, v33, v30
	ds_load_2addr_b64 v[29:32], v22 offset0:96 offset1:112
	v_dual_add_f32 v35, v38, v35 :: v_dual_mul_f32 v38, v61, v26
	v_mul_f32_e32 v26, v60, v26
	v_dual_add_f32 v34, v34, v41 :: v_dual_mul_f32 v41, v61, v28
	v_mul_f32_e32 v28, v60, v28
	s_delay_alu instid0(VALU_DEP_4) | instskip(NEXT) | instid1(VALU_DEP_4)
	v_fma_f32 v38, v60, v25, -v38
	v_fmac_f32_e32 v26, v61, v25
	v_add_f32_e32 v37, v37, v24
	v_fma_f32 v24, v60, v27, -v41
	v_fmac_f32_e32 v28, v61, v27
	v_add_f32_e32 v38, v40, v38
	s_delay_alu instid0(VALU_DEP_3) | instskip(SKIP_4) | instid1(VALU_DEP_2)
	v_dual_add_f32 v40, v33, v26 :: v_dual_add_f32 v41, v36, v24
	ds_load_2addr_b64 v[24:27], v22 offset0:128 offset1:144
	s_wait_dscnt 0x1
	v_mul_f32_e32 v33, v47, v30
	v_dual_mul_f32 v36, v46, v30 :: v_dual_mul_f32 v45, v63, v32
	v_fma_f32 v33, v46, v29, -v33
	v_mul_f32_e32 v42, v47, v32
	s_delay_alu instid0(VALU_DEP_3) | instskip(NEXT) | instid1(VALU_DEP_3)
	v_fmac_f32_e32 v36, v47, v29
	v_add_f32_e32 v1, v1, v33
	s_delay_alu instid0(VALU_DEP_3) | instskip(SKIP_3) | instid1(VALU_DEP_4)
	v_fma_f32 v42, v46, v31, -v42
	v_add_f32_e32 v39, v39, v28
	v_dual_mul_f32 v28, v46, v32 :: v_dual_mul_f32 v33, v63, v30
	v_dual_add_f32 v43, v35, v36 :: v_dual_mul_f32 v30, v62, v30
	v_add_f32_e32 v42, v34, v42
	s_delay_alu instid0(VALU_DEP_3) | instskip(NEXT) | instid1(VALU_DEP_4)
	v_fmac_f32_e32 v28, v47, v31
	v_fma_f32 v44, v62, v29, -v33
	ds_load_b128 v[33:36], v23 offset:1056
	v_fmac_f32_e32 v30, v63, v29
	s_wait_dscnt 0x1
	v_mul_f32_e32 v29, v49, v25
	v_add_f32_e32 v46, v37, v28
	v_dual_mul_f32 v32, v62, v32 :: v_dual_mul_f32 v47, v48, v25
	v_mul_f32_e32 v56, v48, v27
	s_delay_alu instid0(VALU_DEP_4)
	v_fma_f32 v37, v48, v24, -v29
	v_add_f32_e32 v44, v38, v44
	v_mul_f32_e32 v38, v49, v27
	v_fma_f32 v28, v62, v31, -v45
	v_dual_fmac_f32 v32, v63, v31 :: v_dual_fmac_f32 v47, v49, v24
	v_add_f32_e32 v1, v1, v37
	s_delay_alu instid0(VALU_DEP_4) | instskip(NEXT) | instid1(VALU_DEP_4)
	v_fma_f32 v48, v48, v26, -v38
	v_add_f32_e32 v41, v41, v28
	v_add_f32_e32 v45, v40, v30
	ds_load_2addr_b64 v[28:31], v22 offset0:160 offset1:176
	v_add_f32_e32 v32, v39, v32
	ds_load_b128 v[37:40], v23 offset:1072
	s_wait_dscnt 0x2
	v_mul_f32_e32 v57, v34, v25
	v_dual_mul_f32 v25, v33, v25 :: v_dual_add_f32 v42, v42, v48
	v_mul_f32_e32 v48, v34, v27
	v_dual_add_f32 v43, v43, v47 :: v_dual_fmac_f32 v56, v49, v26
	s_delay_alu instid0(VALU_DEP_4) | instskip(NEXT) | instid1(VALU_DEP_4)
	v_fma_f32 v47, v33, v24, -v57
	v_fmac_f32_e32 v25, v34, v24
	v_mul_f32_e32 v49, v33, v27
	s_delay_alu instid0(VALU_DEP_3) | instskip(SKIP_1) | instid1(VALU_DEP_3)
	v_add_f32_e32 v44, v44, v47
	v_add_f32_e32 v46, v46, v56
	v_fmac_f32_e32 v49, v34, v26
	s_wait_dscnt 0x1
	v_mul_f32_e32 v27, v51, v29
	v_fma_f32 v24, v33, v26, -v48
	v_add_f32_e32 v33, v45, v25
	v_mul_f32_e32 v34, v50, v29
	s_delay_alu instid0(VALU_DEP_4) | instskip(NEXT) | instid1(VALU_DEP_4)
	v_fma_f32 v45, v50, v28, -v27
	v_add_f32_e32 v41, v41, v24
	ds_load_2addr_b64 v[24:27], v22 offset0:192 offset1:208
	v_fmac_f32_e32 v34, v51, v28
	v_dual_mul_f32 v47, v51, v31 :: v_dual_add_f32 v48, v32, v49
	v_dual_add_f32 v1, v1, v45 :: v_dual_mul_f32 v32, v50, v31
	s_delay_alu instid0(VALU_DEP_3) | instskip(NEXT) | instid1(VALU_DEP_3)
	v_dual_add_f32 v43, v43, v34 :: v_dual_mul_f32 v34, v36, v29
	v_fma_f32 v45, v50, v30, -v47
	s_delay_alu instid0(VALU_DEP_3) | instskip(NEXT) | instid1(VALU_DEP_3)
	v_fmac_f32_e32 v32, v51, v30
	v_fma_f32 v34, v35, v28, -v34
	s_delay_alu instid0(VALU_DEP_3) | instskip(SKIP_1) | instid1(VALU_DEP_3)
	v_dual_add_f32 v42, v42, v45 :: v_dual_mul_f32 v45, v36, v31
	v_mul_f32_e32 v29, v35, v29
	v_dual_mul_f32 v31, v35, v31 :: v_dual_add_f32 v44, v44, v34
	s_delay_alu instid0(VALU_DEP_2) | instskip(SKIP_2) | instid1(VALU_DEP_4)
	v_fmac_f32_e32 v29, v36, v28
	v_add_f32_e32 v28, v46, v32
	v_fma_f32 v32, v35, v30, -v45
	v_fmac_f32_e32 v31, v36, v30
	s_wait_dscnt 0x0
	v_mul_f32_e32 v36, v52, v25
	v_dual_add_f32 v29, v33, v29 :: v_dual_mul_f32 v46, v52, v27
	v_add_f32_e32 v30, v41, v32
	ds_load_2addr_b64 v[32:35], v22 offset0:224 offset1:240
	v_dual_add_f32 v31, v48, v31 :: v_dual_fmac_f32 v36, v53, v24
	v_mul_f32_e32 v45, v53, v25
	v_fmac_f32_e32 v46, v53, v26
	s_wait_loadcnt_dscnt 0x0
	s_barrier_signal -1
	v_add_f32_e32 v36, v43, v36
	v_fma_f32 v41, v52, v24, -v45
	v_mul_f32_e32 v45, v53, v27
	v_mul_f32_e32 v43, v38, v27
	;; [unrolled: 1-line block ×3, first 2 shown]
	s_barrier_wait -1
	global_inv scope:SCOPE_SE
	v_fma_f32 v45, v52, v26, -v45
	v_fmac_f32_e32 v27, v38, v26
	s_delay_alu instid0(VALU_DEP_2) | instskip(SKIP_4) | instid1(VALU_DEP_1)
	v_dual_add_f32 v42, v42, v45 :: v_dual_add_f32 v45, v28, v46
	v_fma_f32 v28, v37, v26, -v43
	v_add_f32_e32 v1, v1, v41
	v_mul_f32_e32 v41, v38, v25
	v_mul_f32_e32 v25, v37, v25
	v_fmac_f32_e32 v25, v38, v24
	v_add_f32_e32 v38, v30, v28
	v_mul_f32_e32 v28, v55, v35
	v_fma_f32 v41, v37, v24, -v41
	v_mul_f32_e32 v37, v55, v33
	s_delay_alu instid0(VALU_DEP_2) | instskip(NEXT) | instid1(VALU_DEP_2)
	v_add_f32_e32 v24, v44, v41
	v_fma_f32 v26, v54, v32, -v37
	v_add_f32_e32 v25, v29, v25
	s_delay_alu instid0(VALU_DEP_2) | instskip(SKIP_1) | instid1(VALU_DEP_2)
	v_dual_mul_f32 v29, v54, v35 :: v_dual_add_f32 v30, v1, v26
	v_fma_f32 v1, v54, v34, -v28
	v_dual_mul_f32 v26, v40, v33 :: v_dual_fmac_f32 v29, v55, v34
	s_delay_alu instid0(VALU_DEP_2) | instskip(NEXT) | instid1(VALU_DEP_2)
	v_add_f32_e32 v28, v42, v1
	v_fma_f32 v1, v39, v32, -v26
	s_delay_alu instid0(VALU_DEP_3) | instskip(NEXT) | instid1(VALU_DEP_2)
	v_add_f32_e32 v29, v45, v29
	v_dual_add_f32 v26, v24, v1 :: v_dual_add_f32 v37, v31, v27
	v_mul_f32_e32 v41, v54, v33
	v_mul_f32_e32 v27, v39, v33
	v_mul_f32_e32 v33, v40, v35
	v_mul_f32_e32 v35, v39, v35
	s_delay_alu instid0(VALU_DEP_3) | instskip(NEXT) | instid1(VALU_DEP_2)
	v_fmac_f32_e32 v27, v40, v32
	v_fmac_f32_e32 v35, v40, v34
	s_delay_alu instid0(VALU_DEP_2) | instskip(NEXT) | instid1(VALU_DEP_2)
	v_add_f32_e32 v27, v25, v27
	v_dual_add_f32 v24, v37, v35 :: v_dual_fmac_f32 v41, v55, v32
	v_fma_f32 v32, v39, v34, -v33
	s_delay_alu instid0(VALU_DEP_2) | instskip(NEXT) | instid1(VALU_DEP_2)
	v_add_f32_e32 v31, v36, v41
	v_add_f32_e32 v25, v38, v32
	s_cbranch_scc0 .LBB103_19
.LBB103_11:                             ;   Parent Loop BB103_8 Depth=1
                                        ; =>  This Inner Loop Header: Depth=2
	s_wait_alu 0xfffe
	v_add_nc_u32_e32 v1, s0, v19
	s_delay_alu instid0(VALU_DEP_1) | instskip(SKIP_3) | instid1(SALU_CYCLE_1)
	v_cmp_le_i32_e32 vcc_lo, s5, v1
	s_or_b32 s1, s26, vcc_lo
	s_wait_alu 0xfffe
	s_and_saveexec_b32 s28, s1
	s_xor_b32 s1, exec_lo, s28
; %bb.12:                               ;   in Loop: Header=BB103_11 Depth=2
	v_mov_b32_e32 v1, v0
	ds_store_b64 v20, v[0:1]
; %bb.13:                               ;   in Loop: Header=BB103_11 Depth=2
	s_wait_alu 0xfffe
	s_and_not1_saveexec_b32 s1, s1
	s_cbranch_execz .LBB103_15
; %bb.14:                               ;   in Loop: Header=BB103_11 Depth=2
	global_load_b64 v[32:33], v[14:15], off
	s_wait_loadcnt 0x0
	ds_store_b64 v20, v[32:33]
.LBB103_15:                             ;   in Loop: Header=BB103_11 Depth=2
	s_wait_alu 0xfffe
	s_or_b32 exec_lo, exec_lo, s1
	v_add_nc_u32_e32 v1, s0, v18
	s_delay_alu instid0(VALU_DEP_1) | instskip(SKIP_3) | instid1(SALU_CYCLE_1)
	v_cmp_le_i32_e32 vcc_lo, s5, v1
	s_or_b32 s1, vcc_lo, s27
	s_wait_alu 0xfffe
	s_and_saveexec_b32 s28, s1
	s_xor_b32 s1, exec_lo, s28
; %bb.16:                               ;   in Loop: Header=BB103_11 Depth=2
	v_mov_b32_e32 v1, v0
	ds_store_b64 v21, v[0:1]
; %bb.17:                               ;   in Loop: Header=BB103_11 Depth=2
	s_wait_alu 0xfffe
	s_and_not1_saveexec_b32 s1, s1
	s_cbranch_execz .LBB103_10
; %bb.18:                               ;   in Loop: Header=BB103_11 Depth=2
	global_load_b64 v[32:33], v[16:17], off
	s_wait_loadcnt 0x0
	ds_store_b64 v21, v[32:33]
	s_branch .LBB103_10
.LBB103_19:                             ;   in Loop: Header=BB103_8 Depth=1
	s_mul_u64 s[0:1], s[24:25], s[22:23]
	s_wait_alu 0xfffe
	s_lshl_b64 s[0:1], s[0:1], 3
	s_wait_alu 0xfffe
	s_add_nc_u64 s[0:1], s[12:13], s[0:1]
	s_wait_alu 0xfffe
	v_add_co_u32 v1, vcc_lo, s0, v6
	s_wait_alu 0xfffd
	v_add_co_ci_u32_e64 v16, null, s1, v7, vcc_lo
	s_and_saveexec_b32 s28, s19
	s_cbranch_execz .LBB103_24
; %bb.20:                               ;   in Loop: Header=BB103_8 Depth=1
	v_mul_f32_e32 v15, s6, v31
	v_mul_f32_e32 v14, s7, v31
	s_and_b32 vcc_lo, exec_lo, s17
	s_mov_b32 s29, -1
	s_delay_alu instid0(VALU_DEP_2) | instskip(NEXT) | instid1(VALU_DEP_2)
	v_fmac_f32_e32 v15, s7, v30
	v_fma_f32 v14, v30, s6, -v14
	s_wait_alu 0xfffe
	s_cbranch_vccz .LBB103_22
; %bb.21:                               ;   in Loop: Header=BB103_8 Depth=1
	v_add_co_u32 v30, vcc_lo, v1, v10
	s_wait_alu 0xfffd
	v_add_co_ci_u32_e64 v31, null, v16, v11, vcc_lo
	s_mov_b32 s29, 0
	global_load_b64 v[32:33], v[30:31], off
	s_wait_loadcnt 0x0
	v_mul_f32_e32 v17, s21, v33
	v_mul_f32_e32 v33, s20, v33
	s_delay_alu instid0(VALU_DEP_2) | instskip(NEXT) | instid1(VALU_DEP_1)
	v_fma_f32 v17, v32, s20, -v17
	v_dual_fmac_f32 v33, s21, v32 :: v_dual_add_f32 v32, v14, v17
	s_delay_alu instid0(VALU_DEP_1)
	v_add_f32_e32 v33, v15, v33
	global_store_b64 v[30:31], v[32:33], off
.LBB103_22:                             ;   in Loop: Header=BB103_8 Depth=1
	s_and_not1_b32 vcc_lo, exec_lo, s29
	s_wait_alu 0xfffe
	s_cbranch_vccnz .LBB103_24
; %bb.23:                               ;   in Loop: Header=BB103_8 Depth=1
	v_add_co_u32 v30, vcc_lo, v1, v10
	s_wait_alu 0xfffd
	v_add_co_ci_u32_e64 v31, null, v16, v11, vcc_lo
	global_store_b64 v[30:31], v[14:15], off
.LBB103_24:                             ;   in Loop: Header=BB103_8 Depth=1
	s_or_b32 exec_lo, exec_lo, s28
	s_and_saveexec_b32 s28, s18
	s_cbranch_execz .LBB103_29
; %bb.25:                               ;   in Loop: Header=BB103_8 Depth=1
	v_mul_f32_e32 v15, s6, v29
	v_mul_f32_e32 v14, s7, v29
	s_and_not1_b32 vcc_lo, exec_lo, s17
	s_mov_b32 s29, -1
	s_delay_alu instid0(VALU_DEP_2) | instskip(NEXT) | instid1(VALU_DEP_2)
	v_fmac_f32_e32 v15, s7, v28
	v_fma_f32 v14, v28, s6, -v14
	s_wait_alu 0xfffe
	s_cbranch_vccnz .LBB103_27
; %bb.26:                               ;   in Loop: Header=BB103_8 Depth=1
	v_add_co_u32 v28, vcc_lo, v1, v12
	s_wait_alu 0xfffd
	v_add_co_ci_u32_e64 v29, null, v16, v13, vcc_lo
	s_mov_b32 s29, 0
	global_load_b64 v[30:31], v[28:29], off
	s_wait_loadcnt 0x0
	v_mul_f32_e32 v17, s21, v31
	s_delay_alu instid0(VALU_DEP_1) | instskip(SKIP_1) | instid1(VALU_DEP_1)
	v_fma_f32 v17, v30, s20, -v17
	v_mul_f32_e32 v31, s20, v31
	v_dual_fmac_f32 v31, s21, v30 :: v_dual_add_f32 v30, v14, v17
	s_delay_alu instid0(VALU_DEP_1)
	v_add_f32_e32 v31, v15, v31
	global_store_b64 v[28:29], v[30:31], off
.LBB103_27:                             ;   in Loop: Header=BB103_8 Depth=1
	s_and_not1_b32 vcc_lo, exec_lo, s29
	s_wait_alu 0xfffe
	s_cbranch_vccnz .LBB103_29
; %bb.28:                               ;   in Loop: Header=BB103_8 Depth=1
	v_add_co_u32 v28, vcc_lo, v1, v12
	s_wait_alu 0xfffd
	v_add_co_ci_u32_e64 v29, null, v16, v13, vcc_lo
	global_store_b64 v[28:29], v[14:15], off
.LBB103_29:                             ;   in Loop: Header=BB103_8 Depth=1
	s_or_b32 exec_lo, exec_lo, s28
	v_add_co_u32 v1, vcc_lo, s0, v8
	s_wait_alu 0xfffd
	v_add_co_ci_u32_e64 v16, null, s1, v9, vcc_lo
	s_and_saveexec_b32 s0, s14
	s_cbranch_execz .LBB103_34
; %bb.30:                               ;   in Loop: Header=BB103_8 Depth=1
	v_mul_f32_e32 v15, s6, v27
	v_mul_f32_e32 v14, s7, v27
	s_and_not1_b32 vcc_lo, exec_lo, s17
	s_mov_b32 s1, -1
	s_delay_alu instid0(VALU_DEP_2) | instskip(NEXT) | instid1(VALU_DEP_2)
	v_fmac_f32_e32 v15, s7, v26
	v_fma_f32 v14, v26, s6, -v14
	s_wait_alu 0xfffe
	s_cbranch_vccnz .LBB103_32
; %bb.31:                               ;   in Loop: Header=BB103_8 Depth=1
	v_add_co_u32 v26, vcc_lo, v1, v10
	s_wait_alu 0xfffd
	v_add_co_ci_u32_e64 v27, null, v16, v11, vcc_lo
	s_mov_b32 s1, 0
	global_load_b64 v[28:29], v[26:27], off
	s_wait_loadcnt 0x0
	v_mul_f32_e32 v17, s21, v29
	v_mul_f32_e32 v29, s20, v29
	s_delay_alu instid0(VALU_DEP_2) | instskip(NEXT) | instid1(VALU_DEP_1)
	v_fma_f32 v17, v28, s20, -v17
	v_dual_fmac_f32 v29, s21, v28 :: v_dual_add_f32 v28, v14, v17
	s_delay_alu instid0(VALU_DEP_1)
	v_add_f32_e32 v29, v15, v29
	global_store_b64 v[26:27], v[28:29], off
.LBB103_32:                             ;   in Loop: Header=BB103_8 Depth=1
	s_wait_alu 0xfffe
	s_and_not1_b32 vcc_lo, exec_lo, s1
	s_wait_alu 0xfffe
	s_cbranch_vccnz .LBB103_34
; %bb.33:                               ;   in Loop: Header=BB103_8 Depth=1
	v_add_co_u32 v26, vcc_lo, v1, v10
	s_wait_alu 0xfffd
	v_add_co_ci_u32_e64 v27, null, v16, v11, vcc_lo
	global_store_b64 v[26:27], v[14:15], off
.LBB103_34:                             ;   in Loop: Header=BB103_8 Depth=1
	s_wait_alu 0xfffe
	s_or_b32 exec_lo, exec_lo, s0
	s_and_saveexec_b32 s0, s4
	s_cbranch_execz .LBB103_7
; %bb.35:                               ;   in Loop: Header=BB103_8 Depth=1
	v_mul_f32_e32 v15, s6, v24
	v_mul_f32_e32 v14, s7, v24
	s_and_not1_b32 vcc_lo, exec_lo, s17
	s_mov_b32 s1, -1
	s_delay_alu instid0(VALU_DEP_2) | instskip(NEXT) | instid1(VALU_DEP_2)
	v_fmac_f32_e32 v15, s7, v25
	v_fma_f32 v14, v25, s6, -v14
	s_wait_alu 0xfffe
	s_cbranch_vccnz .LBB103_37
; %bb.36:                               ;   in Loop: Header=BB103_8 Depth=1
	v_add_co_u32 v24, vcc_lo, v1, v12
	s_wait_alu 0xfffd
	v_add_co_ci_u32_e64 v25, null, v16, v13, vcc_lo
	s_mov_b32 s1, 0
	global_load_b64 v[26:27], v[24:25], off
	s_wait_loadcnt 0x0
	v_mul_f32_e32 v17, s21, v27
	s_delay_alu instid0(VALU_DEP_1) | instskip(SKIP_1) | instid1(VALU_DEP_1)
	v_fma_f32 v17, v26, s20, -v17
	v_mul_f32_e32 v27, s20, v27
	v_dual_fmac_f32 v27, s21, v26 :: v_dual_add_f32 v26, v14, v17
	s_delay_alu instid0(VALU_DEP_1)
	v_add_f32_e32 v27, v15, v27
	global_store_b64 v[24:25], v[26:27], off
.LBB103_37:                             ;   in Loop: Header=BB103_8 Depth=1
	s_wait_alu 0xfffe
	s_and_not1_b32 vcc_lo, exec_lo, s1
	s_wait_alu 0xfffe
	s_cbranch_vccnz .LBB103_7
; %bb.38:                               ;   in Loop: Header=BB103_8 Depth=1
	v_add_co_u32 v24, vcc_lo, v1, v12
	s_wait_alu 0xfffd
	v_add_co_ci_u32_e64 v25, null, v16, v13, vcc_lo
	global_store_b64 v[24:25], v[14:15], off
	s_branch .LBB103_7
.LBB103_39:
	s_endpgm
	.section	.rodata,"a",@progbits
	.p2align	6, 0x0
	.amdhsa_kernel _ZL29rocblas_internal_gemmt_kernelIiLi16ELi32ELi8ELc84ELc84ELc76ELb0ELb0E19rocblas_complex_numIfES1_PKS1_PS1_EviT_T9_T10_S5_lS7_S5_lS6_T11_S5_li
		.amdhsa_group_segment_fixed_size 4096
		.amdhsa_private_segment_fixed_size 0
		.amdhsa_kernarg_size 100
		.amdhsa_user_sgpr_count 2
		.amdhsa_user_sgpr_dispatch_ptr 0
		.amdhsa_user_sgpr_queue_ptr 0
		.amdhsa_user_sgpr_kernarg_segment_ptr 1
		.amdhsa_user_sgpr_dispatch_id 0
		.amdhsa_user_sgpr_private_segment_size 0
		.amdhsa_wavefront_size32 1
		.amdhsa_uses_dynamic_stack 0
		.amdhsa_enable_private_segment 0
		.amdhsa_system_sgpr_workgroup_id_x 1
		.amdhsa_system_sgpr_workgroup_id_y 1
		.amdhsa_system_sgpr_workgroup_id_z 1
		.amdhsa_system_sgpr_workgroup_info 0
		.amdhsa_system_vgpr_workitem_id 1
		.amdhsa_next_free_vgpr 69
		.amdhsa_next_free_sgpr 35
		.amdhsa_reserve_vcc 1
		.amdhsa_float_round_mode_32 0
		.amdhsa_float_round_mode_16_64 0
		.amdhsa_float_denorm_mode_32 3
		.amdhsa_float_denorm_mode_16_64 3
		.amdhsa_fp16_overflow 0
		.amdhsa_workgroup_processor_mode 1
		.amdhsa_memory_ordered 1
		.amdhsa_forward_progress 1
		.amdhsa_inst_pref_size 25
		.amdhsa_round_robin_scheduling 0
		.amdhsa_exception_fp_ieee_invalid_op 0
		.amdhsa_exception_fp_denorm_src 0
		.amdhsa_exception_fp_ieee_div_zero 0
		.amdhsa_exception_fp_ieee_overflow 0
		.amdhsa_exception_fp_ieee_underflow 0
		.amdhsa_exception_fp_ieee_inexact 0
		.amdhsa_exception_int_div_zero 0
	.end_amdhsa_kernel
	.section	.text._ZL29rocblas_internal_gemmt_kernelIiLi16ELi32ELi8ELc84ELc84ELc76ELb0ELb0E19rocblas_complex_numIfES1_PKS1_PS1_EviT_T9_T10_S5_lS7_S5_lS6_T11_S5_li,"axG",@progbits,_ZL29rocblas_internal_gemmt_kernelIiLi16ELi32ELi8ELc84ELc84ELc76ELb0ELb0E19rocblas_complex_numIfES1_PKS1_PS1_EviT_T9_T10_S5_lS7_S5_lS6_T11_S5_li,comdat
.Lfunc_end103:
	.size	_ZL29rocblas_internal_gemmt_kernelIiLi16ELi32ELi8ELc84ELc84ELc76ELb0ELb0E19rocblas_complex_numIfES1_PKS1_PS1_EviT_T9_T10_S5_lS7_S5_lS6_T11_S5_li, .Lfunc_end103-_ZL29rocblas_internal_gemmt_kernelIiLi16ELi32ELi8ELc84ELc84ELc76ELb0ELb0E19rocblas_complex_numIfES1_PKS1_PS1_EviT_T9_T10_S5_lS7_S5_lS6_T11_S5_li
                                        ; -- End function
	.set _ZL29rocblas_internal_gemmt_kernelIiLi16ELi32ELi8ELc84ELc84ELc76ELb0ELb0E19rocblas_complex_numIfES1_PKS1_PS1_EviT_T9_T10_S5_lS7_S5_lS6_T11_S5_li.num_vgpr, 69
	.set _ZL29rocblas_internal_gemmt_kernelIiLi16ELi32ELi8ELc84ELc84ELc76ELb0ELb0E19rocblas_complex_numIfES1_PKS1_PS1_EviT_T9_T10_S5_lS7_S5_lS6_T11_S5_li.num_agpr, 0
	.set _ZL29rocblas_internal_gemmt_kernelIiLi16ELi32ELi8ELc84ELc84ELc76ELb0ELb0E19rocblas_complex_numIfES1_PKS1_PS1_EviT_T9_T10_S5_lS7_S5_lS6_T11_S5_li.numbered_sgpr, 35
	.set _ZL29rocblas_internal_gemmt_kernelIiLi16ELi32ELi8ELc84ELc84ELc76ELb0ELb0E19rocblas_complex_numIfES1_PKS1_PS1_EviT_T9_T10_S5_lS7_S5_lS6_T11_S5_li.num_named_barrier, 0
	.set _ZL29rocblas_internal_gemmt_kernelIiLi16ELi32ELi8ELc84ELc84ELc76ELb0ELb0E19rocblas_complex_numIfES1_PKS1_PS1_EviT_T9_T10_S5_lS7_S5_lS6_T11_S5_li.private_seg_size, 0
	.set _ZL29rocblas_internal_gemmt_kernelIiLi16ELi32ELi8ELc84ELc84ELc76ELb0ELb0E19rocblas_complex_numIfES1_PKS1_PS1_EviT_T9_T10_S5_lS7_S5_lS6_T11_S5_li.uses_vcc, 1
	.set _ZL29rocblas_internal_gemmt_kernelIiLi16ELi32ELi8ELc84ELc84ELc76ELb0ELb0E19rocblas_complex_numIfES1_PKS1_PS1_EviT_T9_T10_S5_lS7_S5_lS6_T11_S5_li.uses_flat_scratch, 0
	.set _ZL29rocblas_internal_gemmt_kernelIiLi16ELi32ELi8ELc84ELc84ELc76ELb0ELb0E19rocblas_complex_numIfES1_PKS1_PS1_EviT_T9_T10_S5_lS7_S5_lS6_T11_S5_li.has_dyn_sized_stack, 0
	.set _ZL29rocblas_internal_gemmt_kernelIiLi16ELi32ELi8ELc84ELc84ELc76ELb0ELb0E19rocblas_complex_numIfES1_PKS1_PS1_EviT_T9_T10_S5_lS7_S5_lS6_T11_S5_li.has_recursion, 0
	.set _ZL29rocblas_internal_gemmt_kernelIiLi16ELi32ELi8ELc84ELc84ELc76ELb0ELb0E19rocblas_complex_numIfES1_PKS1_PS1_EviT_T9_T10_S5_lS7_S5_lS6_T11_S5_li.has_indirect_call, 0
	.section	.AMDGPU.csdata,"",@progbits
; Kernel info:
; codeLenInByte = 3104
; TotalNumSgprs: 37
; NumVgprs: 69
; ScratchSize: 0
; MemoryBound: 1
; FloatMode: 240
; IeeeMode: 1
; LDSByteSize: 4096 bytes/workgroup (compile time only)
; SGPRBlocks: 0
; VGPRBlocks: 8
; NumSGPRsForWavesPerEU: 37
; NumVGPRsForWavesPerEU: 69
; Occupancy: 16
; WaveLimiterHint : 0
; COMPUTE_PGM_RSRC2:SCRATCH_EN: 0
; COMPUTE_PGM_RSRC2:USER_SGPR: 2
; COMPUTE_PGM_RSRC2:TRAP_HANDLER: 0
; COMPUTE_PGM_RSRC2:TGID_X_EN: 1
; COMPUTE_PGM_RSRC2:TGID_Y_EN: 1
; COMPUTE_PGM_RSRC2:TGID_Z_EN: 1
; COMPUTE_PGM_RSRC2:TIDIG_COMP_CNT: 1
	.section	.text._ZL29rocblas_internal_gemmt_kernelIiLi16ELi32ELi8ELc84ELc67ELc76ELb0ELb1E19rocblas_complex_numIfES1_PKS1_PS1_EviT_T9_T10_S5_lS7_S5_lS6_T11_S5_li,"axG",@progbits,_ZL29rocblas_internal_gemmt_kernelIiLi16ELi32ELi8ELc84ELc67ELc76ELb0ELb1E19rocblas_complex_numIfES1_PKS1_PS1_EviT_T9_T10_S5_lS7_S5_lS6_T11_S5_li,comdat
	.globl	_ZL29rocblas_internal_gemmt_kernelIiLi16ELi32ELi8ELc84ELc67ELc76ELb0ELb1E19rocblas_complex_numIfES1_PKS1_PS1_EviT_T9_T10_S5_lS7_S5_lS6_T11_S5_li ; -- Begin function _ZL29rocblas_internal_gemmt_kernelIiLi16ELi32ELi8ELc84ELc67ELc76ELb0ELb1E19rocblas_complex_numIfES1_PKS1_PS1_EviT_T9_T10_S5_lS7_S5_lS6_T11_S5_li
	.p2align	8
	.type	_ZL29rocblas_internal_gemmt_kernelIiLi16ELi32ELi8ELc84ELc67ELc76ELb0ELb1E19rocblas_complex_numIfES1_PKS1_PS1_EviT_T9_T10_S5_lS7_S5_lS6_T11_S5_li,@function
_ZL29rocblas_internal_gemmt_kernelIiLi16ELi32ELi8ELc84ELc67ELc76ELb0ELb1E19rocblas_complex_numIfES1_PKS1_PS1_EviT_T9_T10_S5_lS7_S5_lS6_T11_S5_li: ; @_ZL29rocblas_internal_gemmt_kernelIiLi16ELi32ELi8ELc84ELc67ELc76ELb0ELb1E19rocblas_complex_numIfES1_PKS1_PS1_EviT_T9_T10_S5_lS7_S5_lS6_T11_S5_li
; %bb.0:
	s_clause 0x1
	s_load_b64 s[20:21], s[0:1], 0x40
	s_load_b128 s[4:7], s[0:1], 0x0
	s_wait_kmcnt 0x0
	s_cmp_eq_f32 s20, 1.0
	s_cselect_b32 s3, -1, 0
	s_and_b32 s2, s21, 0x7fffffff
	s_delay_alu instid0(SALU_CYCLE_1) | instskip(SKIP_1) | instid1(SALU_CYCLE_1)
	s_cmp_eq_u32 s2, 0
	s_cselect_b32 s2, -1, 0
	s_and_b32 s8, s3, s2
	s_mov_b32 s3, 0
	s_and_not1_b32 vcc_lo, exec_lo, s8
	s_mov_b32 s8, -1
	s_cbranch_vccnz .LBB104_4
; %bb.1:
	s_cmp_lg_u32 s5, 0
	s_cbranch_scc0 .LBB104_3
; %bb.2:
	s_cmp_neq_f32 s6, 0
	s_cselect_b32 s3, -1, 0
	s_cmp_neq_f32 s7, 0
	s_cselect_b32 s8, -1, 0
	s_delay_alu instid0(SALU_CYCLE_1)
	s_or_b32 s3, s3, s8
.LBB104_3:
	s_delay_alu instid0(SALU_CYCLE_1)
	s_mov_b32 s8, s3
.LBB104_4:
	s_delay_alu instid0(SALU_CYCLE_1)
	s_and_b32 vcc_lo, exec_lo, s8
	s_cbranch_vccz .LBB104_39
; %bb.5:
	s_load_b32 s15, s[0:1], 0x60
	s_lshr_b32 s22, ttmp7, 16
	s_wait_kmcnt 0x0
	s_cmp_ge_u32 s22, s15
	s_cbranch_scc1 .LBB104_39
; %bb.6:
	s_load_b32 s26, s[0:1], 0x30
	v_and_b32_e32 v1, 0x3ff, v0
	v_bfe_u32 v2, v0, 10, 10
	s_clause 0x4
	s_load_b96 s[16:18], s[0:1], 0x10
	s_load_b128 s[8:11], s[0:1], 0x20
	s_load_b64 s[28:29], s[0:1], 0x38
	s_load_b96 s[12:14], s[0:1], 0x48
	s_load_b64 s[24:25], s[0:1], 0x58
	s_lshl_b32 s1, ttmp7, 5
	v_and_b32_e32 v18, 7, v0
	s_lshl_b32 s0, ttmp9, 5
	v_lshl_add_u32 v0, v2, 4, v1
	s_and_b32 s1, s1, 0x1fffe0
	v_add_nc_u32_e32 v10, s0, v1
	v_lshlrev_b32_e32 v3, 3, v18
	v_lshlrev_b32_e32 v22, 3, v1
	v_and_b32_e32 v4, 31, v0
	v_lshrrev_b32_e32 v5, 3, v0
	v_lshrrev_b32_e32 v19, 5, v0
	v_add_nc_u32_e32 v1, s1, v2
	v_add_nc_u32_e32 v12, 16, v10
	v_or_b32_e32 v0, s0, v4
	v_lshlrev_b32_e32 v4, 3, v4
	v_lshl_or_b32 v3, v5, 6, v3
	s_wait_kmcnt 0x0
	s_ashr_i32 s27, s26, 31
	s_cmp_neq_f32 s6, 0
	v_add_nc_u32_e32 v14, s1, v5
	v_cmp_gt_i32_e32 vcc_lo, s4, v0
	v_lshl_or_b32 v20, v19, 8, v4
	s_cselect_b32 s3, -1, 0
	s_cmp_neq_f32 s7, 0
	v_cmp_le_i32_e64 s1, v1, v10
	v_mad_co_i64_i32 v[6:7], null, v1, s14, 0
	s_cselect_b32 s19, -1, 0
	v_add_nc_u32_e32 v4, 16, v1
	s_or_b32 s31, s3, s19
	s_cmp_gt_i32 s5, 0
	v_cmp_le_i32_e64 s3, v1, v12
	s_cselect_b32 s33, -1, 0
	s_cmp_neq_f32 s20, 0
	v_mad_co_i64_i32 v[0:1], null, s18, v0, 0
	v_add_nc_u32_e32 v21, 0x800, v3
	v_lshl_add_u32 v23, v2, 6, 0x800
	v_mad_co_i64_i32 v[2:3], null, s26, v18, 0
	v_cmp_gt_i32_e64 s0, s4, v14
	s_cselect_b32 s34, -1, 0
	s_xor_b32 s35, s2, -1
	v_cmp_gt_i32_e64 s2, s4, v10
	v_cmp_gt_i32_e64 s4, s4, v12
	v_mad_co_i64_i32 v[8:9], null, v4, s14, 0
	v_lshlrev_b32_e32 v15, 3, v19
	s_delay_alu instid0(VALU_DEP_4) | instskip(NEXT) | instid1(VALU_DEP_3)
	s_and_b32 s19, s1, s2
	s_and_b32 s30, s3, s4
	v_cmp_le_i32_e64 s1, v4, v10
	v_cmp_le_i32_e64 s3, v4, v12
	v_lshlrev_b64_e32 v[4:5], 3, v[0:1]
	v_lshlrev_b64_e32 v[1:2], 3, v[2:3]
	v_lshlrev_b32_e32 v3, 3, v14
	s_and_b32 s14, s1, s2
	v_ashrrev_i32_e32 v11, 31, v10
	v_ashrrev_i32_e32 v13, 31, v12
	v_add_co_u32 v4, s1, v4, v15
	s_wait_alu 0xf1ff
	v_add_co_ci_u32_e64 v5, null, 0, v5, s1
	v_add_co_u32 v1, s1, v1, v3
	s_wait_alu 0xf1ff
	v_add_co_ci_u32_e64 v14, null, 0, v2, s1
	;; [unrolled: 3-line block ×4, first 2 shown]
	v_lshlrev_b64_e32 v[6:7], 3, v[6:7]
	s_delay_alu instid0(VALU_DEP_3)
	v_add_co_u32 v4, s1, v1, 4
	v_lshlrev_b64_e32 v[8:9], 3, v[8:9]
	v_lshlrev_b64_e32 v[10:11], 3, v[10:11]
	;; [unrolled: 1-line block ×3, first 2 shown]
	v_mov_b32_e32 v0, 0
	s_wait_alu 0xf1ff
	v_add_co_ci_u32_e64 v5, null, 0, v5, s1
	s_mov_b32 s23, 0
	s_and_b32 s4, s3, s4
	s_lshl_b64 s[2:3], s[8:9], 3
	s_lshl_b64 s[8:9], s[28:29], 3
	s_and_b32 s16, s31, s33
	s_or_b32 s17, s34, s35
	s_lshl_b64 s[10:11], s[26:27], 6
	s_xor_b32 s18, vcc_lo, -1
	s_xor_b32 s26, s0, -1
	s_branch .LBB104_8
.LBB104_7:                              ;   in Loop: Header=BB104_8 Depth=1
	s_wait_alu 0xfffe
	s_or_b32 exec_lo, exec_lo, s0
	s_add_co_i32 s22, s22, 0x10000
	s_wait_alu 0xfffe
	s_cmp_lt_u32 s22, s15
	s_cbranch_scc0 .LBB104_39
.LBB104_8:                              ; =>This Loop Header: Depth=1
                                        ;     Child Loop BB104_11 Depth 2
	v_dual_mov_b32 v30, v0 :: v_dual_mov_b32 v31, v0
	v_dual_mov_b32 v28, v0 :: v_dual_mov_b32 v29, v0
	;; [unrolled: 1-line block ×4, first 2 shown]
	s_wait_alu 0xfffe
	s_and_not1_b32 vcc_lo, exec_lo, s16
	s_wait_alu 0xfffe
	s_cbranch_vccnz .LBB104_19
; %bb.9:                                ;   in Loop: Header=BB104_8 Depth=1
	v_mad_co_u64_u32 v[14:15], null, s2, s22, v[2:3]
	v_mad_co_u64_u32 v[16:17], null, s8, s22, v[4:5]
	v_dual_mov_b32 v25, 0 :: v_dual_mov_b32 v28, 0
	v_mov_b32_e32 v27, 0
	v_mov_b32_e32 v29, 0
	v_dual_mov_b32 v1, v15 :: v_dual_mov_b32 v24, 0
	v_dual_mov_b32 v15, v17 :: v_dual_mov_b32 v26, 0
	s_mov_b32 s0, 0
	s_delay_alu instid0(VALU_DEP_2) | instskip(NEXT) | instid1(VALU_DEP_2)
	v_mad_co_u64_u32 v[30:31], null, s3, s22, v[1:2]
	v_mad_co_u64_u32 v[32:33], null, s9, s22, v[15:16]
	v_mov_b32_e32 v31, 0
	s_delay_alu instid0(VALU_DEP_3) | instskip(NEXT) | instid1(VALU_DEP_3)
	v_dual_mov_b32 v15, v30 :: v_dual_mov_b32 v30, 0
	v_mov_b32_e32 v17, v32
	s_branch .LBB104_11
.LBB104_10:                             ;   in Loop: Header=BB104_11 Depth=2
	s_or_b32 exec_lo, exec_lo, s1
	ds_store_b32 v21, v1 offset:4
	s_wait_dscnt 0x0
	s_barrier_signal -1
	s_barrier_wait -1
	global_inv scope:SCOPE_SE
	ds_load_b128 v[32:35], v23
	ds_load_2addr_b64 v[36:39], v22 offset1:16
	ds_load_b128 v[40:43], v23 offset:1024
	ds_load_b128 v[44:47], v23 offset:16
	;; [unrolled: 1-line block ×4, first 2 shown]
	ds_load_2addr_b64 v[56:59], v22 offset0:32 offset1:48
	ds_load_b128 v[60:63], v23 offset:1040
	v_add_co_u32 v14, vcc_lo, v14, 64
	s_wait_alu 0xfffd
	v_add_co_ci_u32_e64 v15, null, 0, v15, vcc_lo
	v_add_co_u32 v16, vcc_lo, v16, s10
	s_wait_alu 0xfffd
	v_add_co_ci_u32_e64 v17, null, s11, v17, vcc_lo
	s_add_co_i32 s0, s0, 8
	s_wait_alu 0xfffe
	s_cmp_lt_i32 s0, s5
	s_wait_dscnt 0x6
	v_dual_mul_f32 v1, v33, v37 :: v_dual_mul_f32 v66, v32, v39
	v_dual_mul_f32 v64, v32, v37 :: v_dual_mul_f32 v65, v33, v39
	s_wait_dscnt 0x5
	v_mul_f32_e32 v68, v41, v39
	s_delay_alu instid0(VALU_DEP_3) | instskip(SKIP_3) | instid1(VALU_DEP_4)
	v_fma_f32 v1, v32, v36, -v1
	v_dual_mul_f32 v39, v40, v39 :: v_dual_fmac_f32 v66, v33, v38
	v_fmac_f32_e32 v64, v33, v36
	v_fma_f32 v32, v32, v38, -v65
	v_add_f32_e32 v1, v30, v1
	v_mul_f32_e32 v67, v41, v37
	s_delay_alu instid0(VALU_DEP_4) | instskip(NEXT) | instid1(VALU_DEP_4)
	v_dual_mul_f32 v37, v40, v37 :: v_dual_add_f32 v30, v31, v64
	v_add_f32_e32 v31, v28, v32
	v_fma_f32 v28, v40, v38, -v68
	s_delay_alu instid0(VALU_DEP_4) | instskip(NEXT) | instid1(VALU_DEP_4)
	v_fma_f32 v33, v40, v36, -v67
	v_fmac_f32_e32 v37, v41, v36
	s_wait_dscnt 0x1
	v_dual_add_f32 v29, v29, v66 :: v_dual_mul_f32 v36, v35, v57
	v_dual_fmac_f32 v39, v41, v38 :: v_dual_mul_f32 v40, v35, v59
	v_add_f32_e32 v32, v26, v33
	v_add_f32_e32 v33, v27, v37
	v_dual_add_f32 v37, v25, v28 :: v_dual_mul_f32 v38, v34, v57
	ds_load_2addr_b64 v[25:28], v22 offset0:64 offset1:80
	v_fma_f32 v36, v34, v56, -v36
	v_add_f32_e32 v24, v24, v39
	v_dual_mul_f32 v39, v34, v59 :: v_dual_fmac_f32 v38, v35, v56
	v_fma_f32 v34, v34, v58, -v40
	s_delay_alu instid0(VALU_DEP_4) | instskip(NEXT) | instid1(VALU_DEP_3)
	v_dual_add_f32 v1, v1, v36 :: v_dual_mul_f32 v36, v43, v57
	v_fmac_f32_e32 v39, v35, v58
	s_delay_alu instid0(VALU_DEP_4)
	v_add_f32_e32 v38, v30, v38
	v_mul_f32_e32 v30, v42, v57
	v_add_f32_e32 v34, v31, v34
	v_fma_f32 v31, v42, v56, -v36
	v_mul_f32_e32 v35, v43, v59
	v_add_f32_e32 v36, v29, v39
	v_dual_mul_f32 v39, v42, v59 :: v_dual_fmac_f32 v30, v43, v56
	s_delay_alu instid0(VALU_DEP_4) | instskip(NEXT) | instid1(VALU_DEP_4)
	v_add_f32_e32 v40, v32, v31
	v_fma_f32 v29, v42, v58, -v35
	s_wait_dscnt 0x0
	v_mul_f32_e32 v31, v45, v26
	v_dual_fmac_f32 v39, v43, v58 :: v_dual_mul_f32 v42, v45, v28
	s_delay_alu instid0(VALU_DEP_3) | instskip(SKIP_1) | instid1(VALU_DEP_4)
	v_add_f32_e32 v37, v37, v29
	v_add_f32_e32 v33, v33, v30
	v_fma_f32 v41, v44, v25, -v31
	s_delay_alu instid0(VALU_DEP_4)
	v_add_f32_e32 v39, v24, v39
	v_mul_f32_e32 v24, v44, v28
	v_mul_f32_e32 v35, v44, v26
	ds_load_2addr_b64 v[29:32], v22 offset0:96 offset1:112
	v_add_f32_e32 v1, v1, v41
	v_fma_f32 v41, v44, v27, -v42
	v_fmac_f32_e32 v24, v45, v27
	v_fmac_f32_e32 v35, v45, v25
	s_delay_alu instid0(VALU_DEP_3) | instskip(NEXT) | instid1(VALU_DEP_2)
	v_dual_add_f32 v34, v34, v41 :: v_dual_mul_f32 v41, v61, v28
	v_dual_add_f32 v35, v38, v35 :: v_dual_mul_f32 v38, v61, v26
	v_mul_f32_e32 v26, v60, v26
	v_mul_f32_e32 v28, v60, v28
	v_add_f32_e32 v42, v36, v24
	v_fma_f32 v24, v60, v27, -v41
	v_fma_f32 v38, v60, v25, -v38
	v_fmac_f32_e32 v26, v61, v25
	v_fmac_f32_e32 v28, v61, v27
	s_delay_alu instid0(VALU_DEP_3) | instskip(SKIP_1) | instid1(VALU_DEP_3)
	v_dual_add_f32 v37, v37, v24 :: v_dual_add_f32 v38, v40, v38
	s_wait_dscnt 0x0
	v_dual_add_f32 v40, v33, v26 :: v_dual_mul_f32 v41, v47, v32
	ds_load_2addr_b64 v[24:27], v22 offset0:128 offset1:144
	v_mul_f32_e32 v33, v47, v30
	v_mul_f32_e32 v45, v63, v32
	v_fma_f32 v41, v46, v31, -v41
	s_delay_alu instid0(VALU_DEP_3) | instskip(NEXT) | instid1(VALU_DEP_1)
	v_fma_f32 v33, v46, v29, -v33
	v_add_f32_e32 v1, v1, v33
	v_mul_f32_e32 v33, v63, v30
	v_dual_mul_f32 v36, v46, v30 :: v_dual_add_f32 v39, v39, v28
	v_mul_f32_e32 v28, v46, v32
	v_mul_f32_e32 v30, v62, v30
	s_delay_alu instid0(VALU_DEP_4) | instskip(NEXT) | instid1(VALU_DEP_2)
	v_fma_f32 v44, v62, v29, -v33
	v_fmac_f32_e32 v30, v63, v29
	v_fmac_f32_e32 v36, v47, v29
	s_wait_dscnt 0x0
	v_dual_mul_f32 v29, v49, v25 :: v_dual_fmac_f32 v28, v47, v31
	s_delay_alu instid0(VALU_DEP_1) | instskip(SKIP_1) | instid1(VALU_DEP_2)
	v_dual_mul_f32 v47, v48, v25 :: v_dual_add_f32 v42, v42, v28
	v_fma_f32 v28, v62, v31, -v45
	v_fmac_f32_e32 v47, v49, v24
	v_add_f32_e32 v45, v40, v30
	v_add_f32_e32 v43, v35, v36
	;; [unrolled: 1-line block ×4, first 2 shown]
	v_fma_f32 v37, v48, v24, -v29
	v_mul_f32_e32 v32, v62, v32
	v_mul_f32_e32 v38, v49, v27
	v_add_f32_e32 v43, v43, v47
	s_delay_alu instid0(VALU_DEP_4) | instskip(NEXT) | instid1(VALU_DEP_4)
	v_add_f32_e32 v1, v1, v37
	v_dual_add_f32 v41, v34, v41 :: v_dual_fmac_f32 v32, v63, v31
	ds_load_b128 v[33:36], v23 offset:1056
	ds_load_2addr_b64 v[28:31], v22 offset0:160 offset1:176
	v_mul_f32_e32 v56, v48, v27
	v_fma_f32 v48, v48, v26, -v38
	v_add_f32_e32 v32, v39, v32
	ds_load_b128 v[37:40], v23 offset:1072
	v_add_f32_e32 v41, v41, v48
	s_wait_dscnt 0x2
	v_mul_f32_e32 v57, v34, v25
	v_mul_f32_e32 v25, v33, v25
	v_fmac_f32_e32 v56, v49, v26
	v_mul_f32_e32 v48, v34, v27
	v_mul_f32_e32 v49, v33, v27
	v_fma_f32 v47, v33, v24, -v57
	v_fmac_f32_e32 v25, v34, v24
	s_wait_dscnt 0x1
	v_dual_add_f32 v42, v42, v56 :: v_dual_mul_f32 v27, v51, v29
	v_fma_f32 v24, v33, v26, -v48
	v_fmac_f32_e32 v49, v34, v26
	v_mul_f32_e32 v34, v50, v29
	v_dual_add_f32 v44, v44, v47 :: v_dual_add_f32 v33, v45, v25
	v_mul_f32_e32 v47, v51, v31
	s_delay_alu instid0(VALU_DEP_3)
	v_fmac_f32_e32 v34, v51, v28
	v_dual_add_f32 v45, v46, v24 :: v_dual_add_f32 v48, v32, v49
	v_fma_f32 v46, v50, v28, -v27
	ds_load_2addr_b64 v[24:27], v22 offset0:192 offset1:208
	v_dual_mul_f32 v32, v50, v31 :: v_dual_add_f32 v43, v43, v34
	v_dual_mul_f32 v34, v36, v29 :: v_dual_add_f32 v1, v1, v46
	v_fma_f32 v46, v50, v30, -v47
	v_mul_f32_e32 v29, v35, v29
	s_delay_alu instid0(VALU_DEP_3) | instskip(NEXT) | instid1(VALU_DEP_3)
	v_fma_f32 v34, v35, v28, -v34
	v_dual_add_f32 v41, v41, v46 :: v_dual_mul_f32 v46, v36, v31
	s_delay_alu instid0(VALU_DEP_3) | instskip(NEXT) | instid1(VALU_DEP_1)
	v_dual_fmac_f32 v32, v51, v30 :: v_dual_fmac_f32 v29, v36, v28
	v_dual_mul_f32 v31, v35, v31 :: v_dual_add_f32 v28, v42, v32
	s_delay_alu instid0(VALU_DEP_3) | instskip(NEXT) | instid1(VALU_DEP_3)
	v_fma_f32 v32, v35, v30, -v46
	v_dual_add_f32 v42, v44, v34 :: v_dual_add_f32 v29, v33, v29
	s_wait_dscnt 0x0
	v_mul_f32_e32 v46, v52, v27
	v_dual_mul_f32 v44, v53, v25 :: v_dual_fmac_f32 v31, v36, v30
	v_add_f32_e32 v30, v45, v32
	ds_load_2addr_b64 v[32:35], v22 offset0:224 offset1:240
	v_dual_mul_f32 v36, v52, v25 :: v_dual_mul_f32 v45, v53, v27
	v_fma_f32 v44, v52, v24, -v44
	v_dual_fmac_f32 v46, v53, v26 :: v_dual_add_f32 v31, v48, v31
	s_delay_alu instid0(VALU_DEP_3) | instskip(NEXT) | instid1(VALU_DEP_4)
	v_fmac_f32_e32 v36, v53, v24
	v_fma_f32 v45, v52, v26, -v45
	s_delay_alu instid0(VALU_DEP_4) | instskip(SKIP_2) | instid1(VALU_DEP_3)
	v_dual_add_f32 v1, v1, v44 :: v_dual_mul_f32 v44, v38, v25
	v_mul_f32_e32 v25, v37, v25
	s_wait_loadcnt_dscnt 0x0
	v_add_f32_e32 v41, v41, v45
	v_dual_add_f32 v45, v28, v46 :: v_dual_add_f32 v36, v43, v36
	v_fma_f32 v43, v37, v24, -v44
	v_mul_f32_e32 v44, v38, v27
	v_fmac_f32_e32 v25, v38, v24
	v_mul_f32_e32 v27, v37, v27
	s_barrier_signal -1
	v_add_f32_e32 v24, v42, v43
	v_fma_f32 v28, v37, v26, -v44
	v_mul_f32_e32 v37, v55, v33
	v_mul_f32_e32 v42, v54, v33
	v_add_f32_e32 v25, v29, v25
	v_fmac_f32_e32 v27, v38, v26
	v_add_f32_e32 v38, v30, v28
	v_fma_f32 v26, v54, v32, -v37
	v_fmac_f32_e32 v42, v55, v32
	v_mul_f32_e32 v28, v55, v35
	v_mul_f32_e32 v29, v54, v35
	s_delay_alu instid0(VALU_DEP_4) | instskip(NEXT) | instid1(VALU_DEP_4)
	v_dual_add_f32 v37, v31, v27 :: v_dual_add_f32 v30, v1, v26
	v_add_f32_e32 v31, v36, v42
	s_delay_alu instid0(VALU_DEP_4) | instskip(NEXT) | instid1(VALU_DEP_4)
	v_fma_f32 v1, v54, v34, -v28
	v_dual_mul_f32 v26, v40, v33 :: v_dual_fmac_f32 v29, v55, v34
	v_mul_f32_e32 v27, v39, v33
	s_delay_alu instid0(VALU_DEP_3) | instskip(NEXT) | instid1(VALU_DEP_3)
	v_dual_mul_f32 v33, v40, v35 :: v_dual_add_f32 v28, v41, v1
	v_fma_f32 v1, v39, v32, -v26
	v_mul_f32_e32 v35, v39, v35
	v_add_f32_e32 v29, v45, v29
	s_barrier_wait -1
	global_inv scope:SCOPE_SE
	v_add_f32_e32 v26, v24, v1
	v_fmac_f32_e32 v35, v40, v34
	s_delay_alu instid0(VALU_DEP_1) | instskip(SKIP_1) | instid1(VALU_DEP_2)
	v_dual_add_f32 v24, v37, v35 :: v_dual_fmac_f32 v27, v40, v32
	v_fma_f32 v32, v39, v34, -v33
	v_add_f32_e32 v27, v25, v27
	s_delay_alu instid0(VALU_DEP_2)
	v_add_f32_e32 v25, v38, v32
	s_cbranch_scc0 .LBB104_19
.LBB104_11:                             ;   Parent Loop BB104_8 Depth=1
                                        ; =>  This Inner Loop Header: Depth=2
	s_wait_alu 0xfffe
	v_add_nc_u32_e32 v1, s0, v19
	s_delay_alu instid0(VALU_DEP_1)
	v_cmp_le_i32_e32 vcc_lo, s5, v1
	s_or_b32 s1, s18, vcc_lo
	s_wait_alu 0xfffe
	s_and_saveexec_b32 s27, s1
	s_wait_alu 0xfffe
	s_xor_b32 s1, exec_lo, s27
; %bb.12:                               ;   in Loop: Header=BB104_11 Depth=2
	v_mov_b32_e32 v1, v0
	ds_store_b64 v20, v[0:1]
; %bb.13:                               ;   in Loop: Header=BB104_11 Depth=2
	s_wait_alu 0xfffe
	s_and_not1_saveexec_b32 s1, s1
	s_cbranch_execz .LBB104_15
; %bb.14:                               ;   in Loop: Header=BB104_11 Depth=2
	global_load_b64 v[32:33], v[14:15], off
	s_wait_loadcnt 0x0
	ds_store_b64 v20, v[32:33]
.LBB104_15:                             ;   in Loop: Header=BB104_11 Depth=2
	s_wait_alu 0xfffe
	s_or_b32 exec_lo, exec_lo, s1
	v_add_nc_u32_e32 v1, s0, v18
	s_delay_alu instid0(VALU_DEP_1)
	v_cmp_le_i32_e32 vcc_lo, s5, v1
	s_or_b32 s1, vcc_lo, s26
	s_wait_alu 0xfffe
	s_and_saveexec_b32 s27, s1
	s_wait_alu 0xfffe
	s_xor_b32 s1, exec_lo, s27
; %bb.16:                               ;   in Loop: Header=BB104_11 Depth=2
	ds_store_b32 v21, v0
; %bb.17:                               ;   in Loop: Header=BB104_11 Depth=2
	s_wait_alu 0xfffe
	s_or_saveexec_b32 s1, s1
	v_mov_b32_e32 v1, 0
	s_wait_alu 0xfffe
	s_xor_b32 exec_lo, exec_lo, s1
	s_cbranch_execz .LBB104_10
; %bb.18:                               ;   in Loop: Header=BB104_11 Depth=2
	global_load_b64 v[32:33], v[16:17], off offset:-4
	s_wait_loadcnt 0x0
	v_xor_b32_e32 v1, 0x80000000, v33
	ds_store_b32 v21, v32
	s_branch .LBB104_10
.LBB104_19:                             ;   in Loop: Header=BB104_8 Depth=1
	s_mul_u64 s[0:1], s[24:25], s[22:23]
	s_wait_alu 0xfffe
	s_lshl_b64 s[0:1], s[0:1], 3
	s_wait_alu 0xfffe
	s_add_nc_u64 s[0:1], s[12:13], s[0:1]
	s_wait_alu 0xfffe
	v_add_co_u32 v1, vcc_lo, s0, v6
	s_wait_alu 0xfffd
	v_add_co_ci_u32_e64 v16, null, s1, v7, vcc_lo
	s_and_saveexec_b32 s27, s19
	s_cbranch_execz .LBB104_24
; %bb.20:                               ;   in Loop: Header=BB104_8 Depth=1
	v_mul_f32_e32 v15, s6, v31
	v_mul_f32_e32 v14, s7, v31
	s_and_b32 vcc_lo, exec_lo, s17
	s_mov_b32 s28, -1
	s_delay_alu instid0(VALU_DEP_2) | instskip(NEXT) | instid1(VALU_DEP_2)
	v_fmac_f32_e32 v15, s7, v30
	v_fma_f32 v14, v30, s6, -v14
	s_wait_alu 0xfffe
	s_cbranch_vccz .LBB104_22
; %bb.21:                               ;   in Loop: Header=BB104_8 Depth=1
	v_add_co_u32 v30, vcc_lo, v1, v10
	s_wait_alu 0xfffd
	v_add_co_ci_u32_e64 v31, null, v16, v11, vcc_lo
	s_mov_b32 s28, 0
	global_load_b64 v[32:33], v[30:31], off
	s_wait_loadcnt 0x0
	v_mul_f32_e32 v17, s21, v33
	v_mul_f32_e32 v33, s20, v33
	s_delay_alu instid0(VALU_DEP_2) | instskip(NEXT) | instid1(VALU_DEP_1)
	v_fma_f32 v17, v32, s20, -v17
	v_dual_fmac_f32 v33, s21, v32 :: v_dual_add_f32 v32, v14, v17
	s_delay_alu instid0(VALU_DEP_1)
	v_add_f32_e32 v33, v15, v33
	global_store_b64 v[30:31], v[32:33], off
.LBB104_22:                             ;   in Loop: Header=BB104_8 Depth=1
	s_and_not1_b32 vcc_lo, exec_lo, s28
	s_wait_alu 0xfffe
	s_cbranch_vccnz .LBB104_24
; %bb.23:                               ;   in Loop: Header=BB104_8 Depth=1
	v_add_co_u32 v30, vcc_lo, v1, v10
	s_wait_alu 0xfffd
	v_add_co_ci_u32_e64 v31, null, v16, v11, vcc_lo
	global_store_b64 v[30:31], v[14:15], off
.LBB104_24:                             ;   in Loop: Header=BB104_8 Depth=1
	s_wait_alu 0xfffe
	s_or_b32 exec_lo, exec_lo, s27
	s_and_saveexec_b32 s27, s30
	s_cbranch_execz .LBB104_29
; %bb.25:                               ;   in Loop: Header=BB104_8 Depth=1
	v_mul_f32_e32 v15, s6, v29
	v_mul_f32_e32 v14, s7, v29
	s_and_not1_b32 vcc_lo, exec_lo, s17
	s_mov_b32 s28, -1
	s_delay_alu instid0(VALU_DEP_2) | instskip(NEXT) | instid1(VALU_DEP_2)
	v_fmac_f32_e32 v15, s7, v28
	v_fma_f32 v14, v28, s6, -v14
	s_wait_alu 0xfffe
	s_cbranch_vccnz .LBB104_27
; %bb.26:                               ;   in Loop: Header=BB104_8 Depth=1
	v_add_co_u32 v28, vcc_lo, v1, v12
	s_wait_alu 0xfffd
	v_add_co_ci_u32_e64 v29, null, v16, v13, vcc_lo
	s_mov_b32 s28, 0
	global_load_b64 v[30:31], v[28:29], off
	s_wait_loadcnt 0x0
	v_mul_f32_e32 v17, s21, v31
	s_delay_alu instid0(VALU_DEP_1) | instskip(SKIP_1) | instid1(VALU_DEP_1)
	v_fma_f32 v17, v30, s20, -v17
	v_mul_f32_e32 v31, s20, v31
	v_dual_fmac_f32 v31, s21, v30 :: v_dual_add_f32 v30, v14, v17
	s_delay_alu instid0(VALU_DEP_1)
	v_add_f32_e32 v31, v15, v31
	global_store_b64 v[28:29], v[30:31], off
.LBB104_27:                             ;   in Loop: Header=BB104_8 Depth=1
	s_and_not1_b32 vcc_lo, exec_lo, s28
	s_wait_alu 0xfffe
	s_cbranch_vccnz .LBB104_29
; %bb.28:                               ;   in Loop: Header=BB104_8 Depth=1
	v_add_co_u32 v28, vcc_lo, v1, v12
	s_wait_alu 0xfffd
	v_add_co_ci_u32_e64 v29, null, v16, v13, vcc_lo
	global_store_b64 v[28:29], v[14:15], off
.LBB104_29:                             ;   in Loop: Header=BB104_8 Depth=1
	s_wait_alu 0xfffe
	s_or_b32 exec_lo, exec_lo, s27
	v_add_co_u32 v1, vcc_lo, s0, v8
	s_wait_alu 0xfffd
	v_add_co_ci_u32_e64 v16, null, s1, v9, vcc_lo
	s_and_saveexec_b32 s0, s14
	s_cbranch_execz .LBB104_34
; %bb.30:                               ;   in Loop: Header=BB104_8 Depth=1
	v_mul_f32_e32 v15, s6, v27
	v_mul_f32_e32 v14, s7, v27
	s_and_not1_b32 vcc_lo, exec_lo, s17
	s_mov_b32 s1, -1
	s_delay_alu instid0(VALU_DEP_2) | instskip(NEXT) | instid1(VALU_DEP_2)
	v_fmac_f32_e32 v15, s7, v26
	v_fma_f32 v14, v26, s6, -v14
	s_wait_alu 0xfffe
	s_cbranch_vccnz .LBB104_32
; %bb.31:                               ;   in Loop: Header=BB104_8 Depth=1
	v_add_co_u32 v26, vcc_lo, v1, v10
	s_wait_alu 0xfffd
	v_add_co_ci_u32_e64 v27, null, v16, v11, vcc_lo
	s_mov_b32 s1, 0
	global_load_b64 v[28:29], v[26:27], off
	s_wait_loadcnt 0x0
	v_mul_f32_e32 v17, s21, v29
	v_mul_f32_e32 v29, s20, v29
	s_delay_alu instid0(VALU_DEP_2) | instskip(NEXT) | instid1(VALU_DEP_1)
	v_fma_f32 v17, v28, s20, -v17
	v_dual_fmac_f32 v29, s21, v28 :: v_dual_add_f32 v28, v14, v17
	s_delay_alu instid0(VALU_DEP_1)
	v_add_f32_e32 v29, v15, v29
	global_store_b64 v[26:27], v[28:29], off
.LBB104_32:                             ;   in Loop: Header=BB104_8 Depth=1
	s_wait_alu 0xfffe
	s_and_not1_b32 vcc_lo, exec_lo, s1
	s_wait_alu 0xfffe
	s_cbranch_vccnz .LBB104_34
; %bb.33:                               ;   in Loop: Header=BB104_8 Depth=1
	v_add_co_u32 v26, vcc_lo, v1, v10
	s_wait_alu 0xfffd
	v_add_co_ci_u32_e64 v27, null, v16, v11, vcc_lo
	global_store_b64 v[26:27], v[14:15], off
.LBB104_34:                             ;   in Loop: Header=BB104_8 Depth=1
	s_wait_alu 0xfffe
	s_or_b32 exec_lo, exec_lo, s0
	s_and_saveexec_b32 s0, s4
	s_cbranch_execz .LBB104_7
; %bb.35:                               ;   in Loop: Header=BB104_8 Depth=1
	v_mul_f32_e32 v15, s6, v24
	v_mul_f32_e32 v14, s7, v24
	s_and_not1_b32 vcc_lo, exec_lo, s17
	s_mov_b32 s1, -1
	s_delay_alu instid0(VALU_DEP_2) | instskip(NEXT) | instid1(VALU_DEP_2)
	v_fmac_f32_e32 v15, s7, v25
	v_fma_f32 v14, v25, s6, -v14
	s_wait_alu 0xfffe
	s_cbranch_vccnz .LBB104_37
; %bb.36:                               ;   in Loop: Header=BB104_8 Depth=1
	v_add_co_u32 v24, vcc_lo, v1, v12
	s_wait_alu 0xfffd
	v_add_co_ci_u32_e64 v25, null, v16, v13, vcc_lo
	s_mov_b32 s1, 0
	global_load_b64 v[26:27], v[24:25], off
	s_wait_loadcnt 0x0
	v_mul_f32_e32 v17, s21, v27
	s_delay_alu instid0(VALU_DEP_1) | instskip(SKIP_1) | instid1(VALU_DEP_1)
	v_fma_f32 v17, v26, s20, -v17
	v_mul_f32_e32 v27, s20, v27
	v_dual_fmac_f32 v27, s21, v26 :: v_dual_add_f32 v26, v14, v17
	s_delay_alu instid0(VALU_DEP_1)
	v_add_f32_e32 v27, v15, v27
	global_store_b64 v[24:25], v[26:27], off
.LBB104_37:                             ;   in Loop: Header=BB104_8 Depth=1
	s_wait_alu 0xfffe
	s_and_not1_b32 vcc_lo, exec_lo, s1
	s_wait_alu 0xfffe
	s_cbranch_vccnz .LBB104_7
; %bb.38:                               ;   in Loop: Header=BB104_8 Depth=1
	v_add_co_u32 v24, vcc_lo, v1, v12
	s_wait_alu 0xfffd
	v_add_co_ci_u32_e64 v25, null, v16, v13, vcc_lo
	global_store_b64 v[24:25], v[14:15], off
	s_branch .LBB104_7
.LBB104_39:
	s_endpgm
	.section	.rodata,"a",@progbits
	.p2align	6, 0x0
	.amdhsa_kernel _ZL29rocblas_internal_gemmt_kernelIiLi16ELi32ELi8ELc84ELc67ELc76ELb0ELb1E19rocblas_complex_numIfES1_PKS1_PS1_EviT_T9_T10_S5_lS7_S5_lS6_T11_S5_li
		.amdhsa_group_segment_fixed_size 4096
		.amdhsa_private_segment_fixed_size 0
		.amdhsa_kernarg_size 100
		.amdhsa_user_sgpr_count 2
		.amdhsa_user_sgpr_dispatch_ptr 0
		.amdhsa_user_sgpr_queue_ptr 0
		.amdhsa_user_sgpr_kernarg_segment_ptr 1
		.amdhsa_user_sgpr_dispatch_id 0
		.amdhsa_user_sgpr_private_segment_size 0
		.amdhsa_wavefront_size32 1
		.amdhsa_uses_dynamic_stack 0
		.amdhsa_enable_private_segment 0
		.amdhsa_system_sgpr_workgroup_id_x 1
		.amdhsa_system_sgpr_workgroup_id_y 1
		.amdhsa_system_sgpr_workgroup_id_z 1
		.amdhsa_system_sgpr_workgroup_info 0
		.amdhsa_system_vgpr_workitem_id 1
		.amdhsa_next_free_vgpr 69
		.amdhsa_next_free_sgpr 36
		.amdhsa_reserve_vcc 1
		.amdhsa_float_round_mode_32 0
		.amdhsa_float_round_mode_16_64 0
		.amdhsa_float_denorm_mode_32 3
		.amdhsa_float_denorm_mode_16_64 3
		.amdhsa_fp16_overflow 0
		.amdhsa_workgroup_processor_mode 1
		.amdhsa_memory_ordered 1
		.amdhsa_forward_progress 1
		.amdhsa_inst_pref_size 25
		.amdhsa_round_robin_scheduling 0
		.amdhsa_exception_fp_ieee_invalid_op 0
		.amdhsa_exception_fp_denorm_src 0
		.amdhsa_exception_fp_ieee_div_zero 0
		.amdhsa_exception_fp_ieee_overflow 0
		.amdhsa_exception_fp_ieee_underflow 0
		.amdhsa_exception_fp_ieee_inexact 0
		.amdhsa_exception_int_div_zero 0
	.end_amdhsa_kernel
	.section	.text._ZL29rocblas_internal_gemmt_kernelIiLi16ELi32ELi8ELc84ELc67ELc76ELb0ELb1E19rocblas_complex_numIfES1_PKS1_PS1_EviT_T9_T10_S5_lS7_S5_lS6_T11_S5_li,"axG",@progbits,_ZL29rocblas_internal_gemmt_kernelIiLi16ELi32ELi8ELc84ELc67ELc76ELb0ELb1E19rocblas_complex_numIfES1_PKS1_PS1_EviT_T9_T10_S5_lS7_S5_lS6_T11_S5_li,comdat
.Lfunc_end104:
	.size	_ZL29rocblas_internal_gemmt_kernelIiLi16ELi32ELi8ELc84ELc67ELc76ELb0ELb1E19rocblas_complex_numIfES1_PKS1_PS1_EviT_T9_T10_S5_lS7_S5_lS6_T11_S5_li, .Lfunc_end104-_ZL29rocblas_internal_gemmt_kernelIiLi16ELi32ELi8ELc84ELc67ELc76ELb0ELb1E19rocblas_complex_numIfES1_PKS1_PS1_EviT_T9_T10_S5_lS7_S5_lS6_T11_S5_li
                                        ; -- End function
	.set _ZL29rocblas_internal_gemmt_kernelIiLi16ELi32ELi8ELc84ELc67ELc76ELb0ELb1E19rocblas_complex_numIfES1_PKS1_PS1_EviT_T9_T10_S5_lS7_S5_lS6_T11_S5_li.num_vgpr, 69
	.set _ZL29rocblas_internal_gemmt_kernelIiLi16ELi32ELi8ELc84ELc67ELc76ELb0ELb1E19rocblas_complex_numIfES1_PKS1_PS1_EviT_T9_T10_S5_lS7_S5_lS6_T11_S5_li.num_agpr, 0
	.set _ZL29rocblas_internal_gemmt_kernelIiLi16ELi32ELi8ELc84ELc67ELc76ELb0ELb1E19rocblas_complex_numIfES1_PKS1_PS1_EviT_T9_T10_S5_lS7_S5_lS6_T11_S5_li.numbered_sgpr, 36
	.set _ZL29rocblas_internal_gemmt_kernelIiLi16ELi32ELi8ELc84ELc67ELc76ELb0ELb1E19rocblas_complex_numIfES1_PKS1_PS1_EviT_T9_T10_S5_lS7_S5_lS6_T11_S5_li.num_named_barrier, 0
	.set _ZL29rocblas_internal_gemmt_kernelIiLi16ELi32ELi8ELc84ELc67ELc76ELb0ELb1E19rocblas_complex_numIfES1_PKS1_PS1_EviT_T9_T10_S5_lS7_S5_lS6_T11_S5_li.private_seg_size, 0
	.set _ZL29rocblas_internal_gemmt_kernelIiLi16ELi32ELi8ELc84ELc67ELc76ELb0ELb1E19rocblas_complex_numIfES1_PKS1_PS1_EviT_T9_T10_S5_lS7_S5_lS6_T11_S5_li.uses_vcc, 1
	.set _ZL29rocblas_internal_gemmt_kernelIiLi16ELi32ELi8ELc84ELc67ELc76ELb0ELb1E19rocblas_complex_numIfES1_PKS1_PS1_EviT_T9_T10_S5_lS7_S5_lS6_T11_S5_li.uses_flat_scratch, 0
	.set _ZL29rocblas_internal_gemmt_kernelIiLi16ELi32ELi8ELc84ELc67ELc76ELb0ELb1E19rocblas_complex_numIfES1_PKS1_PS1_EviT_T9_T10_S5_lS7_S5_lS6_T11_S5_li.has_dyn_sized_stack, 0
	.set _ZL29rocblas_internal_gemmt_kernelIiLi16ELi32ELi8ELc84ELc67ELc76ELb0ELb1E19rocblas_complex_numIfES1_PKS1_PS1_EviT_T9_T10_S5_lS7_S5_lS6_T11_S5_li.has_recursion, 0
	.set _ZL29rocblas_internal_gemmt_kernelIiLi16ELi32ELi8ELc84ELc67ELc76ELb0ELb1E19rocblas_complex_numIfES1_PKS1_PS1_EviT_T9_T10_S5_lS7_S5_lS6_T11_S5_li.has_indirect_call, 0
	.section	.AMDGPU.csdata,"",@progbits
; Kernel info:
; codeLenInByte = 3136
; TotalNumSgprs: 38
; NumVgprs: 69
; ScratchSize: 0
; MemoryBound: 1
; FloatMode: 240
; IeeeMode: 1
; LDSByteSize: 4096 bytes/workgroup (compile time only)
; SGPRBlocks: 0
; VGPRBlocks: 8
; NumSGPRsForWavesPerEU: 38
; NumVGPRsForWavesPerEU: 69
; Occupancy: 16
; WaveLimiterHint : 0
; COMPUTE_PGM_RSRC2:SCRATCH_EN: 0
; COMPUTE_PGM_RSRC2:USER_SGPR: 2
; COMPUTE_PGM_RSRC2:TRAP_HANDLER: 0
; COMPUTE_PGM_RSRC2:TGID_X_EN: 1
; COMPUTE_PGM_RSRC2:TGID_Y_EN: 1
; COMPUTE_PGM_RSRC2:TGID_Z_EN: 1
; COMPUTE_PGM_RSRC2:TIDIG_COMP_CNT: 1
	.section	.text._ZL29rocblas_internal_gemmt_kernelIiLi16ELi32ELi8ELc67ELc78ELc76ELb1ELb0E19rocblas_complex_numIfES1_PKS1_PS1_EviT_T9_T10_S5_lS7_S5_lS6_T11_S5_li,"axG",@progbits,_ZL29rocblas_internal_gemmt_kernelIiLi16ELi32ELi8ELc67ELc78ELc76ELb1ELb0E19rocblas_complex_numIfES1_PKS1_PS1_EviT_T9_T10_S5_lS7_S5_lS6_T11_S5_li,comdat
	.globl	_ZL29rocblas_internal_gemmt_kernelIiLi16ELi32ELi8ELc67ELc78ELc76ELb1ELb0E19rocblas_complex_numIfES1_PKS1_PS1_EviT_T9_T10_S5_lS7_S5_lS6_T11_S5_li ; -- Begin function _ZL29rocblas_internal_gemmt_kernelIiLi16ELi32ELi8ELc67ELc78ELc76ELb1ELb0E19rocblas_complex_numIfES1_PKS1_PS1_EviT_T9_T10_S5_lS7_S5_lS6_T11_S5_li
	.p2align	8
	.type	_ZL29rocblas_internal_gemmt_kernelIiLi16ELi32ELi8ELc67ELc78ELc76ELb1ELb0E19rocblas_complex_numIfES1_PKS1_PS1_EviT_T9_T10_S5_lS7_S5_lS6_T11_S5_li,@function
_ZL29rocblas_internal_gemmt_kernelIiLi16ELi32ELi8ELc67ELc78ELc76ELb1ELb0E19rocblas_complex_numIfES1_PKS1_PS1_EviT_T9_T10_S5_lS7_S5_lS6_T11_S5_li: ; @_ZL29rocblas_internal_gemmt_kernelIiLi16ELi32ELi8ELc67ELc78ELc76ELb1ELb0E19rocblas_complex_numIfES1_PKS1_PS1_EviT_T9_T10_S5_lS7_S5_lS6_T11_S5_li
; %bb.0:
	s_clause 0x1
	s_load_b64 s[20:21], s[0:1], 0x40
	s_load_b128 s[4:7], s[0:1], 0x0
	s_wait_kmcnt 0x0
	s_cmp_eq_f32 s20, 1.0
	s_cselect_b32 s2, -1, 0
	s_and_b32 s3, s21, 0x7fffffff
	s_delay_alu instid0(SALU_CYCLE_1) | instskip(SKIP_1) | instid1(SALU_CYCLE_1)
	s_cmp_eq_u32 s3, 0
	s_cselect_b32 s3, -1, 0
	s_and_b32 s8, s2, s3
	s_mov_b32 s2, 0
	s_and_not1_b32 vcc_lo, exec_lo, s8
	s_mov_b32 s8, -1
	s_cbranch_vccnz .LBB105_4
; %bb.1:
	s_cmp_lg_u32 s5, 0
	s_cbranch_scc0 .LBB105_3
; %bb.2:
	s_cmp_neq_f32 s6, 0
	s_cselect_b32 s2, -1, 0
	s_cmp_neq_f32 s7, 0
	s_cselect_b32 s8, -1, 0
	s_delay_alu instid0(SALU_CYCLE_1)
	s_or_b32 s2, s2, s8
.LBB105_3:
	s_delay_alu instid0(SALU_CYCLE_1)
	s_mov_b32 s8, s2
.LBB105_4:
	s_delay_alu instid0(SALU_CYCLE_1)
	s_and_b32 vcc_lo, exec_lo, s8
	s_cbranch_vccz .LBB105_39
; %bb.5:
	s_load_b32 s15, s[0:1], 0x60
	s_lshr_b32 s22, ttmp7, 16
	s_wait_kmcnt 0x0
	s_cmp_ge_u32 s22, s15
	s_cbranch_scc1 .LBB105_39
; %bb.6:
	v_and_b32_e32 v1, 0x3ff, v0
	v_bfe_u32 v2, v0, 10, 10
	v_and_b32_e32 v18, 7, v0
	s_clause 0x1
	s_load_b96 s[16:18], s[0:1], 0x10
	s_load_b128 s[8:11], s[0:1], 0x20
	s_lshl_b32 s2, ttmp7, 5
	s_lshl_b32 s19, ttmp9, 5
	v_lshl_add_u32 v0, v2, 4, v1
	s_and_b32 s2, s2, 0x1fffe0
	s_cmp_neq_f32 s6, 0
	v_lshlrev_b32_e32 v14, 3, v18
	s_clause 0x3
	s_load_b32 s28, s[0:1], 0x30
	s_load_b64 s[26:27], s[0:1], 0x38
	s_load_b96 s[12:14], s[0:1], 0x48
	s_load_b64 s[24:25], s[0:1], 0x58
	v_lshrrev_b32_e32 v19, 5, v0
	v_lshrrev_b32_e32 v3, 3, v0
	v_and_b32_e32 v0, 31, v0
	s_cselect_b32 s23, -1, 0
	s_cmp_neq_f32 s7, 0
	v_add_nc_u32_e32 v10, s19, v1
	v_add_nc_u32_e32 v5, s2, v3
	v_or_b32_e32 v4, s19, v0
	v_lshlrev_b32_e32 v0, 3, v0
	s_cselect_b32 s0, -1, 0
	v_add_nc_u32_e32 v12, 16, v10
	s_or_b32 s29, s23, s0
	s_cmp_gt_i32 s5, 0
	v_lshl_or_b32 v20, v19, 8, v0
	v_lshl_or_b32 v0, v3, 6, v14
	v_add_nc_u32_e32 v3, s2, v2
	v_cmp_gt_i32_e64 s2, s4, v10
	s_cselect_b32 s30, -1, 0
	s_cmp_neq_f32 s20, 0
	v_add_nc_u32_e32 v21, 0x800, v0
	v_cmp_le_i32_e64 s1, v3, v10
	v_lshlrev_b32_e32 v22, 3, v1
	s_wait_kmcnt 0x0
	v_mad_co_i64_i32 v[0:1], null, s18, v4, 0
	v_lshl_add_u32 v23, v2, 6, 0x800
	s_cselect_b32 s31, -1, 0
	s_xor_b32 s33, s3, -1
	s_and_b32 s19, s1, s2
	v_cmp_le_i32_e64 s1, v3, v12
	v_cmp_gt_i32_e64 s3, s4, v12
	v_add_nc_u32_e32 v2, 16, v3
	v_lshlrev_b64_e32 v[0:1], 3, v[0:1]
	v_cmp_gt_i32_e32 vcc_lo, s4, v4
	v_lshlrev_b32_e32 v4, 3, v19
	s_and_b32 s18, s1, s3
	v_cmp_le_i32_e64 s1, v2, v10
	v_cmp_gt_i32_e64 s0, s4, v5
	v_mad_co_i64_i32 v[6:7], null, v3, s14, 0
	v_cmp_le_i32_e64 s4, v2, v12
	v_mad_co_i64_i32 v[8:9], null, v2, s14, 0
	v_mad_co_i64_i32 v[2:3], null, s28, v5, 0
	s_and_b32 s14, s1, s2
	v_add_co_u32 v4, s1, v0, v4
	s_delay_alu instid0(VALU_DEP_1) | instskip(SKIP_1) | instid1(VALU_DEP_3)
	v_add_co_ci_u32_e64 v1, null, 0, v1, s1
	v_ashrrev_i32_e32 v11, 31, v10
	v_add_co_u32 v15, s1, s16, v4
	v_lshlrev_b64_e32 v[4:5], 3, v[2:3]
	s_wait_alu 0xf1ff
	v_add_co_ci_u32_e64 v1, null, s17, v1, s1
	s_delay_alu instid0(VALU_DEP_3) | instskip(SKIP_2) | instid1(VALU_DEP_3)
	v_add_co_u32 v2, s1, v15, 4
	v_ashrrev_i32_e32 v13, 31, v12
	s_wait_alu 0xf1ff
	v_add_co_ci_u32_e64 v3, null, 0, v1, s1
	v_add_co_u32 v1, s1, v4, v14
	s_wait_alu 0xf1ff
	v_add_co_ci_u32_e64 v5, null, 0, v5, s1
	v_lshlrev_b64_e32 v[6:7], 3, v[6:7]
	s_delay_alu instid0(VALU_DEP_3)
	v_add_co_u32 v4, s1, s10, v1
	v_lshlrev_b64_e32 v[8:9], 3, v[8:9]
	v_lshlrev_b64_e32 v[10:11], 3, v[10:11]
	;; [unrolled: 1-line block ×3, first 2 shown]
	v_mov_b32_e32 v0, 0
	s_wait_alu 0xf1ff
	v_add_co_ci_u32_e64 v5, null, s11, v5, s1
	s_mov_b32 s23, 0
	s_and_b32 s4, s4, s3
	s_lshl_b64 s[2:3], s[8:9], 3
	s_and_b32 s10, s29, s30
	s_or_b32 s11, s31, s33
	s_lshl_b64 s[8:9], s[26:27], 3
	s_xor_b32 s16, vcc_lo, -1
	s_xor_b32 s17, s0, -1
	s_branch .LBB105_8
.LBB105_7:                              ;   in Loop: Header=BB105_8 Depth=1
	s_wait_alu 0xfffe
	s_or_b32 exec_lo, exec_lo, s0
	s_add_co_i32 s22, s22, 0x10000
	s_wait_alu 0xfffe
	s_cmp_lt_u32 s22, s15
	s_cbranch_scc0 .LBB105_39
.LBB105_8:                              ; =>This Loop Header: Depth=1
                                        ;     Child Loop BB105_11 Depth 2
	v_dual_mov_b32 v30, v0 :: v_dual_mov_b32 v31, v0
	v_dual_mov_b32 v28, v0 :: v_dual_mov_b32 v29, v0
	;; [unrolled: 1-line block ×4, first 2 shown]
	s_wait_alu 0xfffe
	s_and_not1_b32 vcc_lo, exec_lo, s10
	s_wait_alu 0xfffe
	s_cbranch_vccnz .LBB105_19
; %bb.9:                                ;   in Loop: Header=BB105_8 Depth=1
	v_mad_co_u64_u32 v[14:15], null, s2, s22, v[2:3]
	v_mad_co_u64_u32 v[16:17], null, s8, s22, v[4:5]
	v_dual_mov_b32 v25, 0 :: v_dual_mov_b32 v28, 0
	v_mov_b32_e32 v27, 0
	v_mov_b32_e32 v29, 0
	v_dual_mov_b32 v1, v15 :: v_dual_mov_b32 v24, 0
	v_dual_mov_b32 v15, v17 :: v_dual_mov_b32 v26, 0
	s_mov_b32 s0, 0
	s_delay_alu instid0(VALU_DEP_2) | instskip(NEXT) | instid1(VALU_DEP_2)
	v_mad_co_u64_u32 v[30:31], null, s3, s22, v[1:2]
	v_mad_co_u64_u32 v[32:33], null, s9, s22, v[15:16]
	v_mov_b32_e32 v31, 0
	s_delay_alu instid0(VALU_DEP_3) | instskip(NEXT) | instid1(VALU_DEP_3)
	v_dual_mov_b32 v15, v30 :: v_dual_mov_b32 v30, 0
	v_mov_b32_e32 v17, v32
	s_branch .LBB105_11
.LBB105_10:                             ;   in Loop: Header=BB105_11 Depth=2
	s_wait_alu 0xfffe
	s_or_b32 exec_lo, exec_lo, s1
	s_wait_dscnt 0x0
	s_barrier_signal -1
	s_barrier_wait -1
	global_inv scope:SCOPE_SE
	ds_load_b128 v[32:35], v23
	ds_load_2addr_b64 v[36:39], v22 offset1:16
	ds_load_b128 v[40:43], v23 offset:1024
	ds_load_b128 v[44:47], v23 offset:16
	;; [unrolled: 1-line block ×4, first 2 shown]
	ds_load_2addr_b64 v[56:59], v22 offset0:32 offset1:48
	ds_load_b128 v[60:63], v23 offset:1040
	v_add_co_u32 v14, vcc_lo, v14, 64
	s_wait_alu 0xfffd
	v_add_co_ci_u32_e64 v15, null, 0, v15, vcc_lo
	v_add_co_u32 v16, vcc_lo, v16, 64
	s_wait_alu 0xfffd
	v_add_co_ci_u32_e64 v17, null, 0, v17, vcc_lo
	s_add_co_i32 s0, s0, 8
	s_wait_alu 0xfffe
	s_cmp_lt_i32 s0, s5
	s_wait_dscnt 0x6
	v_dual_mul_f32 v1, v33, v37 :: v_dual_mul_f32 v66, v32, v39
	v_dual_mul_f32 v64, v32, v37 :: v_dual_mul_f32 v65, v33, v39
	s_wait_dscnt 0x5
	v_mul_f32_e32 v68, v41, v39
	s_delay_alu instid0(VALU_DEP_3) | instskip(SKIP_3) | instid1(VALU_DEP_4)
	v_fma_f32 v1, v32, v36, -v1
	v_dual_mul_f32 v39, v40, v39 :: v_dual_fmac_f32 v66, v33, v38
	v_fmac_f32_e32 v64, v33, v36
	v_fma_f32 v32, v32, v38, -v65
	v_add_f32_e32 v1, v30, v1
	v_mul_f32_e32 v67, v41, v37
	s_delay_alu instid0(VALU_DEP_4) | instskip(NEXT) | instid1(VALU_DEP_4)
	v_dual_mul_f32 v37, v40, v37 :: v_dual_add_f32 v30, v31, v64
	v_add_f32_e32 v31, v28, v32
	v_fmac_f32_e32 v39, v41, v38
	s_delay_alu instid0(VALU_DEP_4) | instskip(NEXT) | instid1(VALU_DEP_4)
	v_fma_f32 v33, v40, v36, -v67
	v_fmac_f32_e32 v37, v41, v36
	v_fma_f32 v36, v40, v38, -v68
	s_wait_dscnt 0x1
	v_dual_mul_f32 v38, v34, v57 :: v_dual_add_f32 v29, v29, v66
	v_mul_f32_e32 v40, v35, v59
	v_add_f32_e32 v32, v26, v33
	v_dual_add_f32 v33, v27, v37 :: v_dual_add_f32 v36, v25, v36
	ds_load_2addr_b64 v[25:28], v22 offset0:64 offset1:80
	v_fmac_f32_e32 v38, v35, v56
	v_dual_mul_f32 v37, v35, v57 :: v_dual_add_f32 v24, v24, v39
	v_mul_f32_e32 v39, v34, v59
	s_delay_alu instid0(VALU_DEP_3) | instskip(NEXT) | instid1(VALU_DEP_3)
	v_add_f32_e32 v38, v30, v38
	v_fma_f32 v37, v34, v56, -v37
	v_fma_f32 v34, v34, v58, -v40
	v_mul_f32_e32 v30, v42, v57
	s_delay_alu instid0(VALU_DEP_3) | instskip(SKIP_1) | instid1(VALU_DEP_4)
	v_add_f32_e32 v1, v1, v37
	v_mul_f32_e32 v37, v43, v57
	v_add_f32_e32 v34, v31, v34
	v_fmac_f32_e32 v39, v35, v58
	v_mul_f32_e32 v35, v43, v59
	v_fmac_f32_e32 v30, v43, v56
	v_fma_f32 v31, v42, v56, -v37
	s_delay_alu instid0(VALU_DEP_4) | instskip(SKIP_4) | instid1(VALU_DEP_3)
	v_add_f32_e32 v37, v29, v39
	v_mul_f32_e32 v39, v42, v59
	v_fma_f32 v29, v42, v58, -v35
	s_wait_dscnt 0x0
	v_dual_add_f32 v40, v32, v31 :: v_dual_mul_f32 v31, v45, v26
	v_dual_mul_f32 v42, v45, v28 :: v_dual_fmac_f32 v39, v43, v58
	v_mul_f32_e32 v35, v44, v26
	v_add_f32_e32 v36, v36, v29
	s_delay_alu instid0(VALU_DEP_3) | instskip(SKIP_3) | instid1(VALU_DEP_3)
	v_add_f32_e32 v39, v24, v39
	v_mul_f32_e32 v24, v44, v28
	v_fma_f32 v41, v44, v25, -v31
	v_fmac_f32_e32 v35, v45, v25
	v_fmac_f32_e32 v24, v45, v27
	s_delay_alu instid0(VALU_DEP_3)
	v_add_f32_e32 v1, v1, v41
	v_fma_f32 v41, v44, v27, -v42
	v_add_f32_e32 v33, v33, v30
	ds_load_2addr_b64 v[29:32], v22 offset0:96 offset1:112
	v_dual_add_f32 v35, v38, v35 :: v_dual_mul_f32 v38, v61, v26
	v_mul_f32_e32 v26, v60, v26
	v_dual_add_f32 v34, v34, v41 :: v_dual_mul_f32 v41, v61, v28
	v_mul_f32_e32 v28, v60, v28
	s_delay_alu instid0(VALU_DEP_4) | instskip(NEXT) | instid1(VALU_DEP_4)
	v_fma_f32 v38, v60, v25, -v38
	v_fmac_f32_e32 v26, v61, v25
	v_add_f32_e32 v37, v37, v24
	v_fma_f32 v24, v60, v27, -v41
	v_fmac_f32_e32 v28, v61, v27
	v_add_f32_e32 v38, v40, v38
	s_delay_alu instid0(VALU_DEP_3) | instskip(SKIP_4) | instid1(VALU_DEP_2)
	v_dual_add_f32 v40, v33, v26 :: v_dual_add_f32 v41, v36, v24
	ds_load_2addr_b64 v[24:27], v22 offset0:128 offset1:144
	s_wait_dscnt 0x1
	v_mul_f32_e32 v33, v47, v30
	v_dual_mul_f32 v36, v46, v30 :: v_dual_mul_f32 v45, v63, v32
	v_fma_f32 v33, v46, v29, -v33
	v_mul_f32_e32 v42, v47, v32
	s_delay_alu instid0(VALU_DEP_3) | instskip(NEXT) | instid1(VALU_DEP_3)
	v_fmac_f32_e32 v36, v47, v29
	v_add_f32_e32 v1, v1, v33
	s_delay_alu instid0(VALU_DEP_3) | instskip(SKIP_3) | instid1(VALU_DEP_4)
	v_fma_f32 v42, v46, v31, -v42
	v_add_f32_e32 v39, v39, v28
	v_dual_mul_f32 v28, v46, v32 :: v_dual_mul_f32 v33, v63, v30
	v_dual_add_f32 v43, v35, v36 :: v_dual_mul_f32 v30, v62, v30
	v_add_f32_e32 v42, v34, v42
	s_delay_alu instid0(VALU_DEP_3) | instskip(NEXT) | instid1(VALU_DEP_4)
	v_fmac_f32_e32 v28, v47, v31
	v_fma_f32 v44, v62, v29, -v33
	ds_load_b128 v[33:36], v23 offset:1056
	v_fmac_f32_e32 v30, v63, v29
	s_wait_dscnt 0x1
	v_mul_f32_e32 v29, v49, v25
	v_add_f32_e32 v46, v37, v28
	v_dual_mul_f32 v32, v62, v32 :: v_dual_mul_f32 v47, v48, v25
	v_mul_f32_e32 v56, v48, v27
	s_delay_alu instid0(VALU_DEP_4)
	v_fma_f32 v37, v48, v24, -v29
	v_add_f32_e32 v44, v38, v44
	v_mul_f32_e32 v38, v49, v27
	v_fma_f32 v28, v62, v31, -v45
	v_dual_fmac_f32 v32, v63, v31 :: v_dual_fmac_f32 v47, v49, v24
	v_add_f32_e32 v1, v1, v37
	s_delay_alu instid0(VALU_DEP_4) | instskip(NEXT) | instid1(VALU_DEP_4)
	v_fma_f32 v48, v48, v26, -v38
	v_add_f32_e32 v41, v41, v28
	v_add_f32_e32 v45, v40, v30
	ds_load_2addr_b64 v[28:31], v22 offset0:160 offset1:176
	v_add_f32_e32 v32, v39, v32
	ds_load_b128 v[37:40], v23 offset:1072
	s_wait_dscnt 0x2
	v_mul_f32_e32 v57, v34, v25
	v_dual_mul_f32 v25, v33, v25 :: v_dual_add_f32 v42, v42, v48
	v_mul_f32_e32 v48, v34, v27
	v_dual_add_f32 v43, v43, v47 :: v_dual_fmac_f32 v56, v49, v26
	s_delay_alu instid0(VALU_DEP_4) | instskip(NEXT) | instid1(VALU_DEP_4)
	v_fma_f32 v47, v33, v24, -v57
	v_fmac_f32_e32 v25, v34, v24
	v_mul_f32_e32 v49, v33, v27
	s_delay_alu instid0(VALU_DEP_3) | instskip(SKIP_1) | instid1(VALU_DEP_3)
	v_add_f32_e32 v44, v44, v47
	v_add_f32_e32 v46, v46, v56
	v_fmac_f32_e32 v49, v34, v26
	s_wait_dscnt 0x1
	v_mul_f32_e32 v27, v51, v29
	v_fma_f32 v24, v33, v26, -v48
	v_add_f32_e32 v33, v45, v25
	v_mul_f32_e32 v34, v50, v29
	s_delay_alu instid0(VALU_DEP_4) | instskip(NEXT) | instid1(VALU_DEP_4)
	v_fma_f32 v45, v50, v28, -v27
	v_add_f32_e32 v41, v41, v24
	ds_load_2addr_b64 v[24:27], v22 offset0:192 offset1:208
	v_fmac_f32_e32 v34, v51, v28
	v_dual_mul_f32 v47, v51, v31 :: v_dual_add_f32 v48, v32, v49
	v_dual_add_f32 v1, v1, v45 :: v_dual_mul_f32 v32, v50, v31
	s_delay_alu instid0(VALU_DEP_3) | instskip(NEXT) | instid1(VALU_DEP_3)
	v_dual_add_f32 v43, v43, v34 :: v_dual_mul_f32 v34, v36, v29
	v_fma_f32 v45, v50, v30, -v47
	s_delay_alu instid0(VALU_DEP_3) | instskip(NEXT) | instid1(VALU_DEP_3)
	v_fmac_f32_e32 v32, v51, v30
	v_fma_f32 v34, v35, v28, -v34
	s_delay_alu instid0(VALU_DEP_3) | instskip(SKIP_1) | instid1(VALU_DEP_3)
	v_dual_add_f32 v42, v42, v45 :: v_dual_mul_f32 v45, v36, v31
	v_mul_f32_e32 v29, v35, v29
	v_dual_mul_f32 v31, v35, v31 :: v_dual_add_f32 v44, v44, v34
	s_delay_alu instid0(VALU_DEP_2) | instskip(SKIP_2) | instid1(VALU_DEP_4)
	v_fmac_f32_e32 v29, v36, v28
	v_add_f32_e32 v28, v46, v32
	v_fma_f32 v32, v35, v30, -v45
	v_fmac_f32_e32 v31, v36, v30
	s_wait_dscnt 0x0
	v_mul_f32_e32 v36, v52, v25
	v_dual_add_f32 v29, v33, v29 :: v_dual_mul_f32 v46, v52, v27
	v_add_f32_e32 v30, v41, v32
	ds_load_2addr_b64 v[32:35], v22 offset0:224 offset1:240
	v_dual_add_f32 v31, v48, v31 :: v_dual_fmac_f32 v36, v53, v24
	v_mul_f32_e32 v45, v53, v25
	v_fmac_f32_e32 v46, v53, v26
	s_wait_loadcnt_dscnt 0x0
	s_barrier_signal -1
	v_add_f32_e32 v36, v43, v36
	v_fma_f32 v41, v52, v24, -v45
	v_mul_f32_e32 v45, v53, v27
	v_mul_f32_e32 v43, v38, v27
	;; [unrolled: 1-line block ×3, first 2 shown]
	s_barrier_wait -1
	global_inv scope:SCOPE_SE
	v_fma_f32 v45, v52, v26, -v45
	v_fmac_f32_e32 v27, v38, v26
	s_delay_alu instid0(VALU_DEP_2) | instskip(SKIP_4) | instid1(VALU_DEP_1)
	v_dual_add_f32 v42, v42, v45 :: v_dual_add_f32 v45, v28, v46
	v_fma_f32 v28, v37, v26, -v43
	v_add_f32_e32 v1, v1, v41
	v_mul_f32_e32 v41, v38, v25
	v_mul_f32_e32 v25, v37, v25
	v_fmac_f32_e32 v25, v38, v24
	v_add_f32_e32 v38, v30, v28
	v_mul_f32_e32 v28, v55, v35
	v_fma_f32 v41, v37, v24, -v41
	v_mul_f32_e32 v37, v55, v33
	s_delay_alu instid0(VALU_DEP_2) | instskip(NEXT) | instid1(VALU_DEP_2)
	v_add_f32_e32 v24, v44, v41
	v_fma_f32 v26, v54, v32, -v37
	v_add_f32_e32 v25, v29, v25
	s_delay_alu instid0(VALU_DEP_2) | instskip(SKIP_1) | instid1(VALU_DEP_2)
	v_dual_mul_f32 v29, v54, v35 :: v_dual_add_f32 v30, v1, v26
	v_fma_f32 v1, v54, v34, -v28
	v_dual_mul_f32 v26, v40, v33 :: v_dual_fmac_f32 v29, v55, v34
	s_delay_alu instid0(VALU_DEP_2) | instskip(NEXT) | instid1(VALU_DEP_2)
	v_add_f32_e32 v28, v42, v1
	v_fma_f32 v1, v39, v32, -v26
	s_delay_alu instid0(VALU_DEP_3) | instskip(NEXT) | instid1(VALU_DEP_2)
	v_add_f32_e32 v29, v45, v29
	v_dual_add_f32 v26, v24, v1 :: v_dual_add_f32 v37, v31, v27
	v_mul_f32_e32 v41, v54, v33
	v_mul_f32_e32 v27, v39, v33
	;; [unrolled: 1-line block ×4, first 2 shown]
	s_delay_alu instid0(VALU_DEP_3) | instskip(NEXT) | instid1(VALU_DEP_2)
	v_fmac_f32_e32 v27, v40, v32
	v_fmac_f32_e32 v35, v40, v34
	s_delay_alu instid0(VALU_DEP_2) | instskip(NEXT) | instid1(VALU_DEP_2)
	v_add_f32_e32 v27, v25, v27
	v_dual_add_f32 v24, v37, v35 :: v_dual_fmac_f32 v41, v55, v32
	v_fma_f32 v32, v39, v34, -v33
	s_delay_alu instid0(VALU_DEP_2) | instskip(NEXT) | instid1(VALU_DEP_2)
	v_add_f32_e32 v31, v36, v41
	v_add_f32_e32 v25, v38, v32
	s_cbranch_scc0 .LBB105_19
.LBB105_11:                             ;   Parent Loop BB105_8 Depth=1
                                        ; =>  This Inner Loop Header: Depth=2
	s_wait_alu 0xfffe
	v_add_nc_u32_e32 v1, s0, v19
	s_delay_alu instid0(VALU_DEP_1) | instskip(SKIP_3) | instid1(SALU_CYCLE_1)
	v_cmp_le_i32_e32 vcc_lo, s5, v1
	s_or_b32 s1, s16, vcc_lo
	s_wait_alu 0xfffe
	s_and_saveexec_b32 s26, s1
	s_xor_b32 s1, exec_lo, s26
; %bb.12:                               ;   in Loop: Header=BB105_11 Depth=2
	ds_store_b32 v20, v0
; %bb.13:                               ;   in Loop: Header=BB105_11 Depth=2
	s_wait_alu 0xfffe
	s_or_saveexec_b32 s1, s1
	v_mov_b32_e32 v1, 0
	s_wait_alu 0xfffe
	s_xor_b32 exec_lo, exec_lo, s1
	s_cbranch_execz .LBB105_15
; %bb.14:                               ;   in Loop: Header=BB105_11 Depth=2
	global_load_b64 v[32:33], v[14:15], off offset:-4
	s_wait_loadcnt 0x0
	v_xor_b32_e32 v1, 0x80000000, v33
	ds_store_b32 v20, v32
.LBB105_15:                             ;   in Loop: Header=BB105_11 Depth=2
	s_or_b32 exec_lo, exec_lo, s1
	v_add_nc_u32_e32 v32, s0, v18
	ds_store_b32 v20, v1 offset:4
	v_cmp_le_i32_e32 vcc_lo, s5, v32
	s_or_b32 s1, vcc_lo, s17
	s_wait_alu 0xfffe
	s_and_saveexec_b32 s26, s1
	s_delay_alu instid0(SALU_CYCLE_1)
	s_xor_b32 s1, exec_lo, s26
; %bb.16:                               ;   in Loop: Header=BB105_11 Depth=2
	v_mov_b32_e32 v1, v0
	ds_store_b64 v21, v[0:1]
; %bb.17:                               ;   in Loop: Header=BB105_11 Depth=2
	s_wait_alu 0xfffe
	s_and_not1_saveexec_b32 s1, s1
	s_cbranch_execz .LBB105_10
; %bb.18:                               ;   in Loop: Header=BB105_11 Depth=2
	global_load_b64 v[32:33], v[16:17], off
	s_wait_loadcnt 0x0
	ds_store_b64 v21, v[32:33]
	s_branch .LBB105_10
.LBB105_19:                             ;   in Loop: Header=BB105_8 Depth=1
	s_mul_u64 s[0:1], s[24:25], s[22:23]
	s_wait_alu 0xfffe
	s_lshl_b64 s[0:1], s[0:1], 3
	s_wait_alu 0xfffe
	s_add_nc_u64 s[0:1], s[12:13], s[0:1]
	s_wait_alu 0xfffe
	v_add_co_u32 v1, vcc_lo, s0, v6
	s_wait_alu 0xfffd
	v_add_co_ci_u32_e64 v16, null, s1, v7, vcc_lo
	s_and_saveexec_b32 s26, s19
	s_cbranch_execz .LBB105_24
; %bb.20:                               ;   in Loop: Header=BB105_8 Depth=1
	v_mul_f32_e32 v15, s6, v31
	v_mul_f32_e32 v14, s7, v31
	s_and_b32 vcc_lo, exec_lo, s11
	s_mov_b32 s27, -1
	s_delay_alu instid0(VALU_DEP_2) | instskip(NEXT) | instid1(VALU_DEP_2)
	v_fmac_f32_e32 v15, s7, v30
	v_fma_f32 v14, v30, s6, -v14
	s_wait_alu 0xfffe
	s_cbranch_vccz .LBB105_22
; %bb.21:                               ;   in Loop: Header=BB105_8 Depth=1
	v_add_co_u32 v30, vcc_lo, v1, v10
	s_wait_alu 0xfffd
	v_add_co_ci_u32_e64 v31, null, v16, v11, vcc_lo
	s_mov_b32 s27, 0
	global_load_b64 v[32:33], v[30:31], off
	s_wait_loadcnt 0x0
	v_mul_f32_e32 v17, s21, v33
	v_mul_f32_e32 v33, s20, v33
	s_delay_alu instid0(VALU_DEP_2) | instskip(NEXT) | instid1(VALU_DEP_1)
	v_fma_f32 v17, v32, s20, -v17
	v_dual_fmac_f32 v33, s21, v32 :: v_dual_add_f32 v32, v14, v17
	s_delay_alu instid0(VALU_DEP_1)
	v_add_f32_e32 v33, v15, v33
	global_store_b64 v[30:31], v[32:33], off
.LBB105_22:                             ;   in Loop: Header=BB105_8 Depth=1
	s_and_not1_b32 vcc_lo, exec_lo, s27
	s_wait_alu 0xfffe
	s_cbranch_vccnz .LBB105_24
; %bb.23:                               ;   in Loop: Header=BB105_8 Depth=1
	v_add_co_u32 v30, vcc_lo, v1, v10
	s_wait_alu 0xfffd
	v_add_co_ci_u32_e64 v31, null, v16, v11, vcc_lo
	global_store_b64 v[30:31], v[14:15], off
.LBB105_24:                             ;   in Loop: Header=BB105_8 Depth=1
	s_or_b32 exec_lo, exec_lo, s26
	s_and_saveexec_b32 s26, s18
	s_cbranch_execz .LBB105_29
; %bb.25:                               ;   in Loop: Header=BB105_8 Depth=1
	v_mul_f32_e32 v15, s6, v29
	v_mul_f32_e32 v14, s7, v29
	s_and_not1_b32 vcc_lo, exec_lo, s11
	s_mov_b32 s27, -1
	s_delay_alu instid0(VALU_DEP_2) | instskip(NEXT) | instid1(VALU_DEP_2)
	v_fmac_f32_e32 v15, s7, v28
	v_fma_f32 v14, v28, s6, -v14
	s_wait_alu 0xfffe
	s_cbranch_vccnz .LBB105_27
; %bb.26:                               ;   in Loop: Header=BB105_8 Depth=1
	v_add_co_u32 v28, vcc_lo, v1, v12
	s_wait_alu 0xfffd
	v_add_co_ci_u32_e64 v29, null, v16, v13, vcc_lo
	s_mov_b32 s27, 0
	global_load_b64 v[30:31], v[28:29], off
	s_wait_loadcnt 0x0
	v_mul_f32_e32 v17, s21, v31
	s_delay_alu instid0(VALU_DEP_1) | instskip(SKIP_1) | instid1(VALU_DEP_1)
	v_fma_f32 v17, v30, s20, -v17
	v_mul_f32_e32 v31, s20, v31
	v_dual_fmac_f32 v31, s21, v30 :: v_dual_add_f32 v30, v14, v17
	s_delay_alu instid0(VALU_DEP_1)
	v_add_f32_e32 v31, v15, v31
	global_store_b64 v[28:29], v[30:31], off
.LBB105_27:                             ;   in Loop: Header=BB105_8 Depth=1
	s_and_not1_b32 vcc_lo, exec_lo, s27
	s_wait_alu 0xfffe
	s_cbranch_vccnz .LBB105_29
; %bb.28:                               ;   in Loop: Header=BB105_8 Depth=1
	v_add_co_u32 v28, vcc_lo, v1, v12
	s_wait_alu 0xfffd
	v_add_co_ci_u32_e64 v29, null, v16, v13, vcc_lo
	global_store_b64 v[28:29], v[14:15], off
.LBB105_29:                             ;   in Loop: Header=BB105_8 Depth=1
	s_or_b32 exec_lo, exec_lo, s26
	v_add_co_u32 v1, vcc_lo, s0, v8
	s_wait_alu 0xfffd
	v_add_co_ci_u32_e64 v16, null, s1, v9, vcc_lo
	s_and_saveexec_b32 s0, s14
	s_cbranch_execz .LBB105_34
; %bb.30:                               ;   in Loop: Header=BB105_8 Depth=1
	v_mul_f32_e32 v15, s6, v27
	v_mul_f32_e32 v14, s7, v27
	s_and_not1_b32 vcc_lo, exec_lo, s11
	s_mov_b32 s1, -1
	s_delay_alu instid0(VALU_DEP_2) | instskip(NEXT) | instid1(VALU_DEP_2)
	v_fmac_f32_e32 v15, s7, v26
	v_fma_f32 v14, v26, s6, -v14
	s_wait_alu 0xfffe
	s_cbranch_vccnz .LBB105_32
; %bb.31:                               ;   in Loop: Header=BB105_8 Depth=1
	v_add_co_u32 v26, vcc_lo, v1, v10
	s_wait_alu 0xfffd
	v_add_co_ci_u32_e64 v27, null, v16, v11, vcc_lo
	s_mov_b32 s1, 0
	global_load_b64 v[28:29], v[26:27], off
	s_wait_loadcnt 0x0
	v_mul_f32_e32 v17, s21, v29
	v_mul_f32_e32 v29, s20, v29
	s_delay_alu instid0(VALU_DEP_2) | instskip(NEXT) | instid1(VALU_DEP_1)
	v_fma_f32 v17, v28, s20, -v17
	v_dual_fmac_f32 v29, s21, v28 :: v_dual_add_f32 v28, v14, v17
	s_delay_alu instid0(VALU_DEP_1)
	v_add_f32_e32 v29, v15, v29
	global_store_b64 v[26:27], v[28:29], off
.LBB105_32:                             ;   in Loop: Header=BB105_8 Depth=1
	s_wait_alu 0xfffe
	s_and_not1_b32 vcc_lo, exec_lo, s1
	s_wait_alu 0xfffe
	s_cbranch_vccnz .LBB105_34
; %bb.33:                               ;   in Loop: Header=BB105_8 Depth=1
	v_add_co_u32 v26, vcc_lo, v1, v10
	s_wait_alu 0xfffd
	v_add_co_ci_u32_e64 v27, null, v16, v11, vcc_lo
	global_store_b64 v[26:27], v[14:15], off
.LBB105_34:                             ;   in Loop: Header=BB105_8 Depth=1
	s_wait_alu 0xfffe
	s_or_b32 exec_lo, exec_lo, s0
	s_and_saveexec_b32 s0, s4
	s_cbranch_execz .LBB105_7
; %bb.35:                               ;   in Loop: Header=BB105_8 Depth=1
	v_mul_f32_e32 v15, s6, v24
	v_mul_f32_e32 v14, s7, v24
	s_and_not1_b32 vcc_lo, exec_lo, s11
	s_mov_b32 s1, -1
	s_delay_alu instid0(VALU_DEP_2) | instskip(NEXT) | instid1(VALU_DEP_2)
	v_fmac_f32_e32 v15, s7, v25
	v_fma_f32 v14, v25, s6, -v14
	s_wait_alu 0xfffe
	s_cbranch_vccnz .LBB105_37
; %bb.36:                               ;   in Loop: Header=BB105_8 Depth=1
	v_add_co_u32 v24, vcc_lo, v1, v12
	s_wait_alu 0xfffd
	v_add_co_ci_u32_e64 v25, null, v16, v13, vcc_lo
	s_mov_b32 s1, 0
	global_load_b64 v[26:27], v[24:25], off
	s_wait_loadcnt 0x0
	v_mul_f32_e32 v17, s21, v27
	s_delay_alu instid0(VALU_DEP_1) | instskip(SKIP_1) | instid1(VALU_DEP_1)
	v_fma_f32 v17, v26, s20, -v17
	v_mul_f32_e32 v27, s20, v27
	v_dual_fmac_f32 v27, s21, v26 :: v_dual_add_f32 v26, v14, v17
	s_delay_alu instid0(VALU_DEP_1)
	v_add_f32_e32 v27, v15, v27
	global_store_b64 v[24:25], v[26:27], off
.LBB105_37:                             ;   in Loop: Header=BB105_8 Depth=1
	s_wait_alu 0xfffe
	s_and_not1_b32 vcc_lo, exec_lo, s1
	s_wait_alu 0xfffe
	s_cbranch_vccnz .LBB105_7
; %bb.38:                               ;   in Loop: Header=BB105_8 Depth=1
	v_add_co_u32 v24, vcc_lo, v1, v12
	s_wait_alu 0xfffd
	v_add_co_ci_u32_e64 v25, null, v16, v13, vcc_lo
	global_store_b64 v[24:25], v[14:15], off
	s_branch .LBB105_7
.LBB105_39:
	s_endpgm
	.section	.rodata,"a",@progbits
	.p2align	6, 0x0
	.amdhsa_kernel _ZL29rocblas_internal_gemmt_kernelIiLi16ELi32ELi8ELc67ELc78ELc76ELb1ELb0E19rocblas_complex_numIfES1_PKS1_PS1_EviT_T9_T10_S5_lS7_S5_lS6_T11_S5_li
		.amdhsa_group_segment_fixed_size 4096
		.amdhsa_private_segment_fixed_size 0
		.amdhsa_kernarg_size 100
		.amdhsa_user_sgpr_count 2
		.amdhsa_user_sgpr_dispatch_ptr 0
		.amdhsa_user_sgpr_queue_ptr 0
		.amdhsa_user_sgpr_kernarg_segment_ptr 1
		.amdhsa_user_sgpr_dispatch_id 0
		.amdhsa_user_sgpr_private_segment_size 0
		.amdhsa_wavefront_size32 1
		.amdhsa_uses_dynamic_stack 0
		.amdhsa_enable_private_segment 0
		.amdhsa_system_sgpr_workgroup_id_x 1
		.amdhsa_system_sgpr_workgroup_id_y 1
		.amdhsa_system_sgpr_workgroup_id_z 1
		.amdhsa_system_sgpr_workgroup_info 0
		.amdhsa_system_vgpr_workitem_id 1
		.amdhsa_next_free_vgpr 69
		.amdhsa_next_free_sgpr 34
		.amdhsa_reserve_vcc 1
		.amdhsa_float_round_mode_32 0
		.amdhsa_float_round_mode_16_64 0
		.amdhsa_float_denorm_mode_32 3
		.amdhsa_float_denorm_mode_16_64 3
		.amdhsa_fp16_overflow 0
		.amdhsa_workgroup_processor_mode 1
		.amdhsa_memory_ordered 1
		.amdhsa_forward_progress 1
		.amdhsa_inst_pref_size 25
		.amdhsa_round_robin_scheduling 0
		.amdhsa_exception_fp_ieee_invalid_op 0
		.amdhsa_exception_fp_denorm_src 0
		.amdhsa_exception_fp_ieee_div_zero 0
		.amdhsa_exception_fp_ieee_overflow 0
		.amdhsa_exception_fp_ieee_underflow 0
		.amdhsa_exception_fp_ieee_inexact 0
		.amdhsa_exception_int_div_zero 0
	.end_amdhsa_kernel
	.section	.text._ZL29rocblas_internal_gemmt_kernelIiLi16ELi32ELi8ELc67ELc78ELc76ELb1ELb0E19rocblas_complex_numIfES1_PKS1_PS1_EviT_T9_T10_S5_lS7_S5_lS6_T11_S5_li,"axG",@progbits,_ZL29rocblas_internal_gemmt_kernelIiLi16ELi32ELi8ELc67ELc78ELc76ELb1ELb0E19rocblas_complex_numIfES1_PKS1_PS1_EviT_T9_T10_S5_lS7_S5_lS6_T11_S5_li,comdat
.Lfunc_end105:
	.size	_ZL29rocblas_internal_gemmt_kernelIiLi16ELi32ELi8ELc67ELc78ELc76ELb1ELb0E19rocblas_complex_numIfES1_PKS1_PS1_EviT_T9_T10_S5_lS7_S5_lS6_T11_S5_li, .Lfunc_end105-_ZL29rocblas_internal_gemmt_kernelIiLi16ELi32ELi8ELc67ELc78ELc76ELb1ELb0E19rocblas_complex_numIfES1_PKS1_PS1_EviT_T9_T10_S5_lS7_S5_lS6_T11_S5_li
                                        ; -- End function
	.set _ZL29rocblas_internal_gemmt_kernelIiLi16ELi32ELi8ELc67ELc78ELc76ELb1ELb0E19rocblas_complex_numIfES1_PKS1_PS1_EviT_T9_T10_S5_lS7_S5_lS6_T11_S5_li.num_vgpr, 69
	.set _ZL29rocblas_internal_gemmt_kernelIiLi16ELi32ELi8ELc67ELc78ELc76ELb1ELb0E19rocblas_complex_numIfES1_PKS1_PS1_EviT_T9_T10_S5_lS7_S5_lS6_T11_S5_li.num_agpr, 0
	.set _ZL29rocblas_internal_gemmt_kernelIiLi16ELi32ELi8ELc67ELc78ELc76ELb1ELb0E19rocblas_complex_numIfES1_PKS1_PS1_EviT_T9_T10_S5_lS7_S5_lS6_T11_S5_li.numbered_sgpr, 34
	.set _ZL29rocblas_internal_gemmt_kernelIiLi16ELi32ELi8ELc67ELc78ELc76ELb1ELb0E19rocblas_complex_numIfES1_PKS1_PS1_EviT_T9_T10_S5_lS7_S5_lS6_T11_S5_li.num_named_barrier, 0
	.set _ZL29rocblas_internal_gemmt_kernelIiLi16ELi32ELi8ELc67ELc78ELc76ELb1ELb0E19rocblas_complex_numIfES1_PKS1_PS1_EviT_T9_T10_S5_lS7_S5_lS6_T11_S5_li.private_seg_size, 0
	.set _ZL29rocblas_internal_gemmt_kernelIiLi16ELi32ELi8ELc67ELc78ELc76ELb1ELb0E19rocblas_complex_numIfES1_PKS1_PS1_EviT_T9_T10_S5_lS7_S5_lS6_T11_S5_li.uses_vcc, 1
	.set _ZL29rocblas_internal_gemmt_kernelIiLi16ELi32ELi8ELc67ELc78ELc76ELb1ELb0E19rocblas_complex_numIfES1_PKS1_PS1_EviT_T9_T10_S5_lS7_S5_lS6_T11_S5_li.uses_flat_scratch, 0
	.set _ZL29rocblas_internal_gemmt_kernelIiLi16ELi32ELi8ELc67ELc78ELc76ELb1ELb0E19rocblas_complex_numIfES1_PKS1_PS1_EviT_T9_T10_S5_lS7_S5_lS6_T11_S5_li.has_dyn_sized_stack, 0
	.set _ZL29rocblas_internal_gemmt_kernelIiLi16ELi32ELi8ELc67ELc78ELc76ELb1ELb0E19rocblas_complex_numIfES1_PKS1_PS1_EviT_T9_T10_S5_lS7_S5_lS6_T11_S5_li.has_recursion, 0
	.set _ZL29rocblas_internal_gemmt_kernelIiLi16ELi32ELi8ELc67ELc78ELc76ELb1ELb0E19rocblas_complex_numIfES1_PKS1_PS1_EviT_T9_T10_S5_lS7_S5_lS6_T11_S5_li.has_indirect_call, 0
	.section	.AMDGPU.csdata,"",@progbits
; Kernel info:
; codeLenInByte = 3132
; TotalNumSgprs: 36
; NumVgprs: 69
; ScratchSize: 0
; MemoryBound: 1
; FloatMode: 240
; IeeeMode: 1
; LDSByteSize: 4096 bytes/workgroup (compile time only)
; SGPRBlocks: 0
; VGPRBlocks: 8
; NumSGPRsForWavesPerEU: 36
; NumVGPRsForWavesPerEU: 69
; Occupancy: 16
; WaveLimiterHint : 0
; COMPUTE_PGM_RSRC2:SCRATCH_EN: 0
; COMPUTE_PGM_RSRC2:USER_SGPR: 2
; COMPUTE_PGM_RSRC2:TRAP_HANDLER: 0
; COMPUTE_PGM_RSRC2:TGID_X_EN: 1
; COMPUTE_PGM_RSRC2:TGID_Y_EN: 1
; COMPUTE_PGM_RSRC2:TGID_Z_EN: 1
; COMPUTE_PGM_RSRC2:TIDIG_COMP_CNT: 1
	.section	.text._ZL29rocblas_internal_gemmt_kernelIiLi16ELi32ELi8ELc67ELc84ELc76ELb1ELb0E19rocblas_complex_numIfES1_PKS1_PS1_EviT_T9_T10_S5_lS7_S5_lS6_T11_S5_li,"axG",@progbits,_ZL29rocblas_internal_gemmt_kernelIiLi16ELi32ELi8ELc67ELc84ELc76ELb1ELb0E19rocblas_complex_numIfES1_PKS1_PS1_EviT_T9_T10_S5_lS7_S5_lS6_T11_S5_li,comdat
	.globl	_ZL29rocblas_internal_gemmt_kernelIiLi16ELi32ELi8ELc67ELc84ELc76ELb1ELb0E19rocblas_complex_numIfES1_PKS1_PS1_EviT_T9_T10_S5_lS7_S5_lS6_T11_S5_li ; -- Begin function _ZL29rocblas_internal_gemmt_kernelIiLi16ELi32ELi8ELc67ELc84ELc76ELb1ELb0E19rocblas_complex_numIfES1_PKS1_PS1_EviT_T9_T10_S5_lS7_S5_lS6_T11_S5_li
	.p2align	8
	.type	_ZL29rocblas_internal_gemmt_kernelIiLi16ELi32ELi8ELc67ELc84ELc76ELb1ELb0E19rocblas_complex_numIfES1_PKS1_PS1_EviT_T9_T10_S5_lS7_S5_lS6_T11_S5_li,@function
_ZL29rocblas_internal_gemmt_kernelIiLi16ELi32ELi8ELc67ELc84ELc76ELb1ELb0E19rocblas_complex_numIfES1_PKS1_PS1_EviT_T9_T10_S5_lS7_S5_lS6_T11_S5_li: ; @_ZL29rocblas_internal_gemmt_kernelIiLi16ELi32ELi8ELc67ELc84ELc76ELb1ELb0E19rocblas_complex_numIfES1_PKS1_PS1_EviT_T9_T10_S5_lS7_S5_lS6_T11_S5_li
; %bb.0:
	s_clause 0x1
	s_load_b64 s[20:21], s[0:1], 0x40
	s_load_b128 s[4:7], s[0:1], 0x0
	s_wait_kmcnt 0x0
	s_cmp_eq_f32 s20, 1.0
	s_cselect_b32 s2, -1, 0
	s_and_b32 s3, s21, 0x7fffffff
	s_delay_alu instid0(SALU_CYCLE_1) | instskip(SKIP_1) | instid1(SALU_CYCLE_1)
	s_cmp_eq_u32 s3, 0
	s_cselect_b32 s3, -1, 0
	s_and_b32 s8, s2, s3
	s_mov_b32 s2, 0
	s_and_not1_b32 vcc_lo, exec_lo, s8
	s_mov_b32 s8, -1
	s_cbranch_vccnz .LBB106_4
; %bb.1:
	s_cmp_lg_u32 s5, 0
	s_cbranch_scc0 .LBB106_3
; %bb.2:
	s_cmp_neq_f32 s6, 0
	s_cselect_b32 s2, -1, 0
	s_cmp_neq_f32 s7, 0
	s_cselect_b32 s8, -1, 0
	s_delay_alu instid0(SALU_CYCLE_1)
	s_or_b32 s2, s2, s8
.LBB106_3:
	s_delay_alu instid0(SALU_CYCLE_1)
	s_mov_b32 s8, s2
.LBB106_4:
	s_delay_alu instid0(SALU_CYCLE_1)
	s_and_b32 vcc_lo, exec_lo, s8
	s_cbranch_vccz .LBB106_39
; %bb.5:
	s_load_b32 s15, s[0:1], 0x60
	s_lshr_b32 s22, ttmp7, 16
	s_wait_kmcnt 0x0
	s_cmp_ge_u32 s22, s15
	s_cbranch_scc1 .LBB106_39
; %bb.6:
	s_load_b32 s26, s[0:1], 0x30
	v_and_b32_e32 v1, 0x3ff, v0
	v_bfe_u32 v2, v0, 10, 10
	v_and_b32_e32 v18, 7, v0
	s_clause 0x4
	s_load_b96 s[16:18], s[0:1], 0x10
	s_load_b128 s[8:11], s[0:1], 0x20
	s_load_b64 s[28:29], s[0:1], 0x38
	s_load_b96 s[12:14], s[0:1], 0x48
	s_load_b64 s[24:25], s[0:1], 0x58
	s_lshl_b32 s1, ttmp7, 5
	s_lshl_b32 s0, ttmp9, 5
	v_lshl_add_u32 v0, v2, 4, v1
	s_and_b32 s1, s1, 0x1fffe0
	v_lshlrev_b32_e32 v3, 3, v18
	v_add_nc_u32_e32 v10, s0, v1
	v_add_nc_u32_e32 v4, s1, v2
	v_and_b32_e32 v5, 31, v0
	v_lshrrev_b32_e32 v19, 5, v0
	v_lshrrev_b32_e32 v0, 3, v0
	v_cmp_gt_i32_e64 s2, s4, v10
	v_add_nc_u32_e32 v12, 16, v10
	v_or_b32_e32 v8, s0, v5
	v_lshlrev_b32_e32 v22, 3, v1
	v_add_nc_u32_e32 v14, s1, v0
	s_wait_kmcnt 0x0
	s_ashr_i32 s27, s26, 31
	s_cmp_neq_f32 s6, 0
	v_lshl_or_b32 v0, v0, 6, v3
	v_lshl_add_u32 v23, v2, 6, 0x800
	v_add_nc_u32_e32 v2, 16, v4
	s_cselect_b32 s0, -1, 0
	s_cmp_neq_f32 s7, 0
	v_add_nc_u32_e32 v21, 0x800, v0
	v_mad_co_i64_i32 v[0:1], null, s18, v8, 0
	s_cselect_b32 s1, -1, 0
	v_mad_co_i64_i32 v[6:7], null, v4, s14, 0
	s_wait_alu 0xfffe
	s_or_b32 s30, s0, s1
	s_cmp_gt_i32 s5, 0
	v_cmp_le_i32_e64 s1, v4, v10
	s_cselect_b32 s31, -1, 0
	s_cmp_neq_f32 s20, 0
	v_lshlrev_b64_e32 v[0:1], 3, v[0:1]
	v_cmp_gt_i32_e32 vcc_lo, s4, v8
	v_cmp_gt_i32_e64 s0, s4, v14
	s_cselect_b32 s33, -1, 0
	s_xor_b32 s34, s3, -1
	s_and_b32 s19, s1, s2
	v_cmp_le_i32_e64 s1, v4, v12
	v_cmp_gt_i32_e64 s3, s4, v12
	v_lshlrev_b32_e32 v4, 3, v19
	v_cmp_le_i32_e64 s4, v2, v12
	v_mad_co_i64_i32 v[8:9], null, v2, s14, 0
	s_and_b32 s18, s1, s3
	v_cmp_le_i32_e64 s1, v2, v10
	v_mad_co_i64_i32 v[2:3], null, s26, v18, 0
	v_lshlrev_b32_e32 v5, 3, v5
	v_lshlrev_b32_e32 v14, 3, v14
	s_delay_alu instid0(VALU_DEP_4) | instskip(SKIP_4) | instid1(VALU_DEP_3)
	s_and_b32 s14, s1, s2
	v_add_co_u32 v4, s1, v0, v4
	s_wait_alu 0xf1ff
	v_add_co_ci_u32_e64 v1, null, 0, v1, s1
	v_lshl_or_b32 v20, v19, 8, v5
	v_add_co_u32 v15, s1, s16, v4
	v_lshlrev_b64_e32 v[4:5], 3, v[2:3]
	s_wait_alu 0xf1ff
	v_add_co_ci_u32_e64 v1, null, s17, v1, s1
	s_delay_alu instid0(VALU_DEP_3) | instskip(SKIP_2) | instid1(VALU_DEP_3)
	v_add_co_u32 v2, s1, v15, 4
	v_ashrrev_i32_e32 v11, 31, v10
	s_wait_alu 0xf1ff
	v_add_co_ci_u32_e64 v3, null, 0, v1, s1
	v_add_co_u32 v1, s1, v4, v14
	v_ashrrev_i32_e32 v13, 31, v12
	s_wait_alu 0xf1ff
	v_add_co_ci_u32_e64 v5, null, 0, v5, s1
	s_delay_alu instid0(VALU_DEP_3)
	v_add_co_u32 v4, s1, s10, v1
	v_lshlrev_b64_e32 v[6:7], 3, v[6:7]
	v_lshlrev_b64_e32 v[8:9], 3, v[8:9]
	;; [unrolled: 1-line block ×4, first 2 shown]
	v_mov_b32_e32 v0, 0
	s_wait_alu 0xf1ff
	v_add_co_ci_u32_e64 v5, null, s11, v5, s1
	s_mov_b32 s23, 0
	s_and_b32 s4, s4, s3
	s_lshl_b64 s[2:3], s[8:9], 3
	s_lshl_b64 s[8:9], s[28:29], 3
	s_and_b32 s16, s30, s31
	s_or_b32 s17, s33, s34
	s_lshl_b64 s[10:11], s[26:27], 6
	s_xor_b32 s26, vcc_lo, -1
	s_xor_b32 s27, s0, -1
	s_branch .LBB106_8
.LBB106_7:                              ;   in Loop: Header=BB106_8 Depth=1
	s_wait_alu 0xfffe
	s_or_b32 exec_lo, exec_lo, s0
	s_add_co_i32 s22, s22, 0x10000
	s_wait_alu 0xfffe
	s_cmp_lt_u32 s22, s15
	s_cbranch_scc0 .LBB106_39
.LBB106_8:                              ; =>This Loop Header: Depth=1
                                        ;     Child Loop BB106_11 Depth 2
	v_dual_mov_b32 v30, v0 :: v_dual_mov_b32 v31, v0
	v_dual_mov_b32 v28, v0 :: v_dual_mov_b32 v29, v0
	;; [unrolled: 1-line block ×4, first 2 shown]
	s_wait_alu 0xfffe
	s_and_not1_b32 vcc_lo, exec_lo, s16
	s_wait_alu 0xfffe
	s_cbranch_vccnz .LBB106_19
; %bb.9:                                ;   in Loop: Header=BB106_8 Depth=1
	v_mad_co_u64_u32 v[14:15], null, s2, s22, v[2:3]
	v_mad_co_u64_u32 v[16:17], null, s8, s22, v[4:5]
	v_dual_mov_b32 v25, 0 :: v_dual_mov_b32 v28, 0
	v_mov_b32_e32 v27, 0
	v_mov_b32_e32 v29, 0
	v_dual_mov_b32 v1, v15 :: v_dual_mov_b32 v24, 0
	v_dual_mov_b32 v15, v17 :: v_dual_mov_b32 v26, 0
	s_mov_b32 s0, 0
	s_delay_alu instid0(VALU_DEP_2) | instskip(NEXT) | instid1(VALU_DEP_2)
	v_mad_co_u64_u32 v[30:31], null, s3, s22, v[1:2]
	v_mad_co_u64_u32 v[32:33], null, s9, s22, v[15:16]
	v_mov_b32_e32 v31, 0
	s_delay_alu instid0(VALU_DEP_3) | instskip(NEXT) | instid1(VALU_DEP_3)
	v_dual_mov_b32 v15, v30 :: v_dual_mov_b32 v30, 0
	v_mov_b32_e32 v17, v32
	s_branch .LBB106_11
.LBB106_10:                             ;   in Loop: Header=BB106_11 Depth=2
	s_wait_alu 0xfffe
	s_or_b32 exec_lo, exec_lo, s1
	s_wait_dscnt 0x0
	s_barrier_signal -1
	s_barrier_wait -1
	global_inv scope:SCOPE_SE
	ds_load_b128 v[32:35], v23
	ds_load_2addr_b64 v[36:39], v22 offset1:16
	ds_load_b128 v[40:43], v23 offset:1024
	ds_load_b128 v[44:47], v23 offset:16
	;; [unrolled: 1-line block ×4, first 2 shown]
	ds_load_2addr_b64 v[56:59], v22 offset0:32 offset1:48
	ds_load_b128 v[60:63], v23 offset:1040
	v_add_co_u32 v14, vcc_lo, v14, 64
	s_wait_alu 0xfffd
	v_add_co_ci_u32_e64 v15, null, 0, v15, vcc_lo
	v_add_co_u32 v16, vcc_lo, v16, s10
	s_wait_alu 0xfffd
	v_add_co_ci_u32_e64 v17, null, s11, v17, vcc_lo
	s_add_co_i32 s0, s0, 8
	s_wait_alu 0xfffe
	s_cmp_lt_i32 s0, s5
	s_wait_dscnt 0x6
	v_dual_mul_f32 v1, v33, v37 :: v_dual_mul_f32 v66, v32, v39
	v_dual_mul_f32 v64, v32, v37 :: v_dual_mul_f32 v65, v33, v39
	s_wait_dscnt 0x5
	v_mul_f32_e32 v68, v41, v39
	s_delay_alu instid0(VALU_DEP_3) | instskip(SKIP_3) | instid1(VALU_DEP_4)
	v_fma_f32 v1, v32, v36, -v1
	v_dual_mul_f32 v39, v40, v39 :: v_dual_fmac_f32 v66, v33, v38
	v_fmac_f32_e32 v64, v33, v36
	v_fma_f32 v32, v32, v38, -v65
	v_add_f32_e32 v1, v30, v1
	v_mul_f32_e32 v67, v41, v37
	s_delay_alu instid0(VALU_DEP_4) | instskip(NEXT) | instid1(VALU_DEP_4)
	v_dual_mul_f32 v37, v40, v37 :: v_dual_add_f32 v30, v31, v64
	v_add_f32_e32 v31, v28, v32
	v_fmac_f32_e32 v39, v41, v38
	s_delay_alu instid0(VALU_DEP_4) | instskip(NEXT) | instid1(VALU_DEP_4)
	v_fma_f32 v33, v40, v36, -v67
	v_fmac_f32_e32 v37, v41, v36
	v_fma_f32 v36, v40, v38, -v68
	s_wait_dscnt 0x1
	v_dual_mul_f32 v38, v34, v57 :: v_dual_add_f32 v29, v29, v66
	v_mul_f32_e32 v40, v35, v59
	v_add_f32_e32 v32, v26, v33
	v_dual_add_f32 v33, v27, v37 :: v_dual_add_f32 v36, v25, v36
	ds_load_2addr_b64 v[25:28], v22 offset0:64 offset1:80
	v_fmac_f32_e32 v38, v35, v56
	v_dual_mul_f32 v37, v35, v57 :: v_dual_add_f32 v24, v24, v39
	v_mul_f32_e32 v39, v34, v59
	s_delay_alu instid0(VALU_DEP_3) | instskip(NEXT) | instid1(VALU_DEP_3)
	v_add_f32_e32 v38, v30, v38
	v_fma_f32 v37, v34, v56, -v37
	v_fma_f32 v34, v34, v58, -v40
	v_mul_f32_e32 v30, v42, v57
	s_delay_alu instid0(VALU_DEP_3) | instskip(SKIP_1) | instid1(VALU_DEP_4)
	v_add_f32_e32 v1, v1, v37
	v_mul_f32_e32 v37, v43, v57
	v_add_f32_e32 v34, v31, v34
	v_fmac_f32_e32 v39, v35, v58
	v_mul_f32_e32 v35, v43, v59
	v_fmac_f32_e32 v30, v43, v56
	v_fma_f32 v31, v42, v56, -v37
	s_delay_alu instid0(VALU_DEP_4) | instskip(SKIP_4) | instid1(VALU_DEP_3)
	v_add_f32_e32 v37, v29, v39
	v_mul_f32_e32 v39, v42, v59
	v_fma_f32 v29, v42, v58, -v35
	s_wait_dscnt 0x0
	v_dual_add_f32 v40, v32, v31 :: v_dual_mul_f32 v31, v45, v26
	v_dual_mul_f32 v42, v45, v28 :: v_dual_fmac_f32 v39, v43, v58
	v_mul_f32_e32 v35, v44, v26
	v_add_f32_e32 v36, v36, v29
	s_delay_alu instid0(VALU_DEP_3) | instskip(SKIP_3) | instid1(VALU_DEP_3)
	v_add_f32_e32 v39, v24, v39
	v_mul_f32_e32 v24, v44, v28
	v_fma_f32 v41, v44, v25, -v31
	v_fmac_f32_e32 v35, v45, v25
	v_fmac_f32_e32 v24, v45, v27
	s_delay_alu instid0(VALU_DEP_3)
	v_add_f32_e32 v1, v1, v41
	v_fma_f32 v41, v44, v27, -v42
	v_add_f32_e32 v33, v33, v30
	ds_load_2addr_b64 v[29:32], v22 offset0:96 offset1:112
	v_dual_add_f32 v35, v38, v35 :: v_dual_mul_f32 v38, v61, v26
	v_mul_f32_e32 v26, v60, v26
	v_dual_add_f32 v34, v34, v41 :: v_dual_mul_f32 v41, v61, v28
	v_mul_f32_e32 v28, v60, v28
	s_delay_alu instid0(VALU_DEP_4) | instskip(NEXT) | instid1(VALU_DEP_4)
	v_fma_f32 v38, v60, v25, -v38
	v_fmac_f32_e32 v26, v61, v25
	v_add_f32_e32 v37, v37, v24
	v_fma_f32 v24, v60, v27, -v41
	v_fmac_f32_e32 v28, v61, v27
	v_add_f32_e32 v38, v40, v38
	s_delay_alu instid0(VALU_DEP_3) | instskip(SKIP_4) | instid1(VALU_DEP_2)
	v_dual_add_f32 v40, v33, v26 :: v_dual_add_f32 v41, v36, v24
	ds_load_2addr_b64 v[24:27], v22 offset0:128 offset1:144
	s_wait_dscnt 0x1
	v_mul_f32_e32 v33, v47, v30
	v_dual_mul_f32 v36, v46, v30 :: v_dual_mul_f32 v45, v63, v32
	v_fma_f32 v33, v46, v29, -v33
	v_mul_f32_e32 v42, v47, v32
	s_delay_alu instid0(VALU_DEP_3) | instskip(NEXT) | instid1(VALU_DEP_3)
	v_fmac_f32_e32 v36, v47, v29
	v_add_f32_e32 v1, v1, v33
	s_delay_alu instid0(VALU_DEP_3) | instskip(SKIP_3) | instid1(VALU_DEP_4)
	v_fma_f32 v42, v46, v31, -v42
	v_add_f32_e32 v39, v39, v28
	v_dual_mul_f32 v28, v46, v32 :: v_dual_mul_f32 v33, v63, v30
	v_dual_add_f32 v43, v35, v36 :: v_dual_mul_f32 v30, v62, v30
	v_add_f32_e32 v42, v34, v42
	s_delay_alu instid0(VALU_DEP_3) | instskip(NEXT) | instid1(VALU_DEP_4)
	v_fmac_f32_e32 v28, v47, v31
	v_fma_f32 v44, v62, v29, -v33
	ds_load_b128 v[33:36], v23 offset:1056
	v_fmac_f32_e32 v30, v63, v29
	s_wait_dscnt 0x1
	v_mul_f32_e32 v29, v49, v25
	v_add_f32_e32 v46, v37, v28
	v_dual_mul_f32 v32, v62, v32 :: v_dual_mul_f32 v47, v48, v25
	v_mul_f32_e32 v56, v48, v27
	s_delay_alu instid0(VALU_DEP_4)
	v_fma_f32 v37, v48, v24, -v29
	v_add_f32_e32 v44, v38, v44
	v_mul_f32_e32 v38, v49, v27
	v_fma_f32 v28, v62, v31, -v45
	v_dual_fmac_f32 v32, v63, v31 :: v_dual_fmac_f32 v47, v49, v24
	v_add_f32_e32 v1, v1, v37
	s_delay_alu instid0(VALU_DEP_4) | instskip(NEXT) | instid1(VALU_DEP_4)
	v_fma_f32 v48, v48, v26, -v38
	v_add_f32_e32 v41, v41, v28
	v_add_f32_e32 v45, v40, v30
	ds_load_2addr_b64 v[28:31], v22 offset0:160 offset1:176
	v_add_f32_e32 v32, v39, v32
	ds_load_b128 v[37:40], v23 offset:1072
	s_wait_dscnt 0x2
	v_mul_f32_e32 v57, v34, v25
	v_dual_mul_f32 v25, v33, v25 :: v_dual_add_f32 v42, v42, v48
	v_mul_f32_e32 v48, v34, v27
	v_dual_add_f32 v43, v43, v47 :: v_dual_fmac_f32 v56, v49, v26
	s_delay_alu instid0(VALU_DEP_4) | instskip(NEXT) | instid1(VALU_DEP_4)
	v_fma_f32 v47, v33, v24, -v57
	v_fmac_f32_e32 v25, v34, v24
	v_mul_f32_e32 v49, v33, v27
	s_delay_alu instid0(VALU_DEP_3) | instskip(SKIP_1) | instid1(VALU_DEP_3)
	v_add_f32_e32 v44, v44, v47
	v_add_f32_e32 v46, v46, v56
	v_fmac_f32_e32 v49, v34, v26
	s_wait_dscnt 0x1
	v_mul_f32_e32 v27, v51, v29
	v_fma_f32 v24, v33, v26, -v48
	v_add_f32_e32 v33, v45, v25
	v_mul_f32_e32 v34, v50, v29
	s_delay_alu instid0(VALU_DEP_4) | instskip(NEXT) | instid1(VALU_DEP_4)
	v_fma_f32 v45, v50, v28, -v27
	v_add_f32_e32 v41, v41, v24
	ds_load_2addr_b64 v[24:27], v22 offset0:192 offset1:208
	v_fmac_f32_e32 v34, v51, v28
	v_dual_mul_f32 v47, v51, v31 :: v_dual_add_f32 v48, v32, v49
	v_dual_add_f32 v1, v1, v45 :: v_dual_mul_f32 v32, v50, v31
	s_delay_alu instid0(VALU_DEP_3) | instskip(NEXT) | instid1(VALU_DEP_3)
	v_dual_add_f32 v43, v43, v34 :: v_dual_mul_f32 v34, v36, v29
	v_fma_f32 v45, v50, v30, -v47
	s_delay_alu instid0(VALU_DEP_3) | instskip(NEXT) | instid1(VALU_DEP_3)
	v_fmac_f32_e32 v32, v51, v30
	v_fma_f32 v34, v35, v28, -v34
	s_delay_alu instid0(VALU_DEP_3) | instskip(SKIP_1) | instid1(VALU_DEP_3)
	v_dual_add_f32 v42, v42, v45 :: v_dual_mul_f32 v45, v36, v31
	v_mul_f32_e32 v29, v35, v29
	v_dual_mul_f32 v31, v35, v31 :: v_dual_add_f32 v44, v44, v34
	s_delay_alu instid0(VALU_DEP_2) | instskip(SKIP_2) | instid1(VALU_DEP_4)
	v_fmac_f32_e32 v29, v36, v28
	v_add_f32_e32 v28, v46, v32
	v_fma_f32 v32, v35, v30, -v45
	v_fmac_f32_e32 v31, v36, v30
	s_wait_dscnt 0x0
	v_mul_f32_e32 v36, v52, v25
	v_dual_add_f32 v29, v33, v29 :: v_dual_mul_f32 v46, v52, v27
	v_add_f32_e32 v30, v41, v32
	ds_load_2addr_b64 v[32:35], v22 offset0:224 offset1:240
	v_dual_add_f32 v31, v48, v31 :: v_dual_fmac_f32 v36, v53, v24
	v_mul_f32_e32 v45, v53, v25
	v_fmac_f32_e32 v46, v53, v26
	s_wait_loadcnt_dscnt 0x0
	s_barrier_signal -1
	v_add_f32_e32 v36, v43, v36
	v_fma_f32 v41, v52, v24, -v45
	v_mul_f32_e32 v45, v53, v27
	v_mul_f32_e32 v43, v38, v27
	;; [unrolled: 1-line block ×3, first 2 shown]
	s_barrier_wait -1
	global_inv scope:SCOPE_SE
	v_fma_f32 v45, v52, v26, -v45
	v_fmac_f32_e32 v27, v38, v26
	s_delay_alu instid0(VALU_DEP_2) | instskip(SKIP_4) | instid1(VALU_DEP_1)
	v_dual_add_f32 v42, v42, v45 :: v_dual_add_f32 v45, v28, v46
	v_fma_f32 v28, v37, v26, -v43
	v_add_f32_e32 v1, v1, v41
	v_mul_f32_e32 v41, v38, v25
	v_mul_f32_e32 v25, v37, v25
	v_fmac_f32_e32 v25, v38, v24
	v_add_f32_e32 v38, v30, v28
	v_mul_f32_e32 v28, v55, v35
	v_fma_f32 v41, v37, v24, -v41
	v_mul_f32_e32 v37, v55, v33
	s_delay_alu instid0(VALU_DEP_2) | instskip(NEXT) | instid1(VALU_DEP_2)
	v_add_f32_e32 v24, v44, v41
	v_fma_f32 v26, v54, v32, -v37
	v_add_f32_e32 v25, v29, v25
	s_delay_alu instid0(VALU_DEP_2) | instskip(SKIP_1) | instid1(VALU_DEP_2)
	v_dual_mul_f32 v29, v54, v35 :: v_dual_add_f32 v30, v1, v26
	v_fma_f32 v1, v54, v34, -v28
	v_dual_mul_f32 v26, v40, v33 :: v_dual_fmac_f32 v29, v55, v34
	s_delay_alu instid0(VALU_DEP_2) | instskip(NEXT) | instid1(VALU_DEP_2)
	v_add_f32_e32 v28, v42, v1
	v_fma_f32 v1, v39, v32, -v26
	s_delay_alu instid0(VALU_DEP_3) | instskip(NEXT) | instid1(VALU_DEP_2)
	v_add_f32_e32 v29, v45, v29
	v_dual_add_f32 v26, v24, v1 :: v_dual_add_f32 v37, v31, v27
	v_mul_f32_e32 v41, v54, v33
	v_mul_f32_e32 v27, v39, v33
	;; [unrolled: 1-line block ×4, first 2 shown]
	s_delay_alu instid0(VALU_DEP_3) | instskip(NEXT) | instid1(VALU_DEP_2)
	v_fmac_f32_e32 v27, v40, v32
	v_fmac_f32_e32 v35, v40, v34
	s_delay_alu instid0(VALU_DEP_2) | instskip(NEXT) | instid1(VALU_DEP_2)
	v_add_f32_e32 v27, v25, v27
	v_dual_add_f32 v24, v37, v35 :: v_dual_fmac_f32 v41, v55, v32
	v_fma_f32 v32, v39, v34, -v33
	s_delay_alu instid0(VALU_DEP_2) | instskip(NEXT) | instid1(VALU_DEP_2)
	v_add_f32_e32 v31, v36, v41
	v_add_f32_e32 v25, v38, v32
	s_cbranch_scc0 .LBB106_19
.LBB106_11:                             ;   Parent Loop BB106_8 Depth=1
                                        ; =>  This Inner Loop Header: Depth=2
	s_wait_alu 0xfffe
	v_add_nc_u32_e32 v1, s0, v19
	s_delay_alu instid0(VALU_DEP_1) | instskip(SKIP_3) | instid1(SALU_CYCLE_1)
	v_cmp_le_i32_e32 vcc_lo, s5, v1
	s_or_b32 s1, s26, vcc_lo
	s_wait_alu 0xfffe
	s_and_saveexec_b32 s28, s1
	s_xor_b32 s1, exec_lo, s28
; %bb.12:                               ;   in Loop: Header=BB106_11 Depth=2
	ds_store_b32 v20, v0
; %bb.13:                               ;   in Loop: Header=BB106_11 Depth=2
	s_wait_alu 0xfffe
	s_or_saveexec_b32 s1, s1
	v_mov_b32_e32 v1, 0
	s_wait_alu 0xfffe
	s_xor_b32 exec_lo, exec_lo, s1
	s_cbranch_execz .LBB106_15
; %bb.14:                               ;   in Loop: Header=BB106_11 Depth=2
	global_load_b64 v[32:33], v[14:15], off offset:-4
	s_wait_loadcnt 0x0
	v_xor_b32_e32 v1, 0x80000000, v33
	ds_store_b32 v20, v32
.LBB106_15:                             ;   in Loop: Header=BB106_11 Depth=2
	s_or_b32 exec_lo, exec_lo, s1
	v_add_nc_u32_e32 v32, s0, v18
	ds_store_b32 v20, v1 offset:4
	v_cmp_le_i32_e32 vcc_lo, s5, v32
	s_or_b32 s1, vcc_lo, s27
	s_wait_alu 0xfffe
	s_and_saveexec_b32 s28, s1
	s_delay_alu instid0(SALU_CYCLE_1)
	s_xor_b32 s1, exec_lo, s28
; %bb.16:                               ;   in Loop: Header=BB106_11 Depth=2
	v_mov_b32_e32 v1, v0
	ds_store_b64 v21, v[0:1]
; %bb.17:                               ;   in Loop: Header=BB106_11 Depth=2
	s_wait_alu 0xfffe
	s_and_not1_saveexec_b32 s1, s1
	s_cbranch_execz .LBB106_10
; %bb.18:                               ;   in Loop: Header=BB106_11 Depth=2
	global_load_b64 v[32:33], v[16:17], off
	s_wait_loadcnt 0x0
	ds_store_b64 v21, v[32:33]
	s_branch .LBB106_10
.LBB106_19:                             ;   in Loop: Header=BB106_8 Depth=1
	s_mul_u64 s[0:1], s[24:25], s[22:23]
	s_wait_alu 0xfffe
	s_lshl_b64 s[0:1], s[0:1], 3
	s_wait_alu 0xfffe
	s_add_nc_u64 s[0:1], s[12:13], s[0:1]
	s_wait_alu 0xfffe
	v_add_co_u32 v1, vcc_lo, s0, v6
	s_wait_alu 0xfffd
	v_add_co_ci_u32_e64 v16, null, s1, v7, vcc_lo
	s_and_saveexec_b32 s28, s19
	s_cbranch_execz .LBB106_24
; %bb.20:                               ;   in Loop: Header=BB106_8 Depth=1
	v_mul_f32_e32 v15, s6, v31
	v_mul_f32_e32 v14, s7, v31
	s_and_b32 vcc_lo, exec_lo, s17
	s_mov_b32 s29, -1
	s_delay_alu instid0(VALU_DEP_2) | instskip(NEXT) | instid1(VALU_DEP_2)
	v_fmac_f32_e32 v15, s7, v30
	v_fma_f32 v14, v30, s6, -v14
	s_wait_alu 0xfffe
	s_cbranch_vccz .LBB106_22
; %bb.21:                               ;   in Loop: Header=BB106_8 Depth=1
	v_add_co_u32 v30, vcc_lo, v1, v10
	s_wait_alu 0xfffd
	v_add_co_ci_u32_e64 v31, null, v16, v11, vcc_lo
	s_mov_b32 s29, 0
	global_load_b64 v[32:33], v[30:31], off
	s_wait_loadcnt 0x0
	v_mul_f32_e32 v17, s21, v33
	v_mul_f32_e32 v33, s20, v33
	s_delay_alu instid0(VALU_DEP_2) | instskip(NEXT) | instid1(VALU_DEP_1)
	v_fma_f32 v17, v32, s20, -v17
	v_dual_fmac_f32 v33, s21, v32 :: v_dual_add_f32 v32, v14, v17
	s_delay_alu instid0(VALU_DEP_1)
	v_add_f32_e32 v33, v15, v33
	global_store_b64 v[30:31], v[32:33], off
.LBB106_22:                             ;   in Loop: Header=BB106_8 Depth=1
	s_and_not1_b32 vcc_lo, exec_lo, s29
	s_wait_alu 0xfffe
	s_cbranch_vccnz .LBB106_24
; %bb.23:                               ;   in Loop: Header=BB106_8 Depth=1
	v_add_co_u32 v30, vcc_lo, v1, v10
	s_wait_alu 0xfffd
	v_add_co_ci_u32_e64 v31, null, v16, v11, vcc_lo
	global_store_b64 v[30:31], v[14:15], off
.LBB106_24:                             ;   in Loop: Header=BB106_8 Depth=1
	s_or_b32 exec_lo, exec_lo, s28
	s_and_saveexec_b32 s28, s18
	s_cbranch_execz .LBB106_29
; %bb.25:                               ;   in Loop: Header=BB106_8 Depth=1
	v_mul_f32_e32 v15, s6, v29
	v_mul_f32_e32 v14, s7, v29
	s_and_not1_b32 vcc_lo, exec_lo, s17
	s_mov_b32 s29, -1
	s_delay_alu instid0(VALU_DEP_2) | instskip(NEXT) | instid1(VALU_DEP_2)
	v_fmac_f32_e32 v15, s7, v28
	v_fma_f32 v14, v28, s6, -v14
	s_wait_alu 0xfffe
	s_cbranch_vccnz .LBB106_27
; %bb.26:                               ;   in Loop: Header=BB106_8 Depth=1
	v_add_co_u32 v28, vcc_lo, v1, v12
	s_wait_alu 0xfffd
	v_add_co_ci_u32_e64 v29, null, v16, v13, vcc_lo
	s_mov_b32 s29, 0
	global_load_b64 v[30:31], v[28:29], off
	s_wait_loadcnt 0x0
	v_mul_f32_e32 v17, s21, v31
	s_delay_alu instid0(VALU_DEP_1) | instskip(SKIP_1) | instid1(VALU_DEP_1)
	v_fma_f32 v17, v30, s20, -v17
	v_mul_f32_e32 v31, s20, v31
	v_dual_fmac_f32 v31, s21, v30 :: v_dual_add_f32 v30, v14, v17
	s_delay_alu instid0(VALU_DEP_1)
	v_add_f32_e32 v31, v15, v31
	global_store_b64 v[28:29], v[30:31], off
.LBB106_27:                             ;   in Loop: Header=BB106_8 Depth=1
	s_and_not1_b32 vcc_lo, exec_lo, s29
	s_wait_alu 0xfffe
	s_cbranch_vccnz .LBB106_29
; %bb.28:                               ;   in Loop: Header=BB106_8 Depth=1
	v_add_co_u32 v28, vcc_lo, v1, v12
	s_wait_alu 0xfffd
	v_add_co_ci_u32_e64 v29, null, v16, v13, vcc_lo
	global_store_b64 v[28:29], v[14:15], off
.LBB106_29:                             ;   in Loop: Header=BB106_8 Depth=1
	s_or_b32 exec_lo, exec_lo, s28
	v_add_co_u32 v1, vcc_lo, s0, v8
	s_wait_alu 0xfffd
	v_add_co_ci_u32_e64 v16, null, s1, v9, vcc_lo
	s_and_saveexec_b32 s0, s14
	s_cbranch_execz .LBB106_34
; %bb.30:                               ;   in Loop: Header=BB106_8 Depth=1
	v_mul_f32_e32 v15, s6, v27
	v_mul_f32_e32 v14, s7, v27
	s_and_not1_b32 vcc_lo, exec_lo, s17
	s_mov_b32 s1, -1
	s_delay_alu instid0(VALU_DEP_2) | instskip(NEXT) | instid1(VALU_DEP_2)
	v_fmac_f32_e32 v15, s7, v26
	v_fma_f32 v14, v26, s6, -v14
	s_wait_alu 0xfffe
	s_cbranch_vccnz .LBB106_32
; %bb.31:                               ;   in Loop: Header=BB106_8 Depth=1
	v_add_co_u32 v26, vcc_lo, v1, v10
	s_wait_alu 0xfffd
	v_add_co_ci_u32_e64 v27, null, v16, v11, vcc_lo
	s_mov_b32 s1, 0
	global_load_b64 v[28:29], v[26:27], off
	s_wait_loadcnt 0x0
	v_mul_f32_e32 v17, s21, v29
	v_mul_f32_e32 v29, s20, v29
	s_delay_alu instid0(VALU_DEP_2) | instskip(NEXT) | instid1(VALU_DEP_1)
	v_fma_f32 v17, v28, s20, -v17
	v_dual_fmac_f32 v29, s21, v28 :: v_dual_add_f32 v28, v14, v17
	s_delay_alu instid0(VALU_DEP_1)
	v_add_f32_e32 v29, v15, v29
	global_store_b64 v[26:27], v[28:29], off
.LBB106_32:                             ;   in Loop: Header=BB106_8 Depth=1
	s_wait_alu 0xfffe
	s_and_not1_b32 vcc_lo, exec_lo, s1
	s_wait_alu 0xfffe
	s_cbranch_vccnz .LBB106_34
; %bb.33:                               ;   in Loop: Header=BB106_8 Depth=1
	v_add_co_u32 v26, vcc_lo, v1, v10
	s_wait_alu 0xfffd
	v_add_co_ci_u32_e64 v27, null, v16, v11, vcc_lo
	global_store_b64 v[26:27], v[14:15], off
.LBB106_34:                             ;   in Loop: Header=BB106_8 Depth=1
	s_wait_alu 0xfffe
	s_or_b32 exec_lo, exec_lo, s0
	s_and_saveexec_b32 s0, s4
	s_cbranch_execz .LBB106_7
; %bb.35:                               ;   in Loop: Header=BB106_8 Depth=1
	v_mul_f32_e32 v15, s6, v24
	v_mul_f32_e32 v14, s7, v24
	s_and_not1_b32 vcc_lo, exec_lo, s17
	s_mov_b32 s1, -1
	s_delay_alu instid0(VALU_DEP_2) | instskip(NEXT) | instid1(VALU_DEP_2)
	v_fmac_f32_e32 v15, s7, v25
	v_fma_f32 v14, v25, s6, -v14
	s_wait_alu 0xfffe
	s_cbranch_vccnz .LBB106_37
; %bb.36:                               ;   in Loop: Header=BB106_8 Depth=1
	v_add_co_u32 v24, vcc_lo, v1, v12
	s_wait_alu 0xfffd
	v_add_co_ci_u32_e64 v25, null, v16, v13, vcc_lo
	s_mov_b32 s1, 0
	global_load_b64 v[26:27], v[24:25], off
	s_wait_loadcnt 0x0
	v_mul_f32_e32 v17, s21, v27
	s_delay_alu instid0(VALU_DEP_1) | instskip(SKIP_1) | instid1(VALU_DEP_1)
	v_fma_f32 v17, v26, s20, -v17
	v_mul_f32_e32 v27, s20, v27
	v_dual_fmac_f32 v27, s21, v26 :: v_dual_add_f32 v26, v14, v17
	s_delay_alu instid0(VALU_DEP_1)
	v_add_f32_e32 v27, v15, v27
	global_store_b64 v[24:25], v[26:27], off
.LBB106_37:                             ;   in Loop: Header=BB106_8 Depth=1
	s_wait_alu 0xfffe
	s_and_not1_b32 vcc_lo, exec_lo, s1
	s_wait_alu 0xfffe
	s_cbranch_vccnz .LBB106_7
; %bb.38:                               ;   in Loop: Header=BB106_8 Depth=1
	v_add_co_u32 v24, vcc_lo, v1, v12
	s_wait_alu 0xfffd
	v_add_co_ci_u32_e64 v25, null, v16, v13, vcc_lo
	global_store_b64 v[24:25], v[14:15], off
	s_branch .LBB106_7
.LBB106_39:
	s_endpgm
	.section	.rodata,"a",@progbits
	.p2align	6, 0x0
	.amdhsa_kernel _ZL29rocblas_internal_gemmt_kernelIiLi16ELi32ELi8ELc67ELc84ELc76ELb1ELb0E19rocblas_complex_numIfES1_PKS1_PS1_EviT_T9_T10_S5_lS7_S5_lS6_T11_S5_li
		.amdhsa_group_segment_fixed_size 4096
		.amdhsa_private_segment_fixed_size 0
		.amdhsa_kernarg_size 100
		.amdhsa_user_sgpr_count 2
		.amdhsa_user_sgpr_dispatch_ptr 0
		.amdhsa_user_sgpr_queue_ptr 0
		.amdhsa_user_sgpr_kernarg_segment_ptr 1
		.amdhsa_user_sgpr_dispatch_id 0
		.amdhsa_user_sgpr_private_segment_size 0
		.amdhsa_wavefront_size32 1
		.amdhsa_uses_dynamic_stack 0
		.amdhsa_enable_private_segment 0
		.amdhsa_system_sgpr_workgroup_id_x 1
		.amdhsa_system_sgpr_workgroup_id_y 1
		.amdhsa_system_sgpr_workgroup_id_z 1
		.amdhsa_system_sgpr_workgroup_info 0
		.amdhsa_system_vgpr_workitem_id 1
		.amdhsa_next_free_vgpr 69
		.amdhsa_next_free_sgpr 35
		.amdhsa_reserve_vcc 1
		.amdhsa_float_round_mode_32 0
		.amdhsa_float_round_mode_16_64 0
		.amdhsa_float_denorm_mode_32 3
		.amdhsa_float_denorm_mode_16_64 3
		.amdhsa_fp16_overflow 0
		.amdhsa_workgroup_processor_mode 1
		.amdhsa_memory_ordered 1
		.amdhsa_forward_progress 1
		.amdhsa_inst_pref_size 25
		.amdhsa_round_robin_scheduling 0
		.amdhsa_exception_fp_ieee_invalid_op 0
		.amdhsa_exception_fp_denorm_src 0
		.amdhsa_exception_fp_ieee_div_zero 0
		.amdhsa_exception_fp_ieee_overflow 0
		.amdhsa_exception_fp_ieee_underflow 0
		.amdhsa_exception_fp_ieee_inexact 0
		.amdhsa_exception_int_div_zero 0
	.end_amdhsa_kernel
	.section	.text._ZL29rocblas_internal_gemmt_kernelIiLi16ELi32ELi8ELc67ELc84ELc76ELb1ELb0E19rocblas_complex_numIfES1_PKS1_PS1_EviT_T9_T10_S5_lS7_S5_lS6_T11_S5_li,"axG",@progbits,_ZL29rocblas_internal_gemmt_kernelIiLi16ELi32ELi8ELc67ELc84ELc76ELb1ELb0E19rocblas_complex_numIfES1_PKS1_PS1_EviT_T9_T10_S5_lS7_S5_lS6_T11_S5_li,comdat
.Lfunc_end106:
	.size	_ZL29rocblas_internal_gemmt_kernelIiLi16ELi32ELi8ELc67ELc84ELc76ELb1ELb0E19rocblas_complex_numIfES1_PKS1_PS1_EviT_T9_T10_S5_lS7_S5_lS6_T11_S5_li, .Lfunc_end106-_ZL29rocblas_internal_gemmt_kernelIiLi16ELi32ELi8ELc67ELc84ELc76ELb1ELb0E19rocblas_complex_numIfES1_PKS1_PS1_EviT_T9_T10_S5_lS7_S5_lS6_T11_S5_li
                                        ; -- End function
	.set _ZL29rocblas_internal_gemmt_kernelIiLi16ELi32ELi8ELc67ELc84ELc76ELb1ELb0E19rocblas_complex_numIfES1_PKS1_PS1_EviT_T9_T10_S5_lS7_S5_lS6_T11_S5_li.num_vgpr, 69
	.set _ZL29rocblas_internal_gemmt_kernelIiLi16ELi32ELi8ELc67ELc84ELc76ELb1ELb0E19rocblas_complex_numIfES1_PKS1_PS1_EviT_T9_T10_S5_lS7_S5_lS6_T11_S5_li.num_agpr, 0
	.set _ZL29rocblas_internal_gemmt_kernelIiLi16ELi32ELi8ELc67ELc84ELc76ELb1ELb0E19rocblas_complex_numIfES1_PKS1_PS1_EviT_T9_T10_S5_lS7_S5_lS6_T11_S5_li.numbered_sgpr, 35
	.set _ZL29rocblas_internal_gemmt_kernelIiLi16ELi32ELi8ELc67ELc84ELc76ELb1ELb0E19rocblas_complex_numIfES1_PKS1_PS1_EviT_T9_T10_S5_lS7_S5_lS6_T11_S5_li.num_named_barrier, 0
	.set _ZL29rocblas_internal_gemmt_kernelIiLi16ELi32ELi8ELc67ELc84ELc76ELb1ELb0E19rocblas_complex_numIfES1_PKS1_PS1_EviT_T9_T10_S5_lS7_S5_lS6_T11_S5_li.private_seg_size, 0
	.set _ZL29rocblas_internal_gemmt_kernelIiLi16ELi32ELi8ELc67ELc84ELc76ELb1ELb0E19rocblas_complex_numIfES1_PKS1_PS1_EviT_T9_T10_S5_lS7_S5_lS6_T11_S5_li.uses_vcc, 1
	.set _ZL29rocblas_internal_gemmt_kernelIiLi16ELi32ELi8ELc67ELc84ELc76ELb1ELb0E19rocblas_complex_numIfES1_PKS1_PS1_EviT_T9_T10_S5_lS7_S5_lS6_T11_S5_li.uses_flat_scratch, 0
	.set _ZL29rocblas_internal_gemmt_kernelIiLi16ELi32ELi8ELc67ELc84ELc76ELb1ELb0E19rocblas_complex_numIfES1_PKS1_PS1_EviT_T9_T10_S5_lS7_S5_lS6_T11_S5_li.has_dyn_sized_stack, 0
	.set _ZL29rocblas_internal_gemmt_kernelIiLi16ELi32ELi8ELc67ELc84ELc76ELb1ELb0E19rocblas_complex_numIfES1_PKS1_PS1_EviT_T9_T10_S5_lS7_S5_lS6_T11_S5_li.has_recursion, 0
	.set _ZL29rocblas_internal_gemmt_kernelIiLi16ELi32ELi8ELc67ELc84ELc76ELb1ELb0E19rocblas_complex_numIfES1_PKS1_PS1_EviT_T9_T10_S5_lS7_S5_lS6_T11_S5_li.has_indirect_call, 0
	.section	.AMDGPU.csdata,"",@progbits
; Kernel info:
; codeLenInByte = 3148
; TotalNumSgprs: 37
; NumVgprs: 69
; ScratchSize: 0
; MemoryBound: 1
; FloatMode: 240
; IeeeMode: 1
; LDSByteSize: 4096 bytes/workgroup (compile time only)
; SGPRBlocks: 0
; VGPRBlocks: 8
; NumSGPRsForWavesPerEU: 37
; NumVGPRsForWavesPerEU: 69
; Occupancy: 16
; WaveLimiterHint : 0
; COMPUTE_PGM_RSRC2:SCRATCH_EN: 0
; COMPUTE_PGM_RSRC2:USER_SGPR: 2
; COMPUTE_PGM_RSRC2:TRAP_HANDLER: 0
; COMPUTE_PGM_RSRC2:TGID_X_EN: 1
; COMPUTE_PGM_RSRC2:TGID_Y_EN: 1
; COMPUTE_PGM_RSRC2:TGID_Z_EN: 1
; COMPUTE_PGM_RSRC2:TIDIG_COMP_CNT: 1
	.section	.text._ZL29rocblas_internal_gemmt_kernelIiLi16ELi32ELi8ELc67ELc67ELc76ELb1ELb1E19rocblas_complex_numIfES1_PKS1_PS1_EviT_T9_T10_S5_lS7_S5_lS6_T11_S5_li,"axG",@progbits,_ZL29rocblas_internal_gemmt_kernelIiLi16ELi32ELi8ELc67ELc67ELc76ELb1ELb1E19rocblas_complex_numIfES1_PKS1_PS1_EviT_T9_T10_S5_lS7_S5_lS6_T11_S5_li,comdat
	.globl	_ZL29rocblas_internal_gemmt_kernelIiLi16ELi32ELi8ELc67ELc67ELc76ELb1ELb1E19rocblas_complex_numIfES1_PKS1_PS1_EviT_T9_T10_S5_lS7_S5_lS6_T11_S5_li ; -- Begin function _ZL29rocblas_internal_gemmt_kernelIiLi16ELi32ELi8ELc67ELc67ELc76ELb1ELb1E19rocblas_complex_numIfES1_PKS1_PS1_EviT_T9_T10_S5_lS7_S5_lS6_T11_S5_li
	.p2align	8
	.type	_ZL29rocblas_internal_gemmt_kernelIiLi16ELi32ELi8ELc67ELc67ELc76ELb1ELb1E19rocblas_complex_numIfES1_PKS1_PS1_EviT_T9_T10_S5_lS7_S5_lS6_T11_S5_li,@function
_ZL29rocblas_internal_gemmt_kernelIiLi16ELi32ELi8ELc67ELc67ELc76ELb1ELb1E19rocblas_complex_numIfES1_PKS1_PS1_EviT_T9_T10_S5_lS7_S5_lS6_T11_S5_li: ; @_ZL29rocblas_internal_gemmt_kernelIiLi16ELi32ELi8ELc67ELc67ELc76ELb1ELb1E19rocblas_complex_numIfES1_PKS1_PS1_EviT_T9_T10_S5_lS7_S5_lS6_T11_S5_li
; %bb.0:
	s_clause 0x1
	s_load_b64 s[20:21], s[0:1], 0x40
	s_load_b128 s[4:7], s[0:1], 0x0
	s_wait_kmcnt 0x0
	s_cmp_eq_f32 s20, 1.0
	s_cselect_b32 s3, -1, 0
	s_and_b32 s2, s21, 0x7fffffff
	s_delay_alu instid0(SALU_CYCLE_1) | instskip(SKIP_1) | instid1(SALU_CYCLE_1)
	s_cmp_eq_u32 s2, 0
	s_cselect_b32 s2, -1, 0
	s_and_b32 s8, s3, s2
	s_mov_b32 s3, 0
	s_and_not1_b32 vcc_lo, exec_lo, s8
	s_mov_b32 s8, -1
	s_cbranch_vccnz .LBB107_4
; %bb.1:
	s_cmp_lg_u32 s5, 0
	s_cbranch_scc0 .LBB107_3
; %bb.2:
	s_cmp_neq_f32 s6, 0
	s_cselect_b32 s3, -1, 0
	s_cmp_neq_f32 s7, 0
	s_cselect_b32 s8, -1, 0
	s_delay_alu instid0(SALU_CYCLE_1)
	s_or_b32 s3, s3, s8
.LBB107_3:
	s_delay_alu instid0(SALU_CYCLE_1)
	s_mov_b32 s8, s3
.LBB107_4:
	s_delay_alu instid0(SALU_CYCLE_1)
	s_and_b32 vcc_lo, exec_lo, s8
	s_cbranch_vccz .LBB107_39
; %bb.5:
	s_load_b32 s15, s[0:1], 0x60
	s_lshr_b32 s22, ttmp7, 16
	s_wait_kmcnt 0x0
	s_cmp_ge_u32 s22, s15
	s_cbranch_scc1 .LBB107_39
; %bb.6:
	s_load_b32 s26, s[0:1], 0x30
	v_dual_mov_b32 v22, 0 :: v_dual_and_b32 v1, 0x3ff, v0
	v_bfe_u32 v2, v0, 10, 10
	s_clause 0x4
	s_load_b96 s[16:18], s[0:1], 0x10
	s_load_b128 s[8:11], s[0:1], 0x20
	s_load_b64 s[28:29], s[0:1], 0x38
	s_load_b96 s[12:14], s[0:1], 0x48
	s_load_b64 s[24:25], s[0:1], 0x58
	s_lshl_b32 s1, ttmp7, 5
	v_and_b32_e32 v16, 7, v0
	s_lshl_b32 s0, ttmp9, 5
	v_lshl_add_u32 v0, v2, 4, v1
	s_and_b32 s1, s1, 0x1fffe0
	v_add_nc_u32_e32 v8, s0, v1
	v_lshlrev_b32_e32 v3, 3, v16
	v_lshlrev_b32_e32 v20, 3, v1
	v_and_b32_e32 v4, 31, v0
	v_lshrrev_b32_e32 v5, 3, v0
	v_lshrrev_b32_e32 v17, 5, v0
	v_add_nc_u32_e32 v1, s1, v2
	v_add_nc_u32_e32 v10, 16, v8
	v_or_b32_e32 v0, s0, v4
	v_lshlrev_b32_e32 v4, 3, v4
	s_wait_kmcnt 0x0
	s_ashr_i32 s27, s26, 31
	s_cmp_neq_f32 s6, 0
	v_lshl_or_b32 v3, v5, 6, v3
	v_add_nc_u32_e32 v12, s1, v5
	v_cmp_gt_i32_e32 vcc_lo, s4, v0
	s_cselect_b32 s3, -1, 0
	s_cmp_neq_f32 s7, 0
	v_lshl_or_b32 v18, v17, 8, v4
	v_cmp_le_i32_e64 s1, v1, v8
	v_mad_co_i64_i32 v[4:5], null, v1, s14, 0
	s_cselect_b32 s19, -1, 0
	v_add_nc_u32_e32 v6, 16, v1
	s_or_b32 s31, s3, s19
	s_cmp_gt_i32 s5, 0
	v_cmp_le_i32_e64 s3, v1, v10
	s_cselect_b32 s33, -1, 0
	s_cmp_neq_f32 s20, 0
	v_mad_co_i64_i32 v[0:1], null, s18, v0, 0
	v_add_nc_u32_e32 v19, 0x800, v3
	v_lshl_add_u32 v21, v2, 6, 0x800
	v_mad_co_i64_i32 v[2:3], null, s26, v16, 0
	s_cselect_b32 s34, -1, 0
	s_xor_b32 s35, s2, -1
	v_cmp_gt_i32_e64 s2, s4, v8
	v_lshlrev_b64_e32 v[0:1], 3, v[0:1]
	v_cmp_gt_i32_e64 s0, s4, v12
	v_cmp_gt_i32_e64 s4, s4, v10
	v_lshlrev_b32_e32 v13, 3, v17
	s_and_b32 s19, s1, s2
	v_cmp_le_i32_e64 s1, v6, v8
	v_lshlrev_b64_e32 v[2:3], 3, v[2:3]
	v_lshlrev_b32_e32 v12, 3, v12
	s_and_b32 s30, s3, s4
	v_cmp_le_i32_e64 s3, v6, v10
	v_mad_co_i64_i32 v[6:7], null, v6, s14, 0
	s_and_b32 s14, s1, s2
	v_add_co_u32 v0, s1, v0, v13
	s_wait_alu 0xf1ff
	v_add_co_ci_u32_e64 v1, null, 0, v1, s1
	v_add_co_u32 v2, s1, v2, v12
	s_wait_alu 0xf1ff
	v_add_co_ci_u32_e64 v3, null, 0, v3, s1
	;; [unrolled: 3-line block ×3, first 2 shown]
	v_add_co_u32 v2, s1, s10, v2
	v_ashrrev_i32_e32 v9, 31, v8
	v_ashrrev_i32_e32 v11, 31, v10
	s_wait_alu 0xf1ff
	v_add_co_ci_u32_e64 v3, null, s11, v3, s1
	v_add_co_u32 v2, s1, v2, 4
	v_lshlrev_b64_e32 v[4:5], 3, v[4:5]
	v_lshlrev_b64_e32 v[6:7], 3, v[6:7]
	v_lshlrev_b64_e32 v[8:9], 3, v[8:9]
	v_lshlrev_b64_e32 v[10:11], 3, v[10:11]
	s_wait_alu 0xf1ff
	v_add_co_ci_u32_e64 v3, null, 0, v3, s1
	s_mov_b32 s23, 0
	s_and_b32 s4, s3, s4
	s_lshl_b64 s[2:3], s[8:9], 3
	s_lshl_b64 s[8:9], s[28:29], 3
	s_and_b32 s16, s31, s33
	s_or_b32 s17, s34, s35
	s_lshl_b64 s[10:11], s[26:27], 6
	s_xor_b32 s18, vcc_lo, -1
	s_xor_b32 s26, s0, -1
	s_branch .LBB107_8
.LBB107_7:                              ;   in Loop: Header=BB107_8 Depth=1
	s_wait_alu 0xfffe
	s_or_b32 exec_lo, exec_lo, s0
	s_add_co_i32 s22, s22, 0x10000
	s_wait_alu 0xfffe
	s_cmp_lt_u32 s22, s15
	s_cbranch_scc0 .LBB107_39
.LBB107_8:                              ; =>This Loop Header: Depth=1
                                        ;     Child Loop BB107_11 Depth 2
	v_dual_mov_b32 v29, 0 :: v_dual_mov_b32 v30, 0
	v_dual_mov_b32 v27, 0 :: v_dual_mov_b32 v28, 0
	;; [unrolled: 1-line block ×4, first 2 shown]
	s_wait_alu 0xfffe
	s_and_not1_b32 vcc_lo, exec_lo, s16
	s_wait_alu 0xfffe
	s_cbranch_vccnz .LBB107_19
; %bb.9:                                ;   in Loop: Header=BB107_8 Depth=1
	v_mad_co_u64_u32 v[12:13], null, s2, s22, v[0:1]
	v_mad_co_u64_u32 v[14:15], null, s8, s22, v[2:3]
	v_dual_mov_b32 v23, 0 :: v_dual_mov_b32 v24, 0
	v_dual_mov_b32 v26, 0 :: v_dual_mov_b32 v25, 0
	;; [unrolled: 1-line block ×3, first 2 shown]
	s_delay_alu instid0(VALU_DEP_4) | instskip(SKIP_3) | instid1(VALU_DEP_3)
	v_mad_co_u64_u32 v[29:30], null, s3, s22, v[13:14]
	v_mad_co_u64_u32 v[31:32], null, s9, s22, v[15:16]
	v_mov_b32_e32 v30, 0
	s_mov_b32 s0, 0
	v_mov_b32_e32 v13, v29
	v_mov_b32_e32 v29, 0
	s_delay_alu instid0(VALU_DEP_4)
	v_mov_b32_e32 v15, v31
	s_branch .LBB107_11
.LBB107_10:                             ;   in Loop: Header=BB107_11 Depth=2
	s_or_b32 exec_lo, exec_lo, s1
	ds_store_b32 v19, v31 offset:4
	s_wait_dscnt 0x0
	s_barrier_signal -1
	s_barrier_wait -1
	global_inv scope:SCOPE_SE
	ds_load_b128 v[31:34], v21
	ds_load_2addr_b64 v[35:38], v20 offset1:16
	ds_load_b128 v[39:42], v21 offset:1024
	ds_load_b128 v[43:46], v21 offset:16
	;; [unrolled: 1-line block ×4, first 2 shown]
	ds_load_2addr_b64 v[55:58], v20 offset0:32 offset1:48
	ds_load_b128 v[59:62], v21 offset:1040
	v_add_co_u32 v12, vcc_lo, v12, 64
	s_wait_alu 0xfffd
	v_add_co_ci_u32_e64 v13, null, 0, v13, vcc_lo
	v_add_co_u32 v14, vcc_lo, v14, s10
	s_wait_alu 0xfffd
	v_add_co_ci_u32_e64 v15, null, s11, v15, vcc_lo
	s_add_co_i32 s0, s0, 8
	s_wait_alu 0xfffe
	s_cmp_lt_i32 s0, s5
	s_wait_dscnt 0x6
	v_dual_mul_f32 v63, v32, v36 :: v_dual_mul_f32 v66, v31, v38
	v_dual_mul_f32 v64, v31, v36 :: v_dual_mul_f32 v65, v32, v38
	s_wait_dscnt 0x5
	v_mul_f32_e32 v67, v40, v36
	s_delay_alu instid0(VALU_DEP_3)
	v_fma_f32 v63, v31, v35, -v63
	v_mul_f32_e32 v36, v39, v36
	v_fmac_f32_e32 v66, v32, v37
	v_fma_f32 v31, v31, v37, -v65
	v_mul_f32_e32 v68, v40, v38
	v_dual_mul_f32 v38, v39, v38 :: v_dual_add_f32 v29, v29, v63
	s_delay_alu instid0(VALU_DEP_3) | instskip(NEXT) | instid1(VALU_DEP_3)
	v_add_f32_e32 v31, v27, v31
	v_fma_f32 v27, v39, v37, -v68
	s_delay_alu instid0(VALU_DEP_3) | instskip(SKIP_1) | instid1(VALU_DEP_3)
	v_fmac_f32_e32 v38, v40, v37
	v_fmac_f32_e32 v36, v40, v35
	v_add_f32_e32 v37, v24, v27
	s_delay_alu instid0(VALU_DEP_3)
	v_dual_add_f32 v23, v23, v38 :: v_dual_fmac_f32 v64, v32, v35
	v_fma_f32 v32, v39, v35, -v67
	s_wait_dscnt 0x1
	v_dual_mul_f32 v39, v33, v56 :: v_dual_add_f32 v28, v28, v66
	v_add_f32_e32 v35, v26, v36
	v_add_f32_e32 v30, v30, v64
	s_delay_alu instid0(VALU_DEP_3) | instskip(SKIP_4) | instid1(VALU_DEP_1)
	v_dual_fmac_f32 v39, v34, v55 :: v_dual_add_f32 v32, v25, v32
	ds_load_2addr_b64 v[24:27], v20 offset0:64 offset1:80
	v_mul_f32_e32 v38, v33, v58
	v_mul_f32_e32 v40, v34, v58
	v_dual_add_f32 v39, v30, v39 :: v_dual_mul_f32 v30, v41, v56
	v_fmac_f32_e32 v30, v42, v55
	s_delay_alu instid0(VALU_DEP_1) | instskip(SKIP_1) | instid1(VALU_DEP_1)
	v_dual_fmac_f32 v38, v34, v57 :: v_dual_add_f32 v35, v35, v30
	v_mul_f32_e32 v36, v34, v56
	v_fma_f32 v36, v33, v55, -v36
	s_delay_alu instid0(VALU_DEP_1) | instskip(SKIP_3) | instid1(VALU_DEP_2)
	v_add_f32_e32 v36, v29, v36
	v_fma_f32 v29, v33, v57, -v40
	s_wait_dscnt 0x0
	v_dual_mul_f32 v33, v42, v56 :: v_dual_mul_f32 v40, v43, v25
	v_add_f32_e32 v34, v31, v29
	s_delay_alu instid0(VALU_DEP_2) | instskip(SKIP_3) | instid1(VALU_DEP_4)
	v_fma_f32 v29, v41, v55, -v33
	v_mul_f32_e32 v31, v42, v58
	v_add_f32_e32 v33, v28, v38
	v_mul_f32_e32 v38, v41, v58
	v_add_f32_e32 v32, v32, v29
	s_delay_alu instid0(VALU_DEP_4) | instskip(SKIP_1) | instid1(VALU_DEP_2)
	v_fma_f32 v28, v41, v57, -v31
	v_mul_f32_e32 v29, v44, v25
	v_dual_fmac_f32 v38, v42, v57 :: v_dual_add_f32 v37, v37, v28
	s_delay_alu instid0(VALU_DEP_2) | instskip(SKIP_4) | instid1(VALU_DEP_3)
	v_fma_f32 v41, v43, v24, -v29
	ds_load_2addr_b64 v[28:31], v20 offset0:96 offset1:112
	v_fmac_f32_e32 v40, v44, v24
	v_add_f32_e32 v38, v23, v38
	v_dual_mul_f32 v23, v43, v27 :: v_dual_add_f32 v36, v36, v41
	v_dual_add_f32 v39, v39, v40 :: v_dual_mul_f32 v40, v60, v25
	v_mul_f32_e32 v25, v59, v25
	s_delay_alu instid0(VALU_DEP_3) | instskip(NEXT) | instid1(VALU_DEP_2)
	v_fmac_f32_e32 v23, v44, v26
	v_fmac_f32_e32 v25, v60, v24
	v_mul_f32_e32 v42, v44, v27
	s_delay_alu instid0(VALU_DEP_1) | instskip(NEXT) | instid1(VALU_DEP_4)
	v_fma_f32 v41, v43, v26, -v42
	v_add_f32_e32 v42, v33, v23
	s_wait_dscnt 0x0
	v_mul_f32_e32 v33, v45, v29
	s_delay_alu instid0(VALU_DEP_3) | instskip(SKIP_1) | instid1(VALU_DEP_3)
	v_dual_add_f32 v34, v34, v41 :: v_dual_mul_f32 v41, v60, v27
	v_mul_f32_e32 v27, v59, v27
	v_fmac_f32_e32 v33, v46, v28
	v_fma_f32 v40, v59, v24, -v40
	s_delay_alu instid0(VALU_DEP_4) | instskip(NEXT) | instid1(VALU_DEP_4)
	v_fma_f32 v23, v59, v26, -v41
	v_fmac_f32_e32 v27, v60, v26
	s_delay_alu instid0(VALU_DEP_3) | instskip(NEXT) | instid1(VALU_DEP_3)
	v_dual_add_f32 v41, v35, v25 :: v_dual_add_f32 v40, v32, v40
	v_dual_mul_f32 v32, v46, v29 :: v_dual_add_f32 v37, v37, v23
	v_mul_f32_e32 v35, v46, v31
	ds_load_2addr_b64 v[23:26], v20 offset0:128 offset1:144
	v_add_f32_e32 v38, v38, v27
	v_fma_f32 v32, v45, v28, -v32
	v_mul_f32_e32 v27, v45, v31
	v_fma_f32 v35, v45, v30, -v35
	v_mul_f32_e32 v45, v62, v31
	s_delay_alu instid0(VALU_DEP_4) | instskip(NEXT) | instid1(VALU_DEP_4)
	v_dual_add_f32 v43, v39, v33 :: v_dual_add_f32 v36, v36, v32
	v_fmac_f32_e32 v27, v46, v30
	v_mul_f32_e32 v31, v61, v31
	s_delay_alu instid0(VALU_DEP_2) | instskip(SKIP_4) | instid1(VALU_DEP_4)
	v_add_f32_e32 v42, v42, v27
	v_fma_f32 v27, v61, v30, -v45
	v_mul_f32_e32 v32, v62, v29
	v_mul_f32_e32 v29, v61, v29
	v_fmac_f32_e32 v31, v62, v30
	v_add_f32_e32 v45, v37, v27
	s_delay_alu instid0(VALU_DEP_4) | instskip(NEXT) | instid1(VALU_DEP_4)
	v_fma_f32 v39, v61, v28, -v32
	v_fmac_f32_e32 v29, v62, v28
	s_wait_dscnt 0x0
	v_mul_f32_e32 v28, v48, v24
	v_dual_mul_f32 v46, v47, v24 :: v_dual_add_f32 v31, v38, v31
	v_mul_f32_e32 v56, v47, v26
	v_add_f32_e32 v40, v40, v39
	v_dual_add_f32 v44, v34, v35 :: v_dual_add_f32 v41, v41, v29
	ds_load_b128 v[32:35], v21 offset:1056
	v_fma_f32 v37, v47, v23, -v28
	ds_load_2addr_b64 v[27:30], v20 offset0:160 offset1:176
	v_mul_f32_e32 v39, v48, v26
	v_fmac_f32_e32 v56, v48, v25
	v_add_f32_e32 v55, v36, v37
	s_delay_alu instid0(VALU_DEP_3) | instskip(SKIP_4) | instid1(VALU_DEP_2)
	v_fma_f32 v47, v47, v25, -v39
	ds_load_b128 v[36:39], v21 offset:1072
	v_fmac_f32_e32 v46, v48, v23
	s_wait_dscnt 0x2
	v_dual_add_f32 v44, v44, v47 :: v_dual_mul_f32 v57, v33, v24
	v_dual_add_f32 v43, v43, v46 :: v_dual_mul_f32 v24, v32, v24
	v_mul_f32_e32 v47, v33, v26
	v_mul_f32_e32 v48, v32, v26
	s_delay_alu instid0(VALU_DEP_4)
	v_fma_f32 v46, v32, v23, -v57
	v_add_f32_e32 v42, v42, v56
	s_wait_dscnt 0x1
	v_mul_f32_e32 v26, v50, v28
	v_fmac_f32_e32 v48, v33, v25
	v_fmac_f32_e32 v24, v33, v23
	v_fma_f32 v23, v32, v25, -v47
	v_dual_mul_f32 v33, v49, v28 :: v_dual_add_f32 v40, v40, v46
	s_delay_alu instid0(VALU_DEP_4) | instskip(SKIP_1) | instid1(VALU_DEP_3)
	v_add_f32_e32 v47, v31, v48
	v_mul_f32_e32 v31, v49, v30
	v_dual_fmac_f32 v33, v50, v27 :: v_dual_add_f32 v32, v41, v24
	v_add_f32_e32 v41, v45, v23
	v_fma_f32 v45, v49, v27, -v26
	ds_load_2addr_b64 v[23:26], v20 offset0:192 offset1:208
	v_dual_mul_f32 v46, v50, v30 :: v_dual_add_f32 v43, v43, v33
	v_mul_f32_e32 v33, v35, v28
	v_dual_mul_f32 v28, v34, v28 :: v_dual_add_f32 v45, v55, v45
	s_delay_alu instid0(VALU_DEP_3) | instskip(SKIP_1) | instid1(VALU_DEP_4)
	v_fma_f32 v46, v49, v29, -v46
	v_fmac_f32_e32 v31, v50, v29
	v_fma_f32 v33, v34, v27, -v33
	s_delay_alu instid0(VALU_DEP_4) | instskip(NEXT) | instid1(VALU_DEP_4)
	v_fmac_f32_e32 v28, v35, v27
	v_add_f32_e32 v44, v44, v46
	s_delay_alu instid0(VALU_DEP_4) | instskip(SKIP_2) | instid1(VALU_DEP_3)
	v_dual_mul_f32 v46, v35, v30 :: v_dual_add_f32 v27, v42, v31
	v_mul_f32_e32 v30, v34, v30
	v_add_f32_e32 v40, v40, v33
	v_fma_f32 v31, v34, v29, -v46
	s_delay_alu instid0(VALU_DEP_3) | instskip(SKIP_3) | instid1(VALU_DEP_2)
	v_fmac_f32_e32 v30, v35, v29
	s_wait_dscnt 0x0
	v_mul_f32_e32 v46, v51, v26
	v_mul_f32_e32 v35, v51, v24
	v_dual_add_f32 v29, v41, v31 :: v_dual_fmac_f32 v46, v52, v25
	v_mul_f32_e32 v42, v52, v24
	s_delay_alu instid0(VALU_DEP_3) | instskip(NEXT) | instid1(VALU_DEP_2)
	v_fmac_f32_e32 v35, v52, v23
	v_fma_f32 v41, v51, v23, -v42
	s_delay_alu instid0(VALU_DEP_2) | instskip(NEXT) | instid1(VALU_DEP_2)
	v_dual_mul_f32 v42, v52, v26 :: v_dual_add_f32 v35, v43, v35
	v_dual_add_f32 v41, v45, v41 :: v_dual_add_f32 v28, v32, v28
	ds_load_2addr_b64 v[31:34], v20 offset0:224 offset1:240
	v_mul_f32_e32 v45, v37, v24
	v_fma_f32 v42, v51, v25, -v42
	v_mul_f32_e32 v24, v36, v24
	s_wait_loadcnt_dscnt 0x0
	s_barrier_signal -1
	v_fma_f32 v43, v36, v23, -v45
	v_add_f32_e32 v30, v47, v30
	v_dual_fmac_f32 v24, v37, v23 :: v_dual_add_f32 v45, v27, v46
	s_barrier_wait -1
	s_delay_alu instid0(VALU_DEP_3)
	v_add_f32_e32 v23, v40, v43
	v_add_f32_e32 v42, v44, v42
	v_mul_f32_e32 v44, v37, v26
	v_mul_f32_e32 v26, v36, v26
	v_add_f32_e32 v24, v28, v24
	global_inv scope:SCOPE_SE
	v_fma_f32 v27, v36, v25, -v44
	v_fmac_f32_e32 v26, v37, v25
	v_mul_f32_e32 v36, v54, v32
	v_mul_f32_e32 v40, v53, v32
	;; [unrolled: 1-line block ×3, first 2 shown]
	v_add_f32_e32 v37, v29, v27
	v_mul_f32_e32 v27, v54, v34
	v_fma_f32 v25, v53, v31, -v36
	v_fmac_f32_e32 v40, v54, v31
	v_add_f32_e32 v36, v30, v26
	v_mul_f32_e32 v26, v39, v32
	s_delay_alu instid0(VALU_DEP_4) | instskip(NEXT) | instid1(VALU_DEP_4)
	v_dual_mul_f32 v32, v38, v32 :: v_dual_add_f32 v29, v41, v25
	v_add_f32_e32 v30, v35, v40
	v_fma_f32 v25, v53, v33, -v27
	v_mul_f32_e32 v35, v39, v34
	v_mul_f32_e32 v34, v38, v34
	v_fmac_f32_e32 v28, v54, v33
	s_delay_alu instid0(VALU_DEP_4) | instskip(SKIP_4) | instid1(VALU_DEP_4)
	v_dual_fmac_f32 v32, v39, v31 :: v_dual_add_f32 v27, v42, v25
	v_fma_f32 v25, v38, v31, -v26
	v_fma_f32 v31, v38, v33, -v35
	v_fmac_f32_e32 v34, v39, v33
	v_add_f32_e32 v28, v45, v28
	v_dual_add_f32 v26, v24, v32 :: v_dual_add_f32 v25, v23, v25
	s_delay_alu instid0(VALU_DEP_3)
	v_dual_add_f32 v24, v37, v31 :: v_dual_add_f32 v23, v36, v34
	s_cbranch_scc0 .LBB107_19
.LBB107_11:                             ;   Parent Loop BB107_8 Depth=1
                                        ; =>  This Inner Loop Header: Depth=2
	s_wait_alu 0xfffe
	v_add_nc_u32_e32 v31, s0, v17
	s_delay_alu instid0(VALU_DEP_1)
	v_cmp_le_i32_e32 vcc_lo, s5, v31
	s_or_b32 s1, s18, vcc_lo
	s_wait_alu 0xfffe
	s_and_saveexec_b32 s27, s1
	s_wait_alu 0xfffe
	s_xor_b32 s1, exec_lo, s27
; %bb.12:                               ;   in Loop: Header=BB107_11 Depth=2
	ds_store_b32 v18, v22
; %bb.13:                               ;   in Loop: Header=BB107_11 Depth=2
	s_wait_alu 0xfffe
	s_or_saveexec_b32 s1, s1
	v_mov_b32_e32 v31, 0
	s_wait_alu 0xfffe
	s_xor_b32 exec_lo, exec_lo, s1
	s_cbranch_execz .LBB107_15
; %bb.14:                               ;   in Loop: Header=BB107_11 Depth=2
	global_load_b64 v[32:33], v[12:13], off
	s_wait_loadcnt 0x0
	v_xor_b32_e32 v31, 0x80000000, v33
	ds_store_b32 v18, v32
.LBB107_15:                             ;   in Loop: Header=BB107_11 Depth=2
	s_or_b32 exec_lo, exec_lo, s1
	v_add_nc_u32_e32 v32, s0, v16
	ds_store_b32 v18, v31 offset:4
	v_cmp_le_i32_e32 vcc_lo, s5, v32
	s_or_b32 s1, vcc_lo, s26
	s_wait_alu 0xfffe
	s_and_saveexec_b32 s27, s1
	s_wait_alu 0xfffe
	s_xor_b32 s1, exec_lo, s27
; %bb.16:                               ;   in Loop: Header=BB107_11 Depth=2
	ds_store_b32 v19, v22
; %bb.17:                               ;   in Loop: Header=BB107_11 Depth=2
	s_wait_alu 0xfffe
	s_or_saveexec_b32 s1, s1
	v_mov_b32_e32 v31, 0
	s_wait_alu 0xfffe
	s_xor_b32 exec_lo, exec_lo, s1
	s_cbranch_execz .LBB107_10
; %bb.18:                               ;   in Loop: Header=BB107_11 Depth=2
	global_load_b64 v[32:33], v[14:15], off offset:-4
	s_wait_loadcnt 0x0
	v_xor_b32_e32 v31, 0x80000000, v33
	ds_store_b32 v19, v32
	s_branch .LBB107_10
.LBB107_19:                             ;   in Loop: Header=BB107_8 Depth=1
	s_mul_u64 s[0:1], s[24:25], s[22:23]
	s_wait_alu 0xfffe
	s_lshl_b64 s[0:1], s[0:1], 3
	s_wait_alu 0xfffe
	s_add_nc_u64 s[0:1], s[12:13], s[0:1]
	s_wait_alu 0xfffe
	v_add_co_u32 v14, vcc_lo, s0, v4
	s_wait_alu 0xfffd
	v_add_co_ci_u32_e64 v15, null, s1, v5, vcc_lo
	s_and_saveexec_b32 s27, s19
	s_cbranch_execz .LBB107_24
; %bb.20:                               ;   in Loop: Header=BB107_8 Depth=1
	v_mul_f32_e32 v13, s6, v30
	v_mul_f32_e32 v12, s7, v30
	s_and_b32 vcc_lo, exec_lo, s17
	s_mov_b32 s28, -1
	s_delay_alu instid0(VALU_DEP_2) | instskip(NEXT) | instid1(VALU_DEP_2)
	v_fmac_f32_e32 v13, s7, v29
	v_fma_f32 v12, v29, s6, -v12
	s_wait_alu 0xfffe
	s_cbranch_vccz .LBB107_22
; %bb.21:                               ;   in Loop: Header=BB107_8 Depth=1
	v_add_co_u32 v29, vcc_lo, v14, v8
	s_wait_alu 0xfffd
	v_add_co_ci_u32_e64 v30, null, v15, v9, vcc_lo
	s_mov_b32 s28, 0
	global_load_b64 v[31:32], v[29:30], off
	s_wait_loadcnt 0x0
	v_mul_f32_e32 v33, s21, v32
	v_mul_f32_e32 v32, s20, v32
	s_delay_alu instid0(VALU_DEP_1) | instskip(NEXT) | instid1(VALU_DEP_3)
	v_fmac_f32_e32 v32, s21, v31
	v_fma_f32 v33, v31, s20, -v33
	s_delay_alu instid0(VALU_DEP_1)
	v_dual_add_f32 v32, v13, v32 :: v_dual_add_f32 v31, v12, v33
	global_store_b64 v[29:30], v[31:32], off
.LBB107_22:                             ;   in Loop: Header=BB107_8 Depth=1
	s_and_not1_b32 vcc_lo, exec_lo, s28
	s_wait_alu 0xfffe
	s_cbranch_vccnz .LBB107_24
; %bb.23:                               ;   in Loop: Header=BB107_8 Depth=1
	v_add_co_u32 v29, vcc_lo, v14, v8
	s_wait_alu 0xfffd
	v_add_co_ci_u32_e64 v30, null, v15, v9, vcc_lo
	global_store_b64 v[29:30], v[12:13], off
.LBB107_24:                             ;   in Loop: Header=BB107_8 Depth=1
	s_wait_alu 0xfffe
	s_or_b32 exec_lo, exec_lo, s27
	s_and_saveexec_b32 s27, s30
	s_cbranch_execz .LBB107_29
; %bb.25:                               ;   in Loop: Header=BB107_8 Depth=1
	v_mul_f32_e32 v13, s6, v28
	v_mul_f32_e32 v12, s7, v28
	s_and_not1_b32 vcc_lo, exec_lo, s17
	s_mov_b32 s28, -1
	s_delay_alu instid0(VALU_DEP_2) | instskip(NEXT) | instid1(VALU_DEP_2)
	v_fmac_f32_e32 v13, s7, v27
	v_fma_f32 v12, v27, s6, -v12
	s_wait_alu 0xfffe
	s_cbranch_vccnz .LBB107_27
; %bb.26:                               ;   in Loop: Header=BB107_8 Depth=1
	v_add_co_u32 v27, vcc_lo, v14, v10
	s_wait_alu 0xfffd
	v_add_co_ci_u32_e64 v28, null, v15, v11, vcc_lo
	s_mov_b32 s28, 0
	global_load_b64 v[29:30], v[27:28], off
	s_wait_loadcnt 0x0
	v_mul_f32_e32 v31, s21, v30
	v_mul_f32_e32 v30, s20, v30
	s_delay_alu instid0(VALU_DEP_1) | instskip(NEXT) | instid1(VALU_DEP_3)
	v_fmac_f32_e32 v30, s21, v29
	v_fma_f32 v31, v29, s20, -v31
	s_delay_alu instid0(VALU_DEP_1)
	v_dual_add_f32 v30, v13, v30 :: v_dual_add_f32 v29, v12, v31
	global_store_b64 v[27:28], v[29:30], off
.LBB107_27:                             ;   in Loop: Header=BB107_8 Depth=1
	s_and_not1_b32 vcc_lo, exec_lo, s28
	s_wait_alu 0xfffe
	s_cbranch_vccnz .LBB107_29
; %bb.28:                               ;   in Loop: Header=BB107_8 Depth=1
	v_add_co_u32 v14, vcc_lo, v14, v10
	s_wait_alu 0xfffd
	v_add_co_ci_u32_e64 v15, null, v15, v11, vcc_lo
	global_store_b64 v[14:15], v[12:13], off
.LBB107_29:                             ;   in Loop: Header=BB107_8 Depth=1
	s_wait_alu 0xfffe
	s_or_b32 exec_lo, exec_lo, s27
	v_add_co_u32 v14, vcc_lo, s0, v6
	s_wait_alu 0xfffd
	v_add_co_ci_u32_e64 v15, null, s1, v7, vcc_lo
	s_and_saveexec_b32 s0, s14
	s_cbranch_execz .LBB107_34
; %bb.30:                               ;   in Loop: Header=BB107_8 Depth=1
	v_mul_f32_e32 v13, s6, v26
	v_mul_f32_e32 v12, s7, v26
	s_and_not1_b32 vcc_lo, exec_lo, s17
	s_mov_b32 s1, -1
	s_delay_alu instid0(VALU_DEP_2) | instskip(NEXT) | instid1(VALU_DEP_2)
	v_fmac_f32_e32 v13, s7, v25
	v_fma_f32 v12, v25, s6, -v12
	s_wait_alu 0xfffe
	s_cbranch_vccnz .LBB107_32
; %bb.31:                               ;   in Loop: Header=BB107_8 Depth=1
	v_add_co_u32 v25, vcc_lo, v14, v8
	s_wait_alu 0xfffd
	v_add_co_ci_u32_e64 v26, null, v15, v9, vcc_lo
	s_mov_b32 s1, 0
	global_load_b64 v[27:28], v[25:26], off
	s_wait_loadcnt 0x0
	v_mul_f32_e32 v29, s21, v28
	v_mul_f32_e32 v28, s20, v28
	s_delay_alu instid0(VALU_DEP_1) | instskip(NEXT) | instid1(VALU_DEP_3)
	v_fmac_f32_e32 v28, s21, v27
	v_fma_f32 v29, v27, s20, -v29
	s_delay_alu instid0(VALU_DEP_1)
	v_dual_add_f32 v28, v13, v28 :: v_dual_add_f32 v27, v12, v29
	global_store_b64 v[25:26], v[27:28], off
.LBB107_32:                             ;   in Loop: Header=BB107_8 Depth=1
	s_wait_alu 0xfffe
	s_and_not1_b32 vcc_lo, exec_lo, s1
	s_wait_alu 0xfffe
	s_cbranch_vccnz .LBB107_34
; %bb.33:                               ;   in Loop: Header=BB107_8 Depth=1
	v_add_co_u32 v25, vcc_lo, v14, v8
	s_wait_alu 0xfffd
	v_add_co_ci_u32_e64 v26, null, v15, v9, vcc_lo
	global_store_b64 v[25:26], v[12:13], off
.LBB107_34:                             ;   in Loop: Header=BB107_8 Depth=1
	s_wait_alu 0xfffe
	s_or_b32 exec_lo, exec_lo, s0
	s_and_saveexec_b32 s0, s4
	s_cbranch_execz .LBB107_7
; %bb.35:                               ;   in Loop: Header=BB107_8 Depth=1
	v_mul_f32_e32 v13, s6, v23
	v_mul_f32_e32 v12, s7, v23
	s_and_not1_b32 vcc_lo, exec_lo, s17
	s_mov_b32 s1, -1
	s_delay_alu instid0(VALU_DEP_2) | instskip(NEXT) | instid1(VALU_DEP_2)
	v_fmac_f32_e32 v13, s7, v24
	v_fma_f32 v12, v24, s6, -v12
	s_wait_alu 0xfffe
	s_cbranch_vccnz .LBB107_37
; %bb.36:                               ;   in Loop: Header=BB107_8 Depth=1
	v_add_co_u32 v23, vcc_lo, v14, v10
	s_wait_alu 0xfffd
	v_add_co_ci_u32_e64 v24, null, v15, v11, vcc_lo
	s_mov_b32 s1, 0
	global_load_b64 v[25:26], v[23:24], off
	s_wait_loadcnt 0x0
	v_mul_f32_e32 v27, s21, v26
	v_mul_f32_e32 v26, s20, v26
	s_delay_alu instid0(VALU_DEP_1) | instskip(NEXT) | instid1(VALU_DEP_3)
	v_fmac_f32_e32 v26, s21, v25
	v_fma_f32 v27, v25, s20, -v27
	s_delay_alu instid0(VALU_DEP_1)
	v_dual_add_f32 v26, v13, v26 :: v_dual_add_f32 v25, v12, v27
	global_store_b64 v[23:24], v[25:26], off
.LBB107_37:                             ;   in Loop: Header=BB107_8 Depth=1
	s_wait_alu 0xfffe
	s_and_not1_b32 vcc_lo, exec_lo, s1
	s_wait_alu 0xfffe
	s_cbranch_vccnz .LBB107_7
; %bb.38:                               ;   in Loop: Header=BB107_8 Depth=1
	v_add_co_u32 v14, vcc_lo, v14, v10
	s_wait_alu 0xfffd
	v_add_co_ci_u32_e64 v15, null, v15, v11, vcc_lo
	global_store_b64 v[14:15], v[12:13], off
	s_branch .LBB107_7
.LBB107_39:
	s_endpgm
	.section	.rodata,"a",@progbits
	.p2align	6, 0x0
	.amdhsa_kernel _ZL29rocblas_internal_gemmt_kernelIiLi16ELi32ELi8ELc67ELc67ELc76ELb1ELb1E19rocblas_complex_numIfES1_PKS1_PS1_EviT_T9_T10_S5_lS7_S5_lS6_T11_S5_li
		.amdhsa_group_segment_fixed_size 4096
		.amdhsa_private_segment_fixed_size 0
		.amdhsa_kernarg_size 100
		.amdhsa_user_sgpr_count 2
		.amdhsa_user_sgpr_dispatch_ptr 0
		.amdhsa_user_sgpr_queue_ptr 0
		.amdhsa_user_sgpr_kernarg_segment_ptr 1
		.amdhsa_user_sgpr_dispatch_id 0
		.amdhsa_user_sgpr_private_segment_size 0
		.amdhsa_wavefront_size32 1
		.amdhsa_uses_dynamic_stack 0
		.amdhsa_enable_private_segment 0
		.amdhsa_system_sgpr_workgroup_id_x 1
		.amdhsa_system_sgpr_workgroup_id_y 1
		.amdhsa_system_sgpr_workgroup_id_z 1
		.amdhsa_system_sgpr_workgroup_info 0
		.amdhsa_system_vgpr_workitem_id 1
		.amdhsa_next_free_vgpr 69
		.amdhsa_next_free_sgpr 36
		.amdhsa_reserve_vcc 1
		.amdhsa_float_round_mode_32 0
		.amdhsa_float_round_mode_16_64 0
		.amdhsa_float_denorm_mode_32 3
		.amdhsa_float_denorm_mode_16_64 3
		.amdhsa_fp16_overflow 0
		.amdhsa_workgroup_processor_mode 1
		.amdhsa_memory_ordered 1
		.amdhsa_forward_progress 1
		.amdhsa_inst_pref_size 25
		.amdhsa_round_robin_scheduling 0
		.amdhsa_exception_fp_ieee_invalid_op 0
		.amdhsa_exception_fp_denorm_src 0
		.amdhsa_exception_fp_ieee_div_zero 0
		.amdhsa_exception_fp_ieee_overflow 0
		.amdhsa_exception_fp_ieee_underflow 0
		.amdhsa_exception_fp_ieee_inexact 0
		.amdhsa_exception_int_div_zero 0
	.end_amdhsa_kernel
	.section	.text._ZL29rocblas_internal_gemmt_kernelIiLi16ELi32ELi8ELc67ELc67ELc76ELb1ELb1E19rocblas_complex_numIfES1_PKS1_PS1_EviT_T9_T10_S5_lS7_S5_lS6_T11_S5_li,"axG",@progbits,_ZL29rocblas_internal_gemmt_kernelIiLi16ELi32ELi8ELc67ELc67ELc76ELb1ELb1E19rocblas_complex_numIfES1_PKS1_PS1_EviT_T9_T10_S5_lS7_S5_lS6_T11_S5_li,comdat
.Lfunc_end107:
	.size	_ZL29rocblas_internal_gemmt_kernelIiLi16ELi32ELi8ELc67ELc67ELc76ELb1ELb1E19rocblas_complex_numIfES1_PKS1_PS1_EviT_T9_T10_S5_lS7_S5_lS6_T11_S5_li, .Lfunc_end107-_ZL29rocblas_internal_gemmt_kernelIiLi16ELi32ELi8ELc67ELc67ELc76ELb1ELb1E19rocblas_complex_numIfES1_PKS1_PS1_EviT_T9_T10_S5_lS7_S5_lS6_T11_S5_li
                                        ; -- End function
	.set _ZL29rocblas_internal_gemmt_kernelIiLi16ELi32ELi8ELc67ELc67ELc76ELb1ELb1E19rocblas_complex_numIfES1_PKS1_PS1_EviT_T9_T10_S5_lS7_S5_lS6_T11_S5_li.num_vgpr, 69
	.set _ZL29rocblas_internal_gemmt_kernelIiLi16ELi32ELi8ELc67ELc67ELc76ELb1ELb1E19rocblas_complex_numIfES1_PKS1_PS1_EviT_T9_T10_S5_lS7_S5_lS6_T11_S5_li.num_agpr, 0
	.set _ZL29rocblas_internal_gemmt_kernelIiLi16ELi32ELi8ELc67ELc67ELc76ELb1ELb1E19rocblas_complex_numIfES1_PKS1_PS1_EviT_T9_T10_S5_lS7_S5_lS6_T11_S5_li.numbered_sgpr, 36
	.set _ZL29rocblas_internal_gemmt_kernelIiLi16ELi32ELi8ELc67ELc67ELc76ELb1ELb1E19rocblas_complex_numIfES1_PKS1_PS1_EviT_T9_T10_S5_lS7_S5_lS6_T11_S5_li.num_named_barrier, 0
	.set _ZL29rocblas_internal_gemmt_kernelIiLi16ELi32ELi8ELc67ELc67ELc76ELb1ELb1E19rocblas_complex_numIfES1_PKS1_PS1_EviT_T9_T10_S5_lS7_S5_lS6_T11_S5_li.private_seg_size, 0
	.set _ZL29rocblas_internal_gemmt_kernelIiLi16ELi32ELi8ELc67ELc67ELc76ELb1ELb1E19rocblas_complex_numIfES1_PKS1_PS1_EviT_T9_T10_S5_lS7_S5_lS6_T11_S5_li.uses_vcc, 1
	.set _ZL29rocblas_internal_gemmt_kernelIiLi16ELi32ELi8ELc67ELc67ELc76ELb1ELb1E19rocblas_complex_numIfES1_PKS1_PS1_EviT_T9_T10_S5_lS7_S5_lS6_T11_S5_li.uses_flat_scratch, 0
	.set _ZL29rocblas_internal_gemmt_kernelIiLi16ELi32ELi8ELc67ELc67ELc76ELb1ELb1E19rocblas_complex_numIfES1_PKS1_PS1_EviT_T9_T10_S5_lS7_S5_lS6_T11_S5_li.has_dyn_sized_stack, 0
	.set _ZL29rocblas_internal_gemmt_kernelIiLi16ELi32ELi8ELc67ELc67ELc76ELb1ELb1E19rocblas_complex_numIfES1_PKS1_PS1_EviT_T9_T10_S5_lS7_S5_lS6_T11_S5_li.has_recursion, 0
	.set _ZL29rocblas_internal_gemmt_kernelIiLi16ELi32ELi8ELc67ELc67ELc76ELb1ELb1E19rocblas_complex_numIfES1_PKS1_PS1_EviT_T9_T10_S5_lS7_S5_lS6_T11_S5_li.has_indirect_call, 0
	.section	.AMDGPU.csdata,"",@progbits
; Kernel info:
; codeLenInByte = 3160
; TotalNumSgprs: 38
; NumVgprs: 69
; ScratchSize: 0
; MemoryBound: 0
; FloatMode: 240
; IeeeMode: 1
; LDSByteSize: 4096 bytes/workgroup (compile time only)
; SGPRBlocks: 0
; VGPRBlocks: 8
; NumSGPRsForWavesPerEU: 38
; NumVGPRsForWavesPerEU: 69
; Occupancy: 16
; WaveLimiterHint : 0
; COMPUTE_PGM_RSRC2:SCRATCH_EN: 0
; COMPUTE_PGM_RSRC2:USER_SGPR: 2
; COMPUTE_PGM_RSRC2:TRAP_HANDLER: 0
; COMPUTE_PGM_RSRC2:TGID_X_EN: 1
; COMPUTE_PGM_RSRC2:TGID_Y_EN: 1
; COMPUTE_PGM_RSRC2:TGID_Z_EN: 1
; COMPUTE_PGM_RSRC2:TIDIG_COMP_CNT: 1
	.section	.text._ZL29rocblas_internal_gemmt_kernelIiLi16ELi32ELi8ELc78ELc78ELc85ELb0ELb0E19rocblas_complex_numIdEPKS1_S3_PS1_EviT_T9_T10_S5_lS7_S5_lS6_T11_S5_li,"axG",@progbits,_ZL29rocblas_internal_gemmt_kernelIiLi16ELi32ELi8ELc78ELc78ELc85ELb0ELb0E19rocblas_complex_numIdEPKS1_S3_PS1_EviT_T9_T10_S5_lS7_S5_lS6_T11_S5_li,comdat
	.globl	_ZL29rocblas_internal_gemmt_kernelIiLi16ELi32ELi8ELc78ELc78ELc85ELb0ELb0E19rocblas_complex_numIdEPKS1_S3_PS1_EviT_T9_T10_S5_lS7_S5_lS6_T11_S5_li ; -- Begin function _ZL29rocblas_internal_gemmt_kernelIiLi16ELi32ELi8ELc78ELc78ELc85ELb0ELb0E19rocblas_complex_numIdEPKS1_S3_PS1_EviT_T9_T10_S5_lS7_S5_lS6_T11_S5_li
	.p2align	8
	.type	_ZL29rocblas_internal_gemmt_kernelIiLi16ELi32ELi8ELc78ELc78ELc85ELb0ELb0E19rocblas_complex_numIdEPKS1_S3_PS1_EviT_T9_T10_S5_lS7_S5_lS6_T11_S5_li,@function
_ZL29rocblas_internal_gemmt_kernelIiLi16ELi32ELi8ELc78ELc78ELc85ELb0ELb0E19rocblas_complex_numIdEPKS1_S3_PS1_EviT_T9_T10_S5_lS7_S5_lS6_T11_S5_li: ; @_ZL29rocblas_internal_gemmt_kernelIiLi16ELi32ELi8ELc78ELc78ELc85ELb0ELb0E19rocblas_complex_numIdEPKS1_S3_PS1_EviT_T9_T10_S5_lS7_S5_lS6_T11_S5_li
; %bb.0:
	s_load_b128 s[12:15], s[0:1], 0x38
	s_wait_kmcnt 0x0
	s_load_b128 s[4:7], s[14:15], 0x0
	s_clause 0x1
	s_load_b128 s[16:19], s[0:1], 0x8
	s_load_b64 s[14:15], s[0:1], 0x0
	s_wait_kmcnt 0x0
	s_load_b128 s[8:11], s[16:17], 0x0
	v_cmp_eq_f64_e64 s2, s[4:5], 1.0
	v_cmp_eq_f64_e64 s3, s[6:7], 0
	s_and_b32 s2, s2, s3
	s_delay_alu instid0(SALU_CYCLE_1)
	s_and_not1_b32 vcc_lo, exec_lo, s2
	s_mov_b32 s2, -1
	s_cbranch_vccnz .LBB108_3
; %bb.1:
	s_cmp_lg_u32 s15, 0
	s_cbranch_scc0 .LBB108_38
; %bb.2:
	s_wait_kmcnt 0x0
	v_cmp_neq_f64_e64 s2, s[8:9], 0
	v_cmp_neq_f64_e64 s16, s[10:11], 0
	s_or_b32 s2, s2, s16
.LBB108_3:
	s_delay_alu instid0(SALU_CYCLE_1)
	s_and_b32 vcc_lo, exec_lo, s2
	s_cbranch_vccz .LBB108_39
; %bb.4:
	s_load_b32 s27, s[0:1], 0x60
	s_lshr_b32 s16, ttmp7, 16
	s_wait_kmcnt 0x0
	s_cmp_ge_u32 s16, s27
	s_cbranch_scc1 .LBB108_39
; %bb.5:
	v_cmp_neq_f64_e64 s30, s[8:9], 0
	v_cmp_neq_f64_e64 s31, s[10:11], 0
	;; [unrolled: 1-line block ×3, first 2 shown]
	v_and_b32_e32 v1, 0x3ff, v0
	v_bfe_u32 v2, v0, 10, 10
	s_clause 0x4
	s_load_b32 s34, s[0:1], 0x18
	s_load_b128 s[20:23], s[0:1], 0x20
	s_load_b32 s36, s[0:1], 0x30
	s_load_b96 s[24:26], s[0:1], 0x48
	s_load_b64 s[28:29], s[0:1], 0x58
	v_and_b32_e32 v37, 7, v0
	s_lshl_b32 s0, ttmp7, 5
	s_lshl_b32 s1, ttmp9, 5
	v_lshl_add_u32 v0, v2, 4, v1
	s_and_b32 s2, s0, 0x1fffe0
	v_lshlrev_b32_e32 v38, 4, v1
	v_add_nc_u32_e32 v5, s1, v1
	v_add_nc_u32_e32 v6, s2, v2
	v_and_b32_e32 v1, 31, v0
	v_lshrrev_b32_e32 v40, 5, v0
	v_lshl_add_u32 v39, v2, 7, 0x1000
	v_lshrrev_b32_e32 v2, 3, v0
	v_cmp_gt_i32_e32 vcc_lo, s14, v6
	v_or_b32_e32 v0, s1, v1
	v_lshlrev_b32_e32 v1, 4, v1
	v_cmp_le_i32_e64 s0, v5, v6
	v_add_nc_u32_e32 v7, 16, v5
	s_wait_kmcnt 0x0
	v_mad_co_i64_i32 v[9:10], null, v40, s34, 0
	s_ashr_i32 s35, s34, 31
	v_add_nc_u32_e32 v11, s2, v2
	v_lshl_or_b32 v41, v40, 9, v1
	v_ashrrev_i32_e32 v1, 31, v0
	v_add_nc_u32_e32 v13, 16, v6
	v_cmp_gt_i32_e64 s1, s14, v0
	v_cmp_gt_i32_e64 s2, s14, v11
	v_lshlrev_b64_e32 v[9:10], 4, v[9:10]
	v_lshlrev_b64_e32 v[0:1], 4, v[0:1]
	v_mad_co_i64_i32 v[11:12], null, s36, v11, 0
	v_lshlrev_b32_e32 v4, 4, v37
	v_mad_co_i64_i32 v[15:16], null, v13, s26, 0
	s_or_b32 s37, s30, s31
	s_cmp_gt_i32 s15, 0
	v_lshl_or_b32 v2, v2, 7, v4
	s_cselect_b32 s38, -1, 0
	s_and_b32 s30, vcc_lo, s0
	v_cmp_le_i32_e64 s0, v7, v6
	s_xor_b32 s3, s3, -1
	v_add_nc_u32_e32 v42, 0x1000, v2
	s_wait_alu 0xfffe
	s_or_b32 s31, s33, s3
	v_cmp_le_i32_e64 s3, v7, v13
	s_and_b32 s33, vcc_lo, s0
	v_cmp_gt_i32_e32 vcc_lo, s14, v13
	v_cmp_le_i32_e64 s0, v5, v13
	v_mad_co_i64_i32 v[2:3], null, v6, s26, 0
	v_lshlrev_b64_e32 v[15:16], 4, v[15:16]
	s_and_b32 s3, vcc_lo, s3
	s_delay_alu instid0(VALU_DEP_3) | instskip(SKIP_1) | instid1(VALU_DEP_1)
	s_and_b32 s14, vcc_lo, s0
	v_add_co_u32 v9, vcc_lo, v9, v0
	v_add_co_ci_u32_e64 v10, null, v10, v1, vcc_lo
	v_lshlrev_b64_e32 v[0:1], 4, v[11:12]
	s_delay_alu instid0(VALU_DEP_3) | instskip(SKIP_1) | instid1(VALU_DEP_3)
	v_add_co_u32 v9, vcc_lo, s18, v9
	s_wait_alu 0xfffd
	v_add_co_ci_u32_e64 v10, null, s19, v10, vcc_lo
	v_lshlrev_b64_e32 v[13:14], 4, v[2:3]
	s_delay_alu instid0(VALU_DEP_4) | instskip(SKIP_3) | instid1(VALU_DEP_3)
	v_add_co_u32 v0, vcc_lo, v0, v4
	s_wait_alu 0xfffd
	v_add_co_ci_u32_e64 v1, null, 0, v1, vcc_lo
	v_ashrrev_i32_e32 v6, 31, v5
	v_add_co_u32 v11, vcc_lo, s22, v0
	v_ashrrev_i32_e32 v8, 31, v7
	s_wait_alu 0xfffd
	v_add_co_ci_u32_e64 v12, null, s23, v1, vcc_lo
	v_mov_b32_e32 v0, 0
	s_mov_b32 s17, 0
	s_lshl_b64 s[18:19], s[20:21], 4
	s_lshl_b64 s[20:21], s[34:35], 7
	s_and_b32 s22, s37, s38
	s_lshl_b64 s[12:13], s[12:13], 4
	s_xor_b32 s23, s1, -1
	s_xor_b32 s2, s2, -1
	s_branch .LBB108_7
.LBB108_6:                              ;   in Loop: Header=BB108_7 Depth=1
	s_wait_alu 0xfffe
	s_or_b32 exec_lo, exec_lo, s0
	s_add_co_i32 s16, s16, 0x10000
	s_wait_alu 0xfffe
	s_cmp_lt_u32 s16, s27
	s_cbranch_scc0 .LBB108_39
.LBB108_7:                              ; =>This Loop Header: Depth=1
                                        ;     Child Loop BB108_10 Depth 2
	v_mov_b32_e32 v33, 0
	v_mov_b32_e32 v29, 0
	;; [unrolled: 1-line block ×3, first 2 shown]
	v_dual_mov_b32 v23, 0 :: v_dual_mov_b32 v34, 0
	v_dual_mov_b32 v35, 0 :: v_dual_mov_b32 v30, 0
	;; [unrolled: 1-line block ×5, first 2 shown]
	v_mov_b32_e32 v32, 0
	v_mov_b32_e32 v28, 0
	;; [unrolled: 1-line block ×3, first 2 shown]
	s_wait_alu 0xfffe
	s_and_not1_b32 vcc_lo, exec_lo, s22
	s_wait_alu 0xfffe
	s_cbranch_vccnz .LBB108_18
; %bb.8:                                ;   in Loop: Header=BB108_7 Depth=1
	v_mad_co_u64_u32 v[17:18], null, s18, s16, v[9:10]
	v_mad_co_u64_u32 v[19:20], null, s12, s16, v[11:12]
	v_mov_b32_e32 v21, 0
	v_mov_b32_e32 v23, 0
	;; [unrolled: 1-line block ×4, first 2 shown]
	v_dual_mov_b32 v1, v18 :: v_dual_mov_b32 v22, 0
	v_mov_b32_e32 v2, v20
	v_dual_mov_b32 v24, 0 :: v_dual_mov_b32 v27, 0
	v_dual_mov_b32 v26, 0 :: v_dual_mov_b32 v31, 0
	s_delay_alu instid0(VALU_DEP_3)
	v_mad_co_u64_u32 v[3:4], null, s19, s16, v[1:2]
	v_dual_mov_b32 v30, 0 :: v_dual_mov_b32 v35, 0
	v_dual_mov_b32 v33, 0 :: v_dual_mov_b32 v28, 0
	v_mov_b32_e32 v32, 0
	v_mov_b32_e32 v36, 0
	v_mad_co_u64_u32 v[1:2], null, s13, s16, v[2:3]
	v_mov_b32_e32 v34, 0
	v_mov_b32_e32 v18, v3
	s_mov_b32 s0, 0
	s_delay_alu instid0(VALU_DEP_3)
	v_mov_b32_e32 v20, v1
	s_branch .LBB108_10
.LBB108_9:                              ;   in Loop: Header=BB108_10 Depth=2
	s_wait_alu 0xfffe
	s_or_b32 exec_lo, exec_lo, s1
	s_wait_dscnt 0x0
	s_barrier_signal -1
	s_barrier_wait -1
	global_inv scope:SCOPE_SE
	ds_load_b128 v[1:4], v39
	ds_load_b128 v[43:46], v39 offset:16
	ds_load_b128 v[47:50], v39 offset:32
	;; [unrolled: 1-line block ×3, first 2 shown]
	ds_load_b128 v[55:58], v38
	v_add_co_u32 v17, vcc_lo, v17, s20
	s_wait_alu 0xfffd
	v_add_co_ci_u32_e64 v18, null, s21, v18, vcc_lo
	v_add_co_u32 v19, vcc_lo, 0x80, v19
	s_wait_alu 0xfffd
	v_add_co_ci_u32_e64 v20, null, 0, v20, vcc_lo
	s_add_co_i32 s0, s0, 8
	s_wait_alu 0xfffe
	s_cmp_lt_i32 s0, s15
	s_wait_dscnt 0x0
	v_mul_f64_e32 v[59:60], v[3:4], v[57:58]
	v_mul_f64_e32 v[61:62], v[1:2], v[57:58]
	s_delay_alu instid0(VALU_DEP_2) | instskip(NEXT) | instid1(VALU_DEP_2)
	v_fma_f64 v[59:60], v[1:2], v[55:56], -v[59:60]
	v_fma_f64 v[61:62], v[3:4], v[55:56], v[61:62]
	s_delay_alu instid0(VALU_DEP_2) | instskip(NEXT) | instid1(VALU_DEP_2)
	v_add_f64_e32 v[59:60], v[33:34], v[59:60]
	v_add_f64_e32 v[61:62], v[61:62], v[35:36]
	ds_load_b128 v[33:36], v38 offset:256
	s_wait_dscnt 0x0
	v_mul_f64_e32 v[63:64], v[3:4], v[35:36]
	s_delay_alu instid0(VALU_DEP_1) | instskip(SKIP_1) | instid1(VALU_DEP_2)
	v_fma_f64 v[63:64], v[1:2], v[33:34], -v[63:64]
	v_mul_f64_e32 v[1:2], v[1:2], v[35:36]
	v_add_f64_e32 v[29:30], v[29:30], v[63:64]
	s_delay_alu instid0(VALU_DEP_2) | instskip(NEXT) | instid1(VALU_DEP_1)
	v_fma_f64 v[1:2], v[3:4], v[33:34], v[1:2]
	v_add_f64_e32 v[31:32], v[1:2], v[31:32]
	ds_load_b128 v[1:4], v39 offset:2048
	s_wait_dscnt 0x0
	v_mul_f64_e32 v[63:64], v[3:4], v[57:58]
	v_mul_f64_e32 v[57:58], v[1:2], v[57:58]
	s_delay_alu instid0(VALU_DEP_2) | instskip(NEXT) | instid1(VALU_DEP_2)
	v_fma_f64 v[63:64], v[1:2], v[55:56], -v[63:64]
	v_fma_f64 v[55:56], v[3:4], v[55:56], v[57:58]
	s_delay_alu instid0(VALU_DEP_2) | instskip(SKIP_1) | instid1(VALU_DEP_3)
	v_add_f64_e32 v[57:58], v[25:26], v[63:64]
	v_mul_f64_e32 v[25:26], v[3:4], v[35:36]
	v_add_f64_e32 v[55:56], v[55:56], v[27:28]
	s_delay_alu instid0(VALU_DEP_2) | instskip(SKIP_1) | instid1(VALU_DEP_1)
	v_fma_f64 v[25:26], v[1:2], v[33:34], -v[25:26]
	v_mul_f64_e32 v[1:2], v[1:2], v[35:36]
	v_fma_f64 v[1:2], v[3:4], v[33:34], v[1:2]
	s_delay_alu instid0(VALU_DEP_3) | instskip(NEXT) | instid1(VALU_DEP_2)
	v_add_f64_e32 v[33:34], v[23:24], v[25:26]
	v_add_f64_e32 v[35:36], v[1:2], v[21:22]
	ds_load_b128 v[1:4], v38 offset:512
	s_wait_dscnt 0x0
	v_mul_f64_e32 v[21:22], v[45:46], v[3:4]
	v_mul_f64_e32 v[23:24], v[43:44], v[3:4]
	s_delay_alu instid0(VALU_DEP_2) | instskip(NEXT) | instid1(VALU_DEP_2)
	v_fma_f64 v[21:22], v[43:44], v[1:2], -v[21:22]
	v_fma_f64 v[23:24], v[45:46], v[1:2], v[23:24]
	s_delay_alu instid0(VALU_DEP_2) | instskip(NEXT) | instid1(VALU_DEP_2)
	v_add_f64_e32 v[59:60], v[59:60], v[21:22]
	v_add_f64_e32 v[61:62], v[23:24], v[61:62]
	ds_load_b128 v[21:24], v38 offset:768
	s_wait_dscnt 0x0
	v_mul_f64_e32 v[25:26], v[45:46], v[23:24]
	v_mul_f64_e32 v[27:28], v[43:44], v[23:24]
	s_delay_alu instid0(VALU_DEP_2) | instskip(NEXT) | instid1(VALU_DEP_2)
	v_fma_f64 v[25:26], v[43:44], v[21:22], -v[25:26]
	v_fma_f64 v[27:28], v[45:46], v[21:22], v[27:28]
	s_delay_alu instid0(VALU_DEP_2) | instskip(NEXT) | instid1(VALU_DEP_2)
	v_add_f64_e32 v[29:30], v[29:30], v[25:26]
	v_add_f64_e32 v[31:32], v[27:28], v[31:32]
	ds_load_b128 v[25:28], v39 offset:2064
	s_wait_dscnt 0x0
	v_mul_f64_e32 v[43:44], v[27:28], v[3:4]
	v_mul_f64_e32 v[3:4], v[25:26], v[3:4]
	s_delay_alu instid0(VALU_DEP_2) | instskip(NEXT) | instid1(VALU_DEP_2)
	v_fma_f64 v[43:44], v[25:26], v[1:2], -v[43:44]
	v_fma_f64 v[1:2], v[27:28], v[1:2], v[3:4]
	v_mul_f64_e32 v[3:4], v[25:26], v[23:24]
	s_delay_alu instid0(VALU_DEP_3) | instskip(NEXT) | instid1(VALU_DEP_3)
	v_add_f64_e32 v[43:44], v[57:58], v[43:44]
	v_add_f64_e32 v[45:46], v[1:2], v[55:56]
	v_mul_f64_e32 v[1:2], v[27:28], v[23:24]
	s_delay_alu instid0(VALU_DEP_4) | instskip(NEXT) | instid1(VALU_DEP_2)
	v_fma_f64 v[3:4], v[27:28], v[21:22], v[3:4]
	v_fma_f64 v[1:2], v[25:26], v[21:22], -v[1:2]
	s_delay_alu instid0(VALU_DEP_2) | instskip(NEXT) | instid1(VALU_DEP_2)
	v_add_f64_e32 v[35:36], v[3:4], v[35:36]
	v_add_f64_e32 v[33:34], v[33:34], v[1:2]
	ds_load_b128 v[1:4], v38 offset:1024
	s_wait_dscnt 0x0
	v_mul_f64_e32 v[21:22], v[49:50], v[3:4]
	v_mul_f64_e32 v[23:24], v[47:48], v[3:4]
	s_delay_alu instid0(VALU_DEP_2) | instskip(NEXT) | instid1(VALU_DEP_2)
	v_fma_f64 v[21:22], v[47:48], v[1:2], -v[21:22]
	v_fma_f64 v[23:24], v[49:50], v[1:2], v[23:24]
	s_delay_alu instid0(VALU_DEP_2) | instskip(NEXT) | instid1(VALU_DEP_2)
	v_add_f64_e32 v[55:56], v[59:60], v[21:22]
	v_add_f64_e32 v[57:58], v[23:24], v[61:62]
	ds_load_b128 v[21:24], v38 offset:1280
	s_wait_dscnt 0x0
	v_mul_f64_e32 v[25:26], v[49:50], v[23:24]
	v_mul_f64_e32 v[27:28], v[47:48], v[23:24]
	s_delay_alu instid0(VALU_DEP_2) | instskip(NEXT) | instid1(VALU_DEP_2)
	v_fma_f64 v[25:26], v[47:48], v[21:22], -v[25:26]
	v_fma_f64 v[27:28], v[49:50], v[21:22], v[27:28]
	s_delay_alu instid0(VALU_DEP_2) | instskip(NEXT) | instid1(VALU_DEP_2)
	v_add_f64_e32 v[29:30], v[29:30], v[25:26]
	v_add_f64_e32 v[31:32], v[27:28], v[31:32]
	ds_load_b128 v[25:28], v39 offset:2080
	s_wait_dscnt 0x0
	v_mul_f64_e32 v[47:48], v[27:28], v[3:4]
	v_mul_f64_e32 v[3:4], v[25:26], v[3:4]
	s_delay_alu instid0(VALU_DEP_2) | instskip(NEXT) | instid1(VALU_DEP_2)
	v_fma_f64 v[47:48], v[25:26], v[1:2], -v[47:48]
	v_fma_f64 v[1:2], v[27:28], v[1:2], v[3:4]
	v_mul_f64_e32 v[3:4], v[25:26], v[23:24]
	s_delay_alu instid0(VALU_DEP_3) | instskip(NEXT) | instid1(VALU_DEP_3)
	v_add_f64_e32 v[43:44], v[43:44], v[47:48]
	v_add_f64_e32 v[45:46], v[1:2], v[45:46]
	v_mul_f64_e32 v[1:2], v[27:28], v[23:24]
	s_delay_alu instid0(VALU_DEP_4) | instskip(NEXT) | instid1(VALU_DEP_2)
	v_fma_f64 v[3:4], v[27:28], v[21:22], v[3:4]
	v_fma_f64 v[1:2], v[25:26], v[21:22], -v[1:2]
	s_delay_alu instid0(VALU_DEP_2) | instskip(NEXT) | instid1(VALU_DEP_2)
	;; [unrolled: 38-line block ×3, first 2 shown]
	v_add_f64_e32 v[35:36], v[3:4], v[35:36]
	v_add_f64_e32 v[33:34], v[33:34], v[1:2]
	ds_load_b128 v[1:4], v39 offset:64
	ds_load_b128 v[21:24], v38 offset:2048
	s_wait_dscnt 0x0
	v_mul_f64_e32 v[25:26], v[3:4], v[23:24]
	v_mul_f64_e32 v[27:28], v[1:2], v[23:24]
	s_delay_alu instid0(VALU_DEP_2) | instskip(NEXT) | instid1(VALU_DEP_2)
	v_fma_f64 v[25:26], v[1:2], v[21:22], -v[25:26]
	v_fma_f64 v[27:28], v[3:4], v[21:22], v[27:28]
	s_delay_alu instid0(VALU_DEP_2) | instskip(NEXT) | instid1(VALU_DEP_2)
	v_add_f64_e32 v[47:48], v[47:48], v[25:26]
	v_add_f64_e32 v[49:50], v[27:28], v[49:50]
	ds_load_b128 v[25:28], v38 offset:2304
	s_wait_dscnt 0x0
	v_mul_f64_e32 v[51:52], v[3:4], v[27:28]
	s_delay_alu instid0(VALU_DEP_1) | instskip(SKIP_1) | instid1(VALU_DEP_2)
	v_fma_f64 v[51:52], v[1:2], v[25:26], -v[51:52]
	v_mul_f64_e32 v[1:2], v[1:2], v[27:28]
	v_add_f64_e32 v[29:30], v[29:30], v[51:52]
	s_delay_alu instid0(VALU_DEP_2) | instskip(NEXT) | instid1(VALU_DEP_1)
	v_fma_f64 v[1:2], v[3:4], v[25:26], v[1:2]
	v_add_f64_e32 v[31:32], v[1:2], v[31:32]
	ds_load_b128 v[1:4], v39 offset:2112
	s_wait_dscnt 0x0
	v_mul_f64_e32 v[51:52], v[3:4], v[23:24]
	v_mul_f64_e32 v[23:24], v[1:2], v[23:24]
	s_delay_alu instid0(VALU_DEP_2) | instskip(NEXT) | instid1(VALU_DEP_2)
	v_fma_f64 v[51:52], v[1:2], v[21:22], -v[51:52]
	v_fma_f64 v[21:22], v[3:4], v[21:22], v[23:24]
	s_delay_alu instid0(VALU_DEP_2) | instskip(NEXT) | instid1(VALU_DEP_2)
	v_add_f64_e32 v[43:44], v[43:44], v[51:52]
	v_add_f64_e32 v[45:46], v[21:22], v[45:46]
	v_mul_f64_e32 v[21:22], v[3:4], v[27:28]
	s_delay_alu instid0(VALU_DEP_1) | instskip(SKIP_1) | instid1(VALU_DEP_2)
	v_fma_f64 v[21:22], v[1:2], v[25:26], -v[21:22]
	v_mul_f64_e32 v[1:2], v[1:2], v[27:28]
	v_add_f64_e32 v[33:34], v[33:34], v[21:22]
	s_delay_alu instid0(VALU_DEP_2) | instskip(NEXT) | instid1(VALU_DEP_1)
	v_fma_f64 v[1:2], v[3:4], v[25:26], v[1:2]
	v_add_f64_e32 v[35:36], v[1:2], v[35:36]
	ds_load_b128 v[1:4], v39 offset:80
	ds_load_b128 v[21:24], v38 offset:2560
	s_wait_dscnt 0x0
	v_mul_f64_e32 v[25:26], v[3:4], v[23:24]
	v_mul_f64_e32 v[27:28], v[1:2], v[23:24]
	s_delay_alu instid0(VALU_DEP_2) | instskip(NEXT) | instid1(VALU_DEP_2)
	v_fma_f64 v[25:26], v[1:2], v[21:22], -v[25:26]
	v_fma_f64 v[27:28], v[3:4], v[21:22], v[27:28]
	s_delay_alu instid0(VALU_DEP_2) | instskip(NEXT) | instid1(VALU_DEP_2)
	v_add_f64_e32 v[47:48], v[47:48], v[25:26]
	v_add_f64_e32 v[49:50], v[27:28], v[49:50]
	ds_load_b128 v[25:28], v38 offset:2816
	s_wait_dscnt 0x0
	v_mul_f64_e32 v[51:52], v[3:4], v[27:28]
	s_delay_alu instid0(VALU_DEP_1) | instskip(SKIP_1) | instid1(VALU_DEP_2)
	v_fma_f64 v[51:52], v[1:2], v[25:26], -v[51:52]
	v_mul_f64_e32 v[1:2], v[1:2], v[27:28]
	v_add_f64_e32 v[29:30], v[29:30], v[51:52]
	s_delay_alu instid0(VALU_DEP_2) | instskip(NEXT) | instid1(VALU_DEP_1)
	v_fma_f64 v[1:2], v[3:4], v[25:26], v[1:2]
	v_add_f64_e32 v[31:32], v[1:2], v[31:32]
	ds_load_b128 v[1:4], v39 offset:2128
	s_wait_dscnt 0x0
	v_mul_f64_e32 v[51:52], v[3:4], v[23:24]
	v_mul_f64_e32 v[23:24], v[1:2], v[23:24]
	s_delay_alu instid0(VALU_DEP_2) | instskip(NEXT) | instid1(VALU_DEP_2)
	v_fma_f64 v[51:52], v[1:2], v[21:22], -v[51:52]
	v_fma_f64 v[21:22], v[3:4], v[21:22], v[23:24]
	s_delay_alu instid0(VALU_DEP_2) | instskip(NEXT) | instid1(VALU_DEP_2)
	v_add_f64_e32 v[43:44], v[43:44], v[51:52]
	v_add_f64_e32 v[45:46], v[21:22], v[45:46]
	v_mul_f64_e32 v[21:22], v[3:4], v[27:28]
	s_delay_alu instid0(VALU_DEP_1) | instskip(SKIP_1) | instid1(VALU_DEP_2)
	v_fma_f64 v[21:22], v[1:2], v[25:26], -v[21:22]
	v_mul_f64_e32 v[1:2], v[1:2], v[27:28]
	v_add_f64_e32 v[33:34], v[33:34], v[21:22]
	s_delay_alu instid0(VALU_DEP_2) | instskip(NEXT) | instid1(VALU_DEP_1)
	v_fma_f64 v[1:2], v[3:4], v[25:26], v[1:2]
	;; [unrolled: 39-line block ×3, first 2 shown]
	v_add_f64_e32 v[57:58], v[1:2], v[35:36]
	ds_load_b128 v[1:4], v39 offset:112
	ds_load_b128 v[21:24], v38 offset:3584
	;; [unrolled: 1-line block ×3, first 2 shown]
	s_wait_dscnt 0x1
	v_mul_f64_e32 v[25:26], v[3:4], v[23:24]
	v_mul_f64_e32 v[27:28], v[1:2], v[23:24]
	s_delay_alu instid0(VALU_DEP_2) | instskip(NEXT) | instid1(VALU_DEP_2)
	v_fma_f64 v[25:26], v[1:2], v[21:22], -v[25:26]
	v_fma_f64 v[27:28], v[3:4], v[21:22], v[27:28]
	s_delay_alu instid0(VALU_DEP_2) | instskip(SKIP_2) | instid1(VALU_DEP_3)
	v_add_f64_e32 v[33:34], v[47:48], v[25:26]
	s_wait_dscnt 0x0
	v_mul_f64_e32 v[25:26], v[3:4], v[45:46]
	v_add_f64_e32 v[35:36], v[27:28], v[49:50]
	s_delay_alu instid0(VALU_DEP_2) | instskip(SKIP_1) | instid1(VALU_DEP_2)
	v_fma_f64 v[25:26], v[1:2], v[43:44], -v[25:26]
	v_mul_f64_e32 v[1:2], v[1:2], v[45:46]
	v_add_f64_e32 v[29:30], v[29:30], v[25:26]
	s_delay_alu instid0(VALU_DEP_2) | instskip(NEXT) | instid1(VALU_DEP_1)
	v_fma_f64 v[1:2], v[3:4], v[43:44], v[1:2]
	v_add_f64_e32 v[31:32], v[1:2], v[31:32]
	ds_load_b128 v[1:4], v39 offset:2160
	s_wait_loadcnt_dscnt 0x0
	s_barrier_signal -1
	s_barrier_wait -1
	global_inv scope:SCOPE_SE
	v_mul_f64_e32 v[25:26], v[3:4], v[23:24]
	v_mul_f64_e32 v[23:24], v[1:2], v[23:24]
	s_delay_alu instid0(VALU_DEP_2) | instskip(NEXT) | instid1(VALU_DEP_2)
	v_fma_f64 v[25:26], v[1:2], v[21:22], -v[25:26]
	v_fma_f64 v[21:22], v[3:4], v[21:22], v[23:24]
	s_delay_alu instid0(VALU_DEP_2) | instskip(NEXT) | instid1(VALU_DEP_2)
	v_add_f64_e32 v[25:26], v[51:52], v[25:26]
	v_add_f64_e32 v[27:28], v[21:22], v[53:54]
	v_mul_f64_e32 v[21:22], v[3:4], v[45:46]
	s_delay_alu instid0(VALU_DEP_1) | instskip(SKIP_1) | instid1(VALU_DEP_2)
	v_fma_f64 v[21:22], v[1:2], v[43:44], -v[21:22]
	v_mul_f64_e32 v[1:2], v[1:2], v[45:46]
	v_add_f64_e32 v[23:24], v[55:56], v[21:22]
	s_delay_alu instid0(VALU_DEP_2) | instskip(NEXT) | instid1(VALU_DEP_1)
	v_fma_f64 v[1:2], v[3:4], v[43:44], v[1:2]
	v_add_f64_e32 v[21:22], v[1:2], v[57:58]
	s_cbranch_scc0 .LBB108_18
.LBB108_10:                             ;   Parent Loop BB108_7 Depth=1
                                        ; =>  This Inner Loop Header: Depth=2
	s_wait_alu 0xfffe
	v_add_nc_u32_e32 v1, s0, v40
	s_delay_alu instid0(VALU_DEP_1)
	v_cmp_le_i32_e32 vcc_lo, s15, v1
	s_or_b32 s1, s23, vcc_lo
	s_wait_alu 0xfffe
	s_and_saveexec_b32 s26, s1
	s_wait_alu 0xfffe
	s_xor_b32 s1, exec_lo, s26
; %bb.11:                               ;   in Loop: Header=BB108_10 Depth=2
	v_dual_mov_b32 v1, v0 :: v_dual_mov_b32 v2, v0
	v_mov_b32_e32 v3, v0
	ds_store_b128 v41, v[0:3]
; %bb.12:                               ;   in Loop: Header=BB108_10 Depth=2
	s_wait_alu 0xfffe
	s_and_not1_saveexec_b32 s1, s1
	s_cbranch_execz .LBB108_14
; %bb.13:                               ;   in Loop: Header=BB108_10 Depth=2
	global_load_b128 v[1:4], v[17:18], off
	s_wait_loadcnt 0x0
	ds_store_2addr_b64 v41, v[1:2], v[3:4] offset1:1
.LBB108_14:                             ;   in Loop: Header=BB108_10 Depth=2
	s_wait_alu 0xfffe
	s_or_b32 exec_lo, exec_lo, s1
	v_add_nc_u32_e32 v1, s0, v37
	s_delay_alu instid0(VALU_DEP_1)
	v_cmp_le_i32_e32 vcc_lo, s15, v1
	s_or_b32 s1, vcc_lo, s2
	s_wait_alu 0xfffe
	s_and_saveexec_b32 s26, s1
	s_wait_alu 0xfffe
	s_xor_b32 s1, exec_lo, s26
; %bb.15:                               ;   in Loop: Header=BB108_10 Depth=2
	v_dual_mov_b32 v1, v0 :: v_dual_mov_b32 v2, v0
	v_mov_b32_e32 v3, v0
	ds_store_b128 v42, v[0:3]
; %bb.16:                               ;   in Loop: Header=BB108_10 Depth=2
	s_wait_alu 0xfffe
	s_and_not1_saveexec_b32 s1, s1
	s_cbranch_execz .LBB108_9
; %bb.17:                               ;   in Loop: Header=BB108_10 Depth=2
	global_load_b128 v[1:4], v[19:20], off
	s_wait_loadcnt 0x0
	ds_store_2addr_b64 v42, v[1:2], v[3:4] offset1:1
	s_branch .LBB108_9
.LBB108_18:                             ;   in Loop: Header=BB108_7 Depth=1
	s_mul_u64 s[0:1], s[28:29], s[16:17]
	s_wait_alu 0xfffe
	s_lshl_b64 s[0:1], s[0:1], 4
	s_wait_alu 0xfffe
	s_add_nc_u64 s[0:1], s[24:25], s[0:1]
	s_wait_alu 0xfffe
	v_add_co_u32 v17, vcc_lo, s0, v13
	s_wait_alu 0xfffd
	v_add_co_ci_u32_e64 v18, null, s1, v14, vcc_lo
	s_and_saveexec_b32 s26, s30
	s_cbranch_execz .LBB108_23
; %bb.19:                               ;   in Loop: Header=BB108_7 Depth=1
	v_mul_f64_e32 v[1:2], s[10:11], v[35:36]
	v_mul_f64_e32 v[3:4], s[8:9], v[35:36]
	s_and_b32 vcc_lo, exec_lo, s31
	s_mov_b32 s34, -1
	s_delay_alu instid0(VALU_DEP_2) | instskip(NEXT) | instid1(VALU_DEP_2)
	v_fma_f64 v[1:2], s[8:9], v[33:34], -v[1:2]
	v_fma_f64 v[3:4], s[10:11], v[33:34], v[3:4]
	s_wait_alu 0xfffe
	s_cbranch_vccz .LBB108_21
; %bb.20:                               ;   in Loop: Header=BB108_7 Depth=1
	v_lshlrev_b64_e32 v[19:20], 4, v[5:6]
	s_mov_b32 s34, 0
	s_delay_alu instid0(VALU_DEP_1) | instskip(SKIP_1) | instid1(VALU_DEP_2)
	v_add_co_u32 v19, vcc_lo, v17, v19
	s_wait_alu 0xfffd
	v_add_co_ci_u32_e64 v20, null, v18, v20, vcc_lo
	global_load_b128 v[33:36], v[19:20], off
	s_wait_loadcnt 0x0
	v_mul_f64_e32 v[43:44], s[6:7], v[35:36]
	v_mul_f64_e32 v[35:36], s[4:5], v[35:36]
	s_delay_alu instid0(VALU_DEP_2) | instskip(NEXT) | instid1(VALU_DEP_2)
	v_fma_f64 v[43:44], s[4:5], v[33:34], -v[43:44]
	v_fma_f64 v[35:36], s[6:7], v[33:34], v[35:36]
	s_delay_alu instid0(VALU_DEP_2) | instskip(NEXT) | instid1(VALU_DEP_2)
	v_add_f64_e32 v[33:34], v[1:2], v[43:44]
	v_add_f64_e32 v[35:36], v[3:4], v[35:36]
	global_store_b128 v[19:20], v[33:36], off
.LBB108_21:                             ;   in Loop: Header=BB108_7 Depth=1
	s_wait_alu 0xfffe
	s_and_not1_b32 vcc_lo, exec_lo, s34
	s_wait_alu 0xfffe
	s_cbranch_vccnz .LBB108_23
; %bb.22:                               ;   in Loop: Header=BB108_7 Depth=1
	v_lshlrev_b64_e32 v[19:20], 4, v[5:6]
	s_delay_alu instid0(VALU_DEP_1) | instskip(SKIP_1) | instid1(VALU_DEP_2)
	v_add_co_u32 v19, vcc_lo, v17, v19
	s_wait_alu 0xfffd
	v_add_co_ci_u32_e64 v20, null, v18, v20, vcc_lo
	global_store_b128 v[19:20], v[1:4], off
.LBB108_23:                             ;   in Loop: Header=BB108_7 Depth=1
	s_wait_alu 0xfffe
	s_or_b32 exec_lo, exec_lo, s26
	s_and_saveexec_b32 s26, s33
	s_cbranch_execz .LBB108_28
; %bb.24:                               ;   in Loop: Header=BB108_7 Depth=1
	v_mul_f64_e32 v[1:2], s[10:11], v[31:32]
	v_mul_f64_e32 v[3:4], s[8:9], v[31:32]
	s_and_not1_b32 vcc_lo, exec_lo, s31
	s_mov_b32 s34, -1
	s_delay_alu instid0(VALU_DEP_2) | instskip(NEXT) | instid1(VALU_DEP_2)
	v_fma_f64 v[1:2], s[8:9], v[29:30], -v[1:2]
	v_fma_f64 v[3:4], s[10:11], v[29:30], v[3:4]
	s_wait_alu 0xfffe
	s_cbranch_vccnz .LBB108_26
; %bb.25:                               ;   in Loop: Header=BB108_7 Depth=1
	v_lshlrev_b64_e32 v[19:20], 4, v[7:8]
	s_mov_b32 s34, 0
	s_delay_alu instid0(VALU_DEP_1) | instskip(SKIP_1) | instid1(VALU_DEP_2)
	v_add_co_u32 v19, vcc_lo, v17, v19
	s_wait_alu 0xfffd
	v_add_co_ci_u32_e64 v20, null, v18, v20, vcc_lo
	global_load_b128 v[29:32], v[19:20], off
	s_wait_loadcnt 0x0
	v_mul_f64_e32 v[33:34], s[6:7], v[31:32]
	v_mul_f64_e32 v[31:32], s[4:5], v[31:32]
	s_delay_alu instid0(VALU_DEP_2) | instskip(NEXT) | instid1(VALU_DEP_2)
	v_fma_f64 v[33:34], s[4:5], v[29:30], -v[33:34]
	v_fma_f64 v[31:32], s[6:7], v[29:30], v[31:32]
	s_delay_alu instid0(VALU_DEP_2) | instskip(NEXT) | instid1(VALU_DEP_2)
	v_add_f64_e32 v[29:30], v[1:2], v[33:34]
	v_add_f64_e32 v[31:32], v[3:4], v[31:32]
	global_store_b128 v[19:20], v[29:32], off
.LBB108_26:                             ;   in Loop: Header=BB108_7 Depth=1
	s_wait_alu 0xfffe
	s_and_not1_b32 vcc_lo, exec_lo, s34
	s_wait_alu 0xfffe
	s_cbranch_vccnz .LBB108_28
; %bb.27:                               ;   in Loop: Header=BB108_7 Depth=1
	v_lshlrev_b64_e32 v[19:20], 4, v[7:8]
	s_delay_alu instid0(VALU_DEP_1) | instskip(SKIP_1) | instid1(VALU_DEP_2)
	v_add_co_u32 v17, vcc_lo, v17, v19
	s_wait_alu 0xfffd
	v_add_co_ci_u32_e64 v18, null, v18, v20, vcc_lo
	global_store_b128 v[17:18], v[1:4], off
.LBB108_28:                             ;   in Loop: Header=BB108_7 Depth=1
	s_wait_alu 0xfffe
	s_or_b32 exec_lo, exec_lo, s26
	v_add_co_u32 v19, vcc_lo, s0, v15
	s_wait_alu 0xfffd
	v_add_co_ci_u32_e64 v20, null, s1, v16, vcc_lo
	s_and_saveexec_b32 s0, s14
	s_cbranch_execz .LBB108_33
; %bb.29:                               ;   in Loop: Header=BB108_7 Depth=1
	v_mul_f64_e32 v[1:2], s[10:11], v[27:28]
	v_mul_f64_e32 v[3:4], s[8:9], v[27:28]
	v_lshlrev_b64_e32 v[17:18], 4, v[5:6]
	s_and_not1_b32 vcc_lo, exec_lo, s31
	s_mov_b32 s1, -1
	s_delay_alu instid0(VALU_DEP_3) | instskip(NEXT) | instid1(VALU_DEP_3)
	v_fma_f64 v[1:2], s[8:9], v[25:26], -v[1:2]
	v_fma_f64 v[3:4], s[10:11], v[25:26], v[3:4]
	s_wait_alu 0xfffe
	s_cbranch_vccnz .LBB108_31
; %bb.30:                               ;   in Loop: Header=BB108_7 Depth=1
	v_add_co_u32 v29, vcc_lo, v19, v17
	s_wait_alu 0xfffd
	v_add_co_ci_u32_e64 v30, null, v20, v18, vcc_lo
	s_mov_b32 s1, 0
	global_load_b128 v[25:28], v[29:30], off
	s_wait_loadcnt 0x0
	v_mul_f64_e32 v[31:32], s[6:7], v[27:28]
	v_mul_f64_e32 v[27:28], s[4:5], v[27:28]
	s_delay_alu instid0(VALU_DEP_2) | instskip(NEXT) | instid1(VALU_DEP_2)
	v_fma_f64 v[31:32], s[4:5], v[25:26], -v[31:32]
	v_fma_f64 v[27:28], s[6:7], v[25:26], v[27:28]
	s_delay_alu instid0(VALU_DEP_2) | instskip(NEXT) | instid1(VALU_DEP_2)
	v_add_f64_e32 v[25:26], v[1:2], v[31:32]
	v_add_f64_e32 v[27:28], v[3:4], v[27:28]
	global_store_b128 v[29:30], v[25:28], off
.LBB108_31:                             ;   in Loop: Header=BB108_7 Depth=1
	s_wait_alu 0xfffe
	s_and_not1_b32 vcc_lo, exec_lo, s1
	s_wait_alu 0xfffe
	s_cbranch_vccnz .LBB108_33
; %bb.32:                               ;   in Loop: Header=BB108_7 Depth=1
	v_add_co_u32 v17, vcc_lo, v19, v17
	s_wait_alu 0xfffd
	v_add_co_ci_u32_e64 v18, null, v20, v18, vcc_lo
	global_store_b128 v[17:18], v[1:4], off
.LBB108_33:                             ;   in Loop: Header=BB108_7 Depth=1
	s_wait_alu 0xfffe
	s_or_b32 exec_lo, exec_lo, s0
	s_and_saveexec_b32 s0, s3
	s_cbranch_execz .LBB108_6
; %bb.34:                               ;   in Loop: Header=BB108_7 Depth=1
	v_mul_f64_e32 v[1:2], s[10:11], v[21:22]
	v_mul_f64_e32 v[3:4], s[8:9], v[21:22]
	v_lshlrev_b64_e32 v[17:18], 4, v[7:8]
	s_and_not1_b32 vcc_lo, exec_lo, s31
	s_mov_b32 s1, -1
	s_delay_alu instid0(VALU_DEP_3) | instskip(NEXT) | instid1(VALU_DEP_3)
	v_fma_f64 v[1:2], s[8:9], v[23:24], -v[1:2]
	v_fma_f64 v[3:4], s[10:11], v[23:24], v[3:4]
	s_wait_alu 0xfffe
	s_cbranch_vccnz .LBB108_36
; %bb.35:                               ;   in Loop: Header=BB108_7 Depth=1
	v_add_co_u32 v25, vcc_lo, v19, v17
	s_wait_alu 0xfffd
	v_add_co_ci_u32_e64 v26, null, v20, v18, vcc_lo
	s_mov_b32 s1, 0
	global_load_b128 v[21:24], v[25:26], off
	s_wait_loadcnt 0x0
	v_mul_f64_e32 v[27:28], s[6:7], v[23:24]
	v_mul_f64_e32 v[23:24], s[4:5], v[23:24]
	s_delay_alu instid0(VALU_DEP_2) | instskip(NEXT) | instid1(VALU_DEP_2)
	v_fma_f64 v[27:28], s[4:5], v[21:22], -v[27:28]
	v_fma_f64 v[23:24], s[6:7], v[21:22], v[23:24]
	s_delay_alu instid0(VALU_DEP_2) | instskip(NEXT) | instid1(VALU_DEP_2)
	v_add_f64_e32 v[21:22], v[1:2], v[27:28]
	v_add_f64_e32 v[23:24], v[3:4], v[23:24]
	global_store_b128 v[25:26], v[21:24], off
.LBB108_36:                             ;   in Loop: Header=BB108_7 Depth=1
	s_wait_alu 0xfffe
	s_and_not1_b32 vcc_lo, exec_lo, s1
	s_wait_alu 0xfffe
	s_cbranch_vccnz .LBB108_6
; %bb.37:                               ;   in Loop: Header=BB108_7 Depth=1
	v_add_co_u32 v17, vcc_lo, v19, v17
	s_wait_alu 0xfffd
	v_add_co_ci_u32_e64 v18, null, v20, v18, vcc_lo
	global_store_b128 v[17:18], v[1:4], off
	s_branch .LBB108_6
.LBB108_38:
.LBB108_39:
	s_endpgm
	.section	.rodata,"a",@progbits
	.p2align	6, 0x0
	.amdhsa_kernel _ZL29rocblas_internal_gemmt_kernelIiLi16ELi32ELi8ELc78ELc78ELc85ELb0ELb0E19rocblas_complex_numIdEPKS1_S3_PS1_EviT_T9_T10_S5_lS7_S5_lS6_T11_S5_li
		.amdhsa_group_segment_fixed_size 8192
		.amdhsa_private_segment_fixed_size 0
		.amdhsa_kernarg_size 100
		.amdhsa_user_sgpr_count 2
		.amdhsa_user_sgpr_dispatch_ptr 0
		.amdhsa_user_sgpr_queue_ptr 0
		.amdhsa_user_sgpr_kernarg_segment_ptr 1
		.amdhsa_user_sgpr_dispatch_id 0
		.amdhsa_user_sgpr_private_segment_size 0
		.amdhsa_wavefront_size32 1
		.amdhsa_uses_dynamic_stack 0
		.amdhsa_enable_private_segment 0
		.amdhsa_system_sgpr_workgroup_id_x 1
		.amdhsa_system_sgpr_workgroup_id_y 1
		.amdhsa_system_sgpr_workgroup_id_z 1
		.amdhsa_system_sgpr_workgroup_info 0
		.amdhsa_system_vgpr_workitem_id 1
		.amdhsa_next_free_vgpr 65
		.amdhsa_next_free_sgpr 39
		.amdhsa_reserve_vcc 1
		.amdhsa_float_round_mode_32 0
		.amdhsa_float_round_mode_16_64 0
		.amdhsa_float_denorm_mode_32 3
		.amdhsa_float_denorm_mode_16_64 3
		.amdhsa_fp16_overflow 0
		.amdhsa_workgroup_processor_mode 1
		.amdhsa_memory_ordered 1
		.amdhsa_forward_progress 1
		.amdhsa_inst_pref_size 30
		.amdhsa_round_robin_scheduling 0
		.amdhsa_exception_fp_ieee_invalid_op 0
		.amdhsa_exception_fp_denorm_src 0
		.amdhsa_exception_fp_ieee_div_zero 0
		.amdhsa_exception_fp_ieee_overflow 0
		.amdhsa_exception_fp_ieee_underflow 0
		.amdhsa_exception_fp_ieee_inexact 0
		.amdhsa_exception_int_div_zero 0
	.end_amdhsa_kernel
	.section	.text._ZL29rocblas_internal_gemmt_kernelIiLi16ELi32ELi8ELc78ELc78ELc85ELb0ELb0E19rocblas_complex_numIdEPKS1_S3_PS1_EviT_T9_T10_S5_lS7_S5_lS6_T11_S5_li,"axG",@progbits,_ZL29rocblas_internal_gemmt_kernelIiLi16ELi32ELi8ELc78ELc78ELc85ELb0ELb0E19rocblas_complex_numIdEPKS1_S3_PS1_EviT_T9_T10_S5_lS7_S5_lS6_T11_S5_li,comdat
.Lfunc_end108:
	.size	_ZL29rocblas_internal_gemmt_kernelIiLi16ELi32ELi8ELc78ELc78ELc85ELb0ELb0E19rocblas_complex_numIdEPKS1_S3_PS1_EviT_T9_T10_S5_lS7_S5_lS6_T11_S5_li, .Lfunc_end108-_ZL29rocblas_internal_gemmt_kernelIiLi16ELi32ELi8ELc78ELc78ELc85ELb0ELb0E19rocblas_complex_numIdEPKS1_S3_PS1_EviT_T9_T10_S5_lS7_S5_lS6_T11_S5_li
                                        ; -- End function
	.set _ZL29rocblas_internal_gemmt_kernelIiLi16ELi32ELi8ELc78ELc78ELc85ELb0ELb0E19rocblas_complex_numIdEPKS1_S3_PS1_EviT_T9_T10_S5_lS7_S5_lS6_T11_S5_li.num_vgpr, 65
	.set _ZL29rocblas_internal_gemmt_kernelIiLi16ELi32ELi8ELc78ELc78ELc85ELb0ELb0E19rocblas_complex_numIdEPKS1_S3_PS1_EviT_T9_T10_S5_lS7_S5_lS6_T11_S5_li.num_agpr, 0
	.set _ZL29rocblas_internal_gemmt_kernelIiLi16ELi32ELi8ELc78ELc78ELc85ELb0ELb0E19rocblas_complex_numIdEPKS1_S3_PS1_EviT_T9_T10_S5_lS7_S5_lS6_T11_S5_li.numbered_sgpr, 39
	.set _ZL29rocblas_internal_gemmt_kernelIiLi16ELi32ELi8ELc78ELc78ELc85ELb0ELb0E19rocblas_complex_numIdEPKS1_S3_PS1_EviT_T9_T10_S5_lS7_S5_lS6_T11_S5_li.num_named_barrier, 0
	.set _ZL29rocblas_internal_gemmt_kernelIiLi16ELi32ELi8ELc78ELc78ELc85ELb0ELb0E19rocblas_complex_numIdEPKS1_S3_PS1_EviT_T9_T10_S5_lS7_S5_lS6_T11_S5_li.private_seg_size, 0
	.set _ZL29rocblas_internal_gemmt_kernelIiLi16ELi32ELi8ELc78ELc78ELc85ELb0ELb0E19rocblas_complex_numIdEPKS1_S3_PS1_EviT_T9_T10_S5_lS7_S5_lS6_T11_S5_li.uses_vcc, 1
	.set _ZL29rocblas_internal_gemmt_kernelIiLi16ELi32ELi8ELc78ELc78ELc85ELb0ELb0E19rocblas_complex_numIdEPKS1_S3_PS1_EviT_T9_T10_S5_lS7_S5_lS6_T11_S5_li.uses_flat_scratch, 0
	.set _ZL29rocblas_internal_gemmt_kernelIiLi16ELi32ELi8ELc78ELc78ELc85ELb0ELb0E19rocblas_complex_numIdEPKS1_S3_PS1_EviT_T9_T10_S5_lS7_S5_lS6_T11_S5_li.has_dyn_sized_stack, 0
	.set _ZL29rocblas_internal_gemmt_kernelIiLi16ELi32ELi8ELc78ELc78ELc85ELb0ELb0E19rocblas_complex_numIdEPKS1_S3_PS1_EviT_T9_T10_S5_lS7_S5_lS6_T11_S5_li.has_recursion, 0
	.set _ZL29rocblas_internal_gemmt_kernelIiLi16ELi32ELi8ELc78ELc78ELc85ELb0ELb0E19rocblas_complex_numIdEPKS1_S3_PS1_EviT_T9_T10_S5_lS7_S5_lS6_T11_S5_li.has_indirect_call, 0
	.section	.AMDGPU.csdata,"",@progbits
; Kernel info:
; codeLenInByte = 3720
; TotalNumSgprs: 41
; NumVgprs: 65
; ScratchSize: 0
; MemoryBound: 0
; FloatMode: 240
; IeeeMode: 1
; LDSByteSize: 8192 bytes/workgroup (compile time only)
; SGPRBlocks: 0
; VGPRBlocks: 8
; NumSGPRsForWavesPerEU: 41
; NumVGPRsForWavesPerEU: 65
; Occupancy: 16
; WaveLimiterHint : 0
; COMPUTE_PGM_RSRC2:SCRATCH_EN: 0
; COMPUTE_PGM_RSRC2:USER_SGPR: 2
; COMPUTE_PGM_RSRC2:TRAP_HANDLER: 0
; COMPUTE_PGM_RSRC2:TGID_X_EN: 1
; COMPUTE_PGM_RSRC2:TGID_Y_EN: 1
; COMPUTE_PGM_RSRC2:TGID_Z_EN: 1
; COMPUTE_PGM_RSRC2:TIDIG_COMP_CNT: 1
	.section	.text._ZL29rocblas_internal_gemmt_kernelIiLi16ELi32ELi8ELc78ELc84ELc85ELb0ELb0E19rocblas_complex_numIdEPKS1_S3_PS1_EviT_T9_T10_S5_lS7_S5_lS6_T11_S5_li,"axG",@progbits,_ZL29rocblas_internal_gemmt_kernelIiLi16ELi32ELi8ELc78ELc84ELc85ELb0ELb0E19rocblas_complex_numIdEPKS1_S3_PS1_EviT_T9_T10_S5_lS7_S5_lS6_T11_S5_li,comdat
	.globl	_ZL29rocblas_internal_gemmt_kernelIiLi16ELi32ELi8ELc78ELc84ELc85ELb0ELb0E19rocblas_complex_numIdEPKS1_S3_PS1_EviT_T9_T10_S5_lS7_S5_lS6_T11_S5_li ; -- Begin function _ZL29rocblas_internal_gemmt_kernelIiLi16ELi32ELi8ELc78ELc84ELc85ELb0ELb0E19rocblas_complex_numIdEPKS1_S3_PS1_EviT_T9_T10_S5_lS7_S5_lS6_T11_S5_li
	.p2align	8
	.type	_ZL29rocblas_internal_gemmt_kernelIiLi16ELi32ELi8ELc78ELc84ELc85ELb0ELb0E19rocblas_complex_numIdEPKS1_S3_PS1_EviT_T9_T10_S5_lS7_S5_lS6_T11_S5_li,@function
_ZL29rocblas_internal_gemmt_kernelIiLi16ELi32ELi8ELc78ELc84ELc85ELb0ELb0E19rocblas_complex_numIdEPKS1_S3_PS1_EviT_T9_T10_S5_lS7_S5_lS6_T11_S5_li: ; @_ZL29rocblas_internal_gemmt_kernelIiLi16ELi32ELi8ELc78ELc84ELc85ELb0ELb0E19rocblas_complex_numIdEPKS1_S3_PS1_EviT_T9_T10_S5_lS7_S5_lS6_T11_S5_li
; %bb.0:
	s_load_b128 s[12:15], s[0:1], 0x38
	s_wait_kmcnt 0x0
	s_load_b128 s[4:7], s[14:15], 0x0
	s_clause 0x1
	s_load_b128 s[16:19], s[0:1], 0x8
	s_load_b64 s[14:15], s[0:1], 0x0
	s_wait_kmcnt 0x0
	s_load_b128 s[8:11], s[16:17], 0x0
	v_cmp_eq_f64_e64 s2, s[4:5], 1.0
	v_cmp_eq_f64_e64 s3, s[6:7], 0
	s_and_b32 s2, s2, s3
	s_delay_alu instid0(SALU_CYCLE_1)
	s_and_not1_b32 vcc_lo, exec_lo, s2
	s_mov_b32 s2, -1
	s_cbranch_vccnz .LBB109_3
; %bb.1:
	s_cmp_lg_u32 s15, 0
	s_cbranch_scc0 .LBB109_38
; %bb.2:
	s_wait_kmcnt 0x0
	v_cmp_neq_f64_e64 s2, s[8:9], 0
	v_cmp_neq_f64_e64 s16, s[10:11], 0
	s_or_b32 s2, s2, s16
.LBB109_3:
	s_delay_alu instid0(SALU_CYCLE_1)
	s_and_b32 vcc_lo, exec_lo, s2
	s_cbranch_vccz .LBB109_39
; %bb.4:
	s_load_b32 s27, s[0:1], 0x60
	s_lshr_b32 s16, ttmp7, 16
	s_wait_kmcnt 0x0
	s_cmp_ge_u32 s16, s27
	s_cbranch_scc1 .LBB109_39
; %bb.5:
	v_cmp_neq_f64_e64 s33, s[8:9], 0
	v_cmp_neq_f64_e64 s34, s[10:11], 0
	;; [unrolled: 1-line block ×3, first 2 shown]
	v_and_b32_e32 v1, 0x3ff, v0
	v_bfe_u32 v2, v0, 10, 10
	s_clause 0x4
	s_load_b32 s36, s[0:1], 0x18
	s_load_b128 s[20:23], s[0:1], 0x20
	s_load_b32 s30, s[0:1], 0x30
	s_load_b96 s[24:26], s[0:1], 0x48
	s_load_b64 s[28:29], s[0:1], 0x58
	v_and_b32_e32 v37, 7, v0
	s_lshl_b32 s0, ttmp7, 5
	s_lshl_b32 s1, ttmp9, 5
	v_lshl_add_u32 v0, v2, 4, v1
	s_and_b32 s2, s0, 0x1fffe0
	v_lshlrev_b32_e32 v38, 4, v1
	v_add_nc_u32_e32 v5, s1, v1
	v_lshlrev_b32_e32 v3, 4, v37
	v_and_b32_e32 v1, 31, v0
	v_lshl_add_u32 v39, v2, 7, 0x1000
	v_add_nc_u32_e32 v4, s2, v2
	v_lshrrev_b32_e32 v2, 3, v0
	v_lshrrev_b32_e32 v40, 5, v0
	v_or_b32_e32 v0, s1, v1
	v_lshlrev_b32_e32 v1, 4, v1
	v_cmp_gt_i32_e32 vcc_lo, s14, v4
	v_cmp_le_i32_e64 s0, v5, v4
	v_add_nc_u32_e32 v7, 16, v5
	v_add_nc_u32_e32 v13, s2, v2
	v_lshl_or_b32 v2, v2, 7, v3
	s_wait_kmcnt 0x0
	v_mad_co_i64_i32 v[9:10], null, v40, s36, 0
	s_ashr_i32 s37, s36, 31
	s_ashr_i32 s31, s30, 31
	v_lshl_or_b32 v41, v40, 9, v1
	v_ashrrev_i32_e32 v1, 31, v0
	v_add_nc_u32_e32 v42, 0x1000, v2
	v_mad_co_i64_i32 v[2:3], null, v4, s26, 0
	v_cmp_gt_i32_e64 s1, s14, v0
	v_lshlrev_b64_e32 v[9:10], 4, v[9:10]
	v_lshlrev_b64_e32 v[0:1], 4, v[0:1]
	v_mad_co_i64_i32 v[11:12], null, s30, v37, 0
	s_or_b32 s38, s33, s34
	s_cmp_gt_i32 s15, 0
	v_cmp_gt_i32_e64 s2, s14, v13
	s_cselect_b32 s39, -1, 0
	s_and_b32 s34, vcc_lo, s0
	v_cmp_le_i32_e64 s0, v7, v4
	v_add_nc_u32_e32 v4, 16, v4
	s_xor_b32 s3, s3, -1
	v_ashrrev_i32_e32 v6, 31, v5
	s_wait_alu 0xfffe
	s_or_b32 s33, s35, s3
	s_and_b32 s35, vcc_lo, s0
	v_cmp_gt_i32_e32 vcc_lo, s14, v4
	v_cmp_le_i32_e64 s0, v5, v4
	v_cmp_le_i32_e64 s3, v7, v4
	v_mad_co_i64_i32 v[15:16], null, v4, s26, 0
	v_ashrrev_i32_e32 v8, 31, v7
	s_delay_alu instid0(VALU_DEP_4) | instskip(NEXT) | instid1(VALU_DEP_3)
	s_and_b32 s14, vcc_lo, s0
	s_and_b32 s3, vcc_lo, s3
	v_add_co_u32 v4, vcc_lo, v9, v0
	s_delay_alu instid0(VALU_DEP_1) | instskip(SKIP_2) | instid1(VALU_DEP_4)
	v_add_co_ci_u32_e64 v10, null, v10, v1, vcc_lo
	v_lshlrev_b64_e32 v[0:1], 4, v[11:12]
	v_lshlrev_b32_e32 v11, 4, v13
	v_add_co_u32 v9, vcc_lo, s18, v4
	s_wait_alu 0xfffd
	v_add_co_ci_u32_e64 v10, null, s19, v10, vcc_lo
	s_delay_alu instid0(VALU_DEP_3) | instskip(SKIP_3) | instid1(VALU_DEP_3)
	v_add_co_u32 v0, vcc_lo, v0, v11
	s_wait_alu 0xfffd
	v_add_co_ci_u32_e64 v1, null, 0, v1, vcc_lo
	v_lshlrev_b64_e32 v[13:14], 4, v[2:3]
	v_add_co_u32 v11, vcc_lo, s22, v0
	v_lshlrev_b64_e32 v[15:16], 4, v[15:16]
	s_wait_alu 0xfffd
	v_add_co_ci_u32_e64 v12, null, s23, v1, vcc_lo
	v_mov_b32_e32 v0, 0
	s_mov_b32 s17, 0
	s_lshl_b64 s[18:19], s[20:21], 4
	s_lshl_b64 s[20:21], s[36:37], 7
	;; [unrolled: 1-line block ×3, first 2 shown]
	s_and_b32 s26, s38, s39
	s_lshl_b64 s[22:23], s[30:31], 7
	s_xor_b32 s30, s1, -1
	s_xor_b32 s2, s2, -1
	s_branch .LBB109_7
.LBB109_6:                              ;   in Loop: Header=BB109_7 Depth=1
	s_wait_alu 0xfffe
	s_or_b32 exec_lo, exec_lo, s0
	s_add_co_i32 s16, s16, 0x10000
	s_wait_alu 0xfffe
	s_cmp_lt_u32 s16, s27
	s_cbranch_scc0 .LBB109_39
.LBB109_7:                              ; =>This Loop Header: Depth=1
                                        ;     Child Loop BB109_10 Depth 2
	v_mov_b32_e32 v33, 0
	v_mov_b32_e32 v29, 0
	v_mov_b32_e32 v25, 0
	v_dual_mov_b32 v23, 0 :: v_dual_mov_b32 v34, 0
	v_dual_mov_b32 v35, 0 :: v_dual_mov_b32 v30, 0
	;; [unrolled: 1-line block ×5, first 2 shown]
	v_mov_b32_e32 v32, 0
	v_mov_b32_e32 v28, 0
	;; [unrolled: 1-line block ×3, first 2 shown]
	s_wait_alu 0xfffe
	s_and_not1_b32 vcc_lo, exec_lo, s26
	s_wait_alu 0xfffe
	s_cbranch_vccnz .LBB109_18
; %bb.8:                                ;   in Loop: Header=BB109_7 Depth=1
	v_mad_co_u64_u32 v[17:18], null, s18, s16, v[9:10]
	v_mad_co_u64_u32 v[19:20], null, s12, s16, v[11:12]
	v_mov_b32_e32 v21, 0
	v_mov_b32_e32 v23, 0
	;; [unrolled: 1-line block ×4, first 2 shown]
	v_dual_mov_b32 v1, v18 :: v_dual_mov_b32 v22, 0
	v_mov_b32_e32 v2, v20
	v_dual_mov_b32 v24, 0 :: v_dual_mov_b32 v27, 0
	v_dual_mov_b32 v26, 0 :: v_dual_mov_b32 v31, 0
	s_delay_alu instid0(VALU_DEP_3)
	v_mad_co_u64_u32 v[3:4], null, s19, s16, v[1:2]
	v_dual_mov_b32 v30, 0 :: v_dual_mov_b32 v35, 0
	v_dual_mov_b32 v33, 0 :: v_dual_mov_b32 v28, 0
	v_mov_b32_e32 v32, 0
	v_mov_b32_e32 v36, 0
	v_mad_co_u64_u32 v[1:2], null, s13, s16, v[2:3]
	v_mov_b32_e32 v34, 0
	v_mov_b32_e32 v18, v3
	s_mov_b32 s0, 0
	s_delay_alu instid0(VALU_DEP_3)
	v_mov_b32_e32 v20, v1
	s_branch .LBB109_10
.LBB109_9:                              ;   in Loop: Header=BB109_10 Depth=2
	s_wait_alu 0xfffe
	s_or_b32 exec_lo, exec_lo, s1
	s_wait_dscnt 0x0
	s_barrier_signal -1
	s_barrier_wait -1
	global_inv scope:SCOPE_SE
	ds_load_b128 v[1:4], v39
	ds_load_b128 v[43:46], v39 offset:16
	ds_load_b128 v[47:50], v39 offset:32
	;; [unrolled: 1-line block ×3, first 2 shown]
	ds_load_b128 v[55:58], v38
	v_add_co_u32 v17, vcc_lo, v17, s20
	s_wait_alu 0xfffd
	v_add_co_ci_u32_e64 v18, null, s21, v18, vcc_lo
	v_add_co_u32 v19, vcc_lo, v19, s22
	s_wait_alu 0xfffd
	v_add_co_ci_u32_e64 v20, null, s23, v20, vcc_lo
	s_add_co_i32 s0, s0, 8
	s_wait_alu 0xfffe
	s_cmp_lt_i32 s0, s15
	s_wait_dscnt 0x0
	v_mul_f64_e32 v[59:60], v[3:4], v[57:58]
	v_mul_f64_e32 v[61:62], v[1:2], v[57:58]
	s_delay_alu instid0(VALU_DEP_2) | instskip(NEXT) | instid1(VALU_DEP_2)
	v_fma_f64 v[59:60], v[1:2], v[55:56], -v[59:60]
	v_fma_f64 v[61:62], v[3:4], v[55:56], v[61:62]
	s_delay_alu instid0(VALU_DEP_2) | instskip(NEXT) | instid1(VALU_DEP_2)
	v_add_f64_e32 v[59:60], v[33:34], v[59:60]
	v_add_f64_e32 v[61:62], v[61:62], v[35:36]
	ds_load_b128 v[33:36], v38 offset:256
	s_wait_dscnt 0x0
	v_mul_f64_e32 v[63:64], v[3:4], v[35:36]
	s_delay_alu instid0(VALU_DEP_1) | instskip(SKIP_1) | instid1(VALU_DEP_2)
	v_fma_f64 v[63:64], v[1:2], v[33:34], -v[63:64]
	v_mul_f64_e32 v[1:2], v[1:2], v[35:36]
	v_add_f64_e32 v[29:30], v[29:30], v[63:64]
	s_delay_alu instid0(VALU_DEP_2) | instskip(NEXT) | instid1(VALU_DEP_1)
	v_fma_f64 v[1:2], v[3:4], v[33:34], v[1:2]
	v_add_f64_e32 v[31:32], v[1:2], v[31:32]
	ds_load_b128 v[1:4], v39 offset:2048
	s_wait_dscnt 0x0
	v_mul_f64_e32 v[63:64], v[3:4], v[57:58]
	v_mul_f64_e32 v[57:58], v[1:2], v[57:58]
	s_delay_alu instid0(VALU_DEP_2) | instskip(NEXT) | instid1(VALU_DEP_2)
	v_fma_f64 v[63:64], v[1:2], v[55:56], -v[63:64]
	v_fma_f64 v[55:56], v[3:4], v[55:56], v[57:58]
	s_delay_alu instid0(VALU_DEP_2) | instskip(SKIP_1) | instid1(VALU_DEP_3)
	v_add_f64_e32 v[57:58], v[25:26], v[63:64]
	v_mul_f64_e32 v[25:26], v[3:4], v[35:36]
	v_add_f64_e32 v[55:56], v[55:56], v[27:28]
	s_delay_alu instid0(VALU_DEP_2) | instskip(SKIP_1) | instid1(VALU_DEP_1)
	v_fma_f64 v[25:26], v[1:2], v[33:34], -v[25:26]
	v_mul_f64_e32 v[1:2], v[1:2], v[35:36]
	v_fma_f64 v[1:2], v[3:4], v[33:34], v[1:2]
	s_delay_alu instid0(VALU_DEP_3) | instskip(NEXT) | instid1(VALU_DEP_2)
	v_add_f64_e32 v[33:34], v[23:24], v[25:26]
	v_add_f64_e32 v[35:36], v[1:2], v[21:22]
	ds_load_b128 v[1:4], v38 offset:512
	s_wait_dscnt 0x0
	v_mul_f64_e32 v[21:22], v[45:46], v[3:4]
	v_mul_f64_e32 v[23:24], v[43:44], v[3:4]
	s_delay_alu instid0(VALU_DEP_2) | instskip(NEXT) | instid1(VALU_DEP_2)
	v_fma_f64 v[21:22], v[43:44], v[1:2], -v[21:22]
	v_fma_f64 v[23:24], v[45:46], v[1:2], v[23:24]
	s_delay_alu instid0(VALU_DEP_2) | instskip(NEXT) | instid1(VALU_DEP_2)
	v_add_f64_e32 v[59:60], v[59:60], v[21:22]
	v_add_f64_e32 v[61:62], v[23:24], v[61:62]
	ds_load_b128 v[21:24], v38 offset:768
	s_wait_dscnt 0x0
	v_mul_f64_e32 v[25:26], v[45:46], v[23:24]
	v_mul_f64_e32 v[27:28], v[43:44], v[23:24]
	s_delay_alu instid0(VALU_DEP_2) | instskip(NEXT) | instid1(VALU_DEP_2)
	v_fma_f64 v[25:26], v[43:44], v[21:22], -v[25:26]
	v_fma_f64 v[27:28], v[45:46], v[21:22], v[27:28]
	s_delay_alu instid0(VALU_DEP_2) | instskip(NEXT) | instid1(VALU_DEP_2)
	v_add_f64_e32 v[29:30], v[29:30], v[25:26]
	v_add_f64_e32 v[31:32], v[27:28], v[31:32]
	ds_load_b128 v[25:28], v39 offset:2064
	s_wait_dscnt 0x0
	v_mul_f64_e32 v[43:44], v[27:28], v[3:4]
	v_mul_f64_e32 v[3:4], v[25:26], v[3:4]
	s_delay_alu instid0(VALU_DEP_2) | instskip(NEXT) | instid1(VALU_DEP_2)
	v_fma_f64 v[43:44], v[25:26], v[1:2], -v[43:44]
	v_fma_f64 v[1:2], v[27:28], v[1:2], v[3:4]
	v_mul_f64_e32 v[3:4], v[25:26], v[23:24]
	s_delay_alu instid0(VALU_DEP_3) | instskip(NEXT) | instid1(VALU_DEP_3)
	v_add_f64_e32 v[43:44], v[57:58], v[43:44]
	v_add_f64_e32 v[45:46], v[1:2], v[55:56]
	v_mul_f64_e32 v[1:2], v[27:28], v[23:24]
	s_delay_alu instid0(VALU_DEP_4) | instskip(NEXT) | instid1(VALU_DEP_2)
	v_fma_f64 v[3:4], v[27:28], v[21:22], v[3:4]
	v_fma_f64 v[1:2], v[25:26], v[21:22], -v[1:2]
	s_delay_alu instid0(VALU_DEP_2) | instskip(NEXT) | instid1(VALU_DEP_2)
	v_add_f64_e32 v[35:36], v[3:4], v[35:36]
	v_add_f64_e32 v[33:34], v[33:34], v[1:2]
	ds_load_b128 v[1:4], v38 offset:1024
	s_wait_dscnt 0x0
	v_mul_f64_e32 v[21:22], v[49:50], v[3:4]
	v_mul_f64_e32 v[23:24], v[47:48], v[3:4]
	s_delay_alu instid0(VALU_DEP_2) | instskip(NEXT) | instid1(VALU_DEP_2)
	v_fma_f64 v[21:22], v[47:48], v[1:2], -v[21:22]
	v_fma_f64 v[23:24], v[49:50], v[1:2], v[23:24]
	s_delay_alu instid0(VALU_DEP_2) | instskip(NEXT) | instid1(VALU_DEP_2)
	v_add_f64_e32 v[55:56], v[59:60], v[21:22]
	v_add_f64_e32 v[57:58], v[23:24], v[61:62]
	ds_load_b128 v[21:24], v38 offset:1280
	s_wait_dscnt 0x0
	v_mul_f64_e32 v[25:26], v[49:50], v[23:24]
	v_mul_f64_e32 v[27:28], v[47:48], v[23:24]
	s_delay_alu instid0(VALU_DEP_2) | instskip(NEXT) | instid1(VALU_DEP_2)
	v_fma_f64 v[25:26], v[47:48], v[21:22], -v[25:26]
	v_fma_f64 v[27:28], v[49:50], v[21:22], v[27:28]
	s_delay_alu instid0(VALU_DEP_2) | instskip(NEXT) | instid1(VALU_DEP_2)
	v_add_f64_e32 v[29:30], v[29:30], v[25:26]
	v_add_f64_e32 v[31:32], v[27:28], v[31:32]
	ds_load_b128 v[25:28], v39 offset:2080
	s_wait_dscnt 0x0
	v_mul_f64_e32 v[47:48], v[27:28], v[3:4]
	v_mul_f64_e32 v[3:4], v[25:26], v[3:4]
	s_delay_alu instid0(VALU_DEP_2) | instskip(NEXT) | instid1(VALU_DEP_2)
	v_fma_f64 v[47:48], v[25:26], v[1:2], -v[47:48]
	v_fma_f64 v[1:2], v[27:28], v[1:2], v[3:4]
	v_mul_f64_e32 v[3:4], v[25:26], v[23:24]
	s_delay_alu instid0(VALU_DEP_3) | instskip(NEXT) | instid1(VALU_DEP_3)
	v_add_f64_e32 v[43:44], v[43:44], v[47:48]
	v_add_f64_e32 v[45:46], v[1:2], v[45:46]
	v_mul_f64_e32 v[1:2], v[27:28], v[23:24]
	s_delay_alu instid0(VALU_DEP_4) | instskip(NEXT) | instid1(VALU_DEP_2)
	v_fma_f64 v[3:4], v[27:28], v[21:22], v[3:4]
	v_fma_f64 v[1:2], v[25:26], v[21:22], -v[1:2]
	s_delay_alu instid0(VALU_DEP_2) | instskip(NEXT) | instid1(VALU_DEP_2)
	;; [unrolled: 38-line block ×3, first 2 shown]
	v_add_f64_e32 v[35:36], v[3:4], v[35:36]
	v_add_f64_e32 v[33:34], v[33:34], v[1:2]
	ds_load_b128 v[1:4], v39 offset:64
	ds_load_b128 v[21:24], v38 offset:2048
	s_wait_dscnt 0x0
	v_mul_f64_e32 v[25:26], v[3:4], v[23:24]
	v_mul_f64_e32 v[27:28], v[1:2], v[23:24]
	s_delay_alu instid0(VALU_DEP_2) | instskip(NEXT) | instid1(VALU_DEP_2)
	v_fma_f64 v[25:26], v[1:2], v[21:22], -v[25:26]
	v_fma_f64 v[27:28], v[3:4], v[21:22], v[27:28]
	s_delay_alu instid0(VALU_DEP_2) | instskip(NEXT) | instid1(VALU_DEP_2)
	v_add_f64_e32 v[47:48], v[47:48], v[25:26]
	v_add_f64_e32 v[49:50], v[27:28], v[49:50]
	ds_load_b128 v[25:28], v38 offset:2304
	s_wait_dscnt 0x0
	v_mul_f64_e32 v[51:52], v[3:4], v[27:28]
	s_delay_alu instid0(VALU_DEP_1) | instskip(SKIP_1) | instid1(VALU_DEP_2)
	v_fma_f64 v[51:52], v[1:2], v[25:26], -v[51:52]
	v_mul_f64_e32 v[1:2], v[1:2], v[27:28]
	v_add_f64_e32 v[29:30], v[29:30], v[51:52]
	s_delay_alu instid0(VALU_DEP_2) | instskip(NEXT) | instid1(VALU_DEP_1)
	v_fma_f64 v[1:2], v[3:4], v[25:26], v[1:2]
	v_add_f64_e32 v[31:32], v[1:2], v[31:32]
	ds_load_b128 v[1:4], v39 offset:2112
	s_wait_dscnt 0x0
	v_mul_f64_e32 v[51:52], v[3:4], v[23:24]
	v_mul_f64_e32 v[23:24], v[1:2], v[23:24]
	s_delay_alu instid0(VALU_DEP_2) | instskip(NEXT) | instid1(VALU_DEP_2)
	v_fma_f64 v[51:52], v[1:2], v[21:22], -v[51:52]
	v_fma_f64 v[21:22], v[3:4], v[21:22], v[23:24]
	s_delay_alu instid0(VALU_DEP_2) | instskip(NEXT) | instid1(VALU_DEP_2)
	v_add_f64_e32 v[43:44], v[43:44], v[51:52]
	v_add_f64_e32 v[45:46], v[21:22], v[45:46]
	v_mul_f64_e32 v[21:22], v[3:4], v[27:28]
	s_delay_alu instid0(VALU_DEP_1) | instskip(SKIP_1) | instid1(VALU_DEP_2)
	v_fma_f64 v[21:22], v[1:2], v[25:26], -v[21:22]
	v_mul_f64_e32 v[1:2], v[1:2], v[27:28]
	v_add_f64_e32 v[33:34], v[33:34], v[21:22]
	s_delay_alu instid0(VALU_DEP_2) | instskip(NEXT) | instid1(VALU_DEP_1)
	v_fma_f64 v[1:2], v[3:4], v[25:26], v[1:2]
	v_add_f64_e32 v[35:36], v[1:2], v[35:36]
	ds_load_b128 v[1:4], v39 offset:80
	ds_load_b128 v[21:24], v38 offset:2560
	s_wait_dscnt 0x0
	v_mul_f64_e32 v[25:26], v[3:4], v[23:24]
	v_mul_f64_e32 v[27:28], v[1:2], v[23:24]
	s_delay_alu instid0(VALU_DEP_2) | instskip(NEXT) | instid1(VALU_DEP_2)
	v_fma_f64 v[25:26], v[1:2], v[21:22], -v[25:26]
	v_fma_f64 v[27:28], v[3:4], v[21:22], v[27:28]
	s_delay_alu instid0(VALU_DEP_2) | instskip(NEXT) | instid1(VALU_DEP_2)
	v_add_f64_e32 v[47:48], v[47:48], v[25:26]
	v_add_f64_e32 v[49:50], v[27:28], v[49:50]
	ds_load_b128 v[25:28], v38 offset:2816
	s_wait_dscnt 0x0
	v_mul_f64_e32 v[51:52], v[3:4], v[27:28]
	s_delay_alu instid0(VALU_DEP_1) | instskip(SKIP_1) | instid1(VALU_DEP_2)
	v_fma_f64 v[51:52], v[1:2], v[25:26], -v[51:52]
	v_mul_f64_e32 v[1:2], v[1:2], v[27:28]
	v_add_f64_e32 v[29:30], v[29:30], v[51:52]
	s_delay_alu instid0(VALU_DEP_2) | instskip(NEXT) | instid1(VALU_DEP_1)
	v_fma_f64 v[1:2], v[3:4], v[25:26], v[1:2]
	v_add_f64_e32 v[31:32], v[1:2], v[31:32]
	ds_load_b128 v[1:4], v39 offset:2128
	s_wait_dscnt 0x0
	v_mul_f64_e32 v[51:52], v[3:4], v[23:24]
	v_mul_f64_e32 v[23:24], v[1:2], v[23:24]
	s_delay_alu instid0(VALU_DEP_2) | instskip(NEXT) | instid1(VALU_DEP_2)
	v_fma_f64 v[51:52], v[1:2], v[21:22], -v[51:52]
	v_fma_f64 v[21:22], v[3:4], v[21:22], v[23:24]
	s_delay_alu instid0(VALU_DEP_2) | instskip(NEXT) | instid1(VALU_DEP_2)
	v_add_f64_e32 v[43:44], v[43:44], v[51:52]
	v_add_f64_e32 v[45:46], v[21:22], v[45:46]
	v_mul_f64_e32 v[21:22], v[3:4], v[27:28]
	s_delay_alu instid0(VALU_DEP_1) | instskip(SKIP_1) | instid1(VALU_DEP_2)
	v_fma_f64 v[21:22], v[1:2], v[25:26], -v[21:22]
	v_mul_f64_e32 v[1:2], v[1:2], v[27:28]
	v_add_f64_e32 v[33:34], v[33:34], v[21:22]
	s_delay_alu instid0(VALU_DEP_2) | instskip(NEXT) | instid1(VALU_DEP_1)
	v_fma_f64 v[1:2], v[3:4], v[25:26], v[1:2]
	;; [unrolled: 39-line block ×3, first 2 shown]
	v_add_f64_e32 v[57:58], v[1:2], v[35:36]
	ds_load_b128 v[1:4], v39 offset:112
	ds_load_b128 v[21:24], v38 offset:3584
	;; [unrolled: 1-line block ×3, first 2 shown]
	s_wait_dscnt 0x1
	v_mul_f64_e32 v[25:26], v[3:4], v[23:24]
	v_mul_f64_e32 v[27:28], v[1:2], v[23:24]
	s_delay_alu instid0(VALU_DEP_2) | instskip(NEXT) | instid1(VALU_DEP_2)
	v_fma_f64 v[25:26], v[1:2], v[21:22], -v[25:26]
	v_fma_f64 v[27:28], v[3:4], v[21:22], v[27:28]
	s_delay_alu instid0(VALU_DEP_2) | instskip(SKIP_2) | instid1(VALU_DEP_3)
	v_add_f64_e32 v[33:34], v[47:48], v[25:26]
	s_wait_dscnt 0x0
	v_mul_f64_e32 v[25:26], v[3:4], v[45:46]
	v_add_f64_e32 v[35:36], v[27:28], v[49:50]
	s_delay_alu instid0(VALU_DEP_2) | instskip(SKIP_1) | instid1(VALU_DEP_2)
	v_fma_f64 v[25:26], v[1:2], v[43:44], -v[25:26]
	v_mul_f64_e32 v[1:2], v[1:2], v[45:46]
	v_add_f64_e32 v[29:30], v[29:30], v[25:26]
	s_delay_alu instid0(VALU_DEP_2) | instskip(NEXT) | instid1(VALU_DEP_1)
	v_fma_f64 v[1:2], v[3:4], v[43:44], v[1:2]
	v_add_f64_e32 v[31:32], v[1:2], v[31:32]
	ds_load_b128 v[1:4], v39 offset:2160
	s_wait_loadcnt_dscnt 0x0
	s_barrier_signal -1
	s_barrier_wait -1
	global_inv scope:SCOPE_SE
	v_mul_f64_e32 v[25:26], v[3:4], v[23:24]
	v_mul_f64_e32 v[23:24], v[1:2], v[23:24]
	s_delay_alu instid0(VALU_DEP_2) | instskip(NEXT) | instid1(VALU_DEP_2)
	v_fma_f64 v[25:26], v[1:2], v[21:22], -v[25:26]
	v_fma_f64 v[21:22], v[3:4], v[21:22], v[23:24]
	s_delay_alu instid0(VALU_DEP_2) | instskip(NEXT) | instid1(VALU_DEP_2)
	v_add_f64_e32 v[25:26], v[51:52], v[25:26]
	v_add_f64_e32 v[27:28], v[21:22], v[53:54]
	v_mul_f64_e32 v[21:22], v[3:4], v[45:46]
	s_delay_alu instid0(VALU_DEP_1) | instskip(SKIP_1) | instid1(VALU_DEP_2)
	v_fma_f64 v[21:22], v[1:2], v[43:44], -v[21:22]
	v_mul_f64_e32 v[1:2], v[1:2], v[45:46]
	v_add_f64_e32 v[23:24], v[55:56], v[21:22]
	s_delay_alu instid0(VALU_DEP_2) | instskip(NEXT) | instid1(VALU_DEP_1)
	v_fma_f64 v[1:2], v[3:4], v[43:44], v[1:2]
	v_add_f64_e32 v[21:22], v[1:2], v[57:58]
	s_cbranch_scc0 .LBB109_18
.LBB109_10:                             ;   Parent Loop BB109_7 Depth=1
                                        ; =>  This Inner Loop Header: Depth=2
	s_wait_alu 0xfffe
	v_add_nc_u32_e32 v1, s0, v40
	s_delay_alu instid0(VALU_DEP_1)
	v_cmp_le_i32_e32 vcc_lo, s15, v1
	s_or_b32 s1, s30, vcc_lo
	s_wait_alu 0xfffe
	s_and_saveexec_b32 s31, s1
	s_wait_alu 0xfffe
	s_xor_b32 s1, exec_lo, s31
; %bb.11:                               ;   in Loop: Header=BB109_10 Depth=2
	v_dual_mov_b32 v1, v0 :: v_dual_mov_b32 v2, v0
	v_mov_b32_e32 v3, v0
	ds_store_b128 v41, v[0:3]
; %bb.12:                               ;   in Loop: Header=BB109_10 Depth=2
	s_wait_alu 0xfffe
	s_and_not1_saveexec_b32 s1, s1
	s_cbranch_execz .LBB109_14
; %bb.13:                               ;   in Loop: Header=BB109_10 Depth=2
	global_load_b128 v[1:4], v[17:18], off
	s_wait_loadcnt 0x0
	ds_store_2addr_b64 v41, v[1:2], v[3:4] offset1:1
.LBB109_14:                             ;   in Loop: Header=BB109_10 Depth=2
	s_wait_alu 0xfffe
	s_or_b32 exec_lo, exec_lo, s1
	v_add_nc_u32_e32 v1, s0, v37
	s_delay_alu instid0(VALU_DEP_1)
	v_cmp_le_i32_e32 vcc_lo, s15, v1
	s_or_b32 s1, vcc_lo, s2
	s_wait_alu 0xfffe
	s_and_saveexec_b32 s31, s1
	s_wait_alu 0xfffe
	s_xor_b32 s1, exec_lo, s31
; %bb.15:                               ;   in Loop: Header=BB109_10 Depth=2
	v_dual_mov_b32 v1, v0 :: v_dual_mov_b32 v2, v0
	v_mov_b32_e32 v3, v0
	ds_store_b128 v42, v[0:3]
; %bb.16:                               ;   in Loop: Header=BB109_10 Depth=2
	s_wait_alu 0xfffe
	s_and_not1_saveexec_b32 s1, s1
	s_cbranch_execz .LBB109_9
; %bb.17:                               ;   in Loop: Header=BB109_10 Depth=2
	global_load_b128 v[1:4], v[19:20], off
	s_wait_loadcnt 0x0
	ds_store_2addr_b64 v42, v[1:2], v[3:4] offset1:1
	s_branch .LBB109_9
.LBB109_18:                             ;   in Loop: Header=BB109_7 Depth=1
	s_mul_u64 s[0:1], s[28:29], s[16:17]
	s_wait_alu 0xfffe
	s_lshl_b64 s[0:1], s[0:1], 4
	s_wait_alu 0xfffe
	s_add_nc_u64 s[0:1], s[24:25], s[0:1]
	s_wait_alu 0xfffe
	v_add_co_u32 v17, vcc_lo, s0, v13
	s_wait_alu 0xfffd
	v_add_co_ci_u32_e64 v18, null, s1, v14, vcc_lo
	s_and_saveexec_b32 s31, s34
	s_cbranch_execz .LBB109_23
; %bb.19:                               ;   in Loop: Header=BB109_7 Depth=1
	v_mul_f64_e32 v[1:2], s[10:11], v[35:36]
	v_mul_f64_e32 v[3:4], s[8:9], v[35:36]
	s_and_b32 vcc_lo, exec_lo, s33
	s_mov_b32 s36, -1
	s_delay_alu instid0(VALU_DEP_2) | instskip(NEXT) | instid1(VALU_DEP_2)
	v_fma_f64 v[1:2], s[8:9], v[33:34], -v[1:2]
	v_fma_f64 v[3:4], s[10:11], v[33:34], v[3:4]
	s_wait_alu 0xfffe
	s_cbranch_vccz .LBB109_21
; %bb.20:                               ;   in Loop: Header=BB109_7 Depth=1
	v_lshlrev_b64_e32 v[19:20], 4, v[5:6]
	s_mov_b32 s36, 0
	s_delay_alu instid0(VALU_DEP_1) | instskip(SKIP_1) | instid1(VALU_DEP_2)
	v_add_co_u32 v19, vcc_lo, v17, v19
	s_wait_alu 0xfffd
	v_add_co_ci_u32_e64 v20, null, v18, v20, vcc_lo
	global_load_b128 v[33:36], v[19:20], off
	s_wait_loadcnt 0x0
	v_mul_f64_e32 v[43:44], s[6:7], v[35:36]
	v_mul_f64_e32 v[35:36], s[4:5], v[35:36]
	s_delay_alu instid0(VALU_DEP_2) | instskip(NEXT) | instid1(VALU_DEP_2)
	v_fma_f64 v[43:44], s[4:5], v[33:34], -v[43:44]
	v_fma_f64 v[35:36], s[6:7], v[33:34], v[35:36]
	s_delay_alu instid0(VALU_DEP_2) | instskip(NEXT) | instid1(VALU_DEP_2)
	v_add_f64_e32 v[33:34], v[1:2], v[43:44]
	v_add_f64_e32 v[35:36], v[3:4], v[35:36]
	global_store_b128 v[19:20], v[33:36], off
.LBB109_21:                             ;   in Loop: Header=BB109_7 Depth=1
	s_wait_alu 0xfffe
	s_and_not1_b32 vcc_lo, exec_lo, s36
	s_wait_alu 0xfffe
	s_cbranch_vccnz .LBB109_23
; %bb.22:                               ;   in Loop: Header=BB109_7 Depth=1
	v_lshlrev_b64_e32 v[19:20], 4, v[5:6]
	s_delay_alu instid0(VALU_DEP_1) | instskip(SKIP_1) | instid1(VALU_DEP_2)
	v_add_co_u32 v19, vcc_lo, v17, v19
	s_wait_alu 0xfffd
	v_add_co_ci_u32_e64 v20, null, v18, v20, vcc_lo
	global_store_b128 v[19:20], v[1:4], off
.LBB109_23:                             ;   in Loop: Header=BB109_7 Depth=1
	s_wait_alu 0xfffe
	s_or_b32 exec_lo, exec_lo, s31
	s_and_saveexec_b32 s31, s35
	s_cbranch_execz .LBB109_28
; %bb.24:                               ;   in Loop: Header=BB109_7 Depth=1
	v_mul_f64_e32 v[1:2], s[10:11], v[31:32]
	v_mul_f64_e32 v[3:4], s[8:9], v[31:32]
	s_and_not1_b32 vcc_lo, exec_lo, s33
	s_mov_b32 s36, -1
	s_delay_alu instid0(VALU_DEP_2) | instskip(NEXT) | instid1(VALU_DEP_2)
	v_fma_f64 v[1:2], s[8:9], v[29:30], -v[1:2]
	v_fma_f64 v[3:4], s[10:11], v[29:30], v[3:4]
	s_wait_alu 0xfffe
	s_cbranch_vccnz .LBB109_26
; %bb.25:                               ;   in Loop: Header=BB109_7 Depth=1
	v_lshlrev_b64_e32 v[19:20], 4, v[7:8]
	s_mov_b32 s36, 0
	s_delay_alu instid0(VALU_DEP_1) | instskip(SKIP_1) | instid1(VALU_DEP_2)
	v_add_co_u32 v19, vcc_lo, v17, v19
	s_wait_alu 0xfffd
	v_add_co_ci_u32_e64 v20, null, v18, v20, vcc_lo
	global_load_b128 v[29:32], v[19:20], off
	s_wait_loadcnt 0x0
	v_mul_f64_e32 v[33:34], s[6:7], v[31:32]
	v_mul_f64_e32 v[31:32], s[4:5], v[31:32]
	s_delay_alu instid0(VALU_DEP_2) | instskip(NEXT) | instid1(VALU_DEP_2)
	v_fma_f64 v[33:34], s[4:5], v[29:30], -v[33:34]
	v_fma_f64 v[31:32], s[6:7], v[29:30], v[31:32]
	s_delay_alu instid0(VALU_DEP_2) | instskip(NEXT) | instid1(VALU_DEP_2)
	v_add_f64_e32 v[29:30], v[1:2], v[33:34]
	v_add_f64_e32 v[31:32], v[3:4], v[31:32]
	global_store_b128 v[19:20], v[29:32], off
.LBB109_26:                             ;   in Loop: Header=BB109_7 Depth=1
	s_wait_alu 0xfffe
	s_and_not1_b32 vcc_lo, exec_lo, s36
	s_wait_alu 0xfffe
	s_cbranch_vccnz .LBB109_28
; %bb.27:                               ;   in Loop: Header=BB109_7 Depth=1
	v_lshlrev_b64_e32 v[19:20], 4, v[7:8]
	s_delay_alu instid0(VALU_DEP_1) | instskip(SKIP_1) | instid1(VALU_DEP_2)
	v_add_co_u32 v17, vcc_lo, v17, v19
	s_wait_alu 0xfffd
	v_add_co_ci_u32_e64 v18, null, v18, v20, vcc_lo
	global_store_b128 v[17:18], v[1:4], off
.LBB109_28:                             ;   in Loop: Header=BB109_7 Depth=1
	s_wait_alu 0xfffe
	s_or_b32 exec_lo, exec_lo, s31
	v_add_co_u32 v19, vcc_lo, s0, v15
	s_wait_alu 0xfffd
	v_add_co_ci_u32_e64 v20, null, s1, v16, vcc_lo
	s_and_saveexec_b32 s0, s14
	s_cbranch_execz .LBB109_33
; %bb.29:                               ;   in Loop: Header=BB109_7 Depth=1
	v_mul_f64_e32 v[1:2], s[10:11], v[27:28]
	v_mul_f64_e32 v[3:4], s[8:9], v[27:28]
	v_lshlrev_b64_e32 v[17:18], 4, v[5:6]
	s_and_not1_b32 vcc_lo, exec_lo, s33
	s_mov_b32 s1, -1
	s_delay_alu instid0(VALU_DEP_3) | instskip(NEXT) | instid1(VALU_DEP_3)
	v_fma_f64 v[1:2], s[8:9], v[25:26], -v[1:2]
	v_fma_f64 v[3:4], s[10:11], v[25:26], v[3:4]
	s_wait_alu 0xfffe
	s_cbranch_vccnz .LBB109_31
; %bb.30:                               ;   in Loop: Header=BB109_7 Depth=1
	v_add_co_u32 v29, vcc_lo, v19, v17
	s_wait_alu 0xfffd
	v_add_co_ci_u32_e64 v30, null, v20, v18, vcc_lo
	s_mov_b32 s1, 0
	global_load_b128 v[25:28], v[29:30], off
	s_wait_loadcnt 0x0
	v_mul_f64_e32 v[31:32], s[6:7], v[27:28]
	v_mul_f64_e32 v[27:28], s[4:5], v[27:28]
	s_delay_alu instid0(VALU_DEP_2) | instskip(NEXT) | instid1(VALU_DEP_2)
	v_fma_f64 v[31:32], s[4:5], v[25:26], -v[31:32]
	v_fma_f64 v[27:28], s[6:7], v[25:26], v[27:28]
	s_delay_alu instid0(VALU_DEP_2) | instskip(NEXT) | instid1(VALU_DEP_2)
	v_add_f64_e32 v[25:26], v[1:2], v[31:32]
	v_add_f64_e32 v[27:28], v[3:4], v[27:28]
	global_store_b128 v[29:30], v[25:28], off
.LBB109_31:                             ;   in Loop: Header=BB109_7 Depth=1
	s_wait_alu 0xfffe
	s_and_not1_b32 vcc_lo, exec_lo, s1
	s_wait_alu 0xfffe
	s_cbranch_vccnz .LBB109_33
; %bb.32:                               ;   in Loop: Header=BB109_7 Depth=1
	v_add_co_u32 v17, vcc_lo, v19, v17
	s_wait_alu 0xfffd
	v_add_co_ci_u32_e64 v18, null, v20, v18, vcc_lo
	global_store_b128 v[17:18], v[1:4], off
.LBB109_33:                             ;   in Loop: Header=BB109_7 Depth=1
	s_wait_alu 0xfffe
	s_or_b32 exec_lo, exec_lo, s0
	s_and_saveexec_b32 s0, s3
	s_cbranch_execz .LBB109_6
; %bb.34:                               ;   in Loop: Header=BB109_7 Depth=1
	v_mul_f64_e32 v[1:2], s[10:11], v[21:22]
	v_mul_f64_e32 v[3:4], s[8:9], v[21:22]
	v_lshlrev_b64_e32 v[17:18], 4, v[7:8]
	s_and_not1_b32 vcc_lo, exec_lo, s33
	s_mov_b32 s1, -1
	s_delay_alu instid0(VALU_DEP_3) | instskip(NEXT) | instid1(VALU_DEP_3)
	v_fma_f64 v[1:2], s[8:9], v[23:24], -v[1:2]
	v_fma_f64 v[3:4], s[10:11], v[23:24], v[3:4]
	s_wait_alu 0xfffe
	s_cbranch_vccnz .LBB109_36
; %bb.35:                               ;   in Loop: Header=BB109_7 Depth=1
	v_add_co_u32 v25, vcc_lo, v19, v17
	s_wait_alu 0xfffd
	v_add_co_ci_u32_e64 v26, null, v20, v18, vcc_lo
	s_mov_b32 s1, 0
	global_load_b128 v[21:24], v[25:26], off
	s_wait_loadcnt 0x0
	v_mul_f64_e32 v[27:28], s[6:7], v[23:24]
	v_mul_f64_e32 v[23:24], s[4:5], v[23:24]
	s_delay_alu instid0(VALU_DEP_2) | instskip(NEXT) | instid1(VALU_DEP_2)
	v_fma_f64 v[27:28], s[4:5], v[21:22], -v[27:28]
	v_fma_f64 v[23:24], s[6:7], v[21:22], v[23:24]
	s_delay_alu instid0(VALU_DEP_2) | instskip(NEXT) | instid1(VALU_DEP_2)
	v_add_f64_e32 v[21:22], v[1:2], v[27:28]
	v_add_f64_e32 v[23:24], v[3:4], v[23:24]
	global_store_b128 v[25:26], v[21:24], off
.LBB109_36:                             ;   in Loop: Header=BB109_7 Depth=1
	s_wait_alu 0xfffe
	s_and_not1_b32 vcc_lo, exec_lo, s1
	s_wait_alu 0xfffe
	s_cbranch_vccnz .LBB109_6
; %bb.37:                               ;   in Loop: Header=BB109_7 Depth=1
	v_add_co_u32 v17, vcc_lo, v19, v17
	s_wait_alu 0xfffd
	v_add_co_ci_u32_e64 v18, null, v20, v18, vcc_lo
	global_store_b128 v[17:18], v[1:4], off
	s_branch .LBB109_6
.LBB109_38:
.LBB109_39:
	s_endpgm
	.section	.rodata,"a",@progbits
	.p2align	6, 0x0
	.amdhsa_kernel _ZL29rocblas_internal_gemmt_kernelIiLi16ELi32ELi8ELc78ELc84ELc85ELb0ELb0E19rocblas_complex_numIdEPKS1_S3_PS1_EviT_T9_T10_S5_lS7_S5_lS6_T11_S5_li
		.amdhsa_group_segment_fixed_size 8192
		.amdhsa_private_segment_fixed_size 0
		.amdhsa_kernarg_size 100
		.amdhsa_user_sgpr_count 2
		.amdhsa_user_sgpr_dispatch_ptr 0
		.amdhsa_user_sgpr_queue_ptr 0
		.amdhsa_user_sgpr_kernarg_segment_ptr 1
		.amdhsa_user_sgpr_dispatch_id 0
		.amdhsa_user_sgpr_private_segment_size 0
		.amdhsa_wavefront_size32 1
		.amdhsa_uses_dynamic_stack 0
		.amdhsa_enable_private_segment 0
		.amdhsa_system_sgpr_workgroup_id_x 1
		.amdhsa_system_sgpr_workgroup_id_y 1
		.amdhsa_system_sgpr_workgroup_id_z 1
		.amdhsa_system_sgpr_workgroup_info 0
		.amdhsa_system_vgpr_workitem_id 1
		.amdhsa_next_free_vgpr 65
		.amdhsa_next_free_sgpr 40
		.amdhsa_reserve_vcc 1
		.amdhsa_float_round_mode_32 0
		.amdhsa_float_round_mode_16_64 0
		.amdhsa_float_denorm_mode_32 3
		.amdhsa_float_denorm_mode_16_64 3
		.amdhsa_fp16_overflow 0
		.amdhsa_workgroup_processor_mode 1
		.amdhsa_memory_ordered 1
		.amdhsa_forward_progress 1
		.amdhsa_inst_pref_size 30
		.amdhsa_round_robin_scheduling 0
		.amdhsa_exception_fp_ieee_invalid_op 0
		.amdhsa_exception_fp_denorm_src 0
		.amdhsa_exception_fp_ieee_div_zero 0
		.amdhsa_exception_fp_ieee_overflow 0
		.amdhsa_exception_fp_ieee_underflow 0
		.amdhsa_exception_fp_ieee_inexact 0
		.amdhsa_exception_int_div_zero 0
	.end_amdhsa_kernel
	.section	.text._ZL29rocblas_internal_gemmt_kernelIiLi16ELi32ELi8ELc78ELc84ELc85ELb0ELb0E19rocblas_complex_numIdEPKS1_S3_PS1_EviT_T9_T10_S5_lS7_S5_lS6_T11_S5_li,"axG",@progbits,_ZL29rocblas_internal_gemmt_kernelIiLi16ELi32ELi8ELc78ELc84ELc85ELb0ELb0E19rocblas_complex_numIdEPKS1_S3_PS1_EviT_T9_T10_S5_lS7_S5_lS6_T11_S5_li,comdat
.Lfunc_end109:
	.size	_ZL29rocblas_internal_gemmt_kernelIiLi16ELi32ELi8ELc78ELc84ELc85ELb0ELb0E19rocblas_complex_numIdEPKS1_S3_PS1_EviT_T9_T10_S5_lS7_S5_lS6_T11_S5_li, .Lfunc_end109-_ZL29rocblas_internal_gemmt_kernelIiLi16ELi32ELi8ELc78ELc84ELc85ELb0ELb0E19rocblas_complex_numIdEPKS1_S3_PS1_EviT_T9_T10_S5_lS7_S5_lS6_T11_S5_li
                                        ; -- End function
	.set _ZL29rocblas_internal_gemmt_kernelIiLi16ELi32ELi8ELc78ELc84ELc85ELb0ELb0E19rocblas_complex_numIdEPKS1_S3_PS1_EviT_T9_T10_S5_lS7_S5_lS6_T11_S5_li.num_vgpr, 65
	.set _ZL29rocblas_internal_gemmt_kernelIiLi16ELi32ELi8ELc78ELc84ELc85ELb0ELb0E19rocblas_complex_numIdEPKS1_S3_PS1_EviT_T9_T10_S5_lS7_S5_lS6_T11_S5_li.num_agpr, 0
	.set _ZL29rocblas_internal_gemmt_kernelIiLi16ELi32ELi8ELc78ELc84ELc85ELb0ELb0E19rocblas_complex_numIdEPKS1_S3_PS1_EviT_T9_T10_S5_lS7_S5_lS6_T11_S5_li.numbered_sgpr, 40
	.set _ZL29rocblas_internal_gemmt_kernelIiLi16ELi32ELi8ELc78ELc84ELc85ELb0ELb0E19rocblas_complex_numIdEPKS1_S3_PS1_EviT_T9_T10_S5_lS7_S5_lS6_T11_S5_li.num_named_barrier, 0
	.set _ZL29rocblas_internal_gemmt_kernelIiLi16ELi32ELi8ELc78ELc84ELc85ELb0ELb0E19rocblas_complex_numIdEPKS1_S3_PS1_EviT_T9_T10_S5_lS7_S5_lS6_T11_S5_li.private_seg_size, 0
	.set _ZL29rocblas_internal_gemmt_kernelIiLi16ELi32ELi8ELc78ELc84ELc85ELb0ELb0E19rocblas_complex_numIdEPKS1_S3_PS1_EviT_T9_T10_S5_lS7_S5_lS6_T11_S5_li.uses_vcc, 1
	.set _ZL29rocblas_internal_gemmt_kernelIiLi16ELi32ELi8ELc78ELc84ELc85ELb0ELb0E19rocblas_complex_numIdEPKS1_S3_PS1_EviT_T9_T10_S5_lS7_S5_lS6_T11_S5_li.uses_flat_scratch, 0
	.set _ZL29rocblas_internal_gemmt_kernelIiLi16ELi32ELi8ELc78ELc84ELc85ELb0ELb0E19rocblas_complex_numIdEPKS1_S3_PS1_EviT_T9_T10_S5_lS7_S5_lS6_T11_S5_li.has_dyn_sized_stack, 0
	.set _ZL29rocblas_internal_gemmt_kernelIiLi16ELi32ELi8ELc78ELc84ELc85ELb0ELb0E19rocblas_complex_numIdEPKS1_S3_PS1_EviT_T9_T10_S5_lS7_S5_lS6_T11_S5_li.has_recursion, 0
	.set _ZL29rocblas_internal_gemmt_kernelIiLi16ELi32ELi8ELc78ELc84ELc85ELb0ELb0E19rocblas_complex_numIdEPKS1_S3_PS1_EviT_T9_T10_S5_lS7_S5_lS6_T11_S5_li.has_indirect_call, 0
	.section	.AMDGPU.csdata,"",@progbits
; Kernel info:
; codeLenInByte = 3728
; TotalNumSgprs: 42
; NumVgprs: 65
; ScratchSize: 0
; MemoryBound: 0
; FloatMode: 240
; IeeeMode: 1
; LDSByteSize: 8192 bytes/workgroup (compile time only)
; SGPRBlocks: 0
; VGPRBlocks: 8
; NumSGPRsForWavesPerEU: 42
; NumVGPRsForWavesPerEU: 65
; Occupancy: 16
; WaveLimiterHint : 0
; COMPUTE_PGM_RSRC2:SCRATCH_EN: 0
; COMPUTE_PGM_RSRC2:USER_SGPR: 2
; COMPUTE_PGM_RSRC2:TRAP_HANDLER: 0
; COMPUTE_PGM_RSRC2:TGID_X_EN: 1
; COMPUTE_PGM_RSRC2:TGID_Y_EN: 1
; COMPUTE_PGM_RSRC2:TGID_Z_EN: 1
; COMPUTE_PGM_RSRC2:TIDIG_COMP_CNT: 1
	.section	.text._ZL29rocblas_internal_gemmt_kernelIiLi16ELi32ELi8ELc78ELc67ELc85ELb0ELb1E19rocblas_complex_numIdEPKS1_S3_PS1_EviT_T9_T10_S5_lS7_S5_lS6_T11_S5_li,"axG",@progbits,_ZL29rocblas_internal_gemmt_kernelIiLi16ELi32ELi8ELc78ELc67ELc85ELb0ELb1E19rocblas_complex_numIdEPKS1_S3_PS1_EviT_T9_T10_S5_lS7_S5_lS6_T11_S5_li,comdat
	.globl	_ZL29rocblas_internal_gemmt_kernelIiLi16ELi32ELi8ELc78ELc67ELc85ELb0ELb1E19rocblas_complex_numIdEPKS1_S3_PS1_EviT_T9_T10_S5_lS7_S5_lS6_T11_S5_li ; -- Begin function _ZL29rocblas_internal_gemmt_kernelIiLi16ELi32ELi8ELc78ELc67ELc85ELb0ELb1E19rocblas_complex_numIdEPKS1_S3_PS1_EviT_T9_T10_S5_lS7_S5_lS6_T11_S5_li
	.p2align	8
	.type	_ZL29rocblas_internal_gemmt_kernelIiLi16ELi32ELi8ELc78ELc67ELc85ELb0ELb1E19rocblas_complex_numIdEPKS1_S3_PS1_EviT_T9_T10_S5_lS7_S5_lS6_T11_S5_li,@function
_ZL29rocblas_internal_gemmt_kernelIiLi16ELi32ELi8ELc78ELc67ELc85ELb0ELb1E19rocblas_complex_numIdEPKS1_S3_PS1_EviT_T9_T10_S5_lS7_S5_lS6_T11_S5_li: ; @_ZL29rocblas_internal_gemmt_kernelIiLi16ELi32ELi8ELc78ELc67ELc85ELb0ELb1E19rocblas_complex_numIdEPKS1_S3_PS1_EviT_T9_T10_S5_lS7_S5_lS6_T11_S5_li
; %bb.0:
	s_load_b128 s[12:15], s[0:1], 0x38
	s_wait_kmcnt 0x0
	s_load_b128 s[4:7], s[14:15], 0x0
	s_clause 0x1
	s_load_b128 s[16:19], s[0:1], 0x8
	s_load_b64 s[14:15], s[0:1], 0x0
	s_wait_kmcnt 0x0
	s_load_b128 s[8:11], s[16:17], 0x0
	v_cmp_eq_f64_e64 s2, s[4:5], 1.0
	v_cmp_eq_f64_e64 s3, s[6:7], 0
	s_and_b32 s2, s2, s3
	s_delay_alu instid0(SALU_CYCLE_1)
	s_and_not1_b32 vcc_lo, exec_lo, s2
	s_mov_b32 s2, -1
	s_cbranch_vccnz .LBB110_3
; %bb.1:
	s_cmp_lg_u32 s15, 0
	s_cbranch_scc0 .LBB110_36
; %bb.2:
	s_wait_kmcnt 0x0
	v_cmp_neq_f64_e64 s2, s[8:9], 0
	v_cmp_neq_f64_e64 s16, s[10:11], 0
	s_or_b32 s2, s2, s16
.LBB110_3:
	s_delay_alu instid0(SALU_CYCLE_1)
	s_and_b32 vcc_lo, exec_lo, s2
	s_cbranch_vccz .LBB110_37
; %bb.4:
	s_load_b32 s27, s[0:1], 0x60
	s_lshr_b32 s16, ttmp7, 16
	s_wait_kmcnt 0x0
	s_cmp_ge_u32 s16, s27
	s_cbranch_scc1 .LBB110_37
; %bb.5:
	v_cmp_neq_f64_e64 s33, s[8:9], 0
	v_cmp_neq_f64_e64 s34, s[10:11], 0
	;; [unrolled: 1-line block ×3, first 2 shown]
	v_and_b32_e32 v1, 0x3ff, v0
	v_bfe_u32 v2, v0, 10, 10
	s_clause 0x4
	s_load_b32 s36, s[0:1], 0x18
	s_load_b128 s[20:23], s[0:1], 0x20
	s_load_b32 s30, s[0:1], 0x30
	s_load_b96 s[24:26], s[0:1], 0x48
	s_load_b64 s[28:29], s[0:1], 0x58
	v_and_b32_e32 v37, 7, v0
	s_lshl_b32 s1, ttmp7, 5
	s_lshl_b32 s0, ttmp9, 5
	v_lshl_add_u32 v0, v2, 4, v1
	s_and_b32 s2, s1, 0x1fffe0
	v_lshlrev_b32_e32 v38, 4, v1
	v_add_nc_u32_e32 v5, s0, v1
	v_lshlrev_b32_e32 v3, 4, v37
	v_and_b32_e32 v1, 31, v0
	v_lshl_add_u32 v39, v2, 7, 0x1000
	v_add_nc_u32_e32 v4, s2, v2
	v_lshrrev_b32_e32 v2, 3, v0
	v_lshrrev_b32_e32 v40, 5, v0
	v_or_b32_e32 v0, s0, v1
	v_lshlrev_b32_e32 v1, 4, v1
	v_cmp_gt_i32_e32 vcc_lo, s14, v4
	v_cmp_le_i32_e64 s1, v5, v4
	v_add_nc_u32_e32 v7, 16, v5
	v_add_nc_u32_e32 v13, s2, v2
	v_lshl_or_b32 v2, v2, 7, v3
	s_wait_kmcnt 0x0
	v_mad_co_i64_i32 v[9:10], null, v40, s36, 0
	s_ashr_i32 s37, s36, 31
	s_ashr_i32 s31, s30, 31
	v_lshl_or_b32 v41, v40, 9, v1
	v_ashrrev_i32_e32 v1, 31, v0
	v_add_nc_u32_e32 v42, 0x1000, v2
	v_mad_co_i64_i32 v[2:3], null, v4, s26, 0
	v_cmp_gt_i32_e64 s2, s14, v0
	v_lshlrev_b64_e32 v[9:10], 4, v[9:10]
	v_lshlrev_b64_e32 v[0:1], 4, v[0:1]
	v_mad_co_i64_i32 v[11:12], null, s30, v37, 0
	s_or_b32 s38, s33, s34
	s_cmp_gt_i32 s15, 0
	v_cmp_gt_i32_e64 s0, s14, v13
	s_cselect_b32 s39, -1, 0
	s_and_b32 s34, vcc_lo, s1
	v_cmp_le_i32_e64 s1, v7, v4
	v_add_nc_u32_e32 v4, 16, v4
	s_xor_b32 s3, s3, -1
	v_ashrrev_i32_e32 v6, 31, v5
	s_wait_alu 0xfffe
	s_or_b32 s33, s35, s3
	s_and_b32 s35, vcc_lo, s1
	v_cmp_gt_i32_e32 vcc_lo, s14, v4
	v_cmp_le_i32_e64 s1, v5, v4
	v_cmp_le_i32_e64 s3, v7, v4
	v_mad_co_i64_i32 v[15:16], null, v4, s26, 0
	v_ashrrev_i32_e32 v8, 31, v7
	s_delay_alu instid0(VALU_DEP_4) | instskip(NEXT) | instid1(VALU_DEP_3)
	s_and_b32 s1, vcc_lo, s1
	s_and_b32 s14, vcc_lo, s3
	v_add_co_u32 v4, vcc_lo, v9, v0
	s_delay_alu instid0(VALU_DEP_1) | instskip(SKIP_2) | instid1(VALU_DEP_4)
	v_add_co_ci_u32_e64 v10, null, v10, v1, vcc_lo
	v_lshlrev_b64_e32 v[0:1], 4, v[11:12]
	v_lshlrev_b32_e32 v11, 4, v13
	v_add_co_u32 v9, vcc_lo, s18, v4
	s_wait_alu 0xfffd
	v_add_co_ci_u32_e64 v10, null, s19, v10, vcc_lo
	s_delay_alu instid0(VALU_DEP_3) | instskip(SKIP_3) | instid1(VALU_DEP_3)
	v_add_co_u32 v0, vcc_lo, v0, v11
	s_wait_alu 0xfffd
	v_add_co_ci_u32_e64 v1, null, 0, v1, vcc_lo
	v_lshlrev_b64_e32 v[13:14], 4, v[2:3]
	v_add_co_u32 v0, vcc_lo, s22, v0
	s_wait_alu 0xfffd
	s_delay_alu instid0(VALU_DEP_3) | instskip(SKIP_1) | instid1(VALU_DEP_3)
	v_add_co_ci_u32_e64 v1, null, s23, v1, vcc_lo
	v_lshlrev_b64_e32 v[15:16], 4, v[15:16]
	v_add_co_u32 v11, vcc_lo, v0, 8
	s_wait_alu 0xfffd
	s_delay_alu instid0(VALU_DEP_3)
	v_add_co_ci_u32_e64 v12, null, 0, v1, vcc_lo
	v_mov_b32_e32 v0, 0
	s_mov_b32 s17, 0
	s_lshl_b64 s[18:19], s[20:21], 4
	s_lshl_b64 s[20:21], s[36:37], 7
	s_and_b32 s26, s38, s39
	s_lshl_b64 s[12:13], s[12:13], 4
	s_lshl_b64 s[22:23], s[30:31], 7
	s_xor_b32 s30, s2, -1
	s_branch .LBB110_7
.LBB110_6:                              ;   in Loop: Header=BB110_7 Depth=1
	s_wait_alu 0xfffe
	s_or_b32 exec_lo, exec_lo, s2
	s_add_co_i32 s16, s16, 0x10000
	s_wait_alu 0xfffe
	s_cmp_lt_u32 s16, s27
	s_cbranch_scc0 .LBB110_37
.LBB110_7:                              ; =>This Loop Header: Depth=1
                                        ;     Child Loop BB110_10 Depth 2
	v_mov_b32_e32 v33, 0
	v_mov_b32_e32 v29, 0
	;; [unrolled: 1-line block ×3, first 2 shown]
	v_dual_mov_b32 v23, 0 :: v_dual_mov_b32 v34, 0
	v_dual_mov_b32 v35, 0 :: v_dual_mov_b32 v30, 0
	;; [unrolled: 1-line block ×5, first 2 shown]
	v_mov_b32_e32 v32, 0
	v_mov_b32_e32 v28, 0
	;; [unrolled: 1-line block ×3, first 2 shown]
	s_wait_alu 0xfffe
	s_and_not1_b32 vcc_lo, exec_lo, s26
	s_wait_alu 0xfffe
	s_cbranch_vccnz .LBB110_16
; %bb.8:                                ;   in Loop: Header=BB110_7 Depth=1
	v_mad_co_u64_u32 v[17:18], null, s18, s16, v[9:10]
	v_mad_co_u64_u32 v[19:20], null, s12, s16, v[11:12]
	v_mov_b32_e32 v21, 0
	v_mov_b32_e32 v23, 0
	;; [unrolled: 1-line block ×4, first 2 shown]
	v_dual_mov_b32 v1, v18 :: v_dual_mov_b32 v22, 0
	v_mov_b32_e32 v2, v20
	v_dual_mov_b32 v24, 0 :: v_dual_mov_b32 v27, 0
	v_dual_mov_b32 v26, 0 :: v_dual_mov_b32 v31, 0
	s_delay_alu instid0(VALU_DEP_3)
	v_mad_co_u64_u32 v[3:4], null, s19, s16, v[1:2]
	v_dual_mov_b32 v30, 0 :: v_dual_mov_b32 v35, 0
	v_dual_mov_b32 v33, 0 :: v_dual_mov_b32 v28, 0
	v_mov_b32_e32 v32, 0
	v_mov_b32_e32 v36, 0
	v_mad_co_u64_u32 v[1:2], null, s13, s16, v[2:3]
	v_mov_b32_e32 v34, 0
	v_mov_b32_e32 v18, v3
	s_mov_b32 s2, 0
	s_delay_alu instid0(VALU_DEP_3)
	v_mov_b32_e32 v20, v1
	s_branch .LBB110_10
.LBB110_9:                              ;   in Loop: Header=BB110_10 Depth=2
	s_wait_alu 0xfffe
	s_or_b32 exec_lo, exec_lo, s3
	ds_store_b128 v42, v[1:4]
	s_wait_dscnt 0x0
	s_barrier_signal -1
	s_barrier_wait -1
	global_inv scope:SCOPE_SE
	ds_load_b128 v[1:4], v39
	ds_load_b128 v[43:46], v38
	ds_load_b128 v[47:50], v38 offset:256
	ds_load_b128 v[51:54], v39 offset:2048
	;; [unrolled: 1-line block ×10, first 2 shown]
	v_add_co_u32 v17, vcc_lo, v17, s20
	s_wait_alu 0xfffd
	v_add_co_ci_u32_e64 v18, null, s21, v18, vcc_lo
	v_add_co_u32 v19, vcc_lo, v19, s22
	s_wait_alu 0xfffd
	v_add_co_ci_u32_e64 v20, null, s23, v20, vcc_lo
	s_add_co_i32 s2, s2, 8
	s_wait_alu 0xfffe
	s_cmp_lt_i32 s2, s15
	s_wait_dscnt 0xa
	v_mul_f64_e32 v[87:88], v[3:4], v[45:46]
	v_mul_f64_e32 v[89:90], v[1:2], v[45:46]
	s_wait_dscnt 0x9
	v_mul_f64_e32 v[91:92], v[3:4], v[49:50]
	v_mul_f64_e32 v[93:94], v[1:2], v[49:50]
	;; [unrolled: 3-line block ×3, first 2 shown]
	v_mul_f64_e32 v[97:98], v[53:54], v[49:50]
	v_mul_f64_e32 v[49:50], v[51:52], v[49:50]
	s_wait_dscnt 0x5
	v_mul_f64_e32 v[99:100], v[57:58], v[65:66]
	v_mul_f64_e32 v[101:102], v[55:56], v[65:66]
	s_wait_dscnt 0x4
	v_mul_f64_e32 v[103:104], v[57:58], v[69:70]
	v_mul_f64_e32 v[105:106], v[55:56], v[69:70]
	;; [unrolled: 1-line block ×6, first 2 shown]
	s_wait_dscnt 0x2
	v_mul_f64_e32 v[115:116], v[73:74], v[77:78]
	v_mul_f64_e32 v[117:118], v[71:72], v[77:78]
	s_wait_dscnt 0x1
	v_mul_f64_e32 v[119:120], v[73:74], v[81:82]
	v_mul_f64_e32 v[121:122], v[71:72], v[81:82]
	;; [unrolled: 3-line block ×3, first 2 shown]
	v_mul_f64_e32 v[125:126], v[85:86], v[81:82]
	v_mul_f64_e32 v[81:82], v[83:84], v[81:82]
	v_fma_f64 v[87:88], v[1:2], v[43:44], -v[87:88]
	v_fma_f64 v[89:90], v[3:4], v[43:44], v[89:90]
	v_fma_f64 v[91:92], v[1:2], v[47:48], -v[91:92]
	v_fma_f64 v[93:94], v[3:4], v[47:48], v[93:94]
	;; [unrolled: 2-line block ×8, first 2 shown]
	ds_load_b128 v[1:4], v39 offset:48
	ds_load_b128 v[43:46], v39 offset:2096
	;; [unrolled: 1-line block ×4, first 2 shown]
	v_fma_f64 v[115:116], v[71:72], v[75:76], -v[115:116]
	v_fma_f64 v[117:118], v[73:74], v[75:76], v[117:118]
	v_fma_f64 v[71:72], v[71:72], v[79:80], -v[119:120]
	v_fma_f64 v[73:74], v[73:74], v[79:80], v[121:122]
	;; [unrolled: 2-line block ×4, first 2 shown]
	s_wait_dscnt 0x1
	v_mul_f64_e32 v[105:106], v[1:2], v[49:50]
	s_wait_dscnt 0x0
	v_mul_f64_e32 v[107:108], v[3:4], v[53:54]
	v_mul_f64_e32 v[109:110], v[1:2], v[53:54]
	v_add_f64_e32 v[65:66], v[33:34], v[87:88]
	v_add_f64_e32 v[67:68], v[89:90], v[35:36]
	;; [unrolled: 1-line block ×8, first 2 shown]
	v_mul_f64_e32 v[97:98], v[3:4], v[49:50]
	v_mul_f64_e32 v[111:112], v[45:46], v[49:50]
	;; [unrolled: 1-line block ×5, first 2 shown]
	ds_load_b128 v[21:24], v39 offset:64
	ds_load_b128 v[25:28], v38 offset:2048
	;; [unrolled: 1-line block ×4, first 2 shown]
	s_wait_dscnt 0x0
	v_mul_f64_e32 v[121:122], v[35:36], v[27:28]
	v_mul_f64_e32 v[123:124], v[35:36], v[31:32]
	v_fma_f64 v[105:106], v[3:4], v[47:48], v[105:106]
	v_fma_f64 v[107:108], v[1:2], v[51:52], -v[107:108]
	v_fma_f64 v[109:110], v[3:4], v[51:52], v[109:110]
	v_add_f64_e32 v[81:82], v[65:66], v[99:100]
	v_add_f64_e32 v[83:84], v[101:102], v[67:68]
	;; [unrolled: 1-line block ×8, first 2 shown]
	v_mul_f64_e32 v[95:96], v[23:24], v[27:28]
	v_mul_f64_e32 v[99:100], v[21:22], v[27:28]
	;; [unrolled: 1-line block ×6, first 2 shown]
	v_fma_f64 v[97:98], v[1:2], v[47:48], -v[97:98]
	v_fma_f64 v[111:112], v[43:44], v[47:48], -v[111:112]
	v_fma_f64 v[125:126], v[45:46], v[47:48], v[49:50]
	v_fma_f64 v[113:114], v[43:44], v[51:52], -v[113:114]
	v_fma_f64 v[51:52], v[45:46], v[51:52], v[127:128]
	ds_load_b128 v[53:56], v39 offset:80
	ds_load_b128 v[57:60], v39 offset:2128
	;; [unrolled: 1-line block ×4, first 2 shown]
	v_fma_f64 v[121:122], v[33:34], v[25:26], -v[121:122]
	v_fma_f64 v[123:124], v[33:34], v[29:30], -v[123:124]
	v_add_f64_e32 v[81:82], v[81:82], v[115:116]
	v_add_f64_e32 v[83:84], v[117:118], v[83:84]
	;; [unrolled: 1-line block ×8, first 2 shown]
	s_wait_dscnt 0x1
	v_mul_f64_e32 v[87:88], v[55:56], v[63:64]
	v_mul_f64_e32 v[89:90], v[53:54], v[63:64]
	s_wait_dscnt 0x0
	v_mul_f64_e32 v[91:92], v[55:56], v[67:68]
	v_mul_f64_e32 v[93:94], v[53:54], v[67:68]
	;; [unrolled: 1-line block ×6, first 2 shown]
	v_fma_f64 v[95:96], v[21:22], v[25:26], -v[95:96]
	v_fma_f64 v[99:100], v[23:24], v[25:26], v[99:100]
	v_fma_f64 v[101:102], v[21:22], v[29:30], -v[101:102]
	v_fma_f64 v[103:104], v[23:24], v[29:30], v[103:104]
	v_fma_f64 v[127:128], v[35:36], v[25:26], v[27:28]
	;; [unrolled: 1-line block ×3, first 2 shown]
	ds_load_b128 v[1:4], v39 offset:96
	ds_load_b128 v[43:46], v38 offset:3072
	;; [unrolled: 1-line block ×8, first 2 shown]
	s_wait_loadcnt_dscnt 0x0
	s_barrier_signal -1
	s_barrier_wait -1
	global_inv scope:SCOPE_SE
	v_add_f64_e32 v[81:82], v[81:82], v[97:98]
	v_add_f64_e32 v[83:84], v[105:106], v[83:84]
	;; [unrolled: 1-line block ×8, first 2 shown]
	v_mul_f64_e32 v[79:80], v[3:4], v[45:46]
	v_mul_f64_e32 v[105:106], v[1:2], v[45:46]
	;; [unrolled: 1-line block ×8, first 2 shown]
	v_fma_f64 v[87:88], v[53:54], v[61:62], -v[87:88]
	v_fma_f64 v[89:90], v[55:56], v[61:62], v[89:90]
	v_fma_f64 v[53:54], v[53:54], v[65:66], -v[91:92]
	v_fma_f64 v[55:56], v[55:56], v[65:66], v[93:94]
	;; [unrolled: 2-line block ×4, first 2 shown]
	v_mul_f64_e32 v[93:94], v[23:24], v[35:36]
	v_add_f64_e32 v[63:64], v[81:82], v[95:96]
	v_add_f64_e32 v[65:66], v[99:100], v[83:84]
	;; [unrolled: 1-line block ×8, first 2 shown]
	v_mul_f64_e32 v[83:84], v[23:24], v[31:32]
	v_mul_f64_e32 v[85:86], v[21:22], v[31:32]
	;; [unrolled: 1-line block ×7, first 2 shown]
	v_fma_f64 v[79:80], v[1:2], v[43:44], -v[79:80]
	v_fma_f64 v[101:102], v[3:4], v[43:44], v[105:106]
	v_fma_f64 v[1:2], v[1:2], v[47:48], -v[107:108]
	v_fma_f64 v[3:4], v[3:4], v[47:48], v[109:110]
	;; [unrolled: 2-line block ×4, first 2 shown]
	v_add_f64_e32 v[49:50], v[63:64], v[87:88]
	v_add_f64_e32 v[63:64], v[89:90], v[65:66]
	;; [unrolled: 1-line block ×8, first 2 shown]
	v_fma_f64 v[59:60], v[21:22], v[29:30], -v[83:84]
	v_fma_f64 v[67:68], v[23:24], v[29:30], v[85:86]
	v_fma_f64 v[21:22], v[21:22], v[33:34], -v[93:94]
	v_fma_f64 v[23:24], v[23:24], v[33:34], v[95:96]
	;; [unrolled: 2-line block ×4, first 2 shown]
	v_add_f64_e32 v[25:26], v[49:50], v[79:80]
	v_add_f64_e32 v[27:28], v[101:102], v[63:64]
	;; [unrolled: 1-line block ×16, first 2 shown]
	s_cbranch_scc0 .LBB110_16
.LBB110_10:                             ;   Parent Loop BB110_7 Depth=1
                                        ; =>  This Inner Loop Header: Depth=2
	s_wait_alu 0xfffe
	v_add_nc_u32_e32 v1, s2, v40
	s_delay_alu instid0(VALU_DEP_1)
	v_cmp_le_i32_e32 vcc_lo, s15, v1
	s_or_b32 s3, s30, vcc_lo
	s_wait_alu 0xfffe
	s_and_saveexec_b32 s31, s3
	s_wait_alu 0xfffe
	s_xor_b32 s3, exec_lo, s31
; %bb.11:                               ;   in Loop: Header=BB110_10 Depth=2
	v_dual_mov_b32 v1, v0 :: v_dual_mov_b32 v2, v0
	v_mov_b32_e32 v3, v0
	ds_store_b128 v41, v[0:3]
; %bb.12:                               ;   in Loop: Header=BB110_10 Depth=2
	s_wait_alu 0xfffe
	s_and_not1_saveexec_b32 s3, s3
	s_cbranch_execz .LBB110_14
; %bb.13:                               ;   in Loop: Header=BB110_10 Depth=2
	global_load_b128 v[1:4], v[17:18], off
	s_wait_loadcnt 0x0
	ds_store_2addr_b64 v41, v[1:2], v[3:4] offset1:1
.LBB110_14:                             ;   in Loop: Header=BB110_10 Depth=2
	s_wait_alu 0xfffe
	s_or_b32 exec_lo, exec_lo, s3
	v_add_nc_u32_e32 v1, s2, v37
	v_mov_b32_e32 v3, 0
	v_mov_b32_e32 v4, 0
	s_delay_alu instid0(VALU_DEP_3)
	v_cmp_gt_i32_e32 vcc_lo, s15, v1
	v_mov_b32_e32 v1, 0
	v_mov_b32_e32 v2, 0
	s_and_b32 s31, vcc_lo, s0
	s_wait_alu 0xfffe
	s_and_saveexec_b32 s3, s31
	s_cbranch_execz .LBB110_9
; %bb.15:                               ;   in Loop: Header=BB110_10 Depth=2
	global_load_b128 v[1:4], v[19:20], off offset:-8
	s_wait_loadcnt 0x0
	v_xor_b32_e32 v4, 0x80000000, v4
	s_branch .LBB110_9
.LBB110_16:                             ;   in Loop: Header=BB110_7 Depth=1
	s_mul_u64 s[2:3], s[28:29], s[16:17]
	s_wait_alu 0xfffe
	s_lshl_b64 s[2:3], s[2:3], 4
	s_wait_alu 0xfffe
	s_add_nc_u64 s[2:3], s[24:25], s[2:3]
	s_wait_alu 0xfffe
	v_add_co_u32 v17, vcc_lo, s2, v13
	s_wait_alu 0xfffd
	v_add_co_ci_u32_e64 v18, null, s3, v14, vcc_lo
	s_and_saveexec_b32 s31, s34
	s_cbranch_execz .LBB110_21
; %bb.17:                               ;   in Loop: Header=BB110_7 Depth=1
	v_mul_f64_e32 v[1:2], s[10:11], v[35:36]
	v_mul_f64_e32 v[3:4], s[8:9], v[35:36]
	s_and_b32 vcc_lo, exec_lo, s33
	s_mov_b32 s36, -1
	s_delay_alu instid0(VALU_DEP_2) | instskip(NEXT) | instid1(VALU_DEP_2)
	v_fma_f64 v[1:2], s[8:9], v[33:34], -v[1:2]
	v_fma_f64 v[3:4], s[10:11], v[33:34], v[3:4]
	s_wait_alu 0xfffe
	s_cbranch_vccz .LBB110_19
; %bb.18:                               ;   in Loop: Header=BB110_7 Depth=1
	v_lshlrev_b64_e32 v[19:20], 4, v[5:6]
	s_mov_b32 s36, 0
	s_delay_alu instid0(VALU_DEP_1) | instskip(SKIP_1) | instid1(VALU_DEP_2)
	v_add_co_u32 v19, vcc_lo, v17, v19
	s_wait_alu 0xfffd
	v_add_co_ci_u32_e64 v20, null, v18, v20, vcc_lo
	global_load_b128 v[33:36], v[19:20], off
	s_wait_loadcnt 0x0
	v_mul_f64_e32 v[43:44], s[6:7], v[35:36]
	v_mul_f64_e32 v[35:36], s[4:5], v[35:36]
	s_delay_alu instid0(VALU_DEP_2) | instskip(NEXT) | instid1(VALU_DEP_2)
	v_fma_f64 v[43:44], s[4:5], v[33:34], -v[43:44]
	v_fma_f64 v[35:36], s[6:7], v[33:34], v[35:36]
	s_delay_alu instid0(VALU_DEP_2) | instskip(NEXT) | instid1(VALU_DEP_2)
	v_add_f64_e32 v[33:34], v[1:2], v[43:44]
	v_add_f64_e32 v[35:36], v[3:4], v[35:36]
	global_store_b128 v[19:20], v[33:36], off
.LBB110_19:                             ;   in Loop: Header=BB110_7 Depth=1
	s_wait_alu 0xfffe
	s_and_not1_b32 vcc_lo, exec_lo, s36
	s_wait_alu 0xfffe
	s_cbranch_vccnz .LBB110_21
; %bb.20:                               ;   in Loop: Header=BB110_7 Depth=1
	v_lshlrev_b64_e32 v[19:20], 4, v[5:6]
	s_delay_alu instid0(VALU_DEP_1) | instskip(SKIP_1) | instid1(VALU_DEP_2)
	v_add_co_u32 v19, vcc_lo, v17, v19
	s_wait_alu 0xfffd
	v_add_co_ci_u32_e64 v20, null, v18, v20, vcc_lo
	global_store_b128 v[19:20], v[1:4], off
.LBB110_21:                             ;   in Loop: Header=BB110_7 Depth=1
	s_wait_alu 0xfffe
	s_or_b32 exec_lo, exec_lo, s31
	s_and_saveexec_b32 s31, s35
	s_cbranch_execz .LBB110_26
; %bb.22:                               ;   in Loop: Header=BB110_7 Depth=1
	v_mul_f64_e32 v[1:2], s[10:11], v[31:32]
	v_mul_f64_e32 v[3:4], s[8:9], v[31:32]
	s_and_not1_b32 vcc_lo, exec_lo, s33
	s_mov_b32 s36, -1
	s_delay_alu instid0(VALU_DEP_2) | instskip(NEXT) | instid1(VALU_DEP_2)
	v_fma_f64 v[1:2], s[8:9], v[29:30], -v[1:2]
	v_fma_f64 v[3:4], s[10:11], v[29:30], v[3:4]
	s_wait_alu 0xfffe
	s_cbranch_vccnz .LBB110_24
; %bb.23:                               ;   in Loop: Header=BB110_7 Depth=1
	v_lshlrev_b64_e32 v[19:20], 4, v[7:8]
	s_mov_b32 s36, 0
	s_delay_alu instid0(VALU_DEP_1) | instskip(SKIP_1) | instid1(VALU_DEP_2)
	v_add_co_u32 v19, vcc_lo, v17, v19
	s_wait_alu 0xfffd
	v_add_co_ci_u32_e64 v20, null, v18, v20, vcc_lo
	global_load_b128 v[29:32], v[19:20], off
	s_wait_loadcnt 0x0
	v_mul_f64_e32 v[33:34], s[6:7], v[31:32]
	v_mul_f64_e32 v[31:32], s[4:5], v[31:32]
	s_delay_alu instid0(VALU_DEP_2) | instskip(NEXT) | instid1(VALU_DEP_2)
	v_fma_f64 v[33:34], s[4:5], v[29:30], -v[33:34]
	v_fma_f64 v[31:32], s[6:7], v[29:30], v[31:32]
	s_delay_alu instid0(VALU_DEP_2) | instskip(NEXT) | instid1(VALU_DEP_2)
	v_add_f64_e32 v[29:30], v[1:2], v[33:34]
	v_add_f64_e32 v[31:32], v[3:4], v[31:32]
	global_store_b128 v[19:20], v[29:32], off
.LBB110_24:                             ;   in Loop: Header=BB110_7 Depth=1
	s_wait_alu 0xfffe
	s_and_not1_b32 vcc_lo, exec_lo, s36
	s_wait_alu 0xfffe
	s_cbranch_vccnz .LBB110_26
; %bb.25:                               ;   in Loop: Header=BB110_7 Depth=1
	v_lshlrev_b64_e32 v[19:20], 4, v[7:8]
	s_delay_alu instid0(VALU_DEP_1) | instskip(SKIP_1) | instid1(VALU_DEP_2)
	v_add_co_u32 v17, vcc_lo, v17, v19
	s_wait_alu 0xfffd
	v_add_co_ci_u32_e64 v18, null, v18, v20, vcc_lo
	global_store_b128 v[17:18], v[1:4], off
.LBB110_26:                             ;   in Loop: Header=BB110_7 Depth=1
	s_wait_alu 0xfffe
	s_or_b32 exec_lo, exec_lo, s31
	v_add_co_u32 v19, vcc_lo, s2, v15
	s_wait_alu 0xfffd
	v_add_co_ci_u32_e64 v20, null, s3, v16, vcc_lo
	s_and_saveexec_b32 s2, s1
	s_cbranch_execz .LBB110_31
; %bb.27:                               ;   in Loop: Header=BB110_7 Depth=1
	v_mul_f64_e32 v[1:2], s[10:11], v[27:28]
	v_mul_f64_e32 v[3:4], s[8:9], v[27:28]
	v_lshlrev_b64_e32 v[17:18], 4, v[5:6]
	s_and_not1_b32 vcc_lo, exec_lo, s33
	s_mov_b32 s3, -1
	s_delay_alu instid0(VALU_DEP_3) | instskip(NEXT) | instid1(VALU_DEP_3)
	v_fma_f64 v[1:2], s[8:9], v[25:26], -v[1:2]
	v_fma_f64 v[3:4], s[10:11], v[25:26], v[3:4]
	s_wait_alu 0xfffe
	s_cbranch_vccnz .LBB110_29
; %bb.28:                               ;   in Loop: Header=BB110_7 Depth=1
	v_add_co_u32 v29, vcc_lo, v19, v17
	s_wait_alu 0xfffd
	v_add_co_ci_u32_e64 v30, null, v20, v18, vcc_lo
	s_mov_b32 s3, 0
	global_load_b128 v[25:28], v[29:30], off
	s_wait_loadcnt 0x0
	v_mul_f64_e32 v[31:32], s[6:7], v[27:28]
	v_mul_f64_e32 v[27:28], s[4:5], v[27:28]
	s_delay_alu instid0(VALU_DEP_2) | instskip(NEXT) | instid1(VALU_DEP_2)
	v_fma_f64 v[31:32], s[4:5], v[25:26], -v[31:32]
	v_fma_f64 v[27:28], s[6:7], v[25:26], v[27:28]
	s_delay_alu instid0(VALU_DEP_2) | instskip(NEXT) | instid1(VALU_DEP_2)
	v_add_f64_e32 v[25:26], v[1:2], v[31:32]
	v_add_f64_e32 v[27:28], v[3:4], v[27:28]
	global_store_b128 v[29:30], v[25:28], off
.LBB110_29:                             ;   in Loop: Header=BB110_7 Depth=1
	s_wait_alu 0xfffe
	s_and_not1_b32 vcc_lo, exec_lo, s3
	s_wait_alu 0xfffe
	s_cbranch_vccnz .LBB110_31
; %bb.30:                               ;   in Loop: Header=BB110_7 Depth=1
	v_add_co_u32 v17, vcc_lo, v19, v17
	s_wait_alu 0xfffd
	v_add_co_ci_u32_e64 v18, null, v20, v18, vcc_lo
	global_store_b128 v[17:18], v[1:4], off
.LBB110_31:                             ;   in Loop: Header=BB110_7 Depth=1
	s_wait_alu 0xfffe
	s_or_b32 exec_lo, exec_lo, s2
	s_and_saveexec_b32 s2, s14
	s_cbranch_execz .LBB110_6
; %bb.32:                               ;   in Loop: Header=BB110_7 Depth=1
	v_mul_f64_e32 v[1:2], s[10:11], v[21:22]
	v_mul_f64_e32 v[3:4], s[8:9], v[21:22]
	v_lshlrev_b64_e32 v[17:18], 4, v[7:8]
	s_and_not1_b32 vcc_lo, exec_lo, s33
	s_mov_b32 s3, -1
	s_delay_alu instid0(VALU_DEP_3) | instskip(NEXT) | instid1(VALU_DEP_3)
	v_fma_f64 v[1:2], s[8:9], v[23:24], -v[1:2]
	v_fma_f64 v[3:4], s[10:11], v[23:24], v[3:4]
	s_wait_alu 0xfffe
	s_cbranch_vccnz .LBB110_34
; %bb.33:                               ;   in Loop: Header=BB110_7 Depth=1
	v_add_co_u32 v25, vcc_lo, v19, v17
	s_wait_alu 0xfffd
	v_add_co_ci_u32_e64 v26, null, v20, v18, vcc_lo
	s_mov_b32 s3, 0
	global_load_b128 v[21:24], v[25:26], off
	s_wait_loadcnt 0x0
	v_mul_f64_e32 v[27:28], s[6:7], v[23:24]
	v_mul_f64_e32 v[23:24], s[4:5], v[23:24]
	s_delay_alu instid0(VALU_DEP_2) | instskip(NEXT) | instid1(VALU_DEP_2)
	v_fma_f64 v[27:28], s[4:5], v[21:22], -v[27:28]
	v_fma_f64 v[23:24], s[6:7], v[21:22], v[23:24]
	s_delay_alu instid0(VALU_DEP_2) | instskip(NEXT) | instid1(VALU_DEP_2)
	v_add_f64_e32 v[21:22], v[1:2], v[27:28]
	v_add_f64_e32 v[23:24], v[3:4], v[23:24]
	global_store_b128 v[25:26], v[21:24], off
.LBB110_34:                             ;   in Loop: Header=BB110_7 Depth=1
	s_wait_alu 0xfffe
	s_and_not1_b32 vcc_lo, exec_lo, s3
	s_wait_alu 0xfffe
	s_cbranch_vccnz .LBB110_6
; %bb.35:                               ;   in Loop: Header=BB110_7 Depth=1
	v_add_co_u32 v17, vcc_lo, v19, v17
	s_wait_alu 0xfffd
	v_add_co_ci_u32_e64 v18, null, v20, v18, vcc_lo
	global_store_b128 v[17:18], v[1:4], off
	s_branch .LBB110_6
.LBB110_36:
.LBB110_37:
	s_nop 0
	s_sendmsg sendmsg(MSG_DEALLOC_VGPRS)
	s_endpgm
	.section	.rodata,"a",@progbits
	.p2align	6, 0x0
	.amdhsa_kernel _ZL29rocblas_internal_gemmt_kernelIiLi16ELi32ELi8ELc78ELc67ELc85ELb0ELb1E19rocblas_complex_numIdEPKS1_S3_PS1_EviT_T9_T10_S5_lS7_S5_lS6_T11_S5_li
		.amdhsa_group_segment_fixed_size 8192
		.amdhsa_private_segment_fixed_size 0
		.amdhsa_kernarg_size 100
		.amdhsa_user_sgpr_count 2
		.amdhsa_user_sgpr_dispatch_ptr 0
		.amdhsa_user_sgpr_queue_ptr 0
		.amdhsa_user_sgpr_kernarg_segment_ptr 1
		.amdhsa_user_sgpr_dispatch_id 0
		.amdhsa_user_sgpr_private_segment_size 0
		.amdhsa_wavefront_size32 1
		.amdhsa_uses_dynamic_stack 0
		.amdhsa_enable_private_segment 0
		.amdhsa_system_sgpr_workgroup_id_x 1
		.amdhsa_system_sgpr_workgroup_id_y 1
		.amdhsa_system_sgpr_workgroup_id_z 1
		.amdhsa_system_sgpr_workgroup_info 0
		.amdhsa_system_vgpr_workitem_id 1
		.amdhsa_next_free_vgpr 131
		.amdhsa_next_free_sgpr 40
		.amdhsa_reserve_vcc 1
		.amdhsa_float_round_mode_32 0
		.amdhsa_float_round_mode_16_64 0
		.amdhsa_float_denorm_mode_32 3
		.amdhsa_float_denorm_mode_16_64 3
		.amdhsa_fp16_overflow 0
		.amdhsa_workgroup_processor_mode 1
		.amdhsa_memory_ordered 1
		.amdhsa_forward_progress 1
		.amdhsa_inst_pref_size 27
		.amdhsa_round_robin_scheduling 0
		.amdhsa_exception_fp_ieee_invalid_op 0
		.amdhsa_exception_fp_denorm_src 0
		.amdhsa_exception_fp_ieee_div_zero 0
		.amdhsa_exception_fp_ieee_overflow 0
		.amdhsa_exception_fp_ieee_underflow 0
		.amdhsa_exception_fp_ieee_inexact 0
		.amdhsa_exception_int_div_zero 0
	.end_amdhsa_kernel
	.section	.text._ZL29rocblas_internal_gemmt_kernelIiLi16ELi32ELi8ELc78ELc67ELc85ELb0ELb1E19rocblas_complex_numIdEPKS1_S3_PS1_EviT_T9_T10_S5_lS7_S5_lS6_T11_S5_li,"axG",@progbits,_ZL29rocblas_internal_gemmt_kernelIiLi16ELi32ELi8ELc78ELc67ELc85ELb0ELb1E19rocblas_complex_numIdEPKS1_S3_PS1_EviT_T9_T10_S5_lS7_S5_lS6_T11_S5_li,comdat
.Lfunc_end110:
	.size	_ZL29rocblas_internal_gemmt_kernelIiLi16ELi32ELi8ELc78ELc67ELc85ELb0ELb1E19rocblas_complex_numIdEPKS1_S3_PS1_EviT_T9_T10_S5_lS7_S5_lS6_T11_S5_li, .Lfunc_end110-_ZL29rocblas_internal_gemmt_kernelIiLi16ELi32ELi8ELc78ELc67ELc85ELb0ELb1E19rocblas_complex_numIdEPKS1_S3_PS1_EviT_T9_T10_S5_lS7_S5_lS6_T11_S5_li
                                        ; -- End function
	.set _ZL29rocblas_internal_gemmt_kernelIiLi16ELi32ELi8ELc78ELc67ELc85ELb0ELb1E19rocblas_complex_numIdEPKS1_S3_PS1_EviT_T9_T10_S5_lS7_S5_lS6_T11_S5_li.num_vgpr, 131
	.set _ZL29rocblas_internal_gemmt_kernelIiLi16ELi32ELi8ELc78ELc67ELc85ELb0ELb1E19rocblas_complex_numIdEPKS1_S3_PS1_EviT_T9_T10_S5_lS7_S5_lS6_T11_S5_li.num_agpr, 0
	.set _ZL29rocblas_internal_gemmt_kernelIiLi16ELi32ELi8ELc78ELc67ELc85ELb0ELb1E19rocblas_complex_numIdEPKS1_S3_PS1_EviT_T9_T10_S5_lS7_S5_lS6_T11_S5_li.numbered_sgpr, 40
	.set _ZL29rocblas_internal_gemmt_kernelIiLi16ELi32ELi8ELc78ELc67ELc85ELb0ELb1E19rocblas_complex_numIdEPKS1_S3_PS1_EviT_T9_T10_S5_lS7_S5_lS6_T11_S5_li.num_named_barrier, 0
	.set _ZL29rocblas_internal_gemmt_kernelIiLi16ELi32ELi8ELc78ELc67ELc85ELb0ELb1E19rocblas_complex_numIdEPKS1_S3_PS1_EviT_T9_T10_S5_lS7_S5_lS6_T11_S5_li.private_seg_size, 0
	.set _ZL29rocblas_internal_gemmt_kernelIiLi16ELi32ELi8ELc78ELc67ELc85ELb0ELb1E19rocblas_complex_numIdEPKS1_S3_PS1_EviT_T9_T10_S5_lS7_S5_lS6_T11_S5_li.uses_vcc, 1
	.set _ZL29rocblas_internal_gemmt_kernelIiLi16ELi32ELi8ELc78ELc67ELc85ELb0ELb1E19rocblas_complex_numIdEPKS1_S3_PS1_EviT_T9_T10_S5_lS7_S5_lS6_T11_S5_li.uses_flat_scratch, 0
	.set _ZL29rocblas_internal_gemmt_kernelIiLi16ELi32ELi8ELc78ELc67ELc85ELb0ELb1E19rocblas_complex_numIdEPKS1_S3_PS1_EviT_T9_T10_S5_lS7_S5_lS6_T11_S5_li.has_dyn_sized_stack, 0
	.set _ZL29rocblas_internal_gemmt_kernelIiLi16ELi32ELi8ELc78ELc67ELc85ELb0ELb1E19rocblas_complex_numIdEPKS1_S3_PS1_EviT_T9_T10_S5_lS7_S5_lS6_T11_S5_li.has_recursion, 0
	.set _ZL29rocblas_internal_gemmt_kernelIiLi16ELi32ELi8ELc78ELc67ELc85ELb0ELb1E19rocblas_complex_numIdEPKS1_S3_PS1_EviT_T9_T10_S5_lS7_S5_lS6_T11_S5_li.has_indirect_call, 0
	.section	.AMDGPU.csdata,"",@progbits
; Kernel info:
; codeLenInByte = 3452
; TotalNumSgprs: 42
; NumVgprs: 131
; ScratchSize: 0
; MemoryBound: 1
; FloatMode: 240
; IeeeMode: 1
; LDSByteSize: 8192 bytes/workgroup (compile time only)
; SGPRBlocks: 0
; VGPRBlocks: 16
; NumSGPRsForWavesPerEU: 42
; NumVGPRsForWavesPerEU: 131
; Occupancy: 10
; WaveLimiterHint : 0
; COMPUTE_PGM_RSRC2:SCRATCH_EN: 0
; COMPUTE_PGM_RSRC2:USER_SGPR: 2
; COMPUTE_PGM_RSRC2:TRAP_HANDLER: 0
; COMPUTE_PGM_RSRC2:TGID_X_EN: 1
; COMPUTE_PGM_RSRC2:TGID_Y_EN: 1
; COMPUTE_PGM_RSRC2:TGID_Z_EN: 1
; COMPUTE_PGM_RSRC2:TIDIG_COMP_CNT: 1
	.section	.text._ZL29rocblas_internal_gemmt_kernelIiLi16ELi32ELi8ELc84ELc78ELc85ELb0ELb0E19rocblas_complex_numIdEPKS1_S3_PS1_EviT_T9_T10_S5_lS7_S5_lS6_T11_S5_li,"axG",@progbits,_ZL29rocblas_internal_gemmt_kernelIiLi16ELi32ELi8ELc84ELc78ELc85ELb0ELb0E19rocblas_complex_numIdEPKS1_S3_PS1_EviT_T9_T10_S5_lS7_S5_lS6_T11_S5_li,comdat
	.globl	_ZL29rocblas_internal_gemmt_kernelIiLi16ELi32ELi8ELc84ELc78ELc85ELb0ELb0E19rocblas_complex_numIdEPKS1_S3_PS1_EviT_T9_T10_S5_lS7_S5_lS6_T11_S5_li ; -- Begin function _ZL29rocblas_internal_gemmt_kernelIiLi16ELi32ELi8ELc84ELc78ELc85ELb0ELb0E19rocblas_complex_numIdEPKS1_S3_PS1_EviT_T9_T10_S5_lS7_S5_lS6_T11_S5_li
	.p2align	8
	.type	_ZL29rocblas_internal_gemmt_kernelIiLi16ELi32ELi8ELc84ELc78ELc85ELb0ELb0E19rocblas_complex_numIdEPKS1_S3_PS1_EviT_T9_T10_S5_lS7_S5_lS6_T11_S5_li,@function
_ZL29rocblas_internal_gemmt_kernelIiLi16ELi32ELi8ELc84ELc78ELc85ELb0ELb0E19rocblas_complex_numIdEPKS1_S3_PS1_EviT_T9_T10_S5_lS7_S5_lS6_T11_S5_li: ; @_ZL29rocblas_internal_gemmt_kernelIiLi16ELi32ELi8ELc84ELc78ELc85ELb0ELb0E19rocblas_complex_numIdEPKS1_S3_PS1_EviT_T9_T10_S5_lS7_S5_lS6_T11_S5_li
; %bb.0:
	s_load_b128 s[12:15], s[0:1], 0x38
	s_wait_kmcnt 0x0
	s_load_b128 s[4:7], s[14:15], 0x0
	s_clause 0x1
	s_load_b128 s[16:19], s[0:1], 0x8
	s_load_b64 s[14:15], s[0:1], 0x0
	s_wait_kmcnt 0x0
	s_load_b128 s[8:11], s[16:17], 0x0
	v_cmp_eq_f64_e64 s2, s[4:5], 1.0
	v_cmp_eq_f64_e64 s30, s[6:7], 0
	s_and_b32 s2, s2, s30
	s_delay_alu instid0(SALU_CYCLE_1)
	s_and_not1_b32 vcc_lo, exec_lo, s2
	s_mov_b32 s2, -1
	s_cbranch_vccnz .LBB111_3
; %bb.1:
	s_cmp_lg_u32 s15, 0
	s_cbranch_scc0 .LBB111_38
; %bb.2:
	s_wait_kmcnt 0x0
	v_cmp_neq_f64_e64 s2, s[8:9], 0
	v_cmp_neq_f64_e64 s3, s[10:11], 0
	s_or_b32 s2, s2, s3
.LBB111_3:
	s_delay_alu instid0(SALU_CYCLE_1)
	s_and_b32 vcc_lo, exec_lo, s2
	s_cbranch_vccz .LBB111_39
; %bb.4:
	s_load_b32 s27, s[0:1], 0x60
	s_lshr_b32 s16, ttmp7, 16
	s_wait_kmcnt 0x0
	s_cmp_ge_u32 s16, s27
	s_cbranch_scc1 .LBB111_39
; %bb.5:
	v_cmp_neq_f64_e64 s31, s[8:9], 0
	v_cmp_neq_f64_e64 s33, s[10:11], 0
	v_and_b32_e32 v1, 0x3ff, v0
	v_bfe_u32 v2, v0, 10, 10
	s_clause 0x4
	s_load_b32 s35, s[0:1], 0x18
	s_load_b128 s[20:23], s[0:1], 0x20
	s_load_b32 s36, s[0:1], 0x30
	s_load_b96 s[24:26], s[0:1], 0x48
	s_load_b64 s[28:29], s[0:1], 0x58
	v_and_b32_e32 v37, 7, v0
	s_lshl_b32 s1, ttmp9, 5
	v_lshlrev_b32_e32 v38, 4, v1
	v_lshl_add_u32 v0, v2, 4, v1
	v_add_nc_u32_e32 v5, s1, v1
	v_lshlrev_b32_e32 v4, 4, v37
	s_lshl_b32 s0, ttmp7, 5
	v_cmp_neq_f64_e64 s34, s[4:5], 0
	v_lshrrev_b32_e32 v40, 5, v0
	v_lshrrev_b32_e32 v1, 3, v0
	v_and_b32_e32 v0, 31, v0
	s_wait_alu 0xfffe
	s_and_b32 s2, s0, 0x1fffe0
	v_lshl_add_u32 v39, v2, 7, 0x1000
	v_add_nc_u32_e32 v2, s2, v2
	v_add_nc_u32_e32 v7, 16, v5
	v_or_b32_e32 v3, s1, v0
	v_lshlrev_b32_e32 v0, 4, v0
	v_add_nc_u32_e32 v9, s2, v1
	v_lshl_or_b32 v1, v1, 7, v4
	v_cmp_gt_i32_e32 vcc_lo, s14, v2
	v_cmp_le_i32_e64 s0, v5, v2
	v_add_nc_u32_e32 v11, 16, v2
	v_cmp_le_i32_e64 s1, v7, v2
	v_cmp_gt_i32_e64 s2, s14, v3
	v_lshl_or_b32 v41, v40, 9, v0
	v_add_nc_u32_e32 v42, 0x1000, v1
	s_wait_kmcnt 0x0
	v_mad_co_i64_i32 v[0:1], null, v2, s26, 0
	v_mad_co_i64_i32 v[2:3], null, s35, v3, 0
	v_cmp_gt_i32_e64 s3, s14, v9
	v_mad_co_i64_i32 v[9:10], null, s36, v9, 0
	v_lshlrev_b32_e32 v12, 4, v40
	s_or_b32 s37, s31, s33
	s_cmp_gt_i32 s15, 0
	s_delay_alu instid0(VALU_DEP_4)
	v_lshlrev_b64_e32 v[2:3], 4, v[2:3]
	s_cselect_b32 s38, -1, 0
	s_and_b32 s31, vcc_lo, s0
	s_and_b32 s33, vcc_lo, s1
	v_cmp_gt_i32_e32 vcc_lo, s14, v11
	v_cmp_le_i32_e64 s0, v5, v11
	v_cmp_le_i32_e64 s1, v7, v11
	v_mad_co_i64_i32 v[15:16], null, v11, s26, 0
	v_lshlrev_b64_e32 v[13:14], 4, v[0:1]
	s_delay_alu instid0(VALU_DEP_4) | instskip(NEXT) | instid1(VALU_DEP_3)
	s_and_b32 s14, vcc_lo, s0
	s_and_b32 s26, vcc_lo, s1
	v_add_co_u32 v11, vcc_lo, v2, v12
	s_delay_alu instid0(VALU_DEP_1) | instskip(SKIP_1) | instid1(VALU_DEP_3)
	v_add_co_ci_u32_e64 v12, null, 0, v3, vcc_lo
	v_lshlrev_b64_e32 v[2:3], 4, v[9:10]
	v_add_co_u32 v9, vcc_lo, s18, v11
	s_wait_alu 0xfffd
	s_delay_alu instid0(VALU_DEP_3) | instskip(SKIP_1) | instid1(VALU_DEP_4)
	v_add_co_ci_u32_e64 v10, null, s19, v12, vcc_lo
	v_lshlrev_b64_e32 v[15:16], 4, v[15:16]
	v_add_co_u32 v2, vcc_lo, v2, v4
	s_wait_alu 0xfffd
	v_add_co_ci_u32_e64 v3, null, 0, v3, vcc_lo
	v_ashrrev_i32_e32 v6, 31, v5
	s_delay_alu instid0(VALU_DEP_3)
	v_add_co_u32 v11, vcc_lo, s22, v2
	v_ashrrev_i32_e32 v8, 31, v7
	s_wait_alu 0xfffd
	v_add_co_ci_u32_e64 v12, null, s23, v3, vcc_lo
	v_mov_b32_e32 v0, 0
	s_xor_b32 s30, s30, -1
	s_mov_b32 s17, 0
	s_or_b32 s30, s34, s30
	s_lshl_b64 s[0:1], s[20:21], 4
	s_wait_alu 0xfffe
	s_and_b32 s18, s37, s38
	s_lshl_b64 s[12:13], s[12:13], 4
	s_xor_b32 s19, s2, -1
	s_xor_b32 s20, s3, -1
	s_branch .LBB111_7
.LBB111_6:                              ;   in Loop: Header=BB111_7 Depth=1
	s_wait_alu 0xfffe
	s_or_b32 exec_lo, exec_lo, s2
	s_add_co_i32 s16, s16, 0x10000
	s_wait_alu 0xfffe
	s_cmp_lt_u32 s16, s27
	s_cbranch_scc0 .LBB111_39
.LBB111_7:                              ; =>This Loop Header: Depth=1
                                        ;     Child Loop BB111_10 Depth 2
	v_mov_b32_e32 v33, 0
	v_mov_b32_e32 v29, 0
	;; [unrolled: 1-line block ×3, first 2 shown]
	v_dual_mov_b32 v23, 0 :: v_dual_mov_b32 v34, 0
	v_dual_mov_b32 v35, 0 :: v_dual_mov_b32 v30, 0
	v_dual_mov_b32 v31, 0 :: v_dual_mov_b32 v26, 0
	v_dual_mov_b32 v27, 0 :: v_dual_mov_b32 v24, 0
	v_dual_mov_b32 v21, 0 :: v_dual_mov_b32 v36, 0
	v_mov_b32_e32 v32, 0
	v_mov_b32_e32 v28, 0
	;; [unrolled: 1-line block ×3, first 2 shown]
	s_wait_alu 0xfffe
	s_and_not1_b32 vcc_lo, exec_lo, s18
	s_wait_alu 0xfffe
	s_cbranch_vccnz .LBB111_18
; %bb.8:                                ;   in Loop: Header=BB111_7 Depth=1
	v_mad_co_u64_u32 v[17:18], null, s0, s16, v[9:10]
	v_mad_co_u64_u32 v[19:20], null, s12, s16, v[11:12]
	v_mov_b32_e32 v21, 0
	v_mov_b32_e32 v23, 0
	v_mov_b32_e32 v25, 0
	v_mov_b32_e32 v29, 0
	v_dual_mov_b32 v1, v18 :: v_dual_mov_b32 v22, 0
	v_mov_b32_e32 v2, v20
	v_dual_mov_b32 v24, 0 :: v_dual_mov_b32 v27, 0
	v_dual_mov_b32 v26, 0 :: v_dual_mov_b32 v31, 0
	s_delay_alu instid0(VALU_DEP_3)
	v_mad_co_u64_u32 v[3:4], null, s1, s16, v[1:2]
	v_dual_mov_b32 v30, 0 :: v_dual_mov_b32 v35, 0
	v_dual_mov_b32 v33, 0 :: v_dual_mov_b32 v28, 0
	v_mov_b32_e32 v32, 0
	v_mov_b32_e32 v36, 0
	v_mad_co_u64_u32 v[1:2], null, s13, s16, v[2:3]
	v_mov_b32_e32 v34, 0
	v_mov_b32_e32 v18, v3
	s_mov_b32 s2, 0
	s_delay_alu instid0(VALU_DEP_3)
	v_mov_b32_e32 v20, v1
	s_branch .LBB111_10
.LBB111_9:                              ;   in Loop: Header=BB111_10 Depth=2
	s_wait_alu 0xfffe
	s_or_b32 exec_lo, exec_lo, s3
	s_wait_dscnt 0x0
	s_barrier_signal -1
	s_barrier_wait -1
	global_inv scope:SCOPE_SE
	ds_load_b128 v[1:4], v39
	ds_load_b128 v[43:46], v39 offset:16
	ds_load_b128 v[47:50], v39 offset:32
	;; [unrolled: 1-line block ×3, first 2 shown]
	ds_load_b128 v[55:58], v38
	v_add_co_u32 v17, vcc_lo, 0x80, v17
	s_wait_alu 0xfffd
	v_add_co_ci_u32_e64 v18, null, 0, v18, vcc_lo
	v_add_co_u32 v19, vcc_lo, 0x80, v19
	s_wait_alu 0xfffd
	v_add_co_ci_u32_e64 v20, null, 0, v20, vcc_lo
	s_add_co_i32 s2, s2, 8
	s_wait_alu 0xfffe
	s_cmp_lt_i32 s2, s15
	s_wait_dscnt 0x0
	v_mul_f64_e32 v[59:60], v[3:4], v[57:58]
	v_mul_f64_e32 v[61:62], v[1:2], v[57:58]
	s_delay_alu instid0(VALU_DEP_2) | instskip(NEXT) | instid1(VALU_DEP_2)
	v_fma_f64 v[59:60], v[1:2], v[55:56], -v[59:60]
	v_fma_f64 v[61:62], v[3:4], v[55:56], v[61:62]
	s_delay_alu instid0(VALU_DEP_2) | instskip(NEXT) | instid1(VALU_DEP_2)
	v_add_f64_e32 v[59:60], v[33:34], v[59:60]
	v_add_f64_e32 v[61:62], v[61:62], v[35:36]
	ds_load_b128 v[33:36], v38 offset:256
	s_wait_dscnt 0x0
	v_mul_f64_e32 v[63:64], v[3:4], v[35:36]
	s_delay_alu instid0(VALU_DEP_1) | instskip(SKIP_1) | instid1(VALU_DEP_2)
	v_fma_f64 v[63:64], v[1:2], v[33:34], -v[63:64]
	v_mul_f64_e32 v[1:2], v[1:2], v[35:36]
	v_add_f64_e32 v[29:30], v[29:30], v[63:64]
	s_delay_alu instid0(VALU_DEP_2) | instskip(NEXT) | instid1(VALU_DEP_1)
	v_fma_f64 v[1:2], v[3:4], v[33:34], v[1:2]
	v_add_f64_e32 v[31:32], v[1:2], v[31:32]
	ds_load_b128 v[1:4], v39 offset:2048
	s_wait_dscnt 0x0
	v_mul_f64_e32 v[63:64], v[3:4], v[57:58]
	v_mul_f64_e32 v[57:58], v[1:2], v[57:58]
	s_delay_alu instid0(VALU_DEP_2) | instskip(NEXT) | instid1(VALU_DEP_2)
	v_fma_f64 v[63:64], v[1:2], v[55:56], -v[63:64]
	v_fma_f64 v[55:56], v[3:4], v[55:56], v[57:58]
	s_delay_alu instid0(VALU_DEP_2) | instskip(SKIP_1) | instid1(VALU_DEP_3)
	v_add_f64_e32 v[57:58], v[25:26], v[63:64]
	v_mul_f64_e32 v[25:26], v[3:4], v[35:36]
	v_add_f64_e32 v[55:56], v[55:56], v[27:28]
	s_delay_alu instid0(VALU_DEP_2) | instskip(SKIP_1) | instid1(VALU_DEP_1)
	v_fma_f64 v[25:26], v[1:2], v[33:34], -v[25:26]
	v_mul_f64_e32 v[1:2], v[1:2], v[35:36]
	v_fma_f64 v[1:2], v[3:4], v[33:34], v[1:2]
	s_delay_alu instid0(VALU_DEP_3) | instskip(NEXT) | instid1(VALU_DEP_2)
	v_add_f64_e32 v[33:34], v[23:24], v[25:26]
	v_add_f64_e32 v[35:36], v[1:2], v[21:22]
	ds_load_b128 v[1:4], v38 offset:512
	s_wait_dscnt 0x0
	v_mul_f64_e32 v[21:22], v[45:46], v[3:4]
	v_mul_f64_e32 v[23:24], v[43:44], v[3:4]
	s_delay_alu instid0(VALU_DEP_2) | instskip(NEXT) | instid1(VALU_DEP_2)
	v_fma_f64 v[21:22], v[43:44], v[1:2], -v[21:22]
	v_fma_f64 v[23:24], v[45:46], v[1:2], v[23:24]
	s_delay_alu instid0(VALU_DEP_2) | instskip(NEXT) | instid1(VALU_DEP_2)
	v_add_f64_e32 v[59:60], v[59:60], v[21:22]
	v_add_f64_e32 v[61:62], v[23:24], v[61:62]
	ds_load_b128 v[21:24], v38 offset:768
	s_wait_dscnt 0x0
	v_mul_f64_e32 v[25:26], v[45:46], v[23:24]
	v_mul_f64_e32 v[27:28], v[43:44], v[23:24]
	s_delay_alu instid0(VALU_DEP_2) | instskip(NEXT) | instid1(VALU_DEP_2)
	v_fma_f64 v[25:26], v[43:44], v[21:22], -v[25:26]
	v_fma_f64 v[27:28], v[45:46], v[21:22], v[27:28]
	s_delay_alu instid0(VALU_DEP_2) | instskip(NEXT) | instid1(VALU_DEP_2)
	v_add_f64_e32 v[29:30], v[29:30], v[25:26]
	v_add_f64_e32 v[31:32], v[27:28], v[31:32]
	ds_load_b128 v[25:28], v39 offset:2064
	s_wait_dscnt 0x0
	v_mul_f64_e32 v[43:44], v[27:28], v[3:4]
	v_mul_f64_e32 v[3:4], v[25:26], v[3:4]
	s_delay_alu instid0(VALU_DEP_2) | instskip(NEXT) | instid1(VALU_DEP_2)
	v_fma_f64 v[43:44], v[25:26], v[1:2], -v[43:44]
	v_fma_f64 v[1:2], v[27:28], v[1:2], v[3:4]
	v_mul_f64_e32 v[3:4], v[25:26], v[23:24]
	s_delay_alu instid0(VALU_DEP_3) | instskip(NEXT) | instid1(VALU_DEP_3)
	v_add_f64_e32 v[43:44], v[57:58], v[43:44]
	v_add_f64_e32 v[45:46], v[1:2], v[55:56]
	v_mul_f64_e32 v[1:2], v[27:28], v[23:24]
	s_delay_alu instid0(VALU_DEP_4) | instskip(NEXT) | instid1(VALU_DEP_2)
	v_fma_f64 v[3:4], v[27:28], v[21:22], v[3:4]
	v_fma_f64 v[1:2], v[25:26], v[21:22], -v[1:2]
	s_delay_alu instid0(VALU_DEP_2) | instskip(NEXT) | instid1(VALU_DEP_2)
	v_add_f64_e32 v[35:36], v[3:4], v[35:36]
	v_add_f64_e32 v[33:34], v[33:34], v[1:2]
	ds_load_b128 v[1:4], v38 offset:1024
	s_wait_dscnt 0x0
	v_mul_f64_e32 v[21:22], v[49:50], v[3:4]
	v_mul_f64_e32 v[23:24], v[47:48], v[3:4]
	s_delay_alu instid0(VALU_DEP_2) | instskip(NEXT) | instid1(VALU_DEP_2)
	v_fma_f64 v[21:22], v[47:48], v[1:2], -v[21:22]
	v_fma_f64 v[23:24], v[49:50], v[1:2], v[23:24]
	s_delay_alu instid0(VALU_DEP_2) | instskip(NEXT) | instid1(VALU_DEP_2)
	v_add_f64_e32 v[55:56], v[59:60], v[21:22]
	v_add_f64_e32 v[57:58], v[23:24], v[61:62]
	ds_load_b128 v[21:24], v38 offset:1280
	s_wait_dscnt 0x0
	v_mul_f64_e32 v[25:26], v[49:50], v[23:24]
	v_mul_f64_e32 v[27:28], v[47:48], v[23:24]
	s_delay_alu instid0(VALU_DEP_2) | instskip(NEXT) | instid1(VALU_DEP_2)
	v_fma_f64 v[25:26], v[47:48], v[21:22], -v[25:26]
	v_fma_f64 v[27:28], v[49:50], v[21:22], v[27:28]
	s_delay_alu instid0(VALU_DEP_2) | instskip(NEXT) | instid1(VALU_DEP_2)
	v_add_f64_e32 v[29:30], v[29:30], v[25:26]
	v_add_f64_e32 v[31:32], v[27:28], v[31:32]
	ds_load_b128 v[25:28], v39 offset:2080
	s_wait_dscnt 0x0
	v_mul_f64_e32 v[47:48], v[27:28], v[3:4]
	v_mul_f64_e32 v[3:4], v[25:26], v[3:4]
	s_delay_alu instid0(VALU_DEP_2) | instskip(NEXT) | instid1(VALU_DEP_2)
	v_fma_f64 v[47:48], v[25:26], v[1:2], -v[47:48]
	v_fma_f64 v[1:2], v[27:28], v[1:2], v[3:4]
	v_mul_f64_e32 v[3:4], v[25:26], v[23:24]
	s_delay_alu instid0(VALU_DEP_3) | instskip(NEXT) | instid1(VALU_DEP_3)
	v_add_f64_e32 v[43:44], v[43:44], v[47:48]
	v_add_f64_e32 v[45:46], v[1:2], v[45:46]
	v_mul_f64_e32 v[1:2], v[27:28], v[23:24]
	s_delay_alu instid0(VALU_DEP_4) | instskip(NEXT) | instid1(VALU_DEP_2)
	v_fma_f64 v[3:4], v[27:28], v[21:22], v[3:4]
	v_fma_f64 v[1:2], v[25:26], v[21:22], -v[1:2]
	s_delay_alu instid0(VALU_DEP_2) | instskip(NEXT) | instid1(VALU_DEP_2)
	;; [unrolled: 38-line block ×3, first 2 shown]
	v_add_f64_e32 v[35:36], v[3:4], v[35:36]
	v_add_f64_e32 v[33:34], v[33:34], v[1:2]
	ds_load_b128 v[1:4], v39 offset:64
	ds_load_b128 v[21:24], v38 offset:2048
	s_wait_dscnt 0x0
	v_mul_f64_e32 v[25:26], v[3:4], v[23:24]
	v_mul_f64_e32 v[27:28], v[1:2], v[23:24]
	s_delay_alu instid0(VALU_DEP_2) | instskip(NEXT) | instid1(VALU_DEP_2)
	v_fma_f64 v[25:26], v[1:2], v[21:22], -v[25:26]
	v_fma_f64 v[27:28], v[3:4], v[21:22], v[27:28]
	s_delay_alu instid0(VALU_DEP_2) | instskip(NEXT) | instid1(VALU_DEP_2)
	v_add_f64_e32 v[47:48], v[47:48], v[25:26]
	v_add_f64_e32 v[49:50], v[27:28], v[49:50]
	ds_load_b128 v[25:28], v38 offset:2304
	s_wait_dscnt 0x0
	v_mul_f64_e32 v[51:52], v[3:4], v[27:28]
	s_delay_alu instid0(VALU_DEP_1) | instskip(SKIP_1) | instid1(VALU_DEP_2)
	v_fma_f64 v[51:52], v[1:2], v[25:26], -v[51:52]
	v_mul_f64_e32 v[1:2], v[1:2], v[27:28]
	v_add_f64_e32 v[29:30], v[29:30], v[51:52]
	s_delay_alu instid0(VALU_DEP_2) | instskip(NEXT) | instid1(VALU_DEP_1)
	v_fma_f64 v[1:2], v[3:4], v[25:26], v[1:2]
	v_add_f64_e32 v[31:32], v[1:2], v[31:32]
	ds_load_b128 v[1:4], v39 offset:2112
	s_wait_dscnt 0x0
	v_mul_f64_e32 v[51:52], v[3:4], v[23:24]
	v_mul_f64_e32 v[23:24], v[1:2], v[23:24]
	s_delay_alu instid0(VALU_DEP_2) | instskip(NEXT) | instid1(VALU_DEP_2)
	v_fma_f64 v[51:52], v[1:2], v[21:22], -v[51:52]
	v_fma_f64 v[21:22], v[3:4], v[21:22], v[23:24]
	s_delay_alu instid0(VALU_DEP_2) | instskip(NEXT) | instid1(VALU_DEP_2)
	v_add_f64_e32 v[43:44], v[43:44], v[51:52]
	v_add_f64_e32 v[45:46], v[21:22], v[45:46]
	v_mul_f64_e32 v[21:22], v[3:4], v[27:28]
	s_delay_alu instid0(VALU_DEP_1) | instskip(SKIP_1) | instid1(VALU_DEP_2)
	v_fma_f64 v[21:22], v[1:2], v[25:26], -v[21:22]
	v_mul_f64_e32 v[1:2], v[1:2], v[27:28]
	v_add_f64_e32 v[33:34], v[33:34], v[21:22]
	s_delay_alu instid0(VALU_DEP_2) | instskip(NEXT) | instid1(VALU_DEP_1)
	v_fma_f64 v[1:2], v[3:4], v[25:26], v[1:2]
	v_add_f64_e32 v[35:36], v[1:2], v[35:36]
	ds_load_b128 v[1:4], v39 offset:80
	ds_load_b128 v[21:24], v38 offset:2560
	s_wait_dscnt 0x0
	v_mul_f64_e32 v[25:26], v[3:4], v[23:24]
	v_mul_f64_e32 v[27:28], v[1:2], v[23:24]
	s_delay_alu instid0(VALU_DEP_2) | instskip(NEXT) | instid1(VALU_DEP_2)
	v_fma_f64 v[25:26], v[1:2], v[21:22], -v[25:26]
	v_fma_f64 v[27:28], v[3:4], v[21:22], v[27:28]
	s_delay_alu instid0(VALU_DEP_2) | instskip(NEXT) | instid1(VALU_DEP_2)
	v_add_f64_e32 v[47:48], v[47:48], v[25:26]
	v_add_f64_e32 v[49:50], v[27:28], v[49:50]
	ds_load_b128 v[25:28], v38 offset:2816
	s_wait_dscnt 0x0
	v_mul_f64_e32 v[51:52], v[3:4], v[27:28]
	s_delay_alu instid0(VALU_DEP_1) | instskip(SKIP_1) | instid1(VALU_DEP_2)
	v_fma_f64 v[51:52], v[1:2], v[25:26], -v[51:52]
	v_mul_f64_e32 v[1:2], v[1:2], v[27:28]
	v_add_f64_e32 v[29:30], v[29:30], v[51:52]
	s_delay_alu instid0(VALU_DEP_2) | instskip(NEXT) | instid1(VALU_DEP_1)
	v_fma_f64 v[1:2], v[3:4], v[25:26], v[1:2]
	v_add_f64_e32 v[31:32], v[1:2], v[31:32]
	ds_load_b128 v[1:4], v39 offset:2128
	s_wait_dscnt 0x0
	v_mul_f64_e32 v[51:52], v[3:4], v[23:24]
	v_mul_f64_e32 v[23:24], v[1:2], v[23:24]
	s_delay_alu instid0(VALU_DEP_2) | instskip(NEXT) | instid1(VALU_DEP_2)
	v_fma_f64 v[51:52], v[1:2], v[21:22], -v[51:52]
	v_fma_f64 v[21:22], v[3:4], v[21:22], v[23:24]
	s_delay_alu instid0(VALU_DEP_2) | instskip(NEXT) | instid1(VALU_DEP_2)
	v_add_f64_e32 v[43:44], v[43:44], v[51:52]
	v_add_f64_e32 v[45:46], v[21:22], v[45:46]
	v_mul_f64_e32 v[21:22], v[3:4], v[27:28]
	s_delay_alu instid0(VALU_DEP_1) | instskip(SKIP_1) | instid1(VALU_DEP_2)
	v_fma_f64 v[21:22], v[1:2], v[25:26], -v[21:22]
	v_mul_f64_e32 v[1:2], v[1:2], v[27:28]
	v_add_f64_e32 v[33:34], v[33:34], v[21:22]
	s_delay_alu instid0(VALU_DEP_2) | instskip(NEXT) | instid1(VALU_DEP_1)
	v_fma_f64 v[1:2], v[3:4], v[25:26], v[1:2]
	;; [unrolled: 39-line block ×3, first 2 shown]
	v_add_f64_e32 v[57:58], v[1:2], v[35:36]
	ds_load_b128 v[1:4], v39 offset:112
	ds_load_b128 v[21:24], v38 offset:3584
	;; [unrolled: 1-line block ×3, first 2 shown]
	s_wait_dscnt 0x1
	v_mul_f64_e32 v[25:26], v[3:4], v[23:24]
	v_mul_f64_e32 v[27:28], v[1:2], v[23:24]
	s_delay_alu instid0(VALU_DEP_2) | instskip(NEXT) | instid1(VALU_DEP_2)
	v_fma_f64 v[25:26], v[1:2], v[21:22], -v[25:26]
	v_fma_f64 v[27:28], v[3:4], v[21:22], v[27:28]
	s_delay_alu instid0(VALU_DEP_2) | instskip(SKIP_2) | instid1(VALU_DEP_3)
	v_add_f64_e32 v[33:34], v[47:48], v[25:26]
	s_wait_dscnt 0x0
	v_mul_f64_e32 v[25:26], v[3:4], v[45:46]
	v_add_f64_e32 v[35:36], v[27:28], v[49:50]
	s_delay_alu instid0(VALU_DEP_2) | instskip(SKIP_1) | instid1(VALU_DEP_2)
	v_fma_f64 v[25:26], v[1:2], v[43:44], -v[25:26]
	v_mul_f64_e32 v[1:2], v[1:2], v[45:46]
	v_add_f64_e32 v[29:30], v[29:30], v[25:26]
	s_delay_alu instid0(VALU_DEP_2) | instskip(NEXT) | instid1(VALU_DEP_1)
	v_fma_f64 v[1:2], v[3:4], v[43:44], v[1:2]
	v_add_f64_e32 v[31:32], v[1:2], v[31:32]
	ds_load_b128 v[1:4], v39 offset:2160
	s_wait_loadcnt_dscnt 0x0
	s_barrier_signal -1
	s_barrier_wait -1
	global_inv scope:SCOPE_SE
	v_mul_f64_e32 v[25:26], v[3:4], v[23:24]
	v_mul_f64_e32 v[23:24], v[1:2], v[23:24]
	s_delay_alu instid0(VALU_DEP_2) | instskip(NEXT) | instid1(VALU_DEP_2)
	v_fma_f64 v[25:26], v[1:2], v[21:22], -v[25:26]
	v_fma_f64 v[21:22], v[3:4], v[21:22], v[23:24]
	s_delay_alu instid0(VALU_DEP_2) | instskip(NEXT) | instid1(VALU_DEP_2)
	v_add_f64_e32 v[25:26], v[51:52], v[25:26]
	v_add_f64_e32 v[27:28], v[21:22], v[53:54]
	v_mul_f64_e32 v[21:22], v[3:4], v[45:46]
	s_delay_alu instid0(VALU_DEP_1) | instskip(SKIP_1) | instid1(VALU_DEP_2)
	v_fma_f64 v[21:22], v[1:2], v[43:44], -v[21:22]
	v_mul_f64_e32 v[1:2], v[1:2], v[45:46]
	v_add_f64_e32 v[23:24], v[55:56], v[21:22]
	s_delay_alu instid0(VALU_DEP_2) | instskip(NEXT) | instid1(VALU_DEP_1)
	v_fma_f64 v[1:2], v[3:4], v[43:44], v[1:2]
	v_add_f64_e32 v[21:22], v[1:2], v[57:58]
	s_cbranch_scc0 .LBB111_18
.LBB111_10:                             ;   Parent Loop BB111_7 Depth=1
                                        ; =>  This Inner Loop Header: Depth=2
	s_wait_alu 0xfffe
	v_add_nc_u32_e32 v1, s2, v40
	s_delay_alu instid0(VALU_DEP_1) | instskip(SKIP_3) | instid1(SALU_CYCLE_1)
	v_cmp_le_i32_e32 vcc_lo, s15, v1
	s_or_b32 s3, s19, vcc_lo
	s_wait_alu 0xfffe
	s_and_saveexec_b32 s21, s3
	s_xor_b32 s3, exec_lo, s21
; %bb.11:                               ;   in Loop: Header=BB111_10 Depth=2
	v_dual_mov_b32 v1, v0 :: v_dual_mov_b32 v2, v0
	v_mov_b32_e32 v3, v0
	ds_store_b128 v41, v[0:3]
; %bb.12:                               ;   in Loop: Header=BB111_10 Depth=2
	s_wait_alu 0xfffe
	s_and_not1_saveexec_b32 s3, s3
	s_cbranch_execz .LBB111_14
; %bb.13:                               ;   in Loop: Header=BB111_10 Depth=2
	global_load_b128 v[1:4], v[17:18], off
	s_wait_loadcnt 0x0
	ds_store_2addr_b64 v41, v[1:2], v[3:4] offset1:1
.LBB111_14:                             ;   in Loop: Header=BB111_10 Depth=2
	s_wait_alu 0xfffe
	s_or_b32 exec_lo, exec_lo, s3
	v_add_nc_u32_e32 v1, s2, v37
	s_delay_alu instid0(VALU_DEP_1) | instskip(SKIP_3) | instid1(SALU_CYCLE_1)
	v_cmp_le_i32_e32 vcc_lo, s15, v1
	s_or_b32 s3, vcc_lo, s20
	s_wait_alu 0xfffe
	s_and_saveexec_b32 s21, s3
	s_xor_b32 s3, exec_lo, s21
; %bb.15:                               ;   in Loop: Header=BB111_10 Depth=2
	v_dual_mov_b32 v1, v0 :: v_dual_mov_b32 v2, v0
	v_mov_b32_e32 v3, v0
	ds_store_b128 v42, v[0:3]
; %bb.16:                               ;   in Loop: Header=BB111_10 Depth=2
	s_wait_alu 0xfffe
	s_and_not1_saveexec_b32 s3, s3
	s_cbranch_execz .LBB111_9
; %bb.17:                               ;   in Loop: Header=BB111_10 Depth=2
	global_load_b128 v[1:4], v[19:20], off
	s_wait_loadcnt 0x0
	ds_store_2addr_b64 v42, v[1:2], v[3:4] offset1:1
	s_branch .LBB111_9
.LBB111_18:                             ;   in Loop: Header=BB111_7 Depth=1
	s_mul_u64 s[2:3], s[28:29], s[16:17]
	s_wait_alu 0xfffe
	s_lshl_b64 s[2:3], s[2:3], 4
	s_wait_alu 0xfffe
	s_add_nc_u64 s[2:3], s[24:25], s[2:3]
	s_wait_alu 0xfffe
	v_add_co_u32 v17, vcc_lo, s2, v13
	s_wait_alu 0xfffd
	v_add_co_ci_u32_e64 v18, null, s3, v14, vcc_lo
	s_and_saveexec_b32 s21, s31
	s_cbranch_execz .LBB111_23
; %bb.19:                               ;   in Loop: Header=BB111_7 Depth=1
	v_mul_f64_e32 v[1:2], s[10:11], v[35:36]
	v_mul_f64_e32 v[3:4], s[8:9], v[35:36]
	s_and_b32 vcc_lo, exec_lo, s30
	s_mov_b32 s22, -1
	s_delay_alu instid0(VALU_DEP_2) | instskip(NEXT) | instid1(VALU_DEP_2)
	v_fma_f64 v[1:2], s[8:9], v[33:34], -v[1:2]
	v_fma_f64 v[3:4], s[10:11], v[33:34], v[3:4]
	s_wait_alu 0xfffe
	s_cbranch_vccz .LBB111_21
; %bb.20:                               ;   in Loop: Header=BB111_7 Depth=1
	v_lshlrev_b64_e32 v[19:20], 4, v[5:6]
	s_mov_b32 s22, 0
	s_delay_alu instid0(VALU_DEP_1) | instskip(SKIP_1) | instid1(VALU_DEP_2)
	v_add_co_u32 v19, vcc_lo, v17, v19
	s_wait_alu 0xfffd
	v_add_co_ci_u32_e64 v20, null, v18, v20, vcc_lo
	global_load_b128 v[33:36], v[19:20], off
	s_wait_loadcnt 0x0
	v_mul_f64_e32 v[43:44], s[6:7], v[35:36]
	v_mul_f64_e32 v[35:36], s[4:5], v[35:36]
	s_delay_alu instid0(VALU_DEP_2) | instskip(NEXT) | instid1(VALU_DEP_2)
	v_fma_f64 v[43:44], s[4:5], v[33:34], -v[43:44]
	v_fma_f64 v[35:36], s[6:7], v[33:34], v[35:36]
	s_delay_alu instid0(VALU_DEP_2) | instskip(NEXT) | instid1(VALU_DEP_2)
	v_add_f64_e32 v[33:34], v[1:2], v[43:44]
	v_add_f64_e32 v[35:36], v[3:4], v[35:36]
	global_store_b128 v[19:20], v[33:36], off
.LBB111_21:                             ;   in Loop: Header=BB111_7 Depth=1
	s_wait_alu 0xfffe
	s_and_not1_b32 vcc_lo, exec_lo, s22
	s_wait_alu 0xfffe
	s_cbranch_vccnz .LBB111_23
; %bb.22:                               ;   in Loop: Header=BB111_7 Depth=1
	v_lshlrev_b64_e32 v[19:20], 4, v[5:6]
	s_delay_alu instid0(VALU_DEP_1) | instskip(SKIP_1) | instid1(VALU_DEP_2)
	v_add_co_u32 v19, vcc_lo, v17, v19
	s_wait_alu 0xfffd
	v_add_co_ci_u32_e64 v20, null, v18, v20, vcc_lo
	global_store_b128 v[19:20], v[1:4], off
.LBB111_23:                             ;   in Loop: Header=BB111_7 Depth=1
	s_or_b32 exec_lo, exec_lo, s21
	s_and_saveexec_b32 s21, s33
	s_cbranch_execz .LBB111_28
; %bb.24:                               ;   in Loop: Header=BB111_7 Depth=1
	v_mul_f64_e32 v[1:2], s[10:11], v[31:32]
	v_mul_f64_e32 v[3:4], s[8:9], v[31:32]
	s_and_not1_b32 vcc_lo, exec_lo, s30
	s_mov_b32 s22, -1
	s_delay_alu instid0(VALU_DEP_2) | instskip(NEXT) | instid1(VALU_DEP_2)
	v_fma_f64 v[1:2], s[8:9], v[29:30], -v[1:2]
	v_fma_f64 v[3:4], s[10:11], v[29:30], v[3:4]
	s_wait_alu 0xfffe
	s_cbranch_vccnz .LBB111_26
; %bb.25:                               ;   in Loop: Header=BB111_7 Depth=1
	v_lshlrev_b64_e32 v[19:20], 4, v[7:8]
	s_mov_b32 s22, 0
	s_delay_alu instid0(VALU_DEP_1) | instskip(SKIP_1) | instid1(VALU_DEP_2)
	v_add_co_u32 v19, vcc_lo, v17, v19
	s_wait_alu 0xfffd
	v_add_co_ci_u32_e64 v20, null, v18, v20, vcc_lo
	global_load_b128 v[29:32], v[19:20], off
	s_wait_loadcnt 0x0
	v_mul_f64_e32 v[33:34], s[6:7], v[31:32]
	v_mul_f64_e32 v[31:32], s[4:5], v[31:32]
	s_delay_alu instid0(VALU_DEP_2) | instskip(NEXT) | instid1(VALU_DEP_2)
	v_fma_f64 v[33:34], s[4:5], v[29:30], -v[33:34]
	v_fma_f64 v[31:32], s[6:7], v[29:30], v[31:32]
	s_delay_alu instid0(VALU_DEP_2) | instskip(NEXT) | instid1(VALU_DEP_2)
	v_add_f64_e32 v[29:30], v[1:2], v[33:34]
	v_add_f64_e32 v[31:32], v[3:4], v[31:32]
	global_store_b128 v[19:20], v[29:32], off
.LBB111_26:                             ;   in Loop: Header=BB111_7 Depth=1
	s_wait_alu 0xfffe
	s_and_not1_b32 vcc_lo, exec_lo, s22
	s_wait_alu 0xfffe
	s_cbranch_vccnz .LBB111_28
; %bb.27:                               ;   in Loop: Header=BB111_7 Depth=1
	v_lshlrev_b64_e32 v[19:20], 4, v[7:8]
	s_delay_alu instid0(VALU_DEP_1) | instskip(SKIP_1) | instid1(VALU_DEP_2)
	v_add_co_u32 v17, vcc_lo, v17, v19
	s_wait_alu 0xfffd
	v_add_co_ci_u32_e64 v18, null, v18, v20, vcc_lo
	global_store_b128 v[17:18], v[1:4], off
.LBB111_28:                             ;   in Loop: Header=BB111_7 Depth=1
	s_or_b32 exec_lo, exec_lo, s21
	v_add_co_u32 v19, vcc_lo, s2, v15
	s_wait_alu 0xfffd
	v_add_co_ci_u32_e64 v20, null, s3, v16, vcc_lo
	s_and_saveexec_b32 s2, s14
	s_cbranch_execz .LBB111_33
; %bb.29:                               ;   in Loop: Header=BB111_7 Depth=1
	v_mul_f64_e32 v[1:2], s[10:11], v[27:28]
	v_mul_f64_e32 v[3:4], s[8:9], v[27:28]
	v_lshlrev_b64_e32 v[17:18], 4, v[5:6]
	s_and_not1_b32 vcc_lo, exec_lo, s30
	s_mov_b32 s3, -1
	s_delay_alu instid0(VALU_DEP_3) | instskip(NEXT) | instid1(VALU_DEP_3)
	v_fma_f64 v[1:2], s[8:9], v[25:26], -v[1:2]
	v_fma_f64 v[3:4], s[10:11], v[25:26], v[3:4]
	s_wait_alu 0xfffe
	s_cbranch_vccnz .LBB111_31
; %bb.30:                               ;   in Loop: Header=BB111_7 Depth=1
	v_add_co_u32 v29, vcc_lo, v19, v17
	s_wait_alu 0xfffd
	v_add_co_ci_u32_e64 v30, null, v20, v18, vcc_lo
	s_mov_b32 s3, 0
	global_load_b128 v[25:28], v[29:30], off
	s_wait_loadcnt 0x0
	v_mul_f64_e32 v[31:32], s[6:7], v[27:28]
	v_mul_f64_e32 v[27:28], s[4:5], v[27:28]
	s_delay_alu instid0(VALU_DEP_2) | instskip(NEXT) | instid1(VALU_DEP_2)
	v_fma_f64 v[31:32], s[4:5], v[25:26], -v[31:32]
	v_fma_f64 v[27:28], s[6:7], v[25:26], v[27:28]
	s_delay_alu instid0(VALU_DEP_2) | instskip(NEXT) | instid1(VALU_DEP_2)
	v_add_f64_e32 v[25:26], v[1:2], v[31:32]
	v_add_f64_e32 v[27:28], v[3:4], v[27:28]
	global_store_b128 v[29:30], v[25:28], off
.LBB111_31:                             ;   in Loop: Header=BB111_7 Depth=1
	s_wait_alu 0xfffe
	s_and_not1_b32 vcc_lo, exec_lo, s3
	s_wait_alu 0xfffe
	s_cbranch_vccnz .LBB111_33
; %bb.32:                               ;   in Loop: Header=BB111_7 Depth=1
	v_add_co_u32 v17, vcc_lo, v19, v17
	s_wait_alu 0xfffd
	v_add_co_ci_u32_e64 v18, null, v20, v18, vcc_lo
	global_store_b128 v[17:18], v[1:4], off
.LBB111_33:                             ;   in Loop: Header=BB111_7 Depth=1
	s_wait_alu 0xfffe
	s_or_b32 exec_lo, exec_lo, s2
	s_and_saveexec_b32 s2, s26
	s_cbranch_execz .LBB111_6
; %bb.34:                               ;   in Loop: Header=BB111_7 Depth=1
	v_mul_f64_e32 v[1:2], s[10:11], v[21:22]
	v_mul_f64_e32 v[3:4], s[8:9], v[21:22]
	v_lshlrev_b64_e32 v[17:18], 4, v[7:8]
	s_and_not1_b32 vcc_lo, exec_lo, s30
	s_mov_b32 s3, -1
	s_delay_alu instid0(VALU_DEP_3) | instskip(NEXT) | instid1(VALU_DEP_3)
	v_fma_f64 v[1:2], s[8:9], v[23:24], -v[1:2]
	v_fma_f64 v[3:4], s[10:11], v[23:24], v[3:4]
	s_wait_alu 0xfffe
	s_cbranch_vccnz .LBB111_36
; %bb.35:                               ;   in Loop: Header=BB111_7 Depth=1
	v_add_co_u32 v25, vcc_lo, v19, v17
	s_wait_alu 0xfffd
	v_add_co_ci_u32_e64 v26, null, v20, v18, vcc_lo
	s_mov_b32 s3, 0
	global_load_b128 v[21:24], v[25:26], off
	s_wait_loadcnt 0x0
	v_mul_f64_e32 v[27:28], s[6:7], v[23:24]
	v_mul_f64_e32 v[23:24], s[4:5], v[23:24]
	s_delay_alu instid0(VALU_DEP_2) | instskip(NEXT) | instid1(VALU_DEP_2)
	v_fma_f64 v[27:28], s[4:5], v[21:22], -v[27:28]
	v_fma_f64 v[23:24], s[6:7], v[21:22], v[23:24]
	s_delay_alu instid0(VALU_DEP_2) | instskip(NEXT) | instid1(VALU_DEP_2)
	v_add_f64_e32 v[21:22], v[1:2], v[27:28]
	v_add_f64_e32 v[23:24], v[3:4], v[23:24]
	global_store_b128 v[25:26], v[21:24], off
.LBB111_36:                             ;   in Loop: Header=BB111_7 Depth=1
	s_wait_alu 0xfffe
	s_and_not1_b32 vcc_lo, exec_lo, s3
	s_wait_alu 0xfffe
	s_cbranch_vccnz .LBB111_6
; %bb.37:                               ;   in Loop: Header=BB111_7 Depth=1
	v_add_co_u32 v17, vcc_lo, v19, v17
	s_wait_alu 0xfffd
	v_add_co_ci_u32_e64 v18, null, v20, v18, vcc_lo
	global_store_b128 v[17:18], v[1:4], off
	s_branch .LBB111_6
.LBB111_38:
.LBB111_39:
	s_endpgm
	.section	.rodata,"a",@progbits
	.p2align	6, 0x0
	.amdhsa_kernel _ZL29rocblas_internal_gemmt_kernelIiLi16ELi32ELi8ELc84ELc78ELc85ELb0ELb0E19rocblas_complex_numIdEPKS1_S3_PS1_EviT_T9_T10_S5_lS7_S5_lS6_T11_S5_li
		.amdhsa_group_segment_fixed_size 8192
		.amdhsa_private_segment_fixed_size 0
		.amdhsa_kernarg_size 100
		.amdhsa_user_sgpr_count 2
		.amdhsa_user_sgpr_dispatch_ptr 0
		.amdhsa_user_sgpr_queue_ptr 0
		.amdhsa_user_sgpr_kernarg_segment_ptr 1
		.amdhsa_user_sgpr_dispatch_id 0
		.amdhsa_user_sgpr_private_segment_size 0
		.amdhsa_wavefront_size32 1
		.amdhsa_uses_dynamic_stack 0
		.amdhsa_enable_private_segment 0
		.amdhsa_system_sgpr_workgroup_id_x 1
		.amdhsa_system_sgpr_workgroup_id_y 1
		.amdhsa_system_sgpr_workgroup_id_z 1
		.amdhsa_system_sgpr_workgroup_info 0
		.amdhsa_system_vgpr_workitem_id 1
		.amdhsa_next_free_vgpr 65
		.amdhsa_next_free_sgpr 39
		.amdhsa_reserve_vcc 1
		.amdhsa_float_round_mode_32 0
		.amdhsa_float_round_mode_16_64 0
		.amdhsa_float_denorm_mode_32 3
		.amdhsa_float_denorm_mode_16_64 3
		.amdhsa_fp16_overflow 0
		.amdhsa_workgroup_processor_mode 1
		.amdhsa_memory_ordered 1
		.amdhsa_forward_progress 1
		.amdhsa_inst_pref_size 29
		.amdhsa_round_robin_scheduling 0
		.amdhsa_exception_fp_ieee_invalid_op 0
		.amdhsa_exception_fp_denorm_src 0
		.amdhsa_exception_fp_ieee_div_zero 0
		.amdhsa_exception_fp_ieee_overflow 0
		.amdhsa_exception_fp_ieee_underflow 0
		.amdhsa_exception_fp_ieee_inexact 0
		.amdhsa_exception_int_div_zero 0
	.end_amdhsa_kernel
	.section	.text._ZL29rocblas_internal_gemmt_kernelIiLi16ELi32ELi8ELc84ELc78ELc85ELb0ELb0E19rocblas_complex_numIdEPKS1_S3_PS1_EviT_T9_T10_S5_lS7_S5_lS6_T11_S5_li,"axG",@progbits,_ZL29rocblas_internal_gemmt_kernelIiLi16ELi32ELi8ELc84ELc78ELc85ELb0ELb0E19rocblas_complex_numIdEPKS1_S3_PS1_EviT_T9_T10_S5_lS7_S5_lS6_T11_S5_li,comdat
.Lfunc_end111:
	.size	_ZL29rocblas_internal_gemmt_kernelIiLi16ELi32ELi8ELc84ELc78ELc85ELb0ELb0E19rocblas_complex_numIdEPKS1_S3_PS1_EviT_T9_T10_S5_lS7_S5_lS6_T11_S5_li, .Lfunc_end111-_ZL29rocblas_internal_gemmt_kernelIiLi16ELi32ELi8ELc84ELc78ELc85ELb0ELb0E19rocblas_complex_numIdEPKS1_S3_PS1_EviT_T9_T10_S5_lS7_S5_lS6_T11_S5_li
                                        ; -- End function
	.set _ZL29rocblas_internal_gemmt_kernelIiLi16ELi32ELi8ELc84ELc78ELc85ELb0ELb0E19rocblas_complex_numIdEPKS1_S3_PS1_EviT_T9_T10_S5_lS7_S5_lS6_T11_S5_li.num_vgpr, 65
	.set _ZL29rocblas_internal_gemmt_kernelIiLi16ELi32ELi8ELc84ELc78ELc85ELb0ELb0E19rocblas_complex_numIdEPKS1_S3_PS1_EviT_T9_T10_S5_lS7_S5_lS6_T11_S5_li.num_agpr, 0
	.set _ZL29rocblas_internal_gemmt_kernelIiLi16ELi32ELi8ELc84ELc78ELc85ELb0ELb0E19rocblas_complex_numIdEPKS1_S3_PS1_EviT_T9_T10_S5_lS7_S5_lS6_T11_S5_li.numbered_sgpr, 39
	.set _ZL29rocblas_internal_gemmt_kernelIiLi16ELi32ELi8ELc84ELc78ELc85ELb0ELb0E19rocblas_complex_numIdEPKS1_S3_PS1_EviT_T9_T10_S5_lS7_S5_lS6_T11_S5_li.num_named_barrier, 0
	.set _ZL29rocblas_internal_gemmt_kernelIiLi16ELi32ELi8ELc84ELc78ELc85ELb0ELb0E19rocblas_complex_numIdEPKS1_S3_PS1_EviT_T9_T10_S5_lS7_S5_lS6_T11_S5_li.private_seg_size, 0
	.set _ZL29rocblas_internal_gemmt_kernelIiLi16ELi32ELi8ELc84ELc78ELc85ELb0ELb0E19rocblas_complex_numIdEPKS1_S3_PS1_EviT_T9_T10_S5_lS7_S5_lS6_T11_S5_li.uses_vcc, 1
	.set _ZL29rocblas_internal_gemmt_kernelIiLi16ELi32ELi8ELc84ELc78ELc85ELb0ELb0E19rocblas_complex_numIdEPKS1_S3_PS1_EviT_T9_T10_S5_lS7_S5_lS6_T11_S5_li.uses_flat_scratch, 0
	.set _ZL29rocblas_internal_gemmt_kernelIiLi16ELi32ELi8ELc84ELc78ELc85ELb0ELb0E19rocblas_complex_numIdEPKS1_S3_PS1_EviT_T9_T10_S5_lS7_S5_lS6_T11_S5_li.has_dyn_sized_stack, 0
	.set _ZL29rocblas_internal_gemmt_kernelIiLi16ELi32ELi8ELc84ELc78ELc85ELb0ELb0E19rocblas_complex_numIdEPKS1_S3_PS1_EviT_T9_T10_S5_lS7_S5_lS6_T11_S5_li.has_recursion, 0
	.set _ZL29rocblas_internal_gemmt_kernelIiLi16ELi32ELi8ELc84ELc78ELc85ELb0ELb0E19rocblas_complex_numIdEPKS1_S3_PS1_EviT_T9_T10_S5_lS7_S5_lS6_T11_S5_li.has_indirect_call, 0
	.section	.AMDGPU.csdata,"",@progbits
; Kernel info:
; codeLenInByte = 3708
; TotalNumSgprs: 41
; NumVgprs: 65
; ScratchSize: 0
; MemoryBound: 0
; FloatMode: 240
; IeeeMode: 1
; LDSByteSize: 8192 bytes/workgroup (compile time only)
; SGPRBlocks: 0
; VGPRBlocks: 8
; NumSGPRsForWavesPerEU: 41
; NumVGPRsForWavesPerEU: 65
; Occupancy: 16
; WaveLimiterHint : 0
; COMPUTE_PGM_RSRC2:SCRATCH_EN: 0
; COMPUTE_PGM_RSRC2:USER_SGPR: 2
; COMPUTE_PGM_RSRC2:TRAP_HANDLER: 0
; COMPUTE_PGM_RSRC2:TGID_X_EN: 1
; COMPUTE_PGM_RSRC2:TGID_Y_EN: 1
; COMPUTE_PGM_RSRC2:TGID_Z_EN: 1
; COMPUTE_PGM_RSRC2:TIDIG_COMP_CNT: 1
	.section	.text._ZL29rocblas_internal_gemmt_kernelIiLi16ELi32ELi8ELc84ELc84ELc85ELb0ELb0E19rocblas_complex_numIdEPKS1_S3_PS1_EviT_T9_T10_S5_lS7_S5_lS6_T11_S5_li,"axG",@progbits,_ZL29rocblas_internal_gemmt_kernelIiLi16ELi32ELi8ELc84ELc84ELc85ELb0ELb0E19rocblas_complex_numIdEPKS1_S3_PS1_EviT_T9_T10_S5_lS7_S5_lS6_T11_S5_li,comdat
	.globl	_ZL29rocblas_internal_gemmt_kernelIiLi16ELi32ELi8ELc84ELc84ELc85ELb0ELb0E19rocblas_complex_numIdEPKS1_S3_PS1_EviT_T9_T10_S5_lS7_S5_lS6_T11_S5_li ; -- Begin function _ZL29rocblas_internal_gemmt_kernelIiLi16ELi32ELi8ELc84ELc84ELc85ELb0ELb0E19rocblas_complex_numIdEPKS1_S3_PS1_EviT_T9_T10_S5_lS7_S5_lS6_T11_S5_li
	.p2align	8
	.type	_ZL29rocblas_internal_gemmt_kernelIiLi16ELi32ELi8ELc84ELc84ELc85ELb0ELb0E19rocblas_complex_numIdEPKS1_S3_PS1_EviT_T9_T10_S5_lS7_S5_lS6_T11_S5_li,@function
_ZL29rocblas_internal_gemmt_kernelIiLi16ELi32ELi8ELc84ELc84ELc85ELb0ELb0E19rocblas_complex_numIdEPKS1_S3_PS1_EviT_T9_T10_S5_lS7_S5_lS6_T11_S5_li: ; @_ZL29rocblas_internal_gemmt_kernelIiLi16ELi32ELi8ELc84ELc84ELc85ELb0ELb0E19rocblas_complex_numIdEPKS1_S3_PS1_EviT_T9_T10_S5_lS7_S5_lS6_T11_S5_li
; %bb.0:
	s_load_b128 s[12:15], s[0:1], 0x38
	s_wait_kmcnt 0x0
	s_load_b128 s[4:7], s[14:15], 0x0
	s_clause 0x1
	s_load_b128 s[16:19], s[0:1], 0x8
	s_load_b64 s[14:15], s[0:1], 0x0
	s_wait_kmcnt 0x0
	s_load_b128 s[8:11], s[16:17], 0x0
	v_cmp_eq_f64_e64 s2, s[4:5], 1.0
	v_cmp_eq_f64_e64 s33, s[6:7], 0
	s_and_b32 s2, s2, s33
	s_delay_alu instid0(SALU_CYCLE_1)
	s_and_not1_b32 vcc_lo, exec_lo, s2
	s_mov_b32 s2, -1
	s_cbranch_vccnz .LBB112_3
; %bb.1:
	s_cmp_lg_u32 s15, 0
	s_cbranch_scc0 .LBB112_38
; %bb.2:
	s_wait_kmcnt 0x0
	v_cmp_neq_f64_e64 s2, s[8:9], 0
	v_cmp_neq_f64_e64 s3, s[10:11], 0
	s_or_b32 s2, s2, s3
.LBB112_3:
	s_delay_alu instid0(SALU_CYCLE_1)
	s_and_b32 vcc_lo, exec_lo, s2
	s_cbranch_vccz .LBB112_39
; %bb.4:
	s_load_b32 s27, s[0:1], 0x60
	s_lshr_b32 s16, ttmp7, 16
	s_wait_kmcnt 0x0
	s_cmp_ge_u32 s16, s27
	s_cbranch_scc1 .LBB112_39
; %bb.5:
	v_cmp_neq_f64_e64 s34, s[8:9], 0
	v_cmp_neq_f64_e64 s35, s[10:11], 0
	v_and_b32_e32 v1, 0x3ff, v0
	v_bfe_u32 v2, v0, 10, 10
	s_clause 0x4
	s_load_b32 s37, s[0:1], 0x18
	s_load_b128 s[20:23], s[0:1], 0x20
	s_load_b32 s30, s[0:1], 0x30
	s_load_b96 s[24:26], s[0:1], 0x48
	s_load_b64 s[28:29], s[0:1], 0x58
	v_and_b32_e32 v37, 7, v0
	s_lshl_b32 s1, ttmp9, 5
	v_lshlrev_b32_e32 v38, 4, v1
	v_lshl_add_u32 v0, v2, 4, v1
	v_add_nc_u32_e32 v5, s1, v1
	v_lshlrev_b32_e32 v3, 4, v37
	s_lshl_b32 s0, ttmp7, 5
	v_cmp_neq_f64_e64 s36, s[4:5], 0
	v_lshrrev_b32_e32 v40, 5, v0
	v_and_b32_e32 v1, 31, v0
	v_lshrrev_b32_e32 v0, 3, v0
	s_wait_alu 0xfffe
	s_and_b32 s2, s0, 0x1fffe0
	v_lshl_add_u32 v39, v2, 7, 0x1000
	v_add_nc_u32_e32 v2, s2, v2
	v_add_nc_u32_e32 v7, 16, v5
	v_or_b32_e32 v4, s1, v1
	v_add_nc_u32_e32 v11, s2, v0
	v_lshlrev_b32_e32 v1, 4, v1
	v_lshl_or_b32 v0, v0, 7, v3
	v_cmp_gt_i32_e32 vcc_lo, s14, v2
	v_cmp_le_i32_e64 s0, v5, v2
	v_cmp_le_i32_e64 s1, v7, v2
	v_lshl_or_b32 v41, v40, 9, v1
	v_add_nc_u32_e32 v42, 0x1000, v0
	s_wait_kmcnt 0x0
	v_mad_co_i64_i32 v[0:1], null, v2, s26, 0
	v_add_nc_u32_e32 v12, 16, v2
	v_mad_co_i64_i32 v[2:3], null, s37, v4, 0
	s_ashr_i32 s31, s30, 31
	v_mad_co_i64_i32 v[9:10], null, s30, v37, 0
	v_cmp_gt_i32_e64 s2, s14, v4
	v_lshlrev_b32_e32 v4, 4, v40
	s_or_b32 s38, s34, s35
	s_cmp_gt_i32 s15, 0
	v_lshlrev_b64_e32 v[2:3], 4, v[2:3]
	s_cselect_b32 s39, -1, 0
	s_and_b32 s34, vcc_lo, s0
	s_and_b32 s35, vcc_lo, s1
	v_cmp_gt_i32_e32 vcc_lo, s14, v12
	v_cmp_le_i32_e64 s0, v5, v12
	v_cmp_le_i32_e64 s1, v7, v12
	v_cmp_gt_i32_e64 s3, s14, v11
	v_mad_co_i64_i32 v[15:16], null, v12, s26, 0
	s_and_b32 s14, vcc_lo, s0
	s_and_b32 s26, vcc_lo, s1
	v_add_co_u32 v4, vcc_lo, v2, v4
	s_delay_alu instid0(VALU_DEP_1) | instskip(SKIP_2) | instid1(VALU_DEP_4)
	v_add_co_ci_u32_e64 v12, null, 0, v3, vcc_lo
	v_lshlrev_b64_e32 v[2:3], 4, v[9:10]
	v_lshlrev_b32_e32 v11, 4, v11
	v_add_co_u32 v9, vcc_lo, s18, v4
	s_wait_alu 0xfffd
	v_add_co_ci_u32_e64 v10, null, s19, v12, vcc_lo
	s_delay_alu instid0(VALU_DEP_3) | instskip(SKIP_3) | instid1(VALU_DEP_3)
	v_add_co_u32 v2, vcc_lo, v2, v11
	s_wait_alu 0xfffd
	v_add_co_ci_u32_e64 v3, null, 0, v3, vcc_lo
	v_lshlrev_b64_e32 v[13:14], 4, v[0:1]
	v_add_co_u32 v11, vcc_lo, s22, v2
	v_lshlrev_b64_e32 v[15:16], 4, v[15:16]
	v_ashrrev_i32_e32 v6, 31, v5
	v_ashrrev_i32_e32 v8, 31, v7
	s_wait_alu 0xfffd
	v_add_co_ci_u32_e64 v12, null, s23, v3, vcc_lo
	v_mov_b32_e32 v0, 0
	s_xor_b32 s33, s33, -1
	s_mov_b32 s17, 0
	s_or_b32 s33, s36, s33
	s_lshl_b64 s[0:1], s[20:21], 4
	s_lshl_b64 s[12:13], s[12:13], 4
	s_and_b32 s20, s38, s39
	s_lshl_b64 s[18:19], s[30:31], 7
	s_xor_b32 s21, s2, -1
	s_xor_b32 s22, s3, -1
	s_branch .LBB112_7
.LBB112_6:                              ;   in Loop: Header=BB112_7 Depth=1
	s_wait_alu 0xfffe
	s_or_b32 exec_lo, exec_lo, s2
	s_add_co_i32 s16, s16, 0x10000
	s_wait_alu 0xfffe
	s_cmp_lt_u32 s16, s27
	s_cbranch_scc0 .LBB112_39
.LBB112_7:                              ; =>This Loop Header: Depth=1
                                        ;     Child Loop BB112_10 Depth 2
	v_mov_b32_e32 v33, 0
	v_mov_b32_e32 v29, 0
	;; [unrolled: 1-line block ×3, first 2 shown]
	v_dual_mov_b32 v23, 0 :: v_dual_mov_b32 v34, 0
	v_dual_mov_b32 v35, 0 :: v_dual_mov_b32 v30, 0
	;; [unrolled: 1-line block ×5, first 2 shown]
	v_mov_b32_e32 v32, 0
	v_mov_b32_e32 v28, 0
	;; [unrolled: 1-line block ×3, first 2 shown]
	s_and_not1_b32 vcc_lo, exec_lo, s20
	s_wait_alu 0xfffe
	s_cbranch_vccnz .LBB112_18
; %bb.8:                                ;   in Loop: Header=BB112_7 Depth=1
	v_mad_co_u64_u32 v[17:18], null, s0, s16, v[9:10]
	v_mad_co_u64_u32 v[19:20], null, s12, s16, v[11:12]
	v_mov_b32_e32 v21, 0
	v_mov_b32_e32 v23, 0
	v_mov_b32_e32 v25, 0
	v_mov_b32_e32 v29, 0
	v_dual_mov_b32 v1, v18 :: v_dual_mov_b32 v22, 0
	v_mov_b32_e32 v2, v20
	v_dual_mov_b32 v24, 0 :: v_dual_mov_b32 v27, 0
	v_dual_mov_b32 v26, 0 :: v_dual_mov_b32 v31, 0
	s_delay_alu instid0(VALU_DEP_3)
	v_mad_co_u64_u32 v[3:4], null, s1, s16, v[1:2]
	v_dual_mov_b32 v30, 0 :: v_dual_mov_b32 v35, 0
	v_dual_mov_b32 v33, 0 :: v_dual_mov_b32 v28, 0
	v_mov_b32_e32 v32, 0
	v_mov_b32_e32 v36, 0
	v_mad_co_u64_u32 v[1:2], null, s13, s16, v[2:3]
	v_mov_b32_e32 v34, 0
	v_mov_b32_e32 v18, v3
	s_mov_b32 s2, 0
	s_delay_alu instid0(VALU_DEP_3)
	v_mov_b32_e32 v20, v1
	s_branch .LBB112_10
.LBB112_9:                              ;   in Loop: Header=BB112_10 Depth=2
	s_wait_alu 0xfffe
	s_or_b32 exec_lo, exec_lo, s3
	s_wait_dscnt 0x0
	s_barrier_signal -1
	s_barrier_wait -1
	global_inv scope:SCOPE_SE
	ds_load_b128 v[1:4], v39
	ds_load_b128 v[43:46], v39 offset:16
	ds_load_b128 v[47:50], v39 offset:32
	;; [unrolled: 1-line block ×3, first 2 shown]
	ds_load_b128 v[55:58], v38
	v_add_co_u32 v17, vcc_lo, 0x80, v17
	s_wait_alu 0xfffd
	v_add_co_ci_u32_e64 v18, null, 0, v18, vcc_lo
	v_add_co_u32 v19, vcc_lo, v19, s18
	s_wait_alu 0xfffd
	v_add_co_ci_u32_e64 v20, null, s19, v20, vcc_lo
	s_add_co_i32 s2, s2, 8
	s_wait_alu 0xfffe
	s_cmp_lt_i32 s2, s15
	s_wait_dscnt 0x0
	v_mul_f64_e32 v[59:60], v[3:4], v[57:58]
	v_mul_f64_e32 v[61:62], v[1:2], v[57:58]
	s_delay_alu instid0(VALU_DEP_2) | instskip(NEXT) | instid1(VALU_DEP_2)
	v_fma_f64 v[59:60], v[1:2], v[55:56], -v[59:60]
	v_fma_f64 v[61:62], v[3:4], v[55:56], v[61:62]
	s_delay_alu instid0(VALU_DEP_2) | instskip(NEXT) | instid1(VALU_DEP_2)
	v_add_f64_e32 v[59:60], v[33:34], v[59:60]
	v_add_f64_e32 v[61:62], v[61:62], v[35:36]
	ds_load_b128 v[33:36], v38 offset:256
	s_wait_dscnt 0x0
	v_mul_f64_e32 v[63:64], v[3:4], v[35:36]
	s_delay_alu instid0(VALU_DEP_1) | instskip(SKIP_1) | instid1(VALU_DEP_2)
	v_fma_f64 v[63:64], v[1:2], v[33:34], -v[63:64]
	v_mul_f64_e32 v[1:2], v[1:2], v[35:36]
	v_add_f64_e32 v[29:30], v[29:30], v[63:64]
	s_delay_alu instid0(VALU_DEP_2) | instskip(NEXT) | instid1(VALU_DEP_1)
	v_fma_f64 v[1:2], v[3:4], v[33:34], v[1:2]
	v_add_f64_e32 v[31:32], v[1:2], v[31:32]
	ds_load_b128 v[1:4], v39 offset:2048
	s_wait_dscnt 0x0
	v_mul_f64_e32 v[63:64], v[3:4], v[57:58]
	v_mul_f64_e32 v[57:58], v[1:2], v[57:58]
	s_delay_alu instid0(VALU_DEP_2) | instskip(NEXT) | instid1(VALU_DEP_2)
	v_fma_f64 v[63:64], v[1:2], v[55:56], -v[63:64]
	v_fma_f64 v[55:56], v[3:4], v[55:56], v[57:58]
	s_delay_alu instid0(VALU_DEP_2) | instskip(SKIP_1) | instid1(VALU_DEP_3)
	v_add_f64_e32 v[57:58], v[25:26], v[63:64]
	v_mul_f64_e32 v[25:26], v[3:4], v[35:36]
	v_add_f64_e32 v[55:56], v[55:56], v[27:28]
	s_delay_alu instid0(VALU_DEP_2) | instskip(SKIP_1) | instid1(VALU_DEP_1)
	v_fma_f64 v[25:26], v[1:2], v[33:34], -v[25:26]
	v_mul_f64_e32 v[1:2], v[1:2], v[35:36]
	v_fma_f64 v[1:2], v[3:4], v[33:34], v[1:2]
	s_delay_alu instid0(VALU_DEP_3) | instskip(NEXT) | instid1(VALU_DEP_2)
	v_add_f64_e32 v[33:34], v[23:24], v[25:26]
	v_add_f64_e32 v[35:36], v[1:2], v[21:22]
	ds_load_b128 v[1:4], v38 offset:512
	s_wait_dscnt 0x0
	v_mul_f64_e32 v[21:22], v[45:46], v[3:4]
	v_mul_f64_e32 v[23:24], v[43:44], v[3:4]
	s_delay_alu instid0(VALU_DEP_2) | instskip(NEXT) | instid1(VALU_DEP_2)
	v_fma_f64 v[21:22], v[43:44], v[1:2], -v[21:22]
	v_fma_f64 v[23:24], v[45:46], v[1:2], v[23:24]
	s_delay_alu instid0(VALU_DEP_2) | instskip(NEXT) | instid1(VALU_DEP_2)
	v_add_f64_e32 v[59:60], v[59:60], v[21:22]
	v_add_f64_e32 v[61:62], v[23:24], v[61:62]
	ds_load_b128 v[21:24], v38 offset:768
	s_wait_dscnt 0x0
	v_mul_f64_e32 v[25:26], v[45:46], v[23:24]
	v_mul_f64_e32 v[27:28], v[43:44], v[23:24]
	s_delay_alu instid0(VALU_DEP_2) | instskip(NEXT) | instid1(VALU_DEP_2)
	v_fma_f64 v[25:26], v[43:44], v[21:22], -v[25:26]
	v_fma_f64 v[27:28], v[45:46], v[21:22], v[27:28]
	s_delay_alu instid0(VALU_DEP_2) | instskip(NEXT) | instid1(VALU_DEP_2)
	v_add_f64_e32 v[29:30], v[29:30], v[25:26]
	v_add_f64_e32 v[31:32], v[27:28], v[31:32]
	ds_load_b128 v[25:28], v39 offset:2064
	s_wait_dscnt 0x0
	v_mul_f64_e32 v[43:44], v[27:28], v[3:4]
	v_mul_f64_e32 v[3:4], v[25:26], v[3:4]
	s_delay_alu instid0(VALU_DEP_2) | instskip(NEXT) | instid1(VALU_DEP_2)
	v_fma_f64 v[43:44], v[25:26], v[1:2], -v[43:44]
	v_fma_f64 v[1:2], v[27:28], v[1:2], v[3:4]
	v_mul_f64_e32 v[3:4], v[25:26], v[23:24]
	s_delay_alu instid0(VALU_DEP_3) | instskip(NEXT) | instid1(VALU_DEP_3)
	v_add_f64_e32 v[43:44], v[57:58], v[43:44]
	v_add_f64_e32 v[45:46], v[1:2], v[55:56]
	v_mul_f64_e32 v[1:2], v[27:28], v[23:24]
	s_delay_alu instid0(VALU_DEP_4) | instskip(NEXT) | instid1(VALU_DEP_2)
	v_fma_f64 v[3:4], v[27:28], v[21:22], v[3:4]
	v_fma_f64 v[1:2], v[25:26], v[21:22], -v[1:2]
	s_delay_alu instid0(VALU_DEP_2) | instskip(NEXT) | instid1(VALU_DEP_2)
	v_add_f64_e32 v[35:36], v[3:4], v[35:36]
	v_add_f64_e32 v[33:34], v[33:34], v[1:2]
	ds_load_b128 v[1:4], v38 offset:1024
	s_wait_dscnt 0x0
	v_mul_f64_e32 v[21:22], v[49:50], v[3:4]
	v_mul_f64_e32 v[23:24], v[47:48], v[3:4]
	s_delay_alu instid0(VALU_DEP_2) | instskip(NEXT) | instid1(VALU_DEP_2)
	v_fma_f64 v[21:22], v[47:48], v[1:2], -v[21:22]
	v_fma_f64 v[23:24], v[49:50], v[1:2], v[23:24]
	s_delay_alu instid0(VALU_DEP_2) | instskip(NEXT) | instid1(VALU_DEP_2)
	v_add_f64_e32 v[55:56], v[59:60], v[21:22]
	v_add_f64_e32 v[57:58], v[23:24], v[61:62]
	ds_load_b128 v[21:24], v38 offset:1280
	s_wait_dscnt 0x0
	v_mul_f64_e32 v[25:26], v[49:50], v[23:24]
	v_mul_f64_e32 v[27:28], v[47:48], v[23:24]
	s_delay_alu instid0(VALU_DEP_2) | instskip(NEXT) | instid1(VALU_DEP_2)
	v_fma_f64 v[25:26], v[47:48], v[21:22], -v[25:26]
	v_fma_f64 v[27:28], v[49:50], v[21:22], v[27:28]
	s_delay_alu instid0(VALU_DEP_2) | instskip(NEXT) | instid1(VALU_DEP_2)
	v_add_f64_e32 v[29:30], v[29:30], v[25:26]
	v_add_f64_e32 v[31:32], v[27:28], v[31:32]
	ds_load_b128 v[25:28], v39 offset:2080
	s_wait_dscnt 0x0
	v_mul_f64_e32 v[47:48], v[27:28], v[3:4]
	v_mul_f64_e32 v[3:4], v[25:26], v[3:4]
	s_delay_alu instid0(VALU_DEP_2) | instskip(NEXT) | instid1(VALU_DEP_2)
	v_fma_f64 v[47:48], v[25:26], v[1:2], -v[47:48]
	v_fma_f64 v[1:2], v[27:28], v[1:2], v[3:4]
	v_mul_f64_e32 v[3:4], v[25:26], v[23:24]
	s_delay_alu instid0(VALU_DEP_3) | instskip(NEXT) | instid1(VALU_DEP_3)
	v_add_f64_e32 v[43:44], v[43:44], v[47:48]
	v_add_f64_e32 v[45:46], v[1:2], v[45:46]
	v_mul_f64_e32 v[1:2], v[27:28], v[23:24]
	s_delay_alu instid0(VALU_DEP_4) | instskip(NEXT) | instid1(VALU_DEP_2)
	v_fma_f64 v[3:4], v[27:28], v[21:22], v[3:4]
	v_fma_f64 v[1:2], v[25:26], v[21:22], -v[1:2]
	s_delay_alu instid0(VALU_DEP_2) | instskip(NEXT) | instid1(VALU_DEP_2)
	;; [unrolled: 38-line block ×3, first 2 shown]
	v_add_f64_e32 v[35:36], v[3:4], v[35:36]
	v_add_f64_e32 v[33:34], v[33:34], v[1:2]
	ds_load_b128 v[1:4], v39 offset:64
	ds_load_b128 v[21:24], v38 offset:2048
	s_wait_dscnt 0x0
	v_mul_f64_e32 v[25:26], v[3:4], v[23:24]
	v_mul_f64_e32 v[27:28], v[1:2], v[23:24]
	s_delay_alu instid0(VALU_DEP_2) | instskip(NEXT) | instid1(VALU_DEP_2)
	v_fma_f64 v[25:26], v[1:2], v[21:22], -v[25:26]
	v_fma_f64 v[27:28], v[3:4], v[21:22], v[27:28]
	s_delay_alu instid0(VALU_DEP_2) | instskip(NEXT) | instid1(VALU_DEP_2)
	v_add_f64_e32 v[47:48], v[47:48], v[25:26]
	v_add_f64_e32 v[49:50], v[27:28], v[49:50]
	ds_load_b128 v[25:28], v38 offset:2304
	s_wait_dscnt 0x0
	v_mul_f64_e32 v[51:52], v[3:4], v[27:28]
	s_delay_alu instid0(VALU_DEP_1) | instskip(SKIP_1) | instid1(VALU_DEP_2)
	v_fma_f64 v[51:52], v[1:2], v[25:26], -v[51:52]
	v_mul_f64_e32 v[1:2], v[1:2], v[27:28]
	v_add_f64_e32 v[29:30], v[29:30], v[51:52]
	s_delay_alu instid0(VALU_DEP_2) | instskip(NEXT) | instid1(VALU_DEP_1)
	v_fma_f64 v[1:2], v[3:4], v[25:26], v[1:2]
	v_add_f64_e32 v[31:32], v[1:2], v[31:32]
	ds_load_b128 v[1:4], v39 offset:2112
	s_wait_dscnt 0x0
	v_mul_f64_e32 v[51:52], v[3:4], v[23:24]
	v_mul_f64_e32 v[23:24], v[1:2], v[23:24]
	s_delay_alu instid0(VALU_DEP_2) | instskip(NEXT) | instid1(VALU_DEP_2)
	v_fma_f64 v[51:52], v[1:2], v[21:22], -v[51:52]
	v_fma_f64 v[21:22], v[3:4], v[21:22], v[23:24]
	s_delay_alu instid0(VALU_DEP_2) | instskip(NEXT) | instid1(VALU_DEP_2)
	v_add_f64_e32 v[43:44], v[43:44], v[51:52]
	v_add_f64_e32 v[45:46], v[21:22], v[45:46]
	v_mul_f64_e32 v[21:22], v[3:4], v[27:28]
	s_delay_alu instid0(VALU_DEP_1) | instskip(SKIP_1) | instid1(VALU_DEP_2)
	v_fma_f64 v[21:22], v[1:2], v[25:26], -v[21:22]
	v_mul_f64_e32 v[1:2], v[1:2], v[27:28]
	v_add_f64_e32 v[33:34], v[33:34], v[21:22]
	s_delay_alu instid0(VALU_DEP_2) | instskip(NEXT) | instid1(VALU_DEP_1)
	v_fma_f64 v[1:2], v[3:4], v[25:26], v[1:2]
	v_add_f64_e32 v[35:36], v[1:2], v[35:36]
	ds_load_b128 v[1:4], v39 offset:80
	ds_load_b128 v[21:24], v38 offset:2560
	s_wait_dscnt 0x0
	v_mul_f64_e32 v[25:26], v[3:4], v[23:24]
	v_mul_f64_e32 v[27:28], v[1:2], v[23:24]
	s_delay_alu instid0(VALU_DEP_2) | instskip(NEXT) | instid1(VALU_DEP_2)
	v_fma_f64 v[25:26], v[1:2], v[21:22], -v[25:26]
	v_fma_f64 v[27:28], v[3:4], v[21:22], v[27:28]
	s_delay_alu instid0(VALU_DEP_2) | instskip(NEXT) | instid1(VALU_DEP_2)
	v_add_f64_e32 v[47:48], v[47:48], v[25:26]
	v_add_f64_e32 v[49:50], v[27:28], v[49:50]
	ds_load_b128 v[25:28], v38 offset:2816
	s_wait_dscnt 0x0
	v_mul_f64_e32 v[51:52], v[3:4], v[27:28]
	s_delay_alu instid0(VALU_DEP_1) | instskip(SKIP_1) | instid1(VALU_DEP_2)
	v_fma_f64 v[51:52], v[1:2], v[25:26], -v[51:52]
	v_mul_f64_e32 v[1:2], v[1:2], v[27:28]
	v_add_f64_e32 v[29:30], v[29:30], v[51:52]
	s_delay_alu instid0(VALU_DEP_2) | instskip(NEXT) | instid1(VALU_DEP_1)
	v_fma_f64 v[1:2], v[3:4], v[25:26], v[1:2]
	v_add_f64_e32 v[31:32], v[1:2], v[31:32]
	ds_load_b128 v[1:4], v39 offset:2128
	s_wait_dscnt 0x0
	v_mul_f64_e32 v[51:52], v[3:4], v[23:24]
	v_mul_f64_e32 v[23:24], v[1:2], v[23:24]
	s_delay_alu instid0(VALU_DEP_2) | instskip(NEXT) | instid1(VALU_DEP_2)
	v_fma_f64 v[51:52], v[1:2], v[21:22], -v[51:52]
	v_fma_f64 v[21:22], v[3:4], v[21:22], v[23:24]
	s_delay_alu instid0(VALU_DEP_2) | instskip(NEXT) | instid1(VALU_DEP_2)
	v_add_f64_e32 v[43:44], v[43:44], v[51:52]
	v_add_f64_e32 v[45:46], v[21:22], v[45:46]
	v_mul_f64_e32 v[21:22], v[3:4], v[27:28]
	s_delay_alu instid0(VALU_DEP_1) | instskip(SKIP_1) | instid1(VALU_DEP_2)
	v_fma_f64 v[21:22], v[1:2], v[25:26], -v[21:22]
	v_mul_f64_e32 v[1:2], v[1:2], v[27:28]
	v_add_f64_e32 v[33:34], v[33:34], v[21:22]
	s_delay_alu instid0(VALU_DEP_2) | instskip(NEXT) | instid1(VALU_DEP_1)
	v_fma_f64 v[1:2], v[3:4], v[25:26], v[1:2]
	;; [unrolled: 39-line block ×3, first 2 shown]
	v_add_f64_e32 v[57:58], v[1:2], v[35:36]
	ds_load_b128 v[1:4], v39 offset:112
	ds_load_b128 v[21:24], v38 offset:3584
	ds_load_b128 v[43:46], v38 offset:3840
	s_wait_dscnt 0x1
	v_mul_f64_e32 v[25:26], v[3:4], v[23:24]
	v_mul_f64_e32 v[27:28], v[1:2], v[23:24]
	s_delay_alu instid0(VALU_DEP_2) | instskip(NEXT) | instid1(VALU_DEP_2)
	v_fma_f64 v[25:26], v[1:2], v[21:22], -v[25:26]
	v_fma_f64 v[27:28], v[3:4], v[21:22], v[27:28]
	s_delay_alu instid0(VALU_DEP_2) | instskip(SKIP_2) | instid1(VALU_DEP_3)
	v_add_f64_e32 v[33:34], v[47:48], v[25:26]
	s_wait_dscnt 0x0
	v_mul_f64_e32 v[25:26], v[3:4], v[45:46]
	v_add_f64_e32 v[35:36], v[27:28], v[49:50]
	s_delay_alu instid0(VALU_DEP_2) | instskip(SKIP_1) | instid1(VALU_DEP_2)
	v_fma_f64 v[25:26], v[1:2], v[43:44], -v[25:26]
	v_mul_f64_e32 v[1:2], v[1:2], v[45:46]
	v_add_f64_e32 v[29:30], v[29:30], v[25:26]
	s_delay_alu instid0(VALU_DEP_2) | instskip(NEXT) | instid1(VALU_DEP_1)
	v_fma_f64 v[1:2], v[3:4], v[43:44], v[1:2]
	v_add_f64_e32 v[31:32], v[1:2], v[31:32]
	ds_load_b128 v[1:4], v39 offset:2160
	s_wait_loadcnt_dscnt 0x0
	s_barrier_signal -1
	s_barrier_wait -1
	global_inv scope:SCOPE_SE
	v_mul_f64_e32 v[25:26], v[3:4], v[23:24]
	v_mul_f64_e32 v[23:24], v[1:2], v[23:24]
	s_delay_alu instid0(VALU_DEP_2) | instskip(NEXT) | instid1(VALU_DEP_2)
	v_fma_f64 v[25:26], v[1:2], v[21:22], -v[25:26]
	v_fma_f64 v[21:22], v[3:4], v[21:22], v[23:24]
	s_delay_alu instid0(VALU_DEP_2) | instskip(NEXT) | instid1(VALU_DEP_2)
	v_add_f64_e32 v[25:26], v[51:52], v[25:26]
	v_add_f64_e32 v[27:28], v[21:22], v[53:54]
	v_mul_f64_e32 v[21:22], v[3:4], v[45:46]
	s_delay_alu instid0(VALU_DEP_1) | instskip(SKIP_1) | instid1(VALU_DEP_2)
	v_fma_f64 v[21:22], v[1:2], v[43:44], -v[21:22]
	v_mul_f64_e32 v[1:2], v[1:2], v[45:46]
	v_add_f64_e32 v[23:24], v[55:56], v[21:22]
	s_delay_alu instid0(VALU_DEP_2) | instskip(NEXT) | instid1(VALU_DEP_1)
	v_fma_f64 v[1:2], v[3:4], v[43:44], v[1:2]
	v_add_f64_e32 v[21:22], v[1:2], v[57:58]
	s_cbranch_scc0 .LBB112_18
.LBB112_10:                             ;   Parent Loop BB112_7 Depth=1
                                        ; =>  This Inner Loop Header: Depth=2
	s_wait_alu 0xfffe
	v_add_nc_u32_e32 v1, s2, v40
	s_delay_alu instid0(VALU_DEP_1)
	v_cmp_le_i32_e32 vcc_lo, s15, v1
	s_or_b32 s3, s21, vcc_lo
	s_wait_alu 0xfffe
	s_and_saveexec_b32 s23, s3
	s_wait_alu 0xfffe
	s_xor_b32 s3, exec_lo, s23
; %bb.11:                               ;   in Loop: Header=BB112_10 Depth=2
	v_dual_mov_b32 v1, v0 :: v_dual_mov_b32 v2, v0
	v_mov_b32_e32 v3, v0
	ds_store_b128 v41, v[0:3]
; %bb.12:                               ;   in Loop: Header=BB112_10 Depth=2
	s_wait_alu 0xfffe
	s_and_not1_saveexec_b32 s3, s3
	s_cbranch_execz .LBB112_14
; %bb.13:                               ;   in Loop: Header=BB112_10 Depth=2
	global_load_b128 v[1:4], v[17:18], off
	s_wait_loadcnt 0x0
	ds_store_2addr_b64 v41, v[1:2], v[3:4] offset1:1
.LBB112_14:                             ;   in Loop: Header=BB112_10 Depth=2
	s_wait_alu 0xfffe
	s_or_b32 exec_lo, exec_lo, s3
	v_add_nc_u32_e32 v1, s2, v37
	s_delay_alu instid0(VALU_DEP_1)
	v_cmp_le_i32_e32 vcc_lo, s15, v1
	s_or_b32 s3, vcc_lo, s22
	s_wait_alu 0xfffe
	s_and_saveexec_b32 s23, s3
	s_wait_alu 0xfffe
	s_xor_b32 s3, exec_lo, s23
; %bb.15:                               ;   in Loop: Header=BB112_10 Depth=2
	v_dual_mov_b32 v1, v0 :: v_dual_mov_b32 v2, v0
	v_mov_b32_e32 v3, v0
	ds_store_b128 v42, v[0:3]
; %bb.16:                               ;   in Loop: Header=BB112_10 Depth=2
	s_wait_alu 0xfffe
	s_and_not1_saveexec_b32 s3, s3
	s_cbranch_execz .LBB112_9
; %bb.17:                               ;   in Loop: Header=BB112_10 Depth=2
	global_load_b128 v[1:4], v[19:20], off
	s_wait_loadcnt 0x0
	ds_store_2addr_b64 v42, v[1:2], v[3:4] offset1:1
	s_branch .LBB112_9
.LBB112_18:                             ;   in Loop: Header=BB112_7 Depth=1
	s_mul_u64 s[2:3], s[28:29], s[16:17]
	s_wait_alu 0xfffe
	s_lshl_b64 s[2:3], s[2:3], 4
	s_wait_alu 0xfffe
	s_add_nc_u64 s[2:3], s[24:25], s[2:3]
	s_wait_alu 0xfffe
	v_add_co_u32 v17, vcc_lo, s2, v13
	s_wait_alu 0xfffd
	v_add_co_ci_u32_e64 v18, null, s3, v14, vcc_lo
	s_and_saveexec_b32 s23, s34
	s_cbranch_execz .LBB112_23
; %bb.19:                               ;   in Loop: Header=BB112_7 Depth=1
	v_mul_f64_e32 v[1:2], s[10:11], v[35:36]
	v_mul_f64_e32 v[3:4], s[8:9], v[35:36]
	s_and_b32 vcc_lo, exec_lo, s33
	s_mov_b32 s30, -1
	s_delay_alu instid0(VALU_DEP_2) | instskip(NEXT) | instid1(VALU_DEP_2)
	v_fma_f64 v[1:2], s[8:9], v[33:34], -v[1:2]
	v_fma_f64 v[3:4], s[10:11], v[33:34], v[3:4]
	s_wait_alu 0xfffe
	s_cbranch_vccz .LBB112_21
; %bb.20:                               ;   in Loop: Header=BB112_7 Depth=1
	v_lshlrev_b64_e32 v[19:20], 4, v[5:6]
	s_mov_b32 s30, 0
	s_delay_alu instid0(VALU_DEP_1) | instskip(SKIP_1) | instid1(VALU_DEP_2)
	v_add_co_u32 v19, vcc_lo, v17, v19
	s_wait_alu 0xfffd
	v_add_co_ci_u32_e64 v20, null, v18, v20, vcc_lo
	global_load_b128 v[33:36], v[19:20], off
	s_wait_loadcnt 0x0
	v_mul_f64_e32 v[43:44], s[6:7], v[35:36]
	v_mul_f64_e32 v[35:36], s[4:5], v[35:36]
	s_delay_alu instid0(VALU_DEP_2) | instskip(NEXT) | instid1(VALU_DEP_2)
	v_fma_f64 v[43:44], s[4:5], v[33:34], -v[43:44]
	v_fma_f64 v[35:36], s[6:7], v[33:34], v[35:36]
	s_delay_alu instid0(VALU_DEP_2) | instskip(NEXT) | instid1(VALU_DEP_2)
	v_add_f64_e32 v[33:34], v[1:2], v[43:44]
	v_add_f64_e32 v[35:36], v[3:4], v[35:36]
	global_store_b128 v[19:20], v[33:36], off
.LBB112_21:                             ;   in Loop: Header=BB112_7 Depth=1
	s_wait_alu 0xfffe
	s_and_not1_b32 vcc_lo, exec_lo, s30
	s_wait_alu 0xfffe
	s_cbranch_vccnz .LBB112_23
; %bb.22:                               ;   in Loop: Header=BB112_7 Depth=1
	v_lshlrev_b64_e32 v[19:20], 4, v[5:6]
	s_delay_alu instid0(VALU_DEP_1) | instskip(SKIP_1) | instid1(VALU_DEP_2)
	v_add_co_u32 v19, vcc_lo, v17, v19
	s_wait_alu 0xfffd
	v_add_co_ci_u32_e64 v20, null, v18, v20, vcc_lo
	global_store_b128 v[19:20], v[1:4], off
.LBB112_23:                             ;   in Loop: Header=BB112_7 Depth=1
	s_wait_alu 0xfffe
	s_or_b32 exec_lo, exec_lo, s23
	s_and_saveexec_b32 s23, s35
	s_cbranch_execz .LBB112_28
; %bb.24:                               ;   in Loop: Header=BB112_7 Depth=1
	v_mul_f64_e32 v[1:2], s[10:11], v[31:32]
	v_mul_f64_e32 v[3:4], s[8:9], v[31:32]
	s_and_not1_b32 vcc_lo, exec_lo, s33
	s_mov_b32 s30, -1
	s_delay_alu instid0(VALU_DEP_2) | instskip(NEXT) | instid1(VALU_DEP_2)
	v_fma_f64 v[1:2], s[8:9], v[29:30], -v[1:2]
	v_fma_f64 v[3:4], s[10:11], v[29:30], v[3:4]
	s_wait_alu 0xfffe
	s_cbranch_vccnz .LBB112_26
; %bb.25:                               ;   in Loop: Header=BB112_7 Depth=1
	v_lshlrev_b64_e32 v[19:20], 4, v[7:8]
	s_mov_b32 s30, 0
	s_delay_alu instid0(VALU_DEP_1) | instskip(SKIP_1) | instid1(VALU_DEP_2)
	v_add_co_u32 v19, vcc_lo, v17, v19
	s_wait_alu 0xfffd
	v_add_co_ci_u32_e64 v20, null, v18, v20, vcc_lo
	global_load_b128 v[29:32], v[19:20], off
	s_wait_loadcnt 0x0
	v_mul_f64_e32 v[33:34], s[6:7], v[31:32]
	v_mul_f64_e32 v[31:32], s[4:5], v[31:32]
	s_delay_alu instid0(VALU_DEP_2) | instskip(NEXT) | instid1(VALU_DEP_2)
	v_fma_f64 v[33:34], s[4:5], v[29:30], -v[33:34]
	v_fma_f64 v[31:32], s[6:7], v[29:30], v[31:32]
	s_delay_alu instid0(VALU_DEP_2) | instskip(NEXT) | instid1(VALU_DEP_2)
	v_add_f64_e32 v[29:30], v[1:2], v[33:34]
	v_add_f64_e32 v[31:32], v[3:4], v[31:32]
	global_store_b128 v[19:20], v[29:32], off
.LBB112_26:                             ;   in Loop: Header=BB112_7 Depth=1
	s_wait_alu 0xfffe
	s_and_not1_b32 vcc_lo, exec_lo, s30
	s_wait_alu 0xfffe
	s_cbranch_vccnz .LBB112_28
; %bb.27:                               ;   in Loop: Header=BB112_7 Depth=1
	v_lshlrev_b64_e32 v[19:20], 4, v[7:8]
	s_delay_alu instid0(VALU_DEP_1) | instskip(SKIP_1) | instid1(VALU_DEP_2)
	v_add_co_u32 v17, vcc_lo, v17, v19
	s_wait_alu 0xfffd
	v_add_co_ci_u32_e64 v18, null, v18, v20, vcc_lo
	global_store_b128 v[17:18], v[1:4], off
.LBB112_28:                             ;   in Loop: Header=BB112_7 Depth=1
	s_wait_alu 0xfffe
	s_or_b32 exec_lo, exec_lo, s23
	v_add_co_u32 v19, vcc_lo, s2, v15
	s_wait_alu 0xfffd
	v_add_co_ci_u32_e64 v20, null, s3, v16, vcc_lo
	s_and_saveexec_b32 s2, s14
	s_cbranch_execz .LBB112_33
; %bb.29:                               ;   in Loop: Header=BB112_7 Depth=1
	v_mul_f64_e32 v[1:2], s[10:11], v[27:28]
	v_mul_f64_e32 v[3:4], s[8:9], v[27:28]
	v_lshlrev_b64_e32 v[17:18], 4, v[5:6]
	s_and_not1_b32 vcc_lo, exec_lo, s33
	s_mov_b32 s3, -1
	s_delay_alu instid0(VALU_DEP_3) | instskip(NEXT) | instid1(VALU_DEP_3)
	v_fma_f64 v[1:2], s[8:9], v[25:26], -v[1:2]
	v_fma_f64 v[3:4], s[10:11], v[25:26], v[3:4]
	s_wait_alu 0xfffe
	s_cbranch_vccnz .LBB112_31
; %bb.30:                               ;   in Loop: Header=BB112_7 Depth=1
	v_add_co_u32 v29, vcc_lo, v19, v17
	s_wait_alu 0xfffd
	v_add_co_ci_u32_e64 v30, null, v20, v18, vcc_lo
	s_mov_b32 s3, 0
	global_load_b128 v[25:28], v[29:30], off
	s_wait_loadcnt 0x0
	v_mul_f64_e32 v[31:32], s[6:7], v[27:28]
	v_mul_f64_e32 v[27:28], s[4:5], v[27:28]
	s_delay_alu instid0(VALU_DEP_2) | instskip(NEXT) | instid1(VALU_DEP_2)
	v_fma_f64 v[31:32], s[4:5], v[25:26], -v[31:32]
	v_fma_f64 v[27:28], s[6:7], v[25:26], v[27:28]
	s_delay_alu instid0(VALU_DEP_2) | instskip(NEXT) | instid1(VALU_DEP_2)
	v_add_f64_e32 v[25:26], v[1:2], v[31:32]
	v_add_f64_e32 v[27:28], v[3:4], v[27:28]
	global_store_b128 v[29:30], v[25:28], off
.LBB112_31:                             ;   in Loop: Header=BB112_7 Depth=1
	s_wait_alu 0xfffe
	s_and_not1_b32 vcc_lo, exec_lo, s3
	s_wait_alu 0xfffe
	s_cbranch_vccnz .LBB112_33
; %bb.32:                               ;   in Loop: Header=BB112_7 Depth=1
	v_add_co_u32 v17, vcc_lo, v19, v17
	s_wait_alu 0xfffd
	v_add_co_ci_u32_e64 v18, null, v20, v18, vcc_lo
	global_store_b128 v[17:18], v[1:4], off
.LBB112_33:                             ;   in Loop: Header=BB112_7 Depth=1
	s_wait_alu 0xfffe
	s_or_b32 exec_lo, exec_lo, s2
	s_and_saveexec_b32 s2, s26
	s_cbranch_execz .LBB112_6
; %bb.34:                               ;   in Loop: Header=BB112_7 Depth=1
	v_mul_f64_e32 v[1:2], s[10:11], v[21:22]
	v_mul_f64_e32 v[3:4], s[8:9], v[21:22]
	v_lshlrev_b64_e32 v[17:18], 4, v[7:8]
	s_and_not1_b32 vcc_lo, exec_lo, s33
	s_mov_b32 s3, -1
	s_delay_alu instid0(VALU_DEP_3) | instskip(NEXT) | instid1(VALU_DEP_3)
	v_fma_f64 v[1:2], s[8:9], v[23:24], -v[1:2]
	v_fma_f64 v[3:4], s[10:11], v[23:24], v[3:4]
	s_wait_alu 0xfffe
	s_cbranch_vccnz .LBB112_36
; %bb.35:                               ;   in Loop: Header=BB112_7 Depth=1
	v_add_co_u32 v25, vcc_lo, v19, v17
	s_wait_alu 0xfffd
	v_add_co_ci_u32_e64 v26, null, v20, v18, vcc_lo
	s_mov_b32 s3, 0
	global_load_b128 v[21:24], v[25:26], off
	s_wait_loadcnt 0x0
	v_mul_f64_e32 v[27:28], s[6:7], v[23:24]
	v_mul_f64_e32 v[23:24], s[4:5], v[23:24]
	s_delay_alu instid0(VALU_DEP_2) | instskip(NEXT) | instid1(VALU_DEP_2)
	v_fma_f64 v[27:28], s[4:5], v[21:22], -v[27:28]
	v_fma_f64 v[23:24], s[6:7], v[21:22], v[23:24]
	s_delay_alu instid0(VALU_DEP_2) | instskip(NEXT) | instid1(VALU_DEP_2)
	v_add_f64_e32 v[21:22], v[1:2], v[27:28]
	v_add_f64_e32 v[23:24], v[3:4], v[23:24]
	global_store_b128 v[25:26], v[21:24], off
.LBB112_36:                             ;   in Loop: Header=BB112_7 Depth=1
	s_wait_alu 0xfffe
	s_and_not1_b32 vcc_lo, exec_lo, s3
	s_wait_alu 0xfffe
	s_cbranch_vccnz .LBB112_6
; %bb.37:                               ;   in Loop: Header=BB112_7 Depth=1
	v_add_co_u32 v17, vcc_lo, v19, v17
	s_wait_alu 0xfffd
	v_add_co_ci_u32_e64 v18, null, v20, v18, vcc_lo
	global_store_b128 v[17:18], v[1:4], off
	s_branch .LBB112_6
.LBB112_38:
.LBB112_39:
	s_endpgm
	.section	.rodata,"a",@progbits
	.p2align	6, 0x0
	.amdhsa_kernel _ZL29rocblas_internal_gemmt_kernelIiLi16ELi32ELi8ELc84ELc84ELc85ELb0ELb0E19rocblas_complex_numIdEPKS1_S3_PS1_EviT_T9_T10_S5_lS7_S5_lS6_T11_S5_li
		.amdhsa_group_segment_fixed_size 8192
		.amdhsa_private_segment_fixed_size 0
		.amdhsa_kernarg_size 100
		.amdhsa_user_sgpr_count 2
		.amdhsa_user_sgpr_dispatch_ptr 0
		.amdhsa_user_sgpr_queue_ptr 0
		.amdhsa_user_sgpr_kernarg_segment_ptr 1
		.amdhsa_user_sgpr_dispatch_id 0
		.amdhsa_user_sgpr_private_segment_size 0
		.amdhsa_wavefront_size32 1
		.amdhsa_uses_dynamic_stack 0
		.amdhsa_enable_private_segment 0
		.amdhsa_system_sgpr_workgroup_id_x 1
		.amdhsa_system_sgpr_workgroup_id_y 1
		.amdhsa_system_sgpr_workgroup_id_z 1
		.amdhsa_system_sgpr_workgroup_info 0
		.amdhsa_system_vgpr_workitem_id 1
		.amdhsa_next_free_vgpr 65
		.amdhsa_next_free_sgpr 40
		.amdhsa_reserve_vcc 1
		.amdhsa_float_round_mode_32 0
		.amdhsa_float_round_mode_16_64 0
		.amdhsa_float_denorm_mode_32 3
		.amdhsa_float_denorm_mode_16_64 3
		.amdhsa_fp16_overflow 0
		.amdhsa_workgroup_processor_mode 1
		.amdhsa_memory_ordered 1
		.amdhsa_forward_progress 1
		.amdhsa_inst_pref_size 29
		.amdhsa_round_robin_scheduling 0
		.amdhsa_exception_fp_ieee_invalid_op 0
		.amdhsa_exception_fp_denorm_src 0
		.amdhsa_exception_fp_ieee_div_zero 0
		.amdhsa_exception_fp_ieee_overflow 0
		.amdhsa_exception_fp_ieee_underflow 0
		.amdhsa_exception_fp_ieee_inexact 0
		.amdhsa_exception_int_div_zero 0
	.end_amdhsa_kernel
	.section	.text._ZL29rocblas_internal_gemmt_kernelIiLi16ELi32ELi8ELc84ELc84ELc85ELb0ELb0E19rocblas_complex_numIdEPKS1_S3_PS1_EviT_T9_T10_S5_lS7_S5_lS6_T11_S5_li,"axG",@progbits,_ZL29rocblas_internal_gemmt_kernelIiLi16ELi32ELi8ELc84ELc84ELc85ELb0ELb0E19rocblas_complex_numIdEPKS1_S3_PS1_EviT_T9_T10_S5_lS7_S5_lS6_T11_S5_li,comdat
.Lfunc_end112:
	.size	_ZL29rocblas_internal_gemmt_kernelIiLi16ELi32ELi8ELc84ELc84ELc85ELb0ELb0E19rocblas_complex_numIdEPKS1_S3_PS1_EviT_T9_T10_S5_lS7_S5_lS6_T11_S5_li, .Lfunc_end112-_ZL29rocblas_internal_gemmt_kernelIiLi16ELi32ELi8ELc84ELc84ELc85ELb0ELb0E19rocblas_complex_numIdEPKS1_S3_PS1_EviT_T9_T10_S5_lS7_S5_lS6_T11_S5_li
                                        ; -- End function
	.set _ZL29rocblas_internal_gemmt_kernelIiLi16ELi32ELi8ELc84ELc84ELc85ELb0ELb0E19rocblas_complex_numIdEPKS1_S3_PS1_EviT_T9_T10_S5_lS7_S5_lS6_T11_S5_li.num_vgpr, 65
	.set _ZL29rocblas_internal_gemmt_kernelIiLi16ELi32ELi8ELc84ELc84ELc85ELb0ELb0E19rocblas_complex_numIdEPKS1_S3_PS1_EviT_T9_T10_S5_lS7_S5_lS6_T11_S5_li.num_agpr, 0
	.set _ZL29rocblas_internal_gemmt_kernelIiLi16ELi32ELi8ELc84ELc84ELc85ELb0ELb0E19rocblas_complex_numIdEPKS1_S3_PS1_EviT_T9_T10_S5_lS7_S5_lS6_T11_S5_li.numbered_sgpr, 40
	.set _ZL29rocblas_internal_gemmt_kernelIiLi16ELi32ELi8ELc84ELc84ELc85ELb0ELb0E19rocblas_complex_numIdEPKS1_S3_PS1_EviT_T9_T10_S5_lS7_S5_lS6_T11_S5_li.num_named_barrier, 0
	.set _ZL29rocblas_internal_gemmt_kernelIiLi16ELi32ELi8ELc84ELc84ELc85ELb0ELb0E19rocblas_complex_numIdEPKS1_S3_PS1_EviT_T9_T10_S5_lS7_S5_lS6_T11_S5_li.private_seg_size, 0
	.set _ZL29rocblas_internal_gemmt_kernelIiLi16ELi32ELi8ELc84ELc84ELc85ELb0ELb0E19rocblas_complex_numIdEPKS1_S3_PS1_EviT_T9_T10_S5_lS7_S5_lS6_T11_S5_li.uses_vcc, 1
	.set _ZL29rocblas_internal_gemmt_kernelIiLi16ELi32ELi8ELc84ELc84ELc85ELb0ELb0E19rocblas_complex_numIdEPKS1_S3_PS1_EviT_T9_T10_S5_lS7_S5_lS6_T11_S5_li.uses_flat_scratch, 0
	.set _ZL29rocblas_internal_gemmt_kernelIiLi16ELi32ELi8ELc84ELc84ELc85ELb0ELb0E19rocblas_complex_numIdEPKS1_S3_PS1_EviT_T9_T10_S5_lS7_S5_lS6_T11_S5_li.has_dyn_sized_stack, 0
	.set _ZL29rocblas_internal_gemmt_kernelIiLi16ELi32ELi8ELc84ELc84ELc85ELb0ELb0E19rocblas_complex_numIdEPKS1_S3_PS1_EviT_T9_T10_S5_lS7_S5_lS6_T11_S5_li.has_recursion, 0
	.set _ZL29rocblas_internal_gemmt_kernelIiLi16ELi32ELi8ELc84ELc84ELc85ELb0ELb0E19rocblas_complex_numIdEPKS1_S3_PS1_EviT_T9_T10_S5_lS7_S5_lS6_T11_S5_li.has_indirect_call, 0
	.section	.AMDGPU.csdata,"",@progbits
; Kernel info:
; codeLenInByte = 3712
; TotalNumSgprs: 42
; NumVgprs: 65
; ScratchSize: 0
; MemoryBound: 0
; FloatMode: 240
; IeeeMode: 1
; LDSByteSize: 8192 bytes/workgroup (compile time only)
; SGPRBlocks: 0
; VGPRBlocks: 8
; NumSGPRsForWavesPerEU: 42
; NumVGPRsForWavesPerEU: 65
; Occupancy: 16
; WaveLimiterHint : 0
; COMPUTE_PGM_RSRC2:SCRATCH_EN: 0
; COMPUTE_PGM_RSRC2:USER_SGPR: 2
; COMPUTE_PGM_RSRC2:TRAP_HANDLER: 0
; COMPUTE_PGM_RSRC2:TGID_X_EN: 1
; COMPUTE_PGM_RSRC2:TGID_Y_EN: 1
; COMPUTE_PGM_RSRC2:TGID_Z_EN: 1
; COMPUTE_PGM_RSRC2:TIDIG_COMP_CNT: 1
	.section	.text._ZL29rocblas_internal_gemmt_kernelIiLi16ELi32ELi8ELc84ELc67ELc85ELb0ELb1E19rocblas_complex_numIdEPKS1_S3_PS1_EviT_T9_T10_S5_lS7_S5_lS6_T11_S5_li,"axG",@progbits,_ZL29rocblas_internal_gemmt_kernelIiLi16ELi32ELi8ELc84ELc67ELc85ELb0ELb1E19rocblas_complex_numIdEPKS1_S3_PS1_EviT_T9_T10_S5_lS7_S5_lS6_T11_S5_li,comdat
	.globl	_ZL29rocblas_internal_gemmt_kernelIiLi16ELi32ELi8ELc84ELc67ELc85ELb0ELb1E19rocblas_complex_numIdEPKS1_S3_PS1_EviT_T9_T10_S5_lS7_S5_lS6_T11_S5_li ; -- Begin function _ZL29rocblas_internal_gemmt_kernelIiLi16ELi32ELi8ELc84ELc67ELc85ELb0ELb1E19rocblas_complex_numIdEPKS1_S3_PS1_EviT_T9_T10_S5_lS7_S5_lS6_T11_S5_li
	.p2align	8
	.type	_ZL29rocblas_internal_gemmt_kernelIiLi16ELi32ELi8ELc84ELc67ELc85ELb0ELb1E19rocblas_complex_numIdEPKS1_S3_PS1_EviT_T9_T10_S5_lS7_S5_lS6_T11_S5_li,@function
_ZL29rocblas_internal_gemmt_kernelIiLi16ELi32ELi8ELc84ELc67ELc85ELb0ELb1E19rocblas_complex_numIdEPKS1_S3_PS1_EviT_T9_T10_S5_lS7_S5_lS6_T11_S5_li: ; @_ZL29rocblas_internal_gemmt_kernelIiLi16ELi32ELi8ELc84ELc67ELc85ELb0ELb1E19rocblas_complex_numIdEPKS1_S3_PS1_EviT_T9_T10_S5_lS7_S5_lS6_T11_S5_li
; %bb.0:
	s_load_b128 s[12:15], s[0:1], 0x38
	s_wait_kmcnt 0x0
	s_load_b128 s[4:7], s[14:15], 0x0
	s_clause 0x1
	s_load_b128 s[16:19], s[0:1], 0x8
	s_load_b64 s[14:15], s[0:1], 0x0
	s_wait_kmcnt 0x0
	s_load_b128 s[8:11], s[16:17], 0x0
	v_cmp_eq_f64_e64 s2, s[4:5], 1.0
	v_cmp_eq_f64_e64 s33, s[6:7], 0
	s_and_b32 s2, s2, s33
	s_delay_alu instid0(SALU_CYCLE_1)
	s_and_not1_b32 vcc_lo, exec_lo, s2
	s_mov_b32 s2, -1
	s_cbranch_vccnz .LBB113_3
; %bb.1:
	s_cmp_lg_u32 s15, 0
	s_cbranch_scc0 .LBB113_36
; %bb.2:
	s_wait_kmcnt 0x0
	v_cmp_neq_f64_e64 s2, s[8:9], 0
	v_cmp_neq_f64_e64 s3, s[10:11], 0
	s_or_b32 s2, s2, s3
.LBB113_3:
	s_delay_alu instid0(SALU_CYCLE_1)
	s_and_b32 vcc_lo, exec_lo, s2
	s_cbranch_vccz .LBB113_37
; %bb.4:
	s_load_b32 s27, s[0:1], 0x60
	s_lshr_b32 s16, ttmp7, 16
	s_wait_kmcnt 0x0
	s_cmp_ge_u32 s16, s27
	s_cbranch_scc1 .LBB113_37
; %bb.5:
	v_cmp_neq_f64_e64 s34, s[8:9], 0
	v_cmp_neq_f64_e64 s35, s[10:11], 0
	v_and_b32_e32 v1, 0x3ff, v0
	v_bfe_u32 v2, v0, 10, 10
	s_clause 0x4
	s_load_b32 s37, s[0:1], 0x18
	s_load_b128 s[20:23], s[0:1], 0x20
	s_load_b32 s30, s[0:1], 0x30
	s_load_b96 s[24:26], s[0:1], 0x48
	s_load_b64 s[28:29], s[0:1], 0x58
	v_and_b32_e32 v37, 7, v0
	s_lshl_b32 s0, ttmp9, 5
	v_lshlrev_b32_e32 v38, 4, v1
	v_lshl_add_u32 v0, v2, 4, v1
	v_add_nc_u32_e32 v5, s0, v1
	v_lshlrev_b32_e32 v3, 4, v37
	s_lshl_b32 s1, ttmp7, 5
	v_cmp_neq_f64_e64 s36, s[4:5], 0
	v_lshrrev_b32_e32 v40, 5, v0
	v_and_b32_e32 v1, 31, v0
	v_lshrrev_b32_e32 v0, 3, v0
	s_wait_alu 0xfffe
	s_and_b32 s2, s1, 0x1fffe0
	v_lshl_add_u32 v39, v2, 7, 0x1000
	v_add_nc_u32_e32 v2, s2, v2
	v_add_nc_u32_e32 v7, 16, v5
	v_or_b32_e32 v4, s0, v1
	v_add_nc_u32_e32 v11, s2, v0
	v_lshlrev_b32_e32 v1, 4, v1
	v_lshl_or_b32 v0, v0, 7, v3
	v_cmp_gt_i32_e32 vcc_lo, s14, v2
	v_cmp_le_i32_e64 s1, v5, v2
	v_cmp_le_i32_e64 s2, v7, v2
	v_lshl_or_b32 v41, v40, 9, v1
	v_add_nc_u32_e32 v42, 0x1000, v0
	s_wait_kmcnt 0x0
	v_mad_co_i64_i32 v[0:1], null, v2, s26, 0
	v_add_nc_u32_e32 v12, 16, v2
	v_mad_co_i64_i32 v[2:3], null, s37, v4, 0
	v_mad_co_i64_i32 v[9:10], null, s30, v37, 0
	s_ashr_i32 s31, s30, 31
	v_cmp_gt_i32_e64 s3, s14, v4
	v_lshlrev_b32_e32 v4, 4, v40
	s_or_b32 s38, s34, s35
	s_cmp_gt_i32 s15, 0
	v_lshlrev_b64_e32 v[2:3], 4, v[2:3]
	s_cselect_b32 s39, -1, 0
	s_and_b32 s34, vcc_lo, s1
	s_and_b32 s35, vcc_lo, s2
	v_cmp_gt_i32_e32 vcc_lo, s14, v12
	v_cmp_le_i32_e64 s1, v5, v12
	v_cmp_le_i32_e64 s2, v7, v12
	v_lshlrev_b64_e32 v[9:10], 4, v[9:10]
	v_cmp_gt_i32_e64 s0, s14, v11
	v_lshlrev_b32_e32 v11, 4, v11
	s_and_b32 s1, vcc_lo, s1
	s_and_b32 s14, vcc_lo, s2
	v_add_co_u32 v2, vcc_lo, v2, v4
	s_delay_alu instid0(VALU_DEP_1)
	v_add_co_ci_u32_e64 v3, null, 0, v3, vcc_lo
	v_add_co_u32 v4, vcc_lo, v9, v11
	s_wait_alu 0xfffd
	v_add_co_ci_u32_e64 v11, null, 0, v10, vcc_lo
	v_mad_co_i64_i32 v[15:16], null, v12, s26, 0
	v_add_co_u32 v9, vcc_lo, s18, v2
	s_wait_alu 0xfffd
	v_add_co_ci_u32_e64 v10, null, s19, v3, vcc_lo
	v_add_co_u32 v2, vcc_lo, s22, v4
	s_wait_alu 0xfffd
	v_add_co_ci_u32_e64 v3, null, s23, v11, vcc_lo
	v_lshlrev_b64_e32 v[13:14], 4, v[0:1]
	s_delay_alu instid0(VALU_DEP_3)
	v_add_co_u32 v11, vcc_lo, v2, 8
	v_lshlrev_b64_e32 v[15:16], 4, v[15:16]
	v_ashrrev_i32_e32 v6, 31, v5
	v_ashrrev_i32_e32 v8, 31, v7
	s_wait_alu 0xfffd
	v_add_co_ci_u32_e64 v12, null, 0, v3, vcc_lo
	v_mov_b32_e32 v0, 0
	s_xor_b32 s33, s33, -1
	s_mov_b32 s17, 0
	s_or_b32 s33, s36, s33
	s_lshl_b64 s[18:19], s[20:21], 4
	s_and_b32 s22, s38, s39
	s_lshl_b64 s[12:13], s[12:13], 4
	s_wait_alu 0xfffe
	s_lshl_b64 s[20:21], s[30:31], 7
	s_xor_b32 s23, s3, -1
	s_branch .LBB113_7
.LBB113_6:                              ;   in Loop: Header=BB113_7 Depth=1
	s_wait_alu 0xfffe
	s_or_b32 exec_lo, exec_lo, s2
	s_add_co_i32 s16, s16, 0x10000
	s_wait_alu 0xfffe
	s_cmp_lt_u32 s16, s27
	s_cbranch_scc0 .LBB113_37
.LBB113_7:                              ; =>This Loop Header: Depth=1
                                        ;     Child Loop BB113_10 Depth 2
	v_mov_b32_e32 v33, 0
	v_mov_b32_e32 v29, 0
	;; [unrolled: 1-line block ×3, first 2 shown]
	v_dual_mov_b32 v23, 0 :: v_dual_mov_b32 v34, 0
	v_dual_mov_b32 v35, 0 :: v_dual_mov_b32 v30, 0
	;; [unrolled: 1-line block ×5, first 2 shown]
	v_mov_b32_e32 v32, 0
	v_mov_b32_e32 v28, 0
	;; [unrolled: 1-line block ×3, first 2 shown]
	s_and_not1_b32 vcc_lo, exec_lo, s22
	s_wait_alu 0xfffe
	s_cbranch_vccnz .LBB113_16
; %bb.8:                                ;   in Loop: Header=BB113_7 Depth=1
	v_mad_co_u64_u32 v[17:18], null, s18, s16, v[9:10]
	v_mad_co_u64_u32 v[19:20], null, s12, s16, v[11:12]
	v_mov_b32_e32 v21, 0
	v_mov_b32_e32 v23, 0
	;; [unrolled: 1-line block ×4, first 2 shown]
	v_dual_mov_b32 v1, v18 :: v_dual_mov_b32 v22, 0
	v_mov_b32_e32 v2, v20
	v_dual_mov_b32 v24, 0 :: v_dual_mov_b32 v27, 0
	v_dual_mov_b32 v26, 0 :: v_dual_mov_b32 v31, 0
	s_delay_alu instid0(VALU_DEP_3)
	v_mad_co_u64_u32 v[3:4], null, s19, s16, v[1:2]
	v_dual_mov_b32 v30, 0 :: v_dual_mov_b32 v35, 0
	v_dual_mov_b32 v33, 0 :: v_dual_mov_b32 v28, 0
	v_mov_b32_e32 v32, 0
	v_mov_b32_e32 v36, 0
	v_mad_co_u64_u32 v[1:2], null, s13, s16, v[2:3]
	v_mov_b32_e32 v34, 0
	v_mov_b32_e32 v18, v3
	s_mov_b32 s2, 0
	s_delay_alu instid0(VALU_DEP_3)
	v_mov_b32_e32 v20, v1
	s_branch .LBB113_10
.LBB113_9:                              ;   in Loop: Header=BB113_10 Depth=2
	s_wait_alu 0xfffe
	s_or_b32 exec_lo, exec_lo, s3
	ds_store_b128 v42, v[1:4]
	s_wait_dscnt 0x0
	s_barrier_signal -1
	s_barrier_wait -1
	global_inv scope:SCOPE_SE
	ds_load_b128 v[1:4], v39
	ds_load_b128 v[43:46], v38
	ds_load_b128 v[47:50], v38 offset:256
	ds_load_b128 v[51:54], v39 offset:2048
	;; [unrolled: 1-line block ×10, first 2 shown]
	v_add_co_u32 v17, vcc_lo, 0x80, v17
	s_wait_alu 0xfffd
	v_add_co_ci_u32_e64 v18, null, 0, v18, vcc_lo
	v_add_co_u32 v19, vcc_lo, v19, s20
	s_wait_alu 0xfffd
	v_add_co_ci_u32_e64 v20, null, s21, v20, vcc_lo
	s_add_co_i32 s2, s2, 8
	s_wait_alu 0xfffe
	s_cmp_lt_i32 s2, s15
	s_wait_dscnt 0xa
	v_mul_f64_e32 v[87:88], v[3:4], v[45:46]
	v_mul_f64_e32 v[89:90], v[1:2], v[45:46]
	s_wait_dscnt 0x9
	v_mul_f64_e32 v[91:92], v[3:4], v[49:50]
	v_mul_f64_e32 v[93:94], v[1:2], v[49:50]
	;; [unrolled: 3-line block ×3, first 2 shown]
	v_mul_f64_e32 v[97:98], v[53:54], v[49:50]
	v_mul_f64_e32 v[49:50], v[51:52], v[49:50]
	s_wait_dscnt 0x5
	v_mul_f64_e32 v[99:100], v[57:58], v[65:66]
	v_mul_f64_e32 v[101:102], v[55:56], v[65:66]
	s_wait_dscnt 0x4
	v_mul_f64_e32 v[103:104], v[57:58], v[69:70]
	v_mul_f64_e32 v[105:106], v[55:56], v[69:70]
	;; [unrolled: 1-line block ×6, first 2 shown]
	s_wait_dscnt 0x2
	v_mul_f64_e32 v[115:116], v[73:74], v[77:78]
	v_mul_f64_e32 v[117:118], v[71:72], v[77:78]
	s_wait_dscnt 0x1
	v_mul_f64_e32 v[119:120], v[73:74], v[81:82]
	v_mul_f64_e32 v[121:122], v[71:72], v[81:82]
	;; [unrolled: 3-line block ×3, first 2 shown]
	v_mul_f64_e32 v[125:126], v[85:86], v[81:82]
	v_mul_f64_e32 v[81:82], v[83:84], v[81:82]
	v_fma_f64 v[87:88], v[1:2], v[43:44], -v[87:88]
	v_fma_f64 v[89:90], v[3:4], v[43:44], v[89:90]
	v_fma_f64 v[91:92], v[1:2], v[47:48], -v[91:92]
	v_fma_f64 v[93:94], v[3:4], v[47:48], v[93:94]
	;; [unrolled: 2-line block ×8, first 2 shown]
	ds_load_b128 v[1:4], v39 offset:48
	ds_load_b128 v[43:46], v39 offset:2096
	;; [unrolled: 1-line block ×4, first 2 shown]
	v_fma_f64 v[115:116], v[71:72], v[75:76], -v[115:116]
	v_fma_f64 v[117:118], v[73:74], v[75:76], v[117:118]
	v_fma_f64 v[71:72], v[71:72], v[79:80], -v[119:120]
	v_fma_f64 v[73:74], v[73:74], v[79:80], v[121:122]
	v_fma_f64 v[119:120], v[83:84], v[75:76], -v[123:124]
	v_fma_f64 v[75:76], v[85:86], v[75:76], v[77:78]
	v_fma_f64 v[77:78], v[83:84], v[79:80], -v[125:126]
	v_fma_f64 v[79:80], v[85:86], v[79:80], v[81:82]
	s_wait_dscnt 0x1
	v_mul_f64_e32 v[105:106], v[1:2], v[49:50]
	s_wait_dscnt 0x0
	v_mul_f64_e32 v[107:108], v[3:4], v[53:54]
	v_mul_f64_e32 v[109:110], v[1:2], v[53:54]
	v_add_f64_e32 v[65:66], v[33:34], v[87:88]
	v_add_f64_e32 v[67:68], v[89:90], v[35:36]
	;; [unrolled: 1-line block ×8, first 2 shown]
	v_mul_f64_e32 v[97:98], v[3:4], v[49:50]
	v_mul_f64_e32 v[111:112], v[45:46], v[49:50]
	;; [unrolled: 1-line block ×5, first 2 shown]
	ds_load_b128 v[21:24], v39 offset:64
	ds_load_b128 v[25:28], v38 offset:2048
	;; [unrolled: 1-line block ×4, first 2 shown]
	s_wait_dscnt 0x0
	v_mul_f64_e32 v[121:122], v[35:36], v[27:28]
	v_mul_f64_e32 v[123:124], v[35:36], v[31:32]
	v_fma_f64 v[105:106], v[3:4], v[47:48], v[105:106]
	v_fma_f64 v[107:108], v[1:2], v[51:52], -v[107:108]
	v_fma_f64 v[109:110], v[3:4], v[51:52], v[109:110]
	v_add_f64_e32 v[81:82], v[65:66], v[99:100]
	v_add_f64_e32 v[83:84], v[101:102], v[67:68]
	;; [unrolled: 1-line block ×8, first 2 shown]
	v_mul_f64_e32 v[95:96], v[23:24], v[27:28]
	v_mul_f64_e32 v[99:100], v[21:22], v[27:28]
	;; [unrolled: 1-line block ×6, first 2 shown]
	v_fma_f64 v[97:98], v[1:2], v[47:48], -v[97:98]
	v_fma_f64 v[111:112], v[43:44], v[47:48], -v[111:112]
	v_fma_f64 v[125:126], v[45:46], v[47:48], v[49:50]
	v_fma_f64 v[113:114], v[43:44], v[51:52], -v[113:114]
	v_fma_f64 v[51:52], v[45:46], v[51:52], v[127:128]
	ds_load_b128 v[53:56], v39 offset:80
	ds_load_b128 v[57:60], v39 offset:2128
	;; [unrolled: 1-line block ×4, first 2 shown]
	v_fma_f64 v[121:122], v[33:34], v[25:26], -v[121:122]
	v_fma_f64 v[123:124], v[33:34], v[29:30], -v[123:124]
	v_add_f64_e32 v[81:82], v[81:82], v[115:116]
	v_add_f64_e32 v[83:84], v[117:118], v[83:84]
	;; [unrolled: 1-line block ×8, first 2 shown]
	s_wait_dscnt 0x1
	v_mul_f64_e32 v[87:88], v[55:56], v[63:64]
	v_mul_f64_e32 v[89:90], v[53:54], v[63:64]
	s_wait_dscnt 0x0
	v_mul_f64_e32 v[91:92], v[55:56], v[67:68]
	v_mul_f64_e32 v[93:94], v[53:54], v[67:68]
	;; [unrolled: 1-line block ×6, first 2 shown]
	v_fma_f64 v[95:96], v[21:22], v[25:26], -v[95:96]
	v_fma_f64 v[99:100], v[23:24], v[25:26], v[99:100]
	v_fma_f64 v[101:102], v[21:22], v[29:30], -v[101:102]
	v_fma_f64 v[103:104], v[23:24], v[29:30], v[103:104]
	v_fma_f64 v[127:128], v[35:36], v[25:26], v[27:28]
	v_fma_f64 v[129:130], v[35:36], v[29:30], v[31:32]
	ds_load_b128 v[1:4], v39 offset:96
	ds_load_b128 v[43:46], v38 offset:3072
	ds_load_b128 v[47:50], v38 offset:3328
	ds_load_b128 v[69:72], v39 offset:2144
	ds_load_b128 v[21:24], v39 offset:112
	ds_load_b128 v[25:28], v39 offset:2160
	ds_load_b128 v[29:32], v38 offset:3584
	ds_load_b128 v[33:36], v38 offset:3840
	s_wait_loadcnt_dscnt 0x0
	s_barrier_signal -1
	s_barrier_wait -1
	global_inv scope:SCOPE_SE
	v_add_f64_e32 v[81:82], v[81:82], v[97:98]
	v_add_f64_e32 v[83:84], v[105:106], v[83:84]
	;; [unrolled: 1-line block ×8, first 2 shown]
	v_mul_f64_e32 v[79:80], v[3:4], v[45:46]
	v_mul_f64_e32 v[105:106], v[1:2], v[45:46]
	v_mul_f64_e32 v[107:108], v[3:4], v[49:50]
	v_mul_f64_e32 v[109:110], v[1:2], v[49:50]
	v_mul_f64_e32 v[111:112], v[71:72], v[45:46]
	v_mul_f64_e32 v[45:46], v[69:70], v[45:46]
	v_mul_f64_e32 v[113:114], v[71:72], v[49:50]
	v_mul_f64_e32 v[49:50], v[69:70], v[49:50]
	v_fma_f64 v[87:88], v[53:54], v[61:62], -v[87:88]
	v_fma_f64 v[89:90], v[55:56], v[61:62], v[89:90]
	v_fma_f64 v[53:54], v[53:54], v[65:66], -v[91:92]
	v_fma_f64 v[55:56], v[55:56], v[65:66], v[93:94]
	;; [unrolled: 2-line block ×4, first 2 shown]
	v_mul_f64_e32 v[93:94], v[23:24], v[35:36]
	v_add_f64_e32 v[63:64], v[81:82], v[95:96]
	v_add_f64_e32 v[65:66], v[99:100], v[83:84]
	;; [unrolled: 1-line block ×8, first 2 shown]
	v_mul_f64_e32 v[83:84], v[23:24], v[31:32]
	v_mul_f64_e32 v[85:86], v[21:22], v[31:32]
	;; [unrolled: 1-line block ×7, first 2 shown]
	v_fma_f64 v[79:80], v[1:2], v[43:44], -v[79:80]
	v_fma_f64 v[101:102], v[3:4], v[43:44], v[105:106]
	v_fma_f64 v[1:2], v[1:2], v[47:48], -v[107:108]
	v_fma_f64 v[3:4], v[3:4], v[47:48], v[109:110]
	v_fma_f64 v[103:104], v[69:70], v[43:44], -v[111:112]
	v_fma_f64 v[43:44], v[71:72], v[43:44], v[45:46]
	v_fma_f64 v[45:46], v[69:70], v[47:48], -v[113:114]
	v_fma_f64 v[47:48], v[71:72], v[47:48], v[49:50]
	v_add_f64_e32 v[49:50], v[63:64], v[87:88]
	v_add_f64_e32 v[63:64], v[89:90], v[65:66]
	v_add_f64_e32 v[53:54], v[67:68], v[53:54]
	v_add_f64_e32 v[55:56], v[55:56], v[73:74]
	v_add_f64_e32 v[65:66], v[81:82], v[91:92]
	v_add_f64_e32 v[61:62], v[61:62], v[75:76]
	v_add_f64_e32 v[57:58], v[77:78], v[57:58]
	v_add_f64_e32 v[51:52], v[59:60], v[51:52]
	v_fma_f64 v[59:60], v[21:22], v[29:30], -v[83:84]
	v_fma_f64 v[67:68], v[23:24], v[29:30], v[85:86]
	v_fma_f64 v[21:22], v[21:22], v[33:34], -v[93:94]
	v_fma_f64 v[23:24], v[23:24], v[33:34], v[95:96]
	;; [unrolled: 2-line block ×4, first 2 shown]
	v_add_f64_e32 v[25:26], v[49:50], v[79:80]
	v_add_f64_e32 v[27:28], v[101:102], v[63:64]
	;; [unrolled: 1-line block ×16, first 2 shown]
	s_cbranch_scc0 .LBB113_16
.LBB113_10:                             ;   Parent Loop BB113_7 Depth=1
                                        ; =>  This Inner Loop Header: Depth=2
	s_wait_alu 0xfffe
	v_add_nc_u32_e32 v1, s2, v40
	s_delay_alu instid0(VALU_DEP_1)
	v_cmp_le_i32_e32 vcc_lo, s15, v1
	s_or_b32 s3, s23, vcc_lo
	s_wait_alu 0xfffe
	s_and_saveexec_b32 s26, s3
	s_wait_alu 0xfffe
	s_xor_b32 s3, exec_lo, s26
; %bb.11:                               ;   in Loop: Header=BB113_10 Depth=2
	v_dual_mov_b32 v1, v0 :: v_dual_mov_b32 v2, v0
	v_mov_b32_e32 v3, v0
	ds_store_b128 v41, v[0:3]
; %bb.12:                               ;   in Loop: Header=BB113_10 Depth=2
	s_wait_alu 0xfffe
	s_and_not1_saveexec_b32 s3, s3
	s_cbranch_execz .LBB113_14
; %bb.13:                               ;   in Loop: Header=BB113_10 Depth=2
	global_load_b128 v[1:4], v[17:18], off
	s_wait_loadcnt 0x0
	ds_store_2addr_b64 v41, v[1:2], v[3:4] offset1:1
.LBB113_14:                             ;   in Loop: Header=BB113_10 Depth=2
	s_wait_alu 0xfffe
	s_or_b32 exec_lo, exec_lo, s3
	v_add_nc_u32_e32 v1, s2, v37
	v_mov_b32_e32 v3, 0
	v_mov_b32_e32 v4, 0
	s_delay_alu instid0(VALU_DEP_3)
	v_cmp_gt_i32_e32 vcc_lo, s15, v1
	v_mov_b32_e32 v1, 0
	v_mov_b32_e32 v2, 0
	s_and_b32 s26, vcc_lo, s0
	s_wait_alu 0xfffe
	s_and_saveexec_b32 s3, s26
	s_cbranch_execz .LBB113_9
; %bb.15:                               ;   in Loop: Header=BB113_10 Depth=2
	global_load_b128 v[1:4], v[19:20], off offset:-8
	s_wait_loadcnt 0x0
	v_xor_b32_e32 v4, 0x80000000, v4
	s_branch .LBB113_9
.LBB113_16:                             ;   in Loop: Header=BB113_7 Depth=1
	s_mul_u64 s[2:3], s[28:29], s[16:17]
	s_wait_alu 0xfffe
	s_lshl_b64 s[2:3], s[2:3], 4
	s_wait_alu 0xfffe
	s_add_nc_u64 s[2:3], s[24:25], s[2:3]
	s_wait_alu 0xfffe
	v_add_co_u32 v17, vcc_lo, s2, v13
	s_wait_alu 0xfffd
	v_add_co_ci_u32_e64 v18, null, s3, v14, vcc_lo
	s_and_saveexec_b32 s26, s34
	s_cbranch_execz .LBB113_21
; %bb.17:                               ;   in Loop: Header=BB113_7 Depth=1
	v_mul_f64_e32 v[1:2], s[10:11], v[35:36]
	v_mul_f64_e32 v[3:4], s[8:9], v[35:36]
	s_and_b32 vcc_lo, exec_lo, s33
	s_mov_b32 s30, -1
	s_delay_alu instid0(VALU_DEP_2) | instskip(NEXT) | instid1(VALU_DEP_2)
	v_fma_f64 v[1:2], s[8:9], v[33:34], -v[1:2]
	v_fma_f64 v[3:4], s[10:11], v[33:34], v[3:4]
	s_wait_alu 0xfffe
	s_cbranch_vccz .LBB113_19
; %bb.18:                               ;   in Loop: Header=BB113_7 Depth=1
	v_lshlrev_b64_e32 v[19:20], 4, v[5:6]
	s_mov_b32 s30, 0
	s_delay_alu instid0(VALU_DEP_1) | instskip(SKIP_1) | instid1(VALU_DEP_2)
	v_add_co_u32 v19, vcc_lo, v17, v19
	s_wait_alu 0xfffd
	v_add_co_ci_u32_e64 v20, null, v18, v20, vcc_lo
	global_load_b128 v[33:36], v[19:20], off
	s_wait_loadcnt 0x0
	v_mul_f64_e32 v[43:44], s[6:7], v[35:36]
	v_mul_f64_e32 v[35:36], s[4:5], v[35:36]
	s_delay_alu instid0(VALU_DEP_2) | instskip(NEXT) | instid1(VALU_DEP_2)
	v_fma_f64 v[43:44], s[4:5], v[33:34], -v[43:44]
	v_fma_f64 v[35:36], s[6:7], v[33:34], v[35:36]
	s_delay_alu instid0(VALU_DEP_2) | instskip(NEXT) | instid1(VALU_DEP_2)
	v_add_f64_e32 v[33:34], v[1:2], v[43:44]
	v_add_f64_e32 v[35:36], v[3:4], v[35:36]
	global_store_b128 v[19:20], v[33:36], off
.LBB113_19:                             ;   in Loop: Header=BB113_7 Depth=1
	s_wait_alu 0xfffe
	s_and_not1_b32 vcc_lo, exec_lo, s30
	s_wait_alu 0xfffe
	s_cbranch_vccnz .LBB113_21
; %bb.20:                               ;   in Loop: Header=BB113_7 Depth=1
	v_lshlrev_b64_e32 v[19:20], 4, v[5:6]
	s_delay_alu instid0(VALU_DEP_1) | instskip(SKIP_1) | instid1(VALU_DEP_2)
	v_add_co_u32 v19, vcc_lo, v17, v19
	s_wait_alu 0xfffd
	v_add_co_ci_u32_e64 v20, null, v18, v20, vcc_lo
	global_store_b128 v[19:20], v[1:4], off
.LBB113_21:                             ;   in Loop: Header=BB113_7 Depth=1
	s_wait_alu 0xfffe
	s_or_b32 exec_lo, exec_lo, s26
	s_and_saveexec_b32 s26, s35
	s_cbranch_execz .LBB113_26
; %bb.22:                               ;   in Loop: Header=BB113_7 Depth=1
	v_mul_f64_e32 v[1:2], s[10:11], v[31:32]
	v_mul_f64_e32 v[3:4], s[8:9], v[31:32]
	s_and_not1_b32 vcc_lo, exec_lo, s33
	s_mov_b32 s30, -1
	s_delay_alu instid0(VALU_DEP_2) | instskip(NEXT) | instid1(VALU_DEP_2)
	v_fma_f64 v[1:2], s[8:9], v[29:30], -v[1:2]
	v_fma_f64 v[3:4], s[10:11], v[29:30], v[3:4]
	s_wait_alu 0xfffe
	s_cbranch_vccnz .LBB113_24
; %bb.23:                               ;   in Loop: Header=BB113_7 Depth=1
	v_lshlrev_b64_e32 v[19:20], 4, v[7:8]
	s_mov_b32 s30, 0
	s_delay_alu instid0(VALU_DEP_1) | instskip(SKIP_1) | instid1(VALU_DEP_2)
	v_add_co_u32 v19, vcc_lo, v17, v19
	s_wait_alu 0xfffd
	v_add_co_ci_u32_e64 v20, null, v18, v20, vcc_lo
	global_load_b128 v[29:32], v[19:20], off
	s_wait_loadcnt 0x0
	v_mul_f64_e32 v[33:34], s[6:7], v[31:32]
	v_mul_f64_e32 v[31:32], s[4:5], v[31:32]
	s_delay_alu instid0(VALU_DEP_2) | instskip(NEXT) | instid1(VALU_DEP_2)
	v_fma_f64 v[33:34], s[4:5], v[29:30], -v[33:34]
	v_fma_f64 v[31:32], s[6:7], v[29:30], v[31:32]
	s_delay_alu instid0(VALU_DEP_2) | instskip(NEXT) | instid1(VALU_DEP_2)
	v_add_f64_e32 v[29:30], v[1:2], v[33:34]
	v_add_f64_e32 v[31:32], v[3:4], v[31:32]
	global_store_b128 v[19:20], v[29:32], off
.LBB113_24:                             ;   in Loop: Header=BB113_7 Depth=1
	s_wait_alu 0xfffe
	s_and_not1_b32 vcc_lo, exec_lo, s30
	s_wait_alu 0xfffe
	s_cbranch_vccnz .LBB113_26
; %bb.25:                               ;   in Loop: Header=BB113_7 Depth=1
	v_lshlrev_b64_e32 v[19:20], 4, v[7:8]
	s_delay_alu instid0(VALU_DEP_1) | instskip(SKIP_1) | instid1(VALU_DEP_2)
	v_add_co_u32 v17, vcc_lo, v17, v19
	s_wait_alu 0xfffd
	v_add_co_ci_u32_e64 v18, null, v18, v20, vcc_lo
	global_store_b128 v[17:18], v[1:4], off
.LBB113_26:                             ;   in Loop: Header=BB113_7 Depth=1
	s_wait_alu 0xfffe
	s_or_b32 exec_lo, exec_lo, s26
	v_add_co_u32 v19, vcc_lo, s2, v15
	s_wait_alu 0xfffd
	v_add_co_ci_u32_e64 v20, null, s3, v16, vcc_lo
	s_and_saveexec_b32 s2, s1
	s_cbranch_execz .LBB113_31
; %bb.27:                               ;   in Loop: Header=BB113_7 Depth=1
	v_mul_f64_e32 v[1:2], s[10:11], v[27:28]
	v_mul_f64_e32 v[3:4], s[8:9], v[27:28]
	v_lshlrev_b64_e32 v[17:18], 4, v[5:6]
	s_and_not1_b32 vcc_lo, exec_lo, s33
	s_mov_b32 s3, -1
	s_delay_alu instid0(VALU_DEP_3) | instskip(NEXT) | instid1(VALU_DEP_3)
	v_fma_f64 v[1:2], s[8:9], v[25:26], -v[1:2]
	v_fma_f64 v[3:4], s[10:11], v[25:26], v[3:4]
	s_wait_alu 0xfffe
	s_cbranch_vccnz .LBB113_29
; %bb.28:                               ;   in Loop: Header=BB113_7 Depth=1
	v_add_co_u32 v29, vcc_lo, v19, v17
	s_wait_alu 0xfffd
	v_add_co_ci_u32_e64 v30, null, v20, v18, vcc_lo
	s_mov_b32 s3, 0
	global_load_b128 v[25:28], v[29:30], off
	s_wait_loadcnt 0x0
	v_mul_f64_e32 v[31:32], s[6:7], v[27:28]
	v_mul_f64_e32 v[27:28], s[4:5], v[27:28]
	s_delay_alu instid0(VALU_DEP_2) | instskip(NEXT) | instid1(VALU_DEP_2)
	v_fma_f64 v[31:32], s[4:5], v[25:26], -v[31:32]
	v_fma_f64 v[27:28], s[6:7], v[25:26], v[27:28]
	s_delay_alu instid0(VALU_DEP_2) | instskip(NEXT) | instid1(VALU_DEP_2)
	v_add_f64_e32 v[25:26], v[1:2], v[31:32]
	v_add_f64_e32 v[27:28], v[3:4], v[27:28]
	global_store_b128 v[29:30], v[25:28], off
.LBB113_29:                             ;   in Loop: Header=BB113_7 Depth=1
	s_wait_alu 0xfffe
	s_and_not1_b32 vcc_lo, exec_lo, s3
	s_wait_alu 0xfffe
	s_cbranch_vccnz .LBB113_31
; %bb.30:                               ;   in Loop: Header=BB113_7 Depth=1
	v_add_co_u32 v17, vcc_lo, v19, v17
	s_wait_alu 0xfffd
	v_add_co_ci_u32_e64 v18, null, v20, v18, vcc_lo
	global_store_b128 v[17:18], v[1:4], off
.LBB113_31:                             ;   in Loop: Header=BB113_7 Depth=1
	s_wait_alu 0xfffe
	s_or_b32 exec_lo, exec_lo, s2
	s_and_saveexec_b32 s2, s14
	s_cbranch_execz .LBB113_6
; %bb.32:                               ;   in Loop: Header=BB113_7 Depth=1
	v_mul_f64_e32 v[1:2], s[10:11], v[21:22]
	v_mul_f64_e32 v[3:4], s[8:9], v[21:22]
	v_lshlrev_b64_e32 v[17:18], 4, v[7:8]
	s_and_not1_b32 vcc_lo, exec_lo, s33
	s_mov_b32 s3, -1
	s_delay_alu instid0(VALU_DEP_3) | instskip(NEXT) | instid1(VALU_DEP_3)
	v_fma_f64 v[1:2], s[8:9], v[23:24], -v[1:2]
	v_fma_f64 v[3:4], s[10:11], v[23:24], v[3:4]
	s_wait_alu 0xfffe
	s_cbranch_vccnz .LBB113_34
; %bb.33:                               ;   in Loop: Header=BB113_7 Depth=1
	v_add_co_u32 v25, vcc_lo, v19, v17
	s_wait_alu 0xfffd
	v_add_co_ci_u32_e64 v26, null, v20, v18, vcc_lo
	s_mov_b32 s3, 0
	global_load_b128 v[21:24], v[25:26], off
	s_wait_loadcnt 0x0
	v_mul_f64_e32 v[27:28], s[6:7], v[23:24]
	v_mul_f64_e32 v[23:24], s[4:5], v[23:24]
	s_delay_alu instid0(VALU_DEP_2) | instskip(NEXT) | instid1(VALU_DEP_2)
	v_fma_f64 v[27:28], s[4:5], v[21:22], -v[27:28]
	v_fma_f64 v[23:24], s[6:7], v[21:22], v[23:24]
	s_delay_alu instid0(VALU_DEP_2) | instskip(NEXT) | instid1(VALU_DEP_2)
	v_add_f64_e32 v[21:22], v[1:2], v[27:28]
	v_add_f64_e32 v[23:24], v[3:4], v[23:24]
	global_store_b128 v[25:26], v[21:24], off
.LBB113_34:                             ;   in Loop: Header=BB113_7 Depth=1
	s_wait_alu 0xfffe
	s_and_not1_b32 vcc_lo, exec_lo, s3
	s_wait_alu 0xfffe
	s_cbranch_vccnz .LBB113_6
; %bb.35:                               ;   in Loop: Header=BB113_7 Depth=1
	v_add_co_u32 v17, vcc_lo, v19, v17
	s_wait_alu 0xfffd
	v_add_co_ci_u32_e64 v18, null, v20, v18, vcc_lo
	global_store_b128 v[17:18], v[1:4], off
	s_branch .LBB113_6
.LBB113_36:
.LBB113_37:
	s_nop 0
	s_sendmsg sendmsg(MSG_DEALLOC_VGPRS)
	s_endpgm
	.section	.rodata,"a",@progbits
	.p2align	6, 0x0
	.amdhsa_kernel _ZL29rocblas_internal_gemmt_kernelIiLi16ELi32ELi8ELc84ELc67ELc85ELb0ELb1E19rocblas_complex_numIdEPKS1_S3_PS1_EviT_T9_T10_S5_lS7_S5_lS6_T11_S5_li
		.amdhsa_group_segment_fixed_size 8192
		.amdhsa_private_segment_fixed_size 0
		.amdhsa_kernarg_size 100
		.amdhsa_user_sgpr_count 2
		.amdhsa_user_sgpr_dispatch_ptr 0
		.amdhsa_user_sgpr_queue_ptr 0
		.amdhsa_user_sgpr_kernarg_segment_ptr 1
		.amdhsa_user_sgpr_dispatch_id 0
		.amdhsa_user_sgpr_private_segment_size 0
		.amdhsa_wavefront_size32 1
		.amdhsa_uses_dynamic_stack 0
		.amdhsa_enable_private_segment 0
		.amdhsa_system_sgpr_workgroup_id_x 1
		.amdhsa_system_sgpr_workgroup_id_y 1
		.amdhsa_system_sgpr_workgroup_id_z 1
		.amdhsa_system_sgpr_workgroup_info 0
		.amdhsa_system_vgpr_workitem_id 1
		.amdhsa_next_free_vgpr 131
		.amdhsa_next_free_sgpr 40
		.amdhsa_reserve_vcc 1
		.amdhsa_float_round_mode_32 0
		.amdhsa_float_round_mode_16_64 0
		.amdhsa_float_denorm_mode_32 3
		.amdhsa_float_denorm_mode_16_64 3
		.amdhsa_fp16_overflow 0
		.amdhsa_workgroup_processor_mode 1
		.amdhsa_memory_ordered 1
		.amdhsa_forward_progress 1
		.amdhsa_inst_pref_size 27
		.amdhsa_round_robin_scheduling 0
		.amdhsa_exception_fp_ieee_invalid_op 0
		.amdhsa_exception_fp_denorm_src 0
		.amdhsa_exception_fp_ieee_div_zero 0
		.amdhsa_exception_fp_ieee_overflow 0
		.amdhsa_exception_fp_ieee_underflow 0
		.amdhsa_exception_fp_ieee_inexact 0
		.amdhsa_exception_int_div_zero 0
	.end_amdhsa_kernel
	.section	.text._ZL29rocblas_internal_gemmt_kernelIiLi16ELi32ELi8ELc84ELc67ELc85ELb0ELb1E19rocblas_complex_numIdEPKS1_S3_PS1_EviT_T9_T10_S5_lS7_S5_lS6_T11_S5_li,"axG",@progbits,_ZL29rocblas_internal_gemmt_kernelIiLi16ELi32ELi8ELc84ELc67ELc85ELb0ELb1E19rocblas_complex_numIdEPKS1_S3_PS1_EviT_T9_T10_S5_lS7_S5_lS6_T11_S5_li,comdat
.Lfunc_end113:
	.size	_ZL29rocblas_internal_gemmt_kernelIiLi16ELi32ELi8ELc84ELc67ELc85ELb0ELb1E19rocblas_complex_numIdEPKS1_S3_PS1_EviT_T9_T10_S5_lS7_S5_lS6_T11_S5_li, .Lfunc_end113-_ZL29rocblas_internal_gemmt_kernelIiLi16ELi32ELi8ELc84ELc67ELc85ELb0ELb1E19rocblas_complex_numIdEPKS1_S3_PS1_EviT_T9_T10_S5_lS7_S5_lS6_T11_S5_li
                                        ; -- End function
	.set _ZL29rocblas_internal_gemmt_kernelIiLi16ELi32ELi8ELc84ELc67ELc85ELb0ELb1E19rocblas_complex_numIdEPKS1_S3_PS1_EviT_T9_T10_S5_lS7_S5_lS6_T11_S5_li.num_vgpr, 131
	.set _ZL29rocblas_internal_gemmt_kernelIiLi16ELi32ELi8ELc84ELc67ELc85ELb0ELb1E19rocblas_complex_numIdEPKS1_S3_PS1_EviT_T9_T10_S5_lS7_S5_lS6_T11_S5_li.num_agpr, 0
	.set _ZL29rocblas_internal_gemmt_kernelIiLi16ELi32ELi8ELc84ELc67ELc85ELb0ELb1E19rocblas_complex_numIdEPKS1_S3_PS1_EviT_T9_T10_S5_lS7_S5_lS6_T11_S5_li.numbered_sgpr, 40
	.set _ZL29rocblas_internal_gemmt_kernelIiLi16ELi32ELi8ELc84ELc67ELc85ELb0ELb1E19rocblas_complex_numIdEPKS1_S3_PS1_EviT_T9_T10_S5_lS7_S5_lS6_T11_S5_li.num_named_barrier, 0
	.set _ZL29rocblas_internal_gemmt_kernelIiLi16ELi32ELi8ELc84ELc67ELc85ELb0ELb1E19rocblas_complex_numIdEPKS1_S3_PS1_EviT_T9_T10_S5_lS7_S5_lS6_T11_S5_li.private_seg_size, 0
	.set _ZL29rocblas_internal_gemmt_kernelIiLi16ELi32ELi8ELc84ELc67ELc85ELb0ELb1E19rocblas_complex_numIdEPKS1_S3_PS1_EviT_T9_T10_S5_lS7_S5_lS6_T11_S5_li.uses_vcc, 1
	.set _ZL29rocblas_internal_gemmt_kernelIiLi16ELi32ELi8ELc84ELc67ELc85ELb0ELb1E19rocblas_complex_numIdEPKS1_S3_PS1_EviT_T9_T10_S5_lS7_S5_lS6_T11_S5_li.uses_flat_scratch, 0
	.set _ZL29rocblas_internal_gemmt_kernelIiLi16ELi32ELi8ELc84ELc67ELc85ELb0ELb1E19rocblas_complex_numIdEPKS1_S3_PS1_EviT_T9_T10_S5_lS7_S5_lS6_T11_S5_li.has_dyn_sized_stack, 0
	.set _ZL29rocblas_internal_gemmt_kernelIiLi16ELi32ELi8ELc84ELc67ELc85ELb0ELb1E19rocblas_complex_numIdEPKS1_S3_PS1_EviT_T9_T10_S5_lS7_S5_lS6_T11_S5_li.has_recursion, 0
	.set _ZL29rocblas_internal_gemmt_kernelIiLi16ELi32ELi8ELc84ELc67ELc85ELb0ELb1E19rocblas_complex_numIdEPKS1_S3_PS1_EviT_T9_T10_S5_lS7_S5_lS6_T11_S5_li.has_indirect_call, 0
	.section	.AMDGPU.csdata,"",@progbits
; Kernel info:
; codeLenInByte = 3432
; TotalNumSgprs: 42
; NumVgprs: 131
; ScratchSize: 0
; MemoryBound: 1
; FloatMode: 240
; IeeeMode: 1
; LDSByteSize: 8192 bytes/workgroup (compile time only)
; SGPRBlocks: 0
; VGPRBlocks: 16
; NumSGPRsForWavesPerEU: 42
; NumVGPRsForWavesPerEU: 131
; Occupancy: 10
; WaveLimiterHint : 0
; COMPUTE_PGM_RSRC2:SCRATCH_EN: 0
; COMPUTE_PGM_RSRC2:USER_SGPR: 2
; COMPUTE_PGM_RSRC2:TRAP_HANDLER: 0
; COMPUTE_PGM_RSRC2:TGID_X_EN: 1
; COMPUTE_PGM_RSRC2:TGID_Y_EN: 1
; COMPUTE_PGM_RSRC2:TGID_Z_EN: 1
; COMPUTE_PGM_RSRC2:TIDIG_COMP_CNT: 1
	.section	.text._ZL29rocblas_internal_gemmt_kernelIiLi16ELi32ELi8ELc67ELc78ELc85ELb1ELb0E19rocblas_complex_numIdEPKS1_S3_PS1_EviT_T9_T10_S5_lS7_S5_lS6_T11_S5_li,"axG",@progbits,_ZL29rocblas_internal_gemmt_kernelIiLi16ELi32ELi8ELc67ELc78ELc85ELb1ELb0E19rocblas_complex_numIdEPKS1_S3_PS1_EviT_T9_T10_S5_lS7_S5_lS6_T11_S5_li,comdat
	.globl	_ZL29rocblas_internal_gemmt_kernelIiLi16ELi32ELi8ELc67ELc78ELc85ELb1ELb0E19rocblas_complex_numIdEPKS1_S3_PS1_EviT_T9_T10_S5_lS7_S5_lS6_T11_S5_li ; -- Begin function _ZL29rocblas_internal_gemmt_kernelIiLi16ELi32ELi8ELc67ELc78ELc85ELb1ELb0E19rocblas_complex_numIdEPKS1_S3_PS1_EviT_T9_T10_S5_lS7_S5_lS6_T11_S5_li
	.p2align	8
	.type	_ZL29rocblas_internal_gemmt_kernelIiLi16ELi32ELi8ELc67ELc78ELc85ELb1ELb0E19rocblas_complex_numIdEPKS1_S3_PS1_EviT_T9_T10_S5_lS7_S5_lS6_T11_S5_li,@function
_ZL29rocblas_internal_gemmt_kernelIiLi16ELi32ELi8ELc67ELc78ELc85ELb1ELb0E19rocblas_complex_numIdEPKS1_S3_PS1_EviT_T9_T10_S5_lS7_S5_lS6_T11_S5_li: ; @_ZL29rocblas_internal_gemmt_kernelIiLi16ELi32ELi8ELc67ELc78ELc85ELb1ELb0E19rocblas_complex_numIdEPKS1_S3_PS1_EviT_T9_T10_S5_lS7_S5_lS6_T11_S5_li
; %bb.0:
	s_load_b128 s[12:15], s[0:1], 0x38
	s_wait_kmcnt 0x0
	s_load_b128 s[4:7], s[14:15], 0x0
	s_clause 0x1
	s_load_b128 s[16:19], s[0:1], 0x8
	s_load_b64 s[14:15], s[0:1], 0x0
	s_wait_kmcnt 0x0
	s_load_b128 s[8:11], s[16:17], 0x0
	v_cmp_eq_f64_e64 s2, s[4:5], 1.0
	v_cmp_eq_f64_e64 s30, s[6:7], 0
	s_and_b32 s2, s2, s30
	s_delay_alu instid0(SALU_CYCLE_1)
	s_and_not1_b32 vcc_lo, exec_lo, s2
	s_mov_b32 s2, -1
	s_cbranch_vccnz .LBB114_3
; %bb.1:
	s_cmp_lg_u32 s15, 0
	s_cbranch_scc0 .LBB114_36
; %bb.2:
	s_wait_kmcnt 0x0
	v_cmp_neq_f64_e64 s2, s[8:9], 0
	v_cmp_neq_f64_e64 s3, s[10:11], 0
	s_or_b32 s2, s2, s3
.LBB114_3:
	s_delay_alu instid0(SALU_CYCLE_1)
	s_and_b32 vcc_lo, exec_lo, s2
	s_cbranch_vccz .LBB114_37
; %bb.4:
	s_load_b32 s27, s[0:1], 0x60
	s_lshr_b32 s16, ttmp7, 16
	s_wait_kmcnt 0x0
	s_cmp_ge_u32 s16, s27
	s_cbranch_scc1 .LBB114_37
; %bb.5:
	v_cmp_neq_f64_e64 s31, s[8:9], 0
	v_cmp_neq_f64_e64 s33, s[10:11], 0
	v_and_b32_e32 v1, 0x3ff, v0
	v_bfe_u32 v2, v0, 10, 10
	s_clause 0x4
	s_load_b32 s35, s[0:1], 0x18
	s_load_b128 s[20:23], s[0:1], 0x20
	s_load_b32 s36, s[0:1], 0x30
	s_load_b96 s[24:26], s[0:1], 0x48
	s_load_b64 s[28:29], s[0:1], 0x58
	v_and_b32_e32 v37, 7, v0
	s_lshl_b32 s0, ttmp9, 5
	v_lshlrev_b32_e32 v38, 4, v1
	v_lshl_add_u32 v0, v2, 4, v1
	v_add_nc_u32_e32 v5, s0, v1
	v_lshlrev_b32_e32 v4, 4, v37
	s_lshl_b32 s1, ttmp7, 5
	v_cmp_neq_f64_e64 s34, s[4:5], 0
	v_lshrrev_b32_e32 v40, 5, v0
	v_lshrrev_b32_e32 v1, 3, v0
	v_and_b32_e32 v0, 31, v0
	s_wait_alu 0xfffe
	s_and_b32 s2, s1, 0x1fffe0
	v_lshl_add_u32 v39, v2, 7, 0x1000
	v_add_nc_u32_e32 v2, s2, v2
	v_add_nc_u32_e32 v7, 16, v5
	v_or_b32_e32 v3, s0, v0
	v_lshlrev_b32_e32 v0, 4, v0
	v_add_nc_u32_e32 v9, s2, v1
	v_lshl_or_b32 v1, v1, 7, v4
	v_cmp_gt_i32_e32 vcc_lo, s14, v2
	v_cmp_le_i32_e64 s1, v5, v2
	v_add_nc_u32_e32 v11, 16, v2
	v_cmp_le_i32_e64 s2, v7, v2
	v_cmp_gt_i32_e64 s0, s14, v3
	v_lshl_or_b32 v41, v40, 9, v0
	v_add_nc_u32_e32 v42, 0x1000, v1
	s_wait_kmcnt 0x0
	v_mad_co_i64_i32 v[0:1], null, v2, s26, 0
	v_mad_co_i64_i32 v[2:3], null, s35, v3, 0
	v_cmp_gt_i32_e64 s3, s14, v9
	v_mad_co_i64_i32 v[9:10], null, s36, v9, 0
	v_lshlrev_b32_e32 v12, 4, v40
	s_or_b32 s37, s31, s33
	s_cmp_gt_i32 s15, 0
	s_delay_alu instid0(VALU_DEP_4)
	v_lshlrev_b64_e32 v[2:3], 4, v[2:3]
	s_cselect_b32 s38, -1, 0
	s_and_b32 s31, vcc_lo, s1
	s_and_b32 s33, vcc_lo, s2
	v_cmp_gt_i32_e32 vcc_lo, s14, v11
	v_cmp_le_i32_e64 s1, v5, v11
	v_cmp_le_i32_e64 s2, v7, v11
	v_mad_co_i64_i32 v[15:16], null, v11, s26, 0
	v_lshlrev_b64_e32 v[13:14], 4, v[0:1]
	s_delay_alu instid0(VALU_DEP_4) | instskip(NEXT) | instid1(VALU_DEP_3)
	s_and_b32 s1, vcc_lo, s1
	s_and_b32 s14, vcc_lo, s2
	v_add_co_u32 v11, vcc_lo, v2, v12
	s_delay_alu instid0(VALU_DEP_1) | instskip(SKIP_1) | instid1(VALU_DEP_3)
	v_add_co_ci_u32_e64 v12, null, 0, v3, vcc_lo
	v_lshlrev_b64_e32 v[2:3], 4, v[9:10]
	v_add_co_u32 v9, vcc_lo, s18, v11
	s_wait_alu 0xfffd
	s_delay_alu instid0(VALU_DEP_3) | instskip(SKIP_1) | instid1(VALU_DEP_4)
	v_add_co_ci_u32_e64 v10, null, s19, v12, vcc_lo
	v_lshlrev_b64_e32 v[15:16], 4, v[15:16]
	v_add_co_u32 v2, vcc_lo, v2, v4
	s_wait_alu 0xfffd
	v_add_co_ci_u32_e64 v3, null, 0, v3, vcc_lo
	v_add_co_u32 v9, vcc_lo, v9, 8
	s_wait_alu 0xfffd
	v_add_co_ci_u32_e64 v10, null, 0, v10, vcc_lo
	v_add_co_u32 v11, vcc_lo, s22, v2
	v_ashrrev_i32_e32 v6, 31, v5
	v_ashrrev_i32_e32 v8, 31, v7
	s_wait_alu 0xfffd
	v_add_co_ci_u32_e64 v12, null, s23, v3, vcc_lo
	v_mov_b32_e32 v0, 0
	s_xor_b32 s30, s30, -1
	s_mov_b32 s17, 0
	s_or_b32 s30, s34, s30
	s_wait_alu 0xfffe
	s_and_b32 s22, s37, s38
	s_lshl_b64 s[18:19], s[20:21], 4
	s_lshl_b64 s[12:13], s[12:13], 4
	s_xor_b32 s20, s3, -1
	s_branch .LBB114_7
.LBB114_6:                              ;   in Loop: Header=BB114_7 Depth=1
	s_wait_alu 0xfffe
	s_or_b32 exec_lo, exec_lo, s2
	s_add_co_i32 s16, s16, 0x10000
	s_wait_alu 0xfffe
	s_cmp_lt_u32 s16, s27
	s_cbranch_scc0 .LBB114_37
.LBB114_7:                              ; =>This Loop Header: Depth=1
                                        ;     Child Loop BB114_10 Depth 2
	v_mov_b32_e32 v33, 0
	v_mov_b32_e32 v29, 0
	;; [unrolled: 1-line block ×3, first 2 shown]
	v_dual_mov_b32 v23, 0 :: v_dual_mov_b32 v34, 0
	v_dual_mov_b32 v35, 0 :: v_dual_mov_b32 v30, 0
	;; [unrolled: 1-line block ×5, first 2 shown]
	v_mov_b32_e32 v32, 0
	v_mov_b32_e32 v28, 0
	;; [unrolled: 1-line block ×3, first 2 shown]
	s_wait_alu 0xfffe
	s_and_not1_b32 vcc_lo, exec_lo, s22
	s_wait_alu 0xfffe
	s_cbranch_vccnz .LBB114_16
; %bb.8:                                ;   in Loop: Header=BB114_7 Depth=1
	v_mad_co_u64_u32 v[17:18], null, s18, s16, v[9:10]
	v_mad_co_u64_u32 v[19:20], null, s12, s16, v[11:12]
	v_mov_b32_e32 v21, 0
	v_mov_b32_e32 v23, 0
	;; [unrolled: 1-line block ×4, first 2 shown]
	v_dual_mov_b32 v1, v18 :: v_dual_mov_b32 v22, 0
	v_mov_b32_e32 v2, v20
	v_dual_mov_b32 v24, 0 :: v_dual_mov_b32 v27, 0
	v_dual_mov_b32 v26, 0 :: v_dual_mov_b32 v31, 0
	s_delay_alu instid0(VALU_DEP_3)
	v_mad_co_u64_u32 v[3:4], null, s19, s16, v[1:2]
	v_dual_mov_b32 v30, 0 :: v_dual_mov_b32 v35, 0
	v_dual_mov_b32 v33, 0 :: v_dual_mov_b32 v28, 0
	v_mov_b32_e32 v32, 0
	v_mov_b32_e32 v36, 0
	v_mad_co_u64_u32 v[1:2], null, s13, s16, v[2:3]
	v_mov_b32_e32 v34, 0
	v_mov_b32_e32 v18, v3
	s_mov_b32 s2, 0
	s_delay_alu instid0(VALU_DEP_3)
	v_mov_b32_e32 v20, v1
	s_branch .LBB114_10
.LBB114_9:                              ;   in Loop: Header=BB114_10 Depth=2
	s_wait_alu 0xfffe
	s_or_b32 exec_lo, exec_lo, s3
	s_wait_dscnt 0x0
	s_barrier_signal -1
	s_barrier_wait -1
	global_inv scope:SCOPE_SE
	ds_load_b128 v[1:4], v39
	ds_load_b128 v[43:46], v38
	ds_load_b128 v[47:50], v38 offset:256
	ds_load_b128 v[51:54], v39 offset:2048
	;; [unrolled: 1-line block ×10, first 2 shown]
	v_add_co_u32 v17, vcc_lo, 0x80, v17
	s_wait_alu 0xfffd
	v_add_co_ci_u32_e64 v18, null, 0, v18, vcc_lo
	v_add_co_u32 v19, vcc_lo, 0x80, v19
	s_wait_alu 0xfffd
	v_add_co_ci_u32_e64 v20, null, 0, v20, vcc_lo
	s_add_co_i32 s2, s2, 8
	s_wait_alu 0xfffe
	s_cmp_lt_i32 s2, s15
	s_wait_dscnt 0xa
	v_mul_f64_e32 v[87:88], v[3:4], v[45:46]
	v_mul_f64_e32 v[89:90], v[1:2], v[45:46]
	s_wait_dscnt 0x9
	v_mul_f64_e32 v[91:92], v[3:4], v[49:50]
	v_mul_f64_e32 v[93:94], v[1:2], v[49:50]
	;; [unrolled: 3-line block ×3, first 2 shown]
	v_mul_f64_e32 v[97:98], v[53:54], v[49:50]
	v_mul_f64_e32 v[49:50], v[51:52], v[49:50]
	s_wait_dscnt 0x5
	v_mul_f64_e32 v[99:100], v[57:58], v[65:66]
	v_mul_f64_e32 v[101:102], v[55:56], v[65:66]
	s_wait_dscnt 0x4
	v_mul_f64_e32 v[103:104], v[57:58], v[69:70]
	v_mul_f64_e32 v[105:106], v[55:56], v[69:70]
	v_mul_f64_e32 v[107:108], v[61:62], v[65:66]
	v_mul_f64_e32 v[65:66], v[59:60], v[65:66]
	v_mul_f64_e32 v[109:110], v[61:62], v[69:70]
	v_mul_f64_e32 v[69:70], v[59:60], v[69:70]
	s_wait_dscnt 0x2
	v_mul_f64_e32 v[115:116], v[73:74], v[77:78]
	v_mul_f64_e32 v[117:118], v[71:72], v[77:78]
	s_wait_dscnt 0x1
	v_mul_f64_e32 v[119:120], v[73:74], v[81:82]
	v_mul_f64_e32 v[121:122], v[71:72], v[81:82]
	;; [unrolled: 3-line block ×3, first 2 shown]
	v_mul_f64_e32 v[125:126], v[85:86], v[81:82]
	v_mul_f64_e32 v[81:82], v[83:84], v[81:82]
	v_fma_f64 v[87:88], v[1:2], v[43:44], -v[87:88]
	v_fma_f64 v[89:90], v[3:4], v[43:44], v[89:90]
	v_fma_f64 v[91:92], v[1:2], v[47:48], -v[91:92]
	v_fma_f64 v[93:94], v[3:4], v[47:48], v[93:94]
	;; [unrolled: 2-line block ×8, first 2 shown]
	ds_load_b128 v[1:4], v39 offset:48
	ds_load_b128 v[43:46], v39 offset:2096
	;; [unrolled: 1-line block ×4, first 2 shown]
	v_fma_f64 v[115:116], v[71:72], v[75:76], -v[115:116]
	v_fma_f64 v[117:118], v[73:74], v[75:76], v[117:118]
	v_fma_f64 v[71:72], v[71:72], v[79:80], -v[119:120]
	v_fma_f64 v[73:74], v[73:74], v[79:80], v[121:122]
	;; [unrolled: 2-line block ×4, first 2 shown]
	s_wait_dscnt 0x1
	v_mul_f64_e32 v[105:106], v[1:2], v[49:50]
	s_wait_dscnt 0x0
	v_mul_f64_e32 v[107:108], v[3:4], v[53:54]
	v_mul_f64_e32 v[109:110], v[1:2], v[53:54]
	v_add_f64_e32 v[65:66], v[33:34], v[87:88]
	v_add_f64_e32 v[67:68], v[89:90], v[35:36]
	;; [unrolled: 1-line block ×8, first 2 shown]
	v_mul_f64_e32 v[97:98], v[3:4], v[49:50]
	v_mul_f64_e32 v[111:112], v[45:46], v[49:50]
	;; [unrolled: 1-line block ×5, first 2 shown]
	ds_load_b128 v[21:24], v39 offset:64
	ds_load_b128 v[25:28], v38 offset:2048
	;; [unrolled: 1-line block ×4, first 2 shown]
	s_wait_dscnt 0x0
	v_mul_f64_e32 v[121:122], v[35:36], v[27:28]
	v_mul_f64_e32 v[123:124], v[35:36], v[31:32]
	v_fma_f64 v[105:106], v[3:4], v[47:48], v[105:106]
	v_fma_f64 v[107:108], v[1:2], v[51:52], -v[107:108]
	v_fma_f64 v[109:110], v[3:4], v[51:52], v[109:110]
	v_add_f64_e32 v[81:82], v[65:66], v[99:100]
	v_add_f64_e32 v[83:84], v[101:102], v[67:68]
	v_add_f64_e32 v[69:70], v[69:70], v[55:56]
	v_add_f64_e32 v[85:86], v[57:58], v[87:88]
	v_add_f64_e32 v[87:88], v[89:90], v[103:104]
	v_add_f64_e32 v[89:90], v[63:64], v[91:92]
	v_add_f64_e32 v[91:92], v[93:94], v[59:60]
	v_add_f64_e32 v[93:94], v[61:62], v[95:96]
	v_mul_f64_e32 v[95:96], v[23:24], v[27:28]
	v_mul_f64_e32 v[99:100], v[21:22], v[27:28]
	;; [unrolled: 1-line block ×6, first 2 shown]
	v_fma_f64 v[97:98], v[1:2], v[47:48], -v[97:98]
	v_fma_f64 v[111:112], v[43:44], v[47:48], -v[111:112]
	v_fma_f64 v[125:126], v[45:46], v[47:48], v[49:50]
	v_fma_f64 v[113:114], v[43:44], v[51:52], -v[113:114]
	v_fma_f64 v[51:52], v[45:46], v[51:52], v[127:128]
	ds_load_b128 v[53:56], v39 offset:80
	ds_load_b128 v[57:60], v39 offset:2128
	ds_load_b128 v[61:64], v38 offset:2560
	ds_load_b128 v[65:68], v38 offset:2816
	v_fma_f64 v[121:122], v[33:34], v[25:26], -v[121:122]
	v_fma_f64 v[123:124], v[33:34], v[29:30], -v[123:124]
	v_add_f64_e32 v[81:82], v[81:82], v[115:116]
	v_add_f64_e32 v[83:84], v[117:118], v[83:84]
	;; [unrolled: 1-line block ×8, first 2 shown]
	s_wait_dscnt 0x1
	v_mul_f64_e32 v[87:88], v[55:56], v[63:64]
	v_mul_f64_e32 v[89:90], v[53:54], v[63:64]
	s_wait_dscnt 0x0
	v_mul_f64_e32 v[91:92], v[55:56], v[67:68]
	v_mul_f64_e32 v[93:94], v[53:54], v[67:68]
	;; [unrolled: 1-line block ×6, first 2 shown]
	v_fma_f64 v[95:96], v[21:22], v[25:26], -v[95:96]
	v_fma_f64 v[99:100], v[23:24], v[25:26], v[99:100]
	v_fma_f64 v[101:102], v[21:22], v[29:30], -v[101:102]
	v_fma_f64 v[103:104], v[23:24], v[29:30], v[103:104]
	v_fma_f64 v[127:128], v[35:36], v[25:26], v[27:28]
	;; [unrolled: 1-line block ×3, first 2 shown]
	ds_load_b128 v[1:4], v39 offset:96
	ds_load_b128 v[43:46], v38 offset:3072
	;; [unrolled: 1-line block ×8, first 2 shown]
	s_wait_loadcnt_dscnt 0x0
	s_barrier_signal -1
	s_barrier_wait -1
	global_inv scope:SCOPE_SE
	v_add_f64_e32 v[81:82], v[81:82], v[97:98]
	v_add_f64_e32 v[83:84], v[105:106], v[83:84]
	;; [unrolled: 1-line block ×8, first 2 shown]
	v_mul_f64_e32 v[79:80], v[3:4], v[45:46]
	v_mul_f64_e32 v[105:106], v[1:2], v[45:46]
	;; [unrolled: 1-line block ×8, first 2 shown]
	v_fma_f64 v[87:88], v[53:54], v[61:62], -v[87:88]
	v_fma_f64 v[89:90], v[55:56], v[61:62], v[89:90]
	v_fma_f64 v[53:54], v[53:54], v[65:66], -v[91:92]
	v_fma_f64 v[55:56], v[55:56], v[65:66], v[93:94]
	;; [unrolled: 2-line block ×4, first 2 shown]
	v_mul_f64_e32 v[93:94], v[23:24], v[35:36]
	v_add_f64_e32 v[63:64], v[81:82], v[95:96]
	v_add_f64_e32 v[65:66], v[99:100], v[83:84]
	;; [unrolled: 1-line block ×8, first 2 shown]
	v_mul_f64_e32 v[83:84], v[23:24], v[31:32]
	v_mul_f64_e32 v[85:86], v[21:22], v[31:32]
	;; [unrolled: 1-line block ×7, first 2 shown]
	v_fma_f64 v[79:80], v[1:2], v[43:44], -v[79:80]
	v_fma_f64 v[101:102], v[3:4], v[43:44], v[105:106]
	v_fma_f64 v[1:2], v[1:2], v[47:48], -v[107:108]
	v_fma_f64 v[3:4], v[3:4], v[47:48], v[109:110]
	v_fma_f64 v[103:104], v[69:70], v[43:44], -v[111:112]
	v_fma_f64 v[43:44], v[71:72], v[43:44], v[45:46]
	v_fma_f64 v[45:46], v[69:70], v[47:48], -v[113:114]
	v_fma_f64 v[47:48], v[71:72], v[47:48], v[49:50]
	v_add_f64_e32 v[49:50], v[63:64], v[87:88]
	v_add_f64_e32 v[63:64], v[89:90], v[65:66]
	;; [unrolled: 1-line block ×8, first 2 shown]
	v_fma_f64 v[59:60], v[21:22], v[29:30], -v[83:84]
	v_fma_f64 v[67:68], v[23:24], v[29:30], v[85:86]
	v_fma_f64 v[21:22], v[21:22], v[33:34], -v[93:94]
	v_fma_f64 v[23:24], v[23:24], v[33:34], v[95:96]
	;; [unrolled: 2-line block ×4, first 2 shown]
	v_add_f64_e32 v[25:26], v[49:50], v[79:80]
	v_add_f64_e32 v[27:28], v[101:102], v[63:64]
	;; [unrolled: 1-line block ×16, first 2 shown]
	s_cbranch_scc0 .LBB114_16
.LBB114_10:                             ;   Parent Loop BB114_7 Depth=1
                                        ; =>  This Inner Loop Header: Depth=2
	s_wait_alu 0xfffe
	v_add_nc_u32_e32 v1, s2, v40
	v_mov_b32_e32 v3, 0
	v_mov_b32_e32 v4, 0
	s_delay_alu instid0(VALU_DEP_3) | instskip(SKIP_3) | instid1(SALU_CYCLE_1)
	v_cmp_gt_i32_e32 vcc_lo, s15, v1
	v_mov_b32_e32 v1, 0
	v_mov_b32_e32 v2, 0
	s_and_b32 s21, s0, vcc_lo
	s_and_saveexec_b32 s3, s21
	s_cbranch_execz .LBB114_12
; %bb.11:                               ;   in Loop: Header=BB114_10 Depth=2
	global_load_b128 v[1:4], v[17:18], off offset:-8
	s_wait_loadcnt 0x0
	v_xor_b32_e32 v4, 0x80000000, v4
.LBB114_12:                             ;   in Loop: Header=BB114_10 Depth=2
	s_wait_alu 0xfffe
	s_or_b32 exec_lo, exec_lo, s3
	v_add_nc_u32_e32 v43, s2, v37
	ds_store_b128 v41, v[1:4]
	v_cmp_le_i32_e32 vcc_lo, s15, v43
	s_or_b32 s3, vcc_lo, s20
	s_wait_alu 0xfffe
	s_and_saveexec_b32 s21, s3
	s_delay_alu instid0(SALU_CYCLE_1)
	s_xor_b32 s3, exec_lo, s21
; %bb.13:                               ;   in Loop: Header=BB114_10 Depth=2
	v_dual_mov_b32 v1, v0 :: v_dual_mov_b32 v2, v0
	v_mov_b32_e32 v3, v0
	ds_store_b128 v42, v[0:3]
; %bb.14:                               ;   in Loop: Header=BB114_10 Depth=2
	s_wait_alu 0xfffe
	s_and_not1_saveexec_b32 s3, s3
	s_cbranch_execz .LBB114_9
; %bb.15:                               ;   in Loop: Header=BB114_10 Depth=2
	global_load_b128 v[1:4], v[19:20], off
	s_wait_loadcnt 0x0
	ds_store_2addr_b64 v42, v[1:2], v[3:4] offset1:1
	s_branch .LBB114_9
.LBB114_16:                             ;   in Loop: Header=BB114_7 Depth=1
	s_mul_u64 s[2:3], s[28:29], s[16:17]
	s_wait_alu 0xfffe
	s_lshl_b64 s[2:3], s[2:3], 4
	s_wait_alu 0xfffe
	s_add_nc_u64 s[2:3], s[24:25], s[2:3]
	s_wait_alu 0xfffe
	v_add_co_u32 v17, vcc_lo, s2, v13
	s_wait_alu 0xfffd
	v_add_co_ci_u32_e64 v18, null, s3, v14, vcc_lo
	s_and_saveexec_b32 s21, s31
	s_cbranch_execz .LBB114_21
; %bb.17:                               ;   in Loop: Header=BB114_7 Depth=1
	v_mul_f64_e32 v[1:2], s[10:11], v[35:36]
	v_mul_f64_e32 v[3:4], s[8:9], v[35:36]
	s_and_b32 vcc_lo, exec_lo, s30
	s_mov_b32 s23, -1
	s_delay_alu instid0(VALU_DEP_2) | instskip(NEXT) | instid1(VALU_DEP_2)
	v_fma_f64 v[1:2], s[8:9], v[33:34], -v[1:2]
	v_fma_f64 v[3:4], s[10:11], v[33:34], v[3:4]
	s_wait_alu 0xfffe
	s_cbranch_vccz .LBB114_19
; %bb.18:                               ;   in Loop: Header=BB114_7 Depth=1
	v_lshlrev_b64_e32 v[19:20], 4, v[5:6]
	s_mov_b32 s23, 0
	s_delay_alu instid0(VALU_DEP_1) | instskip(SKIP_1) | instid1(VALU_DEP_2)
	v_add_co_u32 v19, vcc_lo, v17, v19
	s_wait_alu 0xfffd
	v_add_co_ci_u32_e64 v20, null, v18, v20, vcc_lo
	global_load_b128 v[33:36], v[19:20], off
	s_wait_loadcnt 0x0
	v_mul_f64_e32 v[43:44], s[6:7], v[35:36]
	v_mul_f64_e32 v[35:36], s[4:5], v[35:36]
	s_delay_alu instid0(VALU_DEP_2) | instskip(NEXT) | instid1(VALU_DEP_2)
	v_fma_f64 v[43:44], s[4:5], v[33:34], -v[43:44]
	v_fma_f64 v[35:36], s[6:7], v[33:34], v[35:36]
	s_delay_alu instid0(VALU_DEP_2) | instskip(NEXT) | instid1(VALU_DEP_2)
	v_add_f64_e32 v[33:34], v[1:2], v[43:44]
	v_add_f64_e32 v[35:36], v[3:4], v[35:36]
	global_store_b128 v[19:20], v[33:36], off
.LBB114_19:                             ;   in Loop: Header=BB114_7 Depth=1
	s_wait_alu 0xfffe
	s_and_not1_b32 vcc_lo, exec_lo, s23
	s_wait_alu 0xfffe
	s_cbranch_vccnz .LBB114_21
; %bb.20:                               ;   in Loop: Header=BB114_7 Depth=1
	v_lshlrev_b64_e32 v[19:20], 4, v[5:6]
	s_delay_alu instid0(VALU_DEP_1) | instskip(SKIP_1) | instid1(VALU_DEP_2)
	v_add_co_u32 v19, vcc_lo, v17, v19
	s_wait_alu 0xfffd
	v_add_co_ci_u32_e64 v20, null, v18, v20, vcc_lo
	global_store_b128 v[19:20], v[1:4], off
.LBB114_21:                             ;   in Loop: Header=BB114_7 Depth=1
	s_or_b32 exec_lo, exec_lo, s21
	s_and_saveexec_b32 s21, s33
	s_cbranch_execz .LBB114_26
; %bb.22:                               ;   in Loop: Header=BB114_7 Depth=1
	v_mul_f64_e32 v[1:2], s[10:11], v[31:32]
	v_mul_f64_e32 v[3:4], s[8:9], v[31:32]
	s_and_not1_b32 vcc_lo, exec_lo, s30
	s_mov_b32 s23, -1
	s_delay_alu instid0(VALU_DEP_2) | instskip(NEXT) | instid1(VALU_DEP_2)
	v_fma_f64 v[1:2], s[8:9], v[29:30], -v[1:2]
	v_fma_f64 v[3:4], s[10:11], v[29:30], v[3:4]
	s_wait_alu 0xfffe
	s_cbranch_vccnz .LBB114_24
; %bb.23:                               ;   in Loop: Header=BB114_7 Depth=1
	v_lshlrev_b64_e32 v[19:20], 4, v[7:8]
	s_mov_b32 s23, 0
	s_delay_alu instid0(VALU_DEP_1) | instskip(SKIP_1) | instid1(VALU_DEP_2)
	v_add_co_u32 v19, vcc_lo, v17, v19
	s_wait_alu 0xfffd
	v_add_co_ci_u32_e64 v20, null, v18, v20, vcc_lo
	global_load_b128 v[29:32], v[19:20], off
	s_wait_loadcnt 0x0
	v_mul_f64_e32 v[33:34], s[6:7], v[31:32]
	v_mul_f64_e32 v[31:32], s[4:5], v[31:32]
	s_delay_alu instid0(VALU_DEP_2) | instskip(NEXT) | instid1(VALU_DEP_2)
	v_fma_f64 v[33:34], s[4:5], v[29:30], -v[33:34]
	v_fma_f64 v[31:32], s[6:7], v[29:30], v[31:32]
	s_delay_alu instid0(VALU_DEP_2) | instskip(NEXT) | instid1(VALU_DEP_2)
	v_add_f64_e32 v[29:30], v[1:2], v[33:34]
	v_add_f64_e32 v[31:32], v[3:4], v[31:32]
	global_store_b128 v[19:20], v[29:32], off
.LBB114_24:                             ;   in Loop: Header=BB114_7 Depth=1
	s_wait_alu 0xfffe
	s_and_not1_b32 vcc_lo, exec_lo, s23
	s_wait_alu 0xfffe
	s_cbranch_vccnz .LBB114_26
; %bb.25:                               ;   in Loop: Header=BB114_7 Depth=1
	v_lshlrev_b64_e32 v[19:20], 4, v[7:8]
	s_delay_alu instid0(VALU_DEP_1) | instskip(SKIP_1) | instid1(VALU_DEP_2)
	v_add_co_u32 v17, vcc_lo, v17, v19
	s_wait_alu 0xfffd
	v_add_co_ci_u32_e64 v18, null, v18, v20, vcc_lo
	global_store_b128 v[17:18], v[1:4], off
.LBB114_26:                             ;   in Loop: Header=BB114_7 Depth=1
	s_or_b32 exec_lo, exec_lo, s21
	v_add_co_u32 v19, vcc_lo, s2, v15
	s_wait_alu 0xfffd
	v_add_co_ci_u32_e64 v20, null, s3, v16, vcc_lo
	s_and_saveexec_b32 s2, s1
	s_cbranch_execz .LBB114_31
; %bb.27:                               ;   in Loop: Header=BB114_7 Depth=1
	v_mul_f64_e32 v[1:2], s[10:11], v[27:28]
	v_mul_f64_e32 v[3:4], s[8:9], v[27:28]
	v_lshlrev_b64_e32 v[17:18], 4, v[5:6]
	s_and_not1_b32 vcc_lo, exec_lo, s30
	s_mov_b32 s3, -1
	s_delay_alu instid0(VALU_DEP_3) | instskip(NEXT) | instid1(VALU_DEP_3)
	v_fma_f64 v[1:2], s[8:9], v[25:26], -v[1:2]
	v_fma_f64 v[3:4], s[10:11], v[25:26], v[3:4]
	s_wait_alu 0xfffe
	s_cbranch_vccnz .LBB114_29
; %bb.28:                               ;   in Loop: Header=BB114_7 Depth=1
	v_add_co_u32 v29, vcc_lo, v19, v17
	s_wait_alu 0xfffd
	v_add_co_ci_u32_e64 v30, null, v20, v18, vcc_lo
	s_mov_b32 s3, 0
	global_load_b128 v[25:28], v[29:30], off
	s_wait_loadcnt 0x0
	v_mul_f64_e32 v[31:32], s[6:7], v[27:28]
	v_mul_f64_e32 v[27:28], s[4:5], v[27:28]
	s_delay_alu instid0(VALU_DEP_2) | instskip(NEXT) | instid1(VALU_DEP_2)
	v_fma_f64 v[31:32], s[4:5], v[25:26], -v[31:32]
	v_fma_f64 v[27:28], s[6:7], v[25:26], v[27:28]
	s_delay_alu instid0(VALU_DEP_2) | instskip(NEXT) | instid1(VALU_DEP_2)
	v_add_f64_e32 v[25:26], v[1:2], v[31:32]
	v_add_f64_e32 v[27:28], v[3:4], v[27:28]
	global_store_b128 v[29:30], v[25:28], off
.LBB114_29:                             ;   in Loop: Header=BB114_7 Depth=1
	s_wait_alu 0xfffe
	s_and_not1_b32 vcc_lo, exec_lo, s3
	s_wait_alu 0xfffe
	s_cbranch_vccnz .LBB114_31
; %bb.30:                               ;   in Loop: Header=BB114_7 Depth=1
	v_add_co_u32 v17, vcc_lo, v19, v17
	s_wait_alu 0xfffd
	v_add_co_ci_u32_e64 v18, null, v20, v18, vcc_lo
	global_store_b128 v[17:18], v[1:4], off
.LBB114_31:                             ;   in Loop: Header=BB114_7 Depth=1
	s_wait_alu 0xfffe
	s_or_b32 exec_lo, exec_lo, s2
	s_and_saveexec_b32 s2, s14
	s_cbranch_execz .LBB114_6
; %bb.32:                               ;   in Loop: Header=BB114_7 Depth=1
	v_mul_f64_e32 v[1:2], s[10:11], v[21:22]
	v_mul_f64_e32 v[3:4], s[8:9], v[21:22]
	v_lshlrev_b64_e32 v[17:18], 4, v[7:8]
	s_and_not1_b32 vcc_lo, exec_lo, s30
	s_mov_b32 s3, -1
	s_delay_alu instid0(VALU_DEP_3) | instskip(NEXT) | instid1(VALU_DEP_3)
	v_fma_f64 v[1:2], s[8:9], v[23:24], -v[1:2]
	v_fma_f64 v[3:4], s[10:11], v[23:24], v[3:4]
	s_wait_alu 0xfffe
	s_cbranch_vccnz .LBB114_34
; %bb.33:                               ;   in Loop: Header=BB114_7 Depth=1
	v_add_co_u32 v25, vcc_lo, v19, v17
	s_wait_alu 0xfffd
	v_add_co_ci_u32_e64 v26, null, v20, v18, vcc_lo
	s_mov_b32 s3, 0
	global_load_b128 v[21:24], v[25:26], off
	s_wait_loadcnt 0x0
	v_mul_f64_e32 v[27:28], s[6:7], v[23:24]
	v_mul_f64_e32 v[23:24], s[4:5], v[23:24]
	s_delay_alu instid0(VALU_DEP_2) | instskip(NEXT) | instid1(VALU_DEP_2)
	v_fma_f64 v[27:28], s[4:5], v[21:22], -v[27:28]
	v_fma_f64 v[23:24], s[6:7], v[21:22], v[23:24]
	s_delay_alu instid0(VALU_DEP_2) | instskip(NEXT) | instid1(VALU_DEP_2)
	v_add_f64_e32 v[21:22], v[1:2], v[27:28]
	v_add_f64_e32 v[23:24], v[3:4], v[23:24]
	global_store_b128 v[25:26], v[21:24], off
.LBB114_34:                             ;   in Loop: Header=BB114_7 Depth=1
	s_wait_alu 0xfffe
	s_and_not1_b32 vcc_lo, exec_lo, s3
	s_wait_alu 0xfffe
	s_cbranch_vccnz .LBB114_6
; %bb.35:                               ;   in Loop: Header=BB114_7 Depth=1
	v_add_co_u32 v17, vcc_lo, v19, v17
	s_wait_alu 0xfffd
	v_add_co_ci_u32_e64 v18, null, v20, v18, vcc_lo
	global_store_b128 v[17:18], v[1:4], off
	s_branch .LBB114_6
.LBB114_36:
.LBB114_37:
	s_nop 0
	s_sendmsg sendmsg(MSG_DEALLOC_VGPRS)
	s_endpgm
	.section	.rodata,"a",@progbits
	.p2align	6, 0x0
	.amdhsa_kernel _ZL29rocblas_internal_gemmt_kernelIiLi16ELi32ELi8ELc67ELc78ELc85ELb1ELb0E19rocblas_complex_numIdEPKS1_S3_PS1_EviT_T9_T10_S5_lS7_S5_lS6_T11_S5_li
		.amdhsa_group_segment_fixed_size 8192
		.amdhsa_private_segment_fixed_size 0
		.amdhsa_kernarg_size 100
		.amdhsa_user_sgpr_count 2
		.amdhsa_user_sgpr_dispatch_ptr 0
		.amdhsa_user_sgpr_queue_ptr 0
		.amdhsa_user_sgpr_kernarg_segment_ptr 1
		.amdhsa_user_sgpr_dispatch_id 0
		.amdhsa_user_sgpr_private_segment_size 0
		.amdhsa_wavefront_size32 1
		.amdhsa_uses_dynamic_stack 0
		.amdhsa_enable_private_segment 0
		.amdhsa_system_sgpr_workgroup_id_x 1
		.amdhsa_system_sgpr_workgroup_id_y 1
		.amdhsa_system_sgpr_workgroup_id_z 1
		.amdhsa_system_sgpr_workgroup_info 0
		.amdhsa_system_vgpr_workitem_id 1
		.amdhsa_next_free_vgpr 131
		.amdhsa_next_free_sgpr 39
		.amdhsa_reserve_vcc 1
		.amdhsa_float_round_mode_32 0
		.amdhsa_float_round_mode_16_64 0
		.amdhsa_float_denorm_mode_32 3
		.amdhsa_float_denorm_mode_16_64 3
		.amdhsa_fp16_overflow 0
		.amdhsa_workgroup_processor_mode 1
		.amdhsa_memory_ordered 1
		.amdhsa_forward_progress 1
		.amdhsa_inst_pref_size 27
		.amdhsa_round_robin_scheduling 0
		.amdhsa_exception_fp_ieee_invalid_op 0
		.amdhsa_exception_fp_denorm_src 0
		.amdhsa_exception_fp_ieee_div_zero 0
		.amdhsa_exception_fp_ieee_overflow 0
		.amdhsa_exception_fp_ieee_underflow 0
		.amdhsa_exception_fp_ieee_inexact 0
		.amdhsa_exception_int_div_zero 0
	.end_amdhsa_kernel
	.section	.text._ZL29rocblas_internal_gemmt_kernelIiLi16ELi32ELi8ELc67ELc78ELc85ELb1ELb0E19rocblas_complex_numIdEPKS1_S3_PS1_EviT_T9_T10_S5_lS7_S5_lS6_T11_S5_li,"axG",@progbits,_ZL29rocblas_internal_gemmt_kernelIiLi16ELi32ELi8ELc67ELc78ELc85ELb1ELb0E19rocblas_complex_numIdEPKS1_S3_PS1_EviT_T9_T10_S5_lS7_S5_lS6_T11_S5_li,comdat
.Lfunc_end114:
	.size	_ZL29rocblas_internal_gemmt_kernelIiLi16ELi32ELi8ELc67ELc78ELc85ELb1ELb0E19rocblas_complex_numIdEPKS1_S3_PS1_EviT_T9_T10_S5_lS7_S5_lS6_T11_S5_li, .Lfunc_end114-_ZL29rocblas_internal_gemmt_kernelIiLi16ELi32ELi8ELc67ELc78ELc85ELb1ELb0E19rocblas_complex_numIdEPKS1_S3_PS1_EviT_T9_T10_S5_lS7_S5_lS6_T11_S5_li
                                        ; -- End function
	.set _ZL29rocblas_internal_gemmt_kernelIiLi16ELi32ELi8ELc67ELc78ELc85ELb1ELb0E19rocblas_complex_numIdEPKS1_S3_PS1_EviT_T9_T10_S5_lS7_S5_lS6_T11_S5_li.num_vgpr, 131
	.set _ZL29rocblas_internal_gemmt_kernelIiLi16ELi32ELi8ELc67ELc78ELc85ELb1ELb0E19rocblas_complex_numIdEPKS1_S3_PS1_EviT_T9_T10_S5_lS7_S5_lS6_T11_S5_li.num_agpr, 0
	.set _ZL29rocblas_internal_gemmt_kernelIiLi16ELi32ELi8ELc67ELc78ELc85ELb1ELb0E19rocblas_complex_numIdEPKS1_S3_PS1_EviT_T9_T10_S5_lS7_S5_lS6_T11_S5_li.numbered_sgpr, 39
	.set _ZL29rocblas_internal_gemmt_kernelIiLi16ELi32ELi8ELc67ELc78ELc85ELb1ELb0E19rocblas_complex_numIdEPKS1_S3_PS1_EviT_T9_T10_S5_lS7_S5_lS6_T11_S5_li.num_named_barrier, 0
	.set _ZL29rocblas_internal_gemmt_kernelIiLi16ELi32ELi8ELc67ELc78ELc85ELb1ELb0E19rocblas_complex_numIdEPKS1_S3_PS1_EviT_T9_T10_S5_lS7_S5_lS6_T11_S5_li.private_seg_size, 0
	.set _ZL29rocblas_internal_gemmt_kernelIiLi16ELi32ELi8ELc67ELc78ELc85ELb1ELb0E19rocblas_complex_numIdEPKS1_S3_PS1_EviT_T9_T10_S5_lS7_S5_lS6_T11_S5_li.uses_vcc, 1
	.set _ZL29rocblas_internal_gemmt_kernelIiLi16ELi32ELi8ELc67ELc78ELc85ELb1ELb0E19rocblas_complex_numIdEPKS1_S3_PS1_EviT_T9_T10_S5_lS7_S5_lS6_T11_S5_li.uses_flat_scratch, 0
	.set _ZL29rocblas_internal_gemmt_kernelIiLi16ELi32ELi8ELc67ELc78ELc85ELb1ELb0E19rocblas_complex_numIdEPKS1_S3_PS1_EviT_T9_T10_S5_lS7_S5_lS6_T11_S5_li.has_dyn_sized_stack, 0
	.set _ZL29rocblas_internal_gemmt_kernelIiLi16ELi32ELi8ELc67ELc78ELc85ELb1ELb0E19rocblas_complex_numIdEPKS1_S3_PS1_EviT_T9_T10_S5_lS7_S5_lS6_T11_S5_li.has_recursion, 0
	.set _ZL29rocblas_internal_gemmt_kernelIiLi16ELi32ELi8ELc67ELc78ELc85ELb1ELb0E19rocblas_complex_numIdEPKS1_S3_PS1_EviT_T9_T10_S5_lS7_S5_lS6_T11_S5_li.has_indirect_call, 0
	.section	.AMDGPU.csdata,"",@progbits
; Kernel info:
; codeLenInByte = 3420
; TotalNumSgprs: 41
; NumVgprs: 131
; ScratchSize: 0
; MemoryBound: 1
; FloatMode: 240
; IeeeMode: 1
; LDSByteSize: 8192 bytes/workgroup (compile time only)
; SGPRBlocks: 0
; VGPRBlocks: 16
; NumSGPRsForWavesPerEU: 41
; NumVGPRsForWavesPerEU: 131
; Occupancy: 10
; WaveLimiterHint : 0
; COMPUTE_PGM_RSRC2:SCRATCH_EN: 0
; COMPUTE_PGM_RSRC2:USER_SGPR: 2
; COMPUTE_PGM_RSRC2:TRAP_HANDLER: 0
; COMPUTE_PGM_RSRC2:TGID_X_EN: 1
; COMPUTE_PGM_RSRC2:TGID_Y_EN: 1
; COMPUTE_PGM_RSRC2:TGID_Z_EN: 1
; COMPUTE_PGM_RSRC2:TIDIG_COMP_CNT: 1
	.section	.text._ZL29rocblas_internal_gemmt_kernelIiLi16ELi32ELi8ELc67ELc84ELc85ELb1ELb0E19rocblas_complex_numIdEPKS1_S3_PS1_EviT_T9_T10_S5_lS7_S5_lS6_T11_S5_li,"axG",@progbits,_ZL29rocblas_internal_gemmt_kernelIiLi16ELi32ELi8ELc67ELc84ELc85ELb1ELb0E19rocblas_complex_numIdEPKS1_S3_PS1_EviT_T9_T10_S5_lS7_S5_lS6_T11_S5_li,comdat
	.globl	_ZL29rocblas_internal_gemmt_kernelIiLi16ELi32ELi8ELc67ELc84ELc85ELb1ELb0E19rocblas_complex_numIdEPKS1_S3_PS1_EviT_T9_T10_S5_lS7_S5_lS6_T11_S5_li ; -- Begin function _ZL29rocblas_internal_gemmt_kernelIiLi16ELi32ELi8ELc67ELc84ELc85ELb1ELb0E19rocblas_complex_numIdEPKS1_S3_PS1_EviT_T9_T10_S5_lS7_S5_lS6_T11_S5_li
	.p2align	8
	.type	_ZL29rocblas_internal_gemmt_kernelIiLi16ELi32ELi8ELc67ELc84ELc85ELb1ELb0E19rocblas_complex_numIdEPKS1_S3_PS1_EviT_T9_T10_S5_lS7_S5_lS6_T11_S5_li,@function
_ZL29rocblas_internal_gemmt_kernelIiLi16ELi32ELi8ELc67ELc84ELc85ELb1ELb0E19rocblas_complex_numIdEPKS1_S3_PS1_EviT_T9_T10_S5_lS7_S5_lS6_T11_S5_li: ; @_ZL29rocblas_internal_gemmt_kernelIiLi16ELi32ELi8ELc67ELc84ELc85ELb1ELb0E19rocblas_complex_numIdEPKS1_S3_PS1_EviT_T9_T10_S5_lS7_S5_lS6_T11_S5_li
; %bb.0:
	s_load_b128 s[16:19], s[0:1], 0x38
	s_wait_kmcnt 0x0
	s_load_b128 s[8:11], s[18:19], 0x0
	s_clause 0x1
	s_load_b128 s[4:7], s[0:1], 0x8
	s_load_b64 s[18:19], s[0:1], 0x0
	s_wait_kmcnt 0x0
	s_load_b128 s[12:15], s[4:5], 0x0
	v_cmp_eq_f64_e64 s2, s[8:9], 1.0
	v_cmp_eq_f64_e64 s3, s[10:11], 0
	s_and_b32 s2, s2, s3
	s_delay_alu instid0(SALU_CYCLE_1)
	s_and_not1_b32 vcc_lo, exec_lo, s2
	s_mov_b32 s2, -1
	s_cbranch_vccnz .LBB115_3
; %bb.1:
	s_cmp_lg_u32 s19, 0
	s_cbranch_scc0 .LBB115_36
; %bb.2:
	s_wait_kmcnt 0x0
	v_cmp_neq_f64_e64 s2, s[12:13], 0
	v_cmp_neq_f64_e64 s4, s[14:15], 0
	s_or_b32 s2, s2, s4
.LBB115_3:
	s_delay_alu instid0(SALU_CYCLE_1)
	s_and_b32 vcc_lo, exec_lo, s2
	s_cbranch_vccz .LBB115_37
; %bb.4:
	s_load_b32 s27, s[0:1], 0x60
	s_lshr_b32 s28, ttmp7, 16
	s_wait_kmcnt 0x0
	s_cmp_ge_u32 s28, s27
	s_cbranch_scc1 .LBB115_37
; %bb.5:
	v_cmp_neq_f64_e64 s4, s[12:13], 0
	v_cmp_neq_f64_e64 s5, s[14:15], 0
	;; [unrolled: 1-line block ×3, first 2 shown]
	s_clause 0x4
	s_load_b32 s37, s[0:1], 0x18
	s_load_b128 s[20:23], s[0:1], 0x20
	s_load_b32 s34, s[0:1], 0x30
	s_load_b96 s[24:26], s[0:1], 0x48
	s_load_b64 s[30:31], s[0:1], 0x58
	v_and_b32_e32 v1, 0x3ff, v0
	v_bfe_u32 v2, v0, 10, 10
	v_and_b32_e32 v37, 7, v0
	s_lshl_b32 s1, ttmp7, 5
	s_lshl_b32 s0, ttmp9, 5
	s_and_b32 s2, s1, 0x1fffe0
	v_lshl_add_u32 v0, v2, 4, v1
	v_lshlrev_b32_e32 v3, 4, v37
	v_lshlrev_b32_e32 v38, 4, v1
	v_lshl_add_u32 v39, v2, 7, 0x1000
	v_add_nc_u32_e32 v2, s2, v2
	v_add_nc_u32_e32 v5, s0, v1
	v_lshrrev_b32_e32 v40, 5, v0
	v_and_b32_e32 v1, 31, v0
	v_lshrrev_b32_e32 v0, 3, v0
	v_cmp_gt_i32_e32 vcc_lo, s18, v2
	v_cmp_le_i32_e64 s1, v5, v2
	v_add_nc_u32_e32 v7, 16, v5
	v_or_b32_e32 v4, s0, v1
	v_lshlrev_b32_e32 v1, 4, v1
	v_add_nc_u32_e32 v11, s2, v0
	v_lshl_or_b32 v0, v0, 7, v3
	s_wait_kmcnt 0x0
	s_ashr_i32 s35, s34, 31
	v_add_nc_u32_e32 v9, 16, v2
	v_lshl_or_b32 v41, v40, 9, v1
	v_cmp_gt_i32_e64 s0, s18, v4
	v_add_nc_u32_e32 v42, 0x1000, v0
	v_mad_co_i64_i32 v[0:1], null, v2, s26, 0
	v_cmp_gt_i32_e64 s2, s18, v11
	v_mad_co_i64_i32 v[15:16], null, v9, s26, 0
	v_lshlrev_b32_e32 v11, 4, v11
	v_ashrrev_i32_e32 v6, 31, v5
	v_ashrrev_i32_e32 v8, 31, v7
	s_or_b32 s38, s4, s5
	s_cmp_gt_i32 s19, 0
	v_cmp_le_i32_e64 s4, v5, v9
	s_cselect_b32 s39, -1, 0
	s_and_b32 s33, vcc_lo, s1
	v_cmp_le_i32_e64 s1, v7, v2
	v_mad_co_i64_i32 v[2:3], null, s37, v4, 0
	v_lshlrev_b32_e32 v4, 4, v40
	s_xor_b32 s3, s3, -1
	v_lshlrev_b64_e32 v[13:14], 4, v[0:1]
	s_wait_alu 0xfffe
	s_or_b32 s36, s36, s3
	v_cmp_gt_i32_e64 s3, s18, v9
	s_and_b32 s18, vcc_lo, s1
	v_lshlrev_b64_e32 v[2:3], 4, v[2:3]
	v_cmp_le_i32_e32 vcc_lo, v7, v9
	v_mad_co_i64_i32 v[9:10], null, s34, v37, 0
	v_lshlrev_b64_e32 v[15:16], 4, v[15:16]
	v_mov_b32_e32 v0, 0
	v_add_co_u32 v2, s1, v2, v4
	s_wait_alu 0xf1ff
	v_add_co_ci_u32_e64 v3, null, 0, v3, s1
	s_and_b32 s1, s3, vcc_lo
	v_add_co_u32 v4, vcc_lo, s6, v2
	s_delay_alu instid0(VALU_DEP_1) | instskip(SKIP_1) | instid1(VALU_DEP_3)
	v_add_co_ci_u32_e64 v12, null, s7, v3, vcc_lo
	v_lshlrev_b64_e32 v[2:3], 4, v[9:10]
	v_add_co_u32 v9, vcc_lo, v4, 8
	s_wait_alu 0xfffd
	s_delay_alu instid0(VALU_DEP_3)
	v_add_co_ci_u32_e64 v10, null, 0, v12, vcc_lo
	s_mov_b32 s29, 0
	v_add_co_u32 v2, vcc_lo, v2, v11
	s_wait_alu 0xfffd
	v_add_co_ci_u32_e64 v3, null, 0, v3, vcc_lo
	s_and_b32 s26, s3, s4
	v_add_co_u32 v11, vcc_lo, s22, v2
	s_wait_alu 0xfffd
	v_add_co_ci_u32_e64 v12, null, s23, v3, vcc_lo
	s_lshl_b64 s[4:5], s[20:21], 4
	s_and_b32 s20, s38, s39
	s_lshl_b64 s[6:7], s[16:17], 4
	s_lshl_b64 s[16:17], s[34:35], 7
	s_xor_b32 s21, s2, -1
	s_branch .LBB115_7
.LBB115_6:                              ;   in Loop: Header=BB115_7 Depth=1
	s_wait_alu 0xfffe
	s_or_b32 exec_lo, exec_lo, s2
	s_add_co_i32 s28, s28, 0x10000
	s_wait_alu 0xfffe
	s_cmp_lt_u32 s28, s27
	s_cbranch_scc0 .LBB115_37
.LBB115_7:                              ; =>This Loop Header: Depth=1
                                        ;     Child Loop BB115_10 Depth 2
	v_mov_b32_e32 v33, 0
	v_mov_b32_e32 v29, 0
	;; [unrolled: 1-line block ×3, first 2 shown]
	v_dual_mov_b32 v23, 0 :: v_dual_mov_b32 v34, 0
	v_dual_mov_b32 v35, 0 :: v_dual_mov_b32 v30, 0
	;; [unrolled: 1-line block ×5, first 2 shown]
	v_mov_b32_e32 v32, 0
	v_mov_b32_e32 v28, 0
	;; [unrolled: 1-line block ×3, first 2 shown]
	s_and_not1_b32 vcc_lo, exec_lo, s20
	s_wait_alu 0xfffe
	s_cbranch_vccnz .LBB115_16
; %bb.8:                                ;   in Loop: Header=BB115_7 Depth=1
	v_mad_co_u64_u32 v[17:18], null, s4, s28, v[9:10]
	v_mad_co_u64_u32 v[19:20], null, s6, s28, v[11:12]
	v_mov_b32_e32 v21, 0
	v_mov_b32_e32 v23, 0
	;; [unrolled: 1-line block ×4, first 2 shown]
	v_dual_mov_b32 v1, v18 :: v_dual_mov_b32 v22, 0
	v_mov_b32_e32 v2, v20
	v_dual_mov_b32 v24, 0 :: v_dual_mov_b32 v27, 0
	v_dual_mov_b32 v26, 0 :: v_dual_mov_b32 v31, 0
	s_delay_alu instid0(VALU_DEP_3)
	v_mad_co_u64_u32 v[3:4], null, s5, s28, v[1:2]
	v_dual_mov_b32 v30, 0 :: v_dual_mov_b32 v35, 0
	v_dual_mov_b32 v33, 0 :: v_dual_mov_b32 v28, 0
	v_mov_b32_e32 v32, 0
	v_mov_b32_e32 v36, 0
	v_mad_co_u64_u32 v[1:2], null, s7, s28, v[2:3]
	v_mov_b32_e32 v34, 0
	v_mov_b32_e32 v18, v3
	s_mov_b32 s2, 0
	s_delay_alu instid0(VALU_DEP_3)
	v_mov_b32_e32 v20, v1
	s_branch .LBB115_10
.LBB115_9:                              ;   in Loop: Header=BB115_10 Depth=2
	s_wait_alu 0xfffe
	s_or_b32 exec_lo, exec_lo, s3
	s_wait_dscnt 0x0
	s_barrier_signal -1
	s_barrier_wait -1
	global_inv scope:SCOPE_SE
	ds_load_b128 v[1:4], v39
	ds_load_b128 v[43:46], v38
	ds_load_b128 v[47:50], v38 offset:256
	ds_load_b128 v[51:54], v39 offset:2048
	;; [unrolled: 1-line block ×10, first 2 shown]
	v_add_co_u32 v17, vcc_lo, 0x80, v17
	s_wait_alu 0xfffd
	v_add_co_ci_u32_e64 v18, null, 0, v18, vcc_lo
	v_add_co_u32 v19, vcc_lo, v19, s16
	s_wait_alu 0xfffd
	v_add_co_ci_u32_e64 v20, null, s17, v20, vcc_lo
	s_add_co_i32 s2, s2, 8
	s_wait_alu 0xfffe
	s_cmp_lt_i32 s2, s19
	s_wait_dscnt 0xa
	v_mul_f64_e32 v[87:88], v[3:4], v[45:46]
	v_mul_f64_e32 v[89:90], v[1:2], v[45:46]
	s_wait_dscnt 0x9
	v_mul_f64_e32 v[91:92], v[3:4], v[49:50]
	v_mul_f64_e32 v[93:94], v[1:2], v[49:50]
	;; [unrolled: 3-line block ×3, first 2 shown]
	v_mul_f64_e32 v[97:98], v[53:54], v[49:50]
	v_mul_f64_e32 v[49:50], v[51:52], v[49:50]
	s_wait_dscnt 0x5
	v_mul_f64_e32 v[99:100], v[57:58], v[65:66]
	v_mul_f64_e32 v[101:102], v[55:56], v[65:66]
	s_wait_dscnt 0x4
	v_mul_f64_e32 v[103:104], v[57:58], v[69:70]
	v_mul_f64_e32 v[105:106], v[55:56], v[69:70]
	;; [unrolled: 1-line block ×6, first 2 shown]
	s_wait_dscnt 0x2
	v_mul_f64_e32 v[115:116], v[73:74], v[77:78]
	v_mul_f64_e32 v[117:118], v[71:72], v[77:78]
	s_wait_dscnt 0x1
	v_mul_f64_e32 v[119:120], v[73:74], v[81:82]
	v_mul_f64_e32 v[121:122], v[71:72], v[81:82]
	;; [unrolled: 3-line block ×3, first 2 shown]
	v_mul_f64_e32 v[125:126], v[85:86], v[81:82]
	v_mul_f64_e32 v[81:82], v[83:84], v[81:82]
	v_fma_f64 v[87:88], v[1:2], v[43:44], -v[87:88]
	v_fma_f64 v[89:90], v[3:4], v[43:44], v[89:90]
	v_fma_f64 v[91:92], v[1:2], v[47:48], -v[91:92]
	v_fma_f64 v[93:94], v[3:4], v[47:48], v[93:94]
	;; [unrolled: 2-line block ×8, first 2 shown]
	ds_load_b128 v[1:4], v39 offset:48
	ds_load_b128 v[43:46], v39 offset:2096
	;; [unrolled: 1-line block ×4, first 2 shown]
	v_fma_f64 v[115:116], v[71:72], v[75:76], -v[115:116]
	v_fma_f64 v[117:118], v[73:74], v[75:76], v[117:118]
	v_fma_f64 v[71:72], v[71:72], v[79:80], -v[119:120]
	v_fma_f64 v[73:74], v[73:74], v[79:80], v[121:122]
	;; [unrolled: 2-line block ×4, first 2 shown]
	s_wait_dscnt 0x1
	v_mul_f64_e32 v[105:106], v[1:2], v[49:50]
	s_wait_dscnt 0x0
	v_mul_f64_e32 v[107:108], v[3:4], v[53:54]
	v_mul_f64_e32 v[109:110], v[1:2], v[53:54]
	v_add_f64_e32 v[65:66], v[33:34], v[87:88]
	v_add_f64_e32 v[67:68], v[89:90], v[35:36]
	;; [unrolled: 1-line block ×8, first 2 shown]
	v_mul_f64_e32 v[97:98], v[3:4], v[49:50]
	v_mul_f64_e32 v[111:112], v[45:46], v[49:50]
	;; [unrolled: 1-line block ×5, first 2 shown]
	ds_load_b128 v[21:24], v39 offset:64
	ds_load_b128 v[25:28], v38 offset:2048
	;; [unrolled: 1-line block ×4, first 2 shown]
	s_wait_dscnt 0x0
	v_mul_f64_e32 v[121:122], v[35:36], v[27:28]
	v_mul_f64_e32 v[123:124], v[35:36], v[31:32]
	v_fma_f64 v[105:106], v[3:4], v[47:48], v[105:106]
	v_fma_f64 v[107:108], v[1:2], v[51:52], -v[107:108]
	v_fma_f64 v[109:110], v[3:4], v[51:52], v[109:110]
	v_add_f64_e32 v[81:82], v[65:66], v[99:100]
	v_add_f64_e32 v[83:84], v[101:102], v[67:68]
	v_add_f64_e32 v[69:70], v[69:70], v[55:56]
	v_add_f64_e32 v[85:86], v[57:58], v[87:88]
	v_add_f64_e32 v[87:88], v[89:90], v[103:104]
	v_add_f64_e32 v[89:90], v[63:64], v[91:92]
	v_add_f64_e32 v[91:92], v[93:94], v[59:60]
	v_add_f64_e32 v[93:94], v[61:62], v[95:96]
	v_mul_f64_e32 v[95:96], v[23:24], v[27:28]
	v_mul_f64_e32 v[99:100], v[21:22], v[27:28]
	;; [unrolled: 1-line block ×6, first 2 shown]
	v_fma_f64 v[97:98], v[1:2], v[47:48], -v[97:98]
	v_fma_f64 v[111:112], v[43:44], v[47:48], -v[111:112]
	v_fma_f64 v[125:126], v[45:46], v[47:48], v[49:50]
	v_fma_f64 v[113:114], v[43:44], v[51:52], -v[113:114]
	v_fma_f64 v[51:52], v[45:46], v[51:52], v[127:128]
	ds_load_b128 v[53:56], v39 offset:80
	ds_load_b128 v[57:60], v39 offset:2128
	;; [unrolled: 1-line block ×4, first 2 shown]
	v_fma_f64 v[121:122], v[33:34], v[25:26], -v[121:122]
	v_fma_f64 v[123:124], v[33:34], v[29:30], -v[123:124]
	v_add_f64_e32 v[81:82], v[81:82], v[115:116]
	v_add_f64_e32 v[83:84], v[117:118], v[83:84]
	;; [unrolled: 1-line block ×8, first 2 shown]
	s_wait_dscnt 0x1
	v_mul_f64_e32 v[87:88], v[55:56], v[63:64]
	v_mul_f64_e32 v[89:90], v[53:54], v[63:64]
	s_wait_dscnt 0x0
	v_mul_f64_e32 v[91:92], v[55:56], v[67:68]
	v_mul_f64_e32 v[93:94], v[53:54], v[67:68]
	v_mul_f64_e32 v[117:118], v[59:60], v[63:64]
	v_mul_f64_e32 v[63:64], v[57:58], v[63:64]
	v_mul_f64_e32 v[119:120], v[59:60], v[67:68]
	v_mul_f64_e32 v[67:68], v[57:58], v[67:68]
	v_fma_f64 v[95:96], v[21:22], v[25:26], -v[95:96]
	v_fma_f64 v[99:100], v[23:24], v[25:26], v[99:100]
	v_fma_f64 v[101:102], v[21:22], v[29:30], -v[101:102]
	v_fma_f64 v[103:104], v[23:24], v[29:30], v[103:104]
	v_fma_f64 v[127:128], v[35:36], v[25:26], v[27:28]
	;; [unrolled: 1-line block ×3, first 2 shown]
	ds_load_b128 v[1:4], v39 offset:96
	ds_load_b128 v[43:46], v38 offset:3072
	ds_load_b128 v[47:50], v38 offset:3328
	ds_load_b128 v[69:72], v39 offset:2144
	ds_load_b128 v[21:24], v39 offset:112
	ds_load_b128 v[25:28], v39 offset:2160
	ds_load_b128 v[29:32], v38 offset:3584
	ds_load_b128 v[33:36], v38 offset:3840
	s_wait_loadcnt_dscnt 0x0
	s_barrier_signal -1
	s_barrier_wait -1
	global_inv scope:SCOPE_SE
	v_add_f64_e32 v[81:82], v[81:82], v[97:98]
	v_add_f64_e32 v[83:84], v[105:106], v[83:84]
	;; [unrolled: 1-line block ×8, first 2 shown]
	v_mul_f64_e32 v[79:80], v[3:4], v[45:46]
	v_mul_f64_e32 v[105:106], v[1:2], v[45:46]
	;; [unrolled: 1-line block ×8, first 2 shown]
	v_fma_f64 v[87:88], v[53:54], v[61:62], -v[87:88]
	v_fma_f64 v[89:90], v[55:56], v[61:62], v[89:90]
	v_fma_f64 v[53:54], v[53:54], v[65:66], -v[91:92]
	v_fma_f64 v[55:56], v[55:56], v[65:66], v[93:94]
	;; [unrolled: 2-line block ×4, first 2 shown]
	v_mul_f64_e32 v[93:94], v[23:24], v[35:36]
	v_add_f64_e32 v[63:64], v[81:82], v[95:96]
	v_add_f64_e32 v[65:66], v[99:100], v[83:84]
	;; [unrolled: 1-line block ×8, first 2 shown]
	v_mul_f64_e32 v[83:84], v[23:24], v[31:32]
	v_mul_f64_e32 v[85:86], v[21:22], v[31:32]
	v_mul_f64_e32 v[95:96], v[21:22], v[35:36]
	v_mul_f64_e32 v[97:98], v[27:28], v[31:32]
	v_mul_f64_e32 v[31:32], v[25:26], v[31:32]
	v_mul_f64_e32 v[99:100], v[27:28], v[35:36]
	v_mul_f64_e32 v[35:36], v[25:26], v[35:36]
	v_fma_f64 v[79:80], v[1:2], v[43:44], -v[79:80]
	v_fma_f64 v[101:102], v[3:4], v[43:44], v[105:106]
	v_fma_f64 v[1:2], v[1:2], v[47:48], -v[107:108]
	v_fma_f64 v[3:4], v[3:4], v[47:48], v[109:110]
	;; [unrolled: 2-line block ×4, first 2 shown]
	v_add_f64_e32 v[49:50], v[63:64], v[87:88]
	v_add_f64_e32 v[63:64], v[89:90], v[65:66]
	v_add_f64_e32 v[53:54], v[67:68], v[53:54]
	v_add_f64_e32 v[55:56], v[55:56], v[73:74]
	v_add_f64_e32 v[65:66], v[81:82], v[91:92]
	v_add_f64_e32 v[61:62], v[61:62], v[75:76]
	v_add_f64_e32 v[57:58], v[77:78], v[57:58]
	v_add_f64_e32 v[51:52], v[59:60], v[51:52]
	v_fma_f64 v[59:60], v[21:22], v[29:30], -v[83:84]
	v_fma_f64 v[67:68], v[23:24], v[29:30], v[85:86]
	v_fma_f64 v[21:22], v[21:22], v[33:34], -v[93:94]
	v_fma_f64 v[23:24], v[23:24], v[33:34], v[95:96]
	;; [unrolled: 2-line block ×4, first 2 shown]
	v_add_f64_e32 v[25:26], v[49:50], v[79:80]
	v_add_f64_e32 v[27:28], v[101:102], v[63:64]
	;; [unrolled: 1-line block ×16, first 2 shown]
	s_cbranch_scc0 .LBB115_16
.LBB115_10:                             ;   Parent Loop BB115_7 Depth=1
                                        ; =>  This Inner Loop Header: Depth=2
	s_wait_alu 0xfffe
	v_add_nc_u32_e32 v1, s2, v40
	v_mov_b32_e32 v3, 0
	v_mov_b32_e32 v4, 0
	s_delay_alu instid0(VALU_DEP_3)
	v_cmp_gt_i32_e32 vcc_lo, s19, v1
	v_mov_b32_e32 v1, 0
	v_mov_b32_e32 v2, 0
	s_and_b32 s22, s0, vcc_lo
	s_wait_alu 0xfffe
	s_and_saveexec_b32 s3, s22
	s_cbranch_execz .LBB115_12
; %bb.11:                               ;   in Loop: Header=BB115_10 Depth=2
	global_load_b128 v[1:4], v[17:18], off offset:-8
	s_wait_loadcnt 0x0
	v_xor_b32_e32 v4, 0x80000000, v4
.LBB115_12:                             ;   in Loop: Header=BB115_10 Depth=2
	s_wait_alu 0xfffe
	s_or_b32 exec_lo, exec_lo, s3
	v_add_nc_u32_e32 v43, s2, v37
	ds_store_b128 v41, v[1:4]
	v_cmp_le_i32_e32 vcc_lo, s19, v43
	s_or_b32 s3, vcc_lo, s21
	s_wait_alu 0xfffe
	s_and_saveexec_b32 s22, s3
	s_wait_alu 0xfffe
	s_xor_b32 s3, exec_lo, s22
; %bb.13:                               ;   in Loop: Header=BB115_10 Depth=2
	v_dual_mov_b32 v1, v0 :: v_dual_mov_b32 v2, v0
	v_mov_b32_e32 v3, v0
	ds_store_b128 v42, v[0:3]
; %bb.14:                               ;   in Loop: Header=BB115_10 Depth=2
	s_wait_alu 0xfffe
	s_and_not1_saveexec_b32 s3, s3
	s_cbranch_execz .LBB115_9
; %bb.15:                               ;   in Loop: Header=BB115_10 Depth=2
	global_load_b128 v[1:4], v[19:20], off
	s_wait_loadcnt 0x0
	ds_store_2addr_b64 v42, v[1:2], v[3:4] offset1:1
	s_branch .LBB115_9
.LBB115_16:                             ;   in Loop: Header=BB115_7 Depth=1
	s_mul_u64 s[2:3], s[30:31], s[28:29]
	s_wait_alu 0xfffe
	s_lshl_b64 s[2:3], s[2:3], 4
	s_wait_alu 0xfffe
	s_add_nc_u64 s[2:3], s[24:25], s[2:3]
	s_wait_alu 0xfffe
	v_add_co_u32 v17, vcc_lo, s2, v13
	s_wait_alu 0xfffd
	v_add_co_ci_u32_e64 v18, null, s3, v14, vcc_lo
	s_and_saveexec_b32 s22, s33
	s_cbranch_execz .LBB115_21
; %bb.17:                               ;   in Loop: Header=BB115_7 Depth=1
	v_mul_f64_e32 v[1:2], s[14:15], v[35:36]
	v_mul_f64_e32 v[3:4], s[12:13], v[35:36]
	s_and_b32 vcc_lo, exec_lo, s36
	s_mov_b32 s23, -1
	s_delay_alu instid0(VALU_DEP_2) | instskip(NEXT) | instid1(VALU_DEP_2)
	v_fma_f64 v[1:2], s[12:13], v[33:34], -v[1:2]
	v_fma_f64 v[3:4], s[14:15], v[33:34], v[3:4]
	s_wait_alu 0xfffe
	s_cbranch_vccz .LBB115_19
; %bb.18:                               ;   in Loop: Header=BB115_7 Depth=1
	v_lshlrev_b64_e32 v[19:20], 4, v[5:6]
	s_mov_b32 s23, 0
	s_delay_alu instid0(VALU_DEP_1) | instskip(SKIP_1) | instid1(VALU_DEP_2)
	v_add_co_u32 v19, vcc_lo, v17, v19
	s_wait_alu 0xfffd
	v_add_co_ci_u32_e64 v20, null, v18, v20, vcc_lo
	global_load_b128 v[33:36], v[19:20], off
	s_wait_loadcnt 0x0
	v_mul_f64_e32 v[43:44], s[10:11], v[35:36]
	v_mul_f64_e32 v[35:36], s[8:9], v[35:36]
	s_delay_alu instid0(VALU_DEP_2) | instskip(NEXT) | instid1(VALU_DEP_2)
	v_fma_f64 v[43:44], s[8:9], v[33:34], -v[43:44]
	v_fma_f64 v[35:36], s[10:11], v[33:34], v[35:36]
	s_delay_alu instid0(VALU_DEP_2) | instskip(NEXT) | instid1(VALU_DEP_2)
	v_add_f64_e32 v[33:34], v[1:2], v[43:44]
	v_add_f64_e32 v[35:36], v[3:4], v[35:36]
	global_store_b128 v[19:20], v[33:36], off
.LBB115_19:                             ;   in Loop: Header=BB115_7 Depth=1
	s_wait_alu 0xfffe
	s_and_not1_b32 vcc_lo, exec_lo, s23
	s_wait_alu 0xfffe
	s_cbranch_vccnz .LBB115_21
; %bb.20:                               ;   in Loop: Header=BB115_7 Depth=1
	v_lshlrev_b64_e32 v[19:20], 4, v[5:6]
	s_delay_alu instid0(VALU_DEP_1) | instskip(SKIP_1) | instid1(VALU_DEP_2)
	v_add_co_u32 v19, vcc_lo, v17, v19
	s_wait_alu 0xfffd
	v_add_co_ci_u32_e64 v20, null, v18, v20, vcc_lo
	global_store_b128 v[19:20], v[1:4], off
.LBB115_21:                             ;   in Loop: Header=BB115_7 Depth=1
	s_wait_alu 0xfffe
	s_or_b32 exec_lo, exec_lo, s22
	s_and_saveexec_b32 s22, s18
	s_cbranch_execz .LBB115_26
; %bb.22:                               ;   in Loop: Header=BB115_7 Depth=1
	v_mul_f64_e32 v[1:2], s[14:15], v[31:32]
	v_mul_f64_e32 v[3:4], s[12:13], v[31:32]
	s_and_not1_b32 vcc_lo, exec_lo, s36
	s_mov_b32 s23, -1
	s_delay_alu instid0(VALU_DEP_2) | instskip(NEXT) | instid1(VALU_DEP_2)
	v_fma_f64 v[1:2], s[12:13], v[29:30], -v[1:2]
	v_fma_f64 v[3:4], s[14:15], v[29:30], v[3:4]
	s_wait_alu 0xfffe
	s_cbranch_vccnz .LBB115_24
; %bb.23:                               ;   in Loop: Header=BB115_7 Depth=1
	v_lshlrev_b64_e32 v[19:20], 4, v[7:8]
	s_mov_b32 s23, 0
	s_delay_alu instid0(VALU_DEP_1) | instskip(SKIP_1) | instid1(VALU_DEP_2)
	v_add_co_u32 v19, vcc_lo, v17, v19
	s_wait_alu 0xfffd
	v_add_co_ci_u32_e64 v20, null, v18, v20, vcc_lo
	global_load_b128 v[29:32], v[19:20], off
	s_wait_loadcnt 0x0
	v_mul_f64_e32 v[33:34], s[10:11], v[31:32]
	v_mul_f64_e32 v[31:32], s[8:9], v[31:32]
	s_delay_alu instid0(VALU_DEP_2) | instskip(NEXT) | instid1(VALU_DEP_2)
	v_fma_f64 v[33:34], s[8:9], v[29:30], -v[33:34]
	v_fma_f64 v[31:32], s[10:11], v[29:30], v[31:32]
	s_delay_alu instid0(VALU_DEP_2) | instskip(NEXT) | instid1(VALU_DEP_2)
	v_add_f64_e32 v[29:30], v[1:2], v[33:34]
	v_add_f64_e32 v[31:32], v[3:4], v[31:32]
	global_store_b128 v[19:20], v[29:32], off
.LBB115_24:                             ;   in Loop: Header=BB115_7 Depth=1
	s_wait_alu 0xfffe
	s_and_not1_b32 vcc_lo, exec_lo, s23
	s_wait_alu 0xfffe
	s_cbranch_vccnz .LBB115_26
; %bb.25:                               ;   in Loop: Header=BB115_7 Depth=1
	v_lshlrev_b64_e32 v[19:20], 4, v[7:8]
	s_delay_alu instid0(VALU_DEP_1) | instskip(SKIP_1) | instid1(VALU_DEP_2)
	v_add_co_u32 v17, vcc_lo, v17, v19
	s_wait_alu 0xfffd
	v_add_co_ci_u32_e64 v18, null, v18, v20, vcc_lo
	global_store_b128 v[17:18], v[1:4], off
.LBB115_26:                             ;   in Loop: Header=BB115_7 Depth=1
	s_wait_alu 0xfffe
	s_or_b32 exec_lo, exec_lo, s22
	v_add_co_u32 v19, vcc_lo, s2, v15
	s_wait_alu 0xfffd
	v_add_co_ci_u32_e64 v20, null, s3, v16, vcc_lo
	s_and_saveexec_b32 s2, s26
	s_cbranch_execz .LBB115_31
; %bb.27:                               ;   in Loop: Header=BB115_7 Depth=1
	v_mul_f64_e32 v[1:2], s[14:15], v[27:28]
	v_mul_f64_e32 v[3:4], s[12:13], v[27:28]
	v_lshlrev_b64_e32 v[17:18], 4, v[5:6]
	s_and_not1_b32 vcc_lo, exec_lo, s36
	s_mov_b32 s3, -1
	s_delay_alu instid0(VALU_DEP_3) | instskip(NEXT) | instid1(VALU_DEP_3)
	v_fma_f64 v[1:2], s[12:13], v[25:26], -v[1:2]
	v_fma_f64 v[3:4], s[14:15], v[25:26], v[3:4]
	s_wait_alu 0xfffe
	s_cbranch_vccnz .LBB115_29
; %bb.28:                               ;   in Loop: Header=BB115_7 Depth=1
	v_add_co_u32 v29, vcc_lo, v19, v17
	s_wait_alu 0xfffd
	v_add_co_ci_u32_e64 v30, null, v20, v18, vcc_lo
	s_mov_b32 s3, 0
	global_load_b128 v[25:28], v[29:30], off
	s_wait_loadcnt 0x0
	v_mul_f64_e32 v[31:32], s[10:11], v[27:28]
	v_mul_f64_e32 v[27:28], s[8:9], v[27:28]
	s_delay_alu instid0(VALU_DEP_2) | instskip(NEXT) | instid1(VALU_DEP_2)
	v_fma_f64 v[31:32], s[8:9], v[25:26], -v[31:32]
	v_fma_f64 v[27:28], s[10:11], v[25:26], v[27:28]
	s_delay_alu instid0(VALU_DEP_2) | instskip(NEXT) | instid1(VALU_DEP_2)
	v_add_f64_e32 v[25:26], v[1:2], v[31:32]
	v_add_f64_e32 v[27:28], v[3:4], v[27:28]
	global_store_b128 v[29:30], v[25:28], off
.LBB115_29:                             ;   in Loop: Header=BB115_7 Depth=1
	s_wait_alu 0xfffe
	s_and_not1_b32 vcc_lo, exec_lo, s3
	s_wait_alu 0xfffe
	s_cbranch_vccnz .LBB115_31
; %bb.30:                               ;   in Loop: Header=BB115_7 Depth=1
	v_add_co_u32 v17, vcc_lo, v19, v17
	s_wait_alu 0xfffd
	v_add_co_ci_u32_e64 v18, null, v20, v18, vcc_lo
	global_store_b128 v[17:18], v[1:4], off
.LBB115_31:                             ;   in Loop: Header=BB115_7 Depth=1
	s_wait_alu 0xfffe
	s_or_b32 exec_lo, exec_lo, s2
	s_and_saveexec_b32 s2, s1
	s_cbranch_execz .LBB115_6
; %bb.32:                               ;   in Loop: Header=BB115_7 Depth=1
	v_mul_f64_e32 v[1:2], s[14:15], v[21:22]
	v_mul_f64_e32 v[3:4], s[12:13], v[21:22]
	v_lshlrev_b64_e32 v[17:18], 4, v[7:8]
	s_and_not1_b32 vcc_lo, exec_lo, s36
	s_mov_b32 s3, -1
	s_delay_alu instid0(VALU_DEP_3) | instskip(NEXT) | instid1(VALU_DEP_3)
	v_fma_f64 v[1:2], s[12:13], v[23:24], -v[1:2]
	v_fma_f64 v[3:4], s[14:15], v[23:24], v[3:4]
	s_wait_alu 0xfffe
	s_cbranch_vccnz .LBB115_34
; %bb.33:                               ;   in Loop: Header=BB115_7 Depth=1
	v_add_co_u32 v25, vcc_lo, v19, v17
	s_wait_alu 0xfffd
	v_add_co_ci_u32_e64 v26, null, v20, v18, vcc_lo
	s_mov_b32 s3, 0
	global_load_b128 v[21:24], v[25:26], off
	s_wait_loadcnt 0x0
	v_mul_f64_e32 v[27:28], s[10:11], v[23:24]
	v_mul_f64_e32 v[23:24], s[8:9], v[23:24]
	s_delay_alu instid0(VALU_DEP_2) | instskip(NEXT) | instid1(VALU_DEP_2)
	v_fma_f64 v[27:28], s[8:9], v[21:22], -v[27:28]
	v_fma_f64 v[23:24], s[10:11], v[21:22], v[23:24]
	s_delay_alu instid0(VALU_DEP_2) | instskip(NEXT) | instid1(VALU_DEP_2)
	v_add_f64_e32 v[21:22], v[1:2], v[27:28]
	v_add_f64_e32 v[23:24], v[3:4], v[23:24]
	global_store_b128 v[25:26], v[21:24], off
.LBB115_34:                             ;   in Loop: Header=BB115_7 Depth=1
	s_wait_alu 0xfffe
	s_and_not1_b32 vcc_lo, exec_lo, s3
	s_wait_alu 0xfffe
	s_cbranch_vccnz .LBB115_6
; %bb.35:                               ;   in Loop: Header=BB115_7 Depth=1
	v_add_co_u32 v17, vcc_lo, v19, v17
	s_wait_alu 0xfffd
	v_add_co_ci_u32_e64 v18, null, v20, v18, vcc_lo
	global_store_b128 v[17:18], v[1:4], off
	s_branch .LBB115_6
.LBB115_36:
.LBB115_37:
	s_nop 0
	s_sendmsg sendmsg(MSG_DEALLOC_VGPRS)
	s_endpgm
	.section	.rodata,"a",@progbits
	.p2align	6, 0x0
	.amdhsa_kernel _ZL29rocblas_internal_gemmt_kernelIiLi16ELi32ELi8ELc67ELc84ELc85ELb1ELb0E19rocblas_complex_numIdEPKS1_S3_PS1_EviT_T9_T10_S5_lS7_S5_lS6_T11_S5_li
		.amdhsa_group_segment_fixed_size 8192
		.amdhsa_private_segment_fixed_size 0
		.amdhsa_kernarg_size 100
		.amdhsa_user_sgpr_count 2
		.amdhsa_user_sgpr_dispatch_ptr 0
		.amdhsa_user_sgpr_queue_ptr 0
		.amdhsa_user_sgpr_kernarg_segment_ptr 1
		.amdhsa_user_sgpr_dispatch_id 0
		.amdhsa_user_sgpr_private_segment_size 0
		.amdhsa_wavefront_size32 1
		.amdhsa_uses_dynamic_stack 0
		.amdhsa_enable_private_segment 0
		.amdhsa_system_sgpr_workgroup_id_x 1
		.amdhsa_system_sgpr_workgroup_id_y 1
		.amdhsa_system_sgpr_workgroup_id_z 1
		.amdhsa_system_sgpr_workgroup_info 0
		.amdhsa_system_vgpr_workitem_id 1
		.amdhsa_next_free_vgpr 131
		.amdhsa_next_free_sgpr 40
		.amdhsa_reserve_vcc 1
		.amdhsa_float_round_mode_32 0
		.amdhsa_float_round_mode_16_64 0
		.amdhsa_float_denorm_mode_32 3
		.amdhsa_float_denorm_mode_16_64 3
		.amdhsa_fp16_overflow 0
		.amdhsa_workgroup_processor_mode 1
		.amdhsa_memory_ordered 1
		.amdhsa_forward_progress 1
		.amdhsa_inst_pref_size 27
		.amdhsa_round_robin_scheduling 0
		.amdhsa_exception_fp_ieee_invalid_op 0
		.amdhsa_exception_fp_denorm_src 0
		.amdhsa_exception_fp_ieee_div_zero 0
		.amdhsa_exception_fp_ieee_overflow 0
		.amdhsa_exception_fp_ieee_underflow 0
		.amdhsa_exception_fp_ieee_inexact 0
		.amdhsa_exception_int_div_zero 0
	.end_amdhsa_kernel
	.section	.text._ZL29rocblas_internal_gemmt_kernelIiLi16ELi32ELi8ELc67ELc84ELc85ELb1ELb0E19rocblas_complex_numIdEPKS1_S3_PS1_EviT_T9_T10_S5_lS7_S5_lS6_T11_S5_li,"axG",@progbits,_ZL29rocblas_internal_gemmt_kernelIiLi16ELi32ELi8ELc67ELc84ELc85ELb1ELb0E19rocblas_complex_numIdEPKS1_S3_PS1_EviT_T9_T10_S5_lS7_S5_lS6_T11_S5_li,comdat
.Lfunc_end115:
	.size	_ZL29rocblas_internal_gemmt_kernelIiLi16ELi32ELi8ELc67ELc84ELc85ELb1ELb0E19rocblas_complex_numIdEPKS1_S3_PS1_EviT_T9_T10_S5_lS7_S5_lS6_T11_S5_li, .Lfunc_end115-_ZL29rocblas_internal_gemmt_kernelIiLi16ELi32ELi8ELc67ELc84ELc85ELb1ELb0E19rocblas_complex_numIdEPKS1_S3_PS1_EviT_T9_T10_S5_lS7_S5_lS6_T11_S5_li
                                        ; -- End function
	.set _ZL29rocblas_internal_gemmt_kernelIiLi16ELi32ELi8ELc67ELc84ELc85ELb1ELb0E19rocblas_complex_numIdEPKS1_S3_PS1_EviT_T9_T10_S5_lS7_S5_lS6_T11_S5_li.num_vgpr, 131
	.set _ZL29rocblas_internal_gemmt_kernelIiLi16ELi32ELi8ELc67ELc84ELc85ELb1ELb0E19rocblas_complex_numIdEPKS1_S3_PS1_EviT_T9_T10_S5_lS7_S5_lS6_T11_S5_li.num_agpr, 0
	.set _ZL29rocblas_internal_gemmt_kernelIiLi16ELi32ELi8ELc67ELc84ELc85ELb1ELb0E19rocblas_complex_numIdEPKS1_S3_PS1_EviT_T9_T10_S5_lS7_S5_lS6_T11_S5_li.numbered_sgpr, 40
	.set _ZL29rocblas_internal_gemmt_kernelIiLi16ELi32ELi8ELc67ELc84ELc85ELb1ELb0E19rocblas_complex_numIdEPKS1_S3_PS1_EviT_T9_T10_S5_lS7_S5_lS6_T11_S5_li.num_named_barrier, 0
	.set _ZL29rocblas_internal_gemmt_kernelIiLi16ELi32ELi8ELc67ELc84ELc85ELb1ELb0E19rocblas_complex_numIdEPKS1_S3_PS1_EviT_T9_T10_S5_lS7_S5_lS6_T11_S5_li.private_seg_size, 0
	.set _ZL29rocblas_internal_gemmt_kernelIiLi16ELi32ELi8ELc67ELc84ELc85ELb1ELb0E19rocblas_complex_numIdEPKS1_S3_PS1_EviT_T9_T10_S5_lS7_S5_lS6_T11_S5_li.uses_vcc, 1
	.set _ZL29rocblas_internal_gemmt_kernelIiLi16ELi32ELi8ELc67ELc84ELc85ELb1ELb0E19rocblas_complex_numIdEPKS1_S3_PS1_EviT_T9_T10_S5_lS7_S5_lS6_T11_S5_li.uses_flat_scratch, 0
	.set _ZL29rocblas_internal_gemmt_kernelIiLi16ELi32ELi8ELc67ELc84ELc85ELb1ELb0E19rocblas_complex_numIdEPKS1_S3_PS1_EviT_T9_T10_S5_lS7_S5_lS6_T11_S5_li.has_dyn_sized_stack, 0
	.set _ZL29rocblas_internal_gemmt_kernelIiLi16ELi32ELi8ELc67ELc84ELc85ELb1ELb0E19rocblas_complex_numIdEPKS1_S3_PS1_EviT_T9_T10_S5_lS7_S5_lS6_T11_S5_li.has_recursion, 0
	.set _ZL29rocblas_internal_gemmt_kernelIiLi16ELi32ELi8ELc67ELc84ELc85ELb1ELb0E19rocblas_complex_numIdEPKS1_S3_PS1_EviT_T9_T10_S5_lS7_S5_lS6_T11_S5_li.has_indirect_call, 0
	.section	.AMDGPU.csdata,"",@progbits
; Kernel info:
; codeLenInByte = 3424
; TotalNumSgprs: 42
; NumVgprs: 131
; ScratchSize: 0
; MemoryBound: 1
; FloatMode: 240
; IeeeMode: 1
; LDSByteSize: 8192 bytes/workgroup (compile time only)
; SGPRBlocks: 0
; VGPRBlocks: 16
; NumSGPRsForWavesPerEU: 42
; NumVGPRsForWavesPerEU: 131
; Occupancy: 10
; WaveLimiterHint : 0
; COMPUTE_PGM_RSRC2:SCRATCH_EN: 0
; COMPUTE_PGM_RSRC2:USER_SGPR: 2
; COMPUTE_PGM_RSRC2:TRAP_HANDLER: 0
; COMPUTE_PGM_RSRC2:TGID_X_EN: 1
; COMPUTE_PGM_RSRC2:TGID_Y_EN: 1
; COMPUTE_PGM_RSRC2:TGID_Z_EN: 1
; COMPUTE_PGM_RSRC2:TIDIG_COMP_CNT: 1
	.section	.text._ZL29rocblas_internal_gemmt_kernelIiLi16ELi32ELi8ELc67ELc67ELc85ELb1ELb1E19rocblas_complex_numIdEPKS1_S3_PS1_EviT_T9_T10_S5_lS7_S5_lS6_T11_S5_li,"axG",@progbits,_ZL29rocblas_internal_gemmt_kernelIiLi16ELi32ELi8ELc67ELc67ELc85ELb1ELb1E19rocblas_complex_numIdEPKS1_S3_PS1_EviT_T9_T10_S5_lS7_S5_lS6_T11_S5_li,comdat
	.globl	_ZL29rocblas_internal_gemmt_kernelIiLi16ELi32ELi8ELc67ELc67ELc85ELb1ELb1E19rocblas_complex_numIdEPKS1_S3_PS1_EviT_T9_T10_S5_lS7_S5_lS6_T11_S5_li ; -- Begin function _ZL29rocblas_internal_gemmt_kernelIiLi16ELi32ELi8ELc67ELc67ELc85ELb1ELb1E19rocblas_complex_numIdEPKS1_S3_PS1_EviT_T9_T10_S5_lS7_S5_lS6_T11_S5_li
	.p2align	8
	.type	_ZL29rocblas_internal_gemmt_kernelIiLi16ELi32ELi8ELc67ELc67ELc85ELb1ELb1E19rocblas_complex_numIdEPKS1_S3_PS1_EviT_T9_T10_S5_lS7_S5_lS6_T11_S5_li,@function
_ZL29rocblas_internal_gemmt_kernelIiLi16ELi32ELi8ELc67ELc67ELc85ELb1ELb1E19rocblas_complex_numIdEPKS1_S3_PS1_EviT_T9_T10_S5_lS7_S5_lS6_T11_S5_li: ; @_ZL29rocblas_internal_gemmt_kernelIiLi16ELi32ELi8ELc67ELc67ELc85ELb1ELb1E19rocblas_complex_numIdEPKS1_S3_PS1_EviT_T9_T10_S5_lS7_S5_lS6_T11_S5_li
; %bb.0:
	s_load_b128 s[12:15], s[0:1], 0x38
	s_wait_kmcnt 0x0
	s_load_b128 s[4:7], s[14:15], 0x0
	s_clause 0x1
	s_load_b128 s[16:19], s[0:1], 0x8
	s_load_b64 s[14:15], s[0:1], 0x0
	s_wait_kmcnt 0x0
	s_load_b128 s[8:11], s[16:17], 0x0
	v_cmp_eq_f64_e64 s2, s[4:5], 1.0
	v_cmp_eq_f64_e64 s33, s[6:7], 0
	s_and_b32 s2, s2, s33
	s_delay_alu instid0(SALU_CYCLE_1)
	s_and_not1_b32 vcc_lo, exec_lo, s2
	s_mov_b32 s2, -1
	s_cbranch_vccnz .LBB116_3
; %bb.1:
	s_cmp_lg_u32 s15, 0
	s_cbranch_scc0 .LBB116_34
; %bb.2:
	s_wait_kmcnt 0x0
	v_cmp_neq_f64_e64 s2, s[8:9], 0
	v_cmp_neq_f64_e64 s3, s[10:11], 0
	s_or_b32 s2, s2, s3
.LBB116_3:
	s_delay_alu instid0(SALU_CYCLE_1)
	s_and_b32 vcc_lo, exec_lo, s2
	s_cbranch_vccz .LBB116_35
; %bb.4:
	s_load_b32 s27, s[0:1], 0x60
	s_lshr_b32 s16, ttmp7, 16
	s_wait_kmcnt 0x0
	s_cmp_ge_u32 s16, s27
	s_cbranch_scc1 .LBB116_35
; %bb.5:
	v_cmp_neq_f64_e64 s34, s[8:9], 0
	v_cmp_neq_f64_e64 s35, s[10:11], 0
	v_and_b32_e32 v1, 0x3ff, v0
	v_bfe_u32 v2, v0, 10, 10
	s_clause 0x4
	s_load_b32 s37, s[0:1], 0x18
	s_load_b128 s[20:23], s[0:1], 0x20
	s_load_b32 s30, s[0:1], 0x30
	s_load_b96 s[24:26], s[0:1], 0x48
	s_load_b64 s[28:29], s[0:1], 0x58
	v_and_b32_e32 v40, 7, v0
	s_lshl_b32 s0, ttmp9, 5
	v_lshlrev_b32_e32 v41, 4, v1
	v_lshl_add_u32 v0, v2, 4, v1
	v_add_nc_u32_e32 v8, s0, v1
	v_lshlrev_b32_e32 v3, 4, v40
	s_lshl_b32 s1, ttmp7, 5
	v_cmp_neq_f64_e64 s36, s[4:5], 0
	v_lshrrev_b32_e32 v43, 5, v0
	v_and_b32_e32 v1, 31, v0
	v_lshrrev_b32_e32 v0, 3, v0
	s_wait_alu 0xfffe
	s_and_b32 s1, s1, 0x1fffe0
	v_lshl_add_u32 v42, v2, 7, 0x1000
	s_wait_alu 0xfffe
	v_add_nc_u32_e32 v2, s1, v2
	v_add_nc_u32_e32 v10, 16, v8
	v_or_b32_e32 v4, s0, v1
	v_add_nc_u32_e32 v12, s1, v0
	v_lshlrev_b32_e32 v1, 4, v1
	v_lshl_or_b32 v0, v0, 7, v3
	v_cmp_gt_i32_e32 vcc_lo, s14, v2
	v_cmp_le_i32_e64 s2, v8, v2
	v_cmp_le_i32_e64 s3, v10, v2
	v_lshl_or_b32 v44, v43, 9, v1
	v_add_nc_u32_e32 v45, 0x1000, v0
	s_wait_kmcnt 0x0
	v_mad_co_i64_i32 v[0:1], null, v2, s26, 0
	v_add_nc_u32_e32 v6, 16, v2
	v_mad_co_i64_i32 v[2:3], null, s37, v4, 0
	v_cmp_gt_i32_e64 s0, s14, v4
	v_mad_co_i64_i32 v[4:5], null, s30, v40, 0
	s_ashr_i32 s31, s30, 31
	v_lshlrev_b32_e32 v13, 4, v43
	s_or_b32 s38, s34, s35
	s_cmp_gt_i32 s15, 0
	v_lshlrev_b64_e32 v[2:3], 4, v[2:3]
	s_cselect_b32 s39, -1, 0
	s_and_b32 s34, vcc_lo, s2
	s_and_b32 s35, vcc_lo, s3
	v_cmp_gt_i32_e32 vcc_lo, s14, v6
	v_cmp_le_i32_e64 s2, v8, v6
	v_cmp_le_i32_e64 s3, v10, v6
	v_lshlrev_b64_e32 v[4:5], 4, v[4:5]
	v_cmp_gt_i32_e64 s1, s14, v12
	v_lshlrev_b32_e32 v12, 4, v12
	v_mad_co_i64_i32 v[6:7], null, v6, s26, 0
	s_and_b32 s14, vcc_lo, s2
	s_and_b32 s26, vcc_lo, s3
	v_add_co_u32 v2, vcc_lo, v2, v13
	s_delay_alu instid0(VALU_DEP_1)
	v_add_co_ci_u32_e64 v3, null, 0, v3, vcc_lo
	v_add_co_u32 v4, vcc_lo, v4, v12
	s_wait_alu 0xfffd
	v_add_co_ci_u32_e64 v5, null, 0, v5, vcc_lo
	v_add_co_u32 v2, vcc_lo, s18, v2
	s_wait_alu 0xfffd
	;; [unrolled: 3-line block ×4, first 2 shown]
	v_add_co_ci_u32_e64 v13, null, 0, v3, vcc_lo
	v_add_co_u32 v14, vcc_lo, v4, 8
	v_lshlrev_b64_e32 v[16:17], 4, v[0:1]
	v_lshlrev_b64_e32 v[18:19], 4, v[6:7]
	v_ashrrev_i32_e32 v9, 31, v8
	v_ashrrev_i32_e32 v11, 31, v10
	s_wait_alu 0xfffd
	v_add_co_ci_u32_e64 v15, null, 0, v5, vcc_lo
	s_xor_b32 s33, s33, -1
	s_mov_b32 s17, 0
	s_or_b32 s33, s36, s33
	s_and_b32 s22, s38, s39
	s_lshl_b64 s[2:3], s[20:21], 4
	s_lshl_b64 s[12:13], s[12:13], 4
	s_wait_alu 0xfffe
	s_lshl_b64 s[18:19], s[30:31], 7
	s_branch .LBB116_7
.LBB116_6:                              ;   in Loop: Header=BB116_7 Depth=1
	s_wait_alu 0xfffe
	s_or_b32 exec_lo, exec_lo, s20
	s_add_co_i32 s16, s16, 0x10000
	s_wait_alu 0xfffe
	s_cmp_lt_u32 s16, s27
	s_cbranch_scc0 .LBB116_35
.LBB116_7:                              ; =>This Loop Header: Depth=1
                                        ;     Child Loop BB116_10 Depth 2
	v_mov_b32_e32 v36, 0
	v_mov_b32_e32 v32, 0
	v_mov_b32_e32 v28, 0
	v_dual_mov_b32 v26, 0 :: v_dual_mov_b32 v37, 0
	v_dual_mov_b32 v38, 0 :: v_dual_mov_b32 v33, 0
	;; [unrolled: 1-line block ×5, first 2 shown]
	v_mov_b32_e32 v35, 0
	v_mov_b32_e32 v31, 0
	;; [unrolled: 1-line block ×3, first 2 shown]
	s_and_not1_b32 vcc_lo, exec_lo, s22
	s_wait_alu 0xfffe
	s_cbranch_vccnz .LBB116_14
; %bb.8:                                ;   in Loop: Header=BB116_7 Depth=1
	v_mad_co_u64_u32 v[20:21], null, s2, s16, v[12:13]
	v_mad_co_u64_u32 v[22:23], null, s12, s16, v[14:15]
	v_mov_b32_e32 v24, 0
	v_mov_b32_e32 v26, 0
	;; [unrolled: 1-line block ×4, first 2 shown]
	v_dual_mov_b32 v0, v21 :: v_dual_mov_b32 v25, 0
	v_mov_b32_e32 v1, v23
	v_dual_mov_b32 v27, 0 :: v_dual_mov_b32 v30, 0
	v_dual_mov_b32 v29, 0 :: v_dual_mov_b32 v34, 0
	s_delay_alu instid0(VALU_DEP_3)
	v_mad_co_u64_u32 v[2:3], null, s3, s16, v[0:1]
	v_dual_mov_b32 v33, 0 :: v_dual_mov_b32 v38, 0
	v_dual_mov_b32 v36, 0 :: v_dual_mov_b32 v31, 0
	v_mov_b32_e32 v35, 0
	v_mov_b32_e32 v39, 0
	v_mad_co_u64_u32 v[0:1], null, s13, s16, v[1:2]
	v_mov_b32_e32 v37, 0
	v_mov_b32_e32 v21, v2
	s_mov_b32 s20, 0
	s_delay_alu instid0(VALU_DEP_3)
	v_mov_b32_e32 v23, v0
	s_branch .LBB116_10
.LBB116_9:                              ;   in Loop: Header=BB116_10 Depth=2
	s_wait_alu 0xfffe
	s_or_b32 exec_lo, exec_lo, s21
	ds_store_b128 v45, v[4:7]
	s_wait_dscnt 0x0
	s_barrier_signal -1
	s_barrier_wait -1
	global_inv scope:SCOPE_SE
	ds_load_b128 v[0:3], v42
	ds_load_b128 v[4:7], v41
	ds_load_b128 v[46:49], v41 offset:256
	ds_load_b128 v[50:53], v42 offset:2048
	;; [unrolled: 1-line block ×10, first 2 shown]
	v_add_co_u32 v20, vcc_lo, 0x80, v20
	s_wait_alu 0xfffd
	v_add_co_ci_u32_e64 v21, null, 0, v21, vcc_lo
	v_add_co_u32 v22, vcc_lo, v22, s18
	s_wait_alu 0xfffd
	v_add_co_ci_u32_e64 v23, null, s19, v23, vcc_lo
	s_add_co_i32 s20, s20, 8
	s_wait_alu 0xfffe
	s_cmp_lt_i32 s20, s15
	s_wait_dscnt 0xa
	v_mul_f64_e32 v[86:87], v[2:3], v[6:7]
	v_mul_f64_e32 v[88:89], v[0:1], v[6:7]
	s_wait_dscnt 0x9
	v_mul_f64_e32 v[90:91], v[2:3], v[48:49]
	v_mul_f64_e32 v[92:93], v[0:1], v[48:49]
	;; [unrolled: 3-line block ×3, first 2 shown]
	v_mul_f64_e32 v[96:97], v[52:53], v[48:49]
	v_mul_f64_e32 v[48:49], v[50:51], v[48:49]
	s_wait_dscnt 0x5
	v_mul_f64_e32 v[98:99], v[56:57], v[64:65]
	v_mul_f64_e32 v[100:101], v[54:55], v[64:65]
	s_wait_dscnt 0x4
	v_mul_f64_e32 v[102:103], v[56:57], v[68:69]
	v_mul_f64_e32 v[104:105], v[54:55], v[68:69]
	v_mul_f64_e32 v[106:107], v[60:61], v[64:65]
	v_mul_f64_e32 v[64:65], v[58:59], v[64:65]
	v_mul_f64_e32 v[108:109], v[60:61], v[68:69]
	v_mul_f64_e32 v[68:69], v[58:59], v[68:69]
	s_wait_dscnt 0x2
	v_mul_f64_e32 v[114:115], v[72:73], v[76:77]
	v_mul_f64_e32 v[116:117], v[70:71], v[76:77]
	s_wait_dscnt 0x1
	v_mul_f64_e32 v[118:119], v[72:73], v[80:81]
	v_mul_f64_e32 v[120:121], v[70:71], v[80:81]
	;; [unrolled: 3-line block ×3, first 2 shown]
	v_mul_f64_e32 v[124:125], v[84:85], v[80:81]
	v_mul_f64_e32 v[80:81], v[82:83], v[80:81]
	v_fma_f64 v[86:87], v[0:1], v[4:5], -v[86:87]
	v_fma_f64 v[88:89], v[2:3], v[4:5], v[88:89]
	v_fma_f64 v[90:91], v[0:1], v[46:47], -v[90:91]
	v_fma_f64 v[92:93], v[2:3], v[46:47], v[92:93]
	;; [unrolled: 2-line block ×8, first 2 shown]
	ds_load_b128 v[0:3], v42 offset:48
	ds_load_b128 v[4:7], v42 offset:2096
	;; [unrolled: 1-line block ×4, first 2 shown]
	v_fma_f64 v[114:115], v[70:71], v[74:75], -v[114:115]
	v_fma_f64 v[116:117], v[72:73], v[74:75], v[116:117]
	v_fma_f64 v[70:71], v[70:71], v[78:79], -v[118:119]
	v_fma_f64 v[72:73], v[72:73], v[78:79], v[120:121]
	;; [unrolled: 2-line block ×4, first 2 shown]
	s_wait_dscnt 0x1
	v_mul_f64_e32 v[104:105], v[0:1], v[48:49]
	s_wait_dscnt 0x0
	v_mul_f64_e32 v[106:107], v[2:3], v[52:53]
	v_mul_f64_e32 v[108:109], v[0:1], v[52:53]
	v_add_f64_e32 v[64:65], v[36:37], v[86:87]
	v_add_f64_e32 v[66:67], v[88:89], v[38:39]
	;; [unrolled: 1-line block ×8, first 2 shown]
	v_mul_f64_e32 v[96:97], v[2:3], v[48:49]
	v_mul_f64_e32 v[110:111], v[6:7], v[48:49]
	;; [unrolled: 1-line block ×5, first 2 shown]
	ds_load_b128 v[24:27], v42 offset:64
	ds_load_b128 v[28:31], v41 offset:2048
	;; [unrolled: 1-line block ×4, first 2 shown]
	s_wait_dscnt 0x0
	v_mul_f64_e32 v[120:121], v[38:39], v[30:31]
	v_mul_f64_e32 v[122:123], v[38:39], v[34:35]
	v_fma_f64 v[104:105], v[2:3], v[46:47], v[104:105]
	v_fma_f64 v[106:107], v[0:1], v[50:51], -v[106:107]
	v_fma_f64 v[108:109], v[2:3], v[50:51], v[108:109]
	v_add_f64_e32 v[80:81], v[64:65], v[98:99]
	v_add_f64_e32 v[82:83], v[100:101], v[66:67]
	;; [unrolled: 1-line block ×8, first 2 shown]
	v_mul_f64_e32 v[94:95], v[26:27], v[30:31]
	v_mul_f64_e32 v[98:99], v[24:25], v[30:31]
	;; [unrolled: 1-line block ×6, first 2 shown]
	v_fma_f64 v[96:97], v[0:1], v[46:47], -v[96:97]
	v_fma_f64 v[110:111], v[4:5], v[46:47], -v[110:111]
	v_fma_f64 v[124:125], v[6:7], v[46:47], v[48:49]
	v_fma_f64 v[112:113], v[4:5], v[50:51], -v[112:113]
	v_fma_f64 v[50:51], v[6:7], v[50:51], v[126:127]
	ds_load_b128 v[52:55], v42 offset:80
	ds_load_b128 v[56:59], v42 offset:2128
	;; [unrolled: 1-line block ×4, first 2 shown]
	v_fma_f64 v[120:121], v[36:37], v[28:29], -v[120:121]
	v_fma_f64 v[122:123], v[36:37], v[32:33], -v[122:123]
	v_add_f64_e32 v[80:81], v[80:81], v[114:115]
	v_add_f64_e32 v[82:83], v[116:117], v[82:83]
	;; [unrolled: 1-line block ×8, first 2 shown]
	s_wait_dscnt 0x1
	v_mul_f64_e32 v[86:87], v[54:55], v[62:63]
	v_mul_f64_e32 v[88:89], v[52:53], v[62:63]
	s_wait_dscnt 0x0
	v_mul_f64_e32 v[90:91], v[54:55], v[66:67]
	v_mul_f64_e32 v[92:93], v[52:53], v[66:67]
	;; [unrolled: 1-line block ×6, first 2 shown]
	v_fma_f64 v[94:95], v[24:25], v[28:29], -v[94:95]
	v_fma_f64 v[98:99], v[26:27], v[28:29], v[98:99]
	v_fma_f64 v[100:101], v[24:25], v[32:33], -v[100:101]
	v_fma_f64 v[102:103], v[26:27], v[32:33], v[102:103]
	v_fma_f64 v[126:127], v[38:39], v[28:29], v[30:31]
	;; [unrolled: 1-line block ×3, first 2 shown]
	ds_load_b128 v[0:3], v42 offset:96
	ds_load_b128 v[4:7], v41 offset:3072
	;; [unrolled: 1-line block ×8, first 2 shown]
	s_wait_loadcnt_dscnt 0x0
	s_barrier_signal -1
	s_barrier_wait -1
	global_inv scope:SCOPE_SE
	v_add_f64_e32 v[80:81], v[80:81], v[96:97]
	v_add_f64_e32 v[82:83], v[104:105], v[82:83]
	;; [unrolled: 1-line block ×8, first 2 shown]
	v_mul_f64_e32 v[78:79], v[2:3], v[6:7]
	v_mul_f64_e32 v[104:105], v[0:1], v[6:7]
	;; [unrolled: 1-line block ×8, first 2 shown]
	v_fma_f64 v[86:87], v[52:53], v[60:61], -v[86:87]
	v_fma_f64 v[88:89], v[54:55], v[60:61], v[88:89]
	v_fma_f64 v[52:53], v[52:53], v[64:65], -v[90:91]
	v_fma_f64 v[54:55], v[54:55], v[64:65], v[92:93]
	;; [unrolled: 2-line block ×4, first 2 shown]
	v_mul_f64_e32 v[92:93], v[26:27], v[38:39]
	v_add_f64_e32 v[62:63], v[80:81], v[94:95]
	v_add_f64_e32 v[64:65], v[98:99], v[82:83]
	v_add_f64_e32 v[66:67], v[96:97], v[100:101]
	v_add_f64_e32 v[72:73], v[102:103], v[72:73]
	v_add_f64_e32 v[80:81], v[84:85], v[120:121]
	v_add_f64_e32 v[74:75], v[126:127], v[74:75]
	v_add_f64_e32 v[76:77], v[76:77], v[122:123]
	v_add_f64_e32 v[50:51], v[128:129], v[50:51]
	v_mul_f64_e32 v[82:83], v[26:27], v[34:35]
	v_mul_f64_e32 v[84:85], v[24:25], v[34:35]
	;; [unrolled: 1-line block ×7, first 2 shown]
	v_fma_f64 v[78:79], v[0:1], v[4:5], -v[78:79]
	v_fma_f64 v[100:101], v[2:3], v[4:5], v[104:105]
	v_fma_f64 v[0:1], v[0:1], v[46:47], -v[106:107]
	v_fma_f64 v[2:3], v[2:3], v[46:47], v[108:109]
	;; [unrolled: 2-line block ×4, first 2 shown]
	v_add_f64_e32 v[48:49], v[62:63], v[86:87]
	v_add_f64_e32 v[62:63], v[88:89], v[64:65]
	;; [unrolled: 1-line block ×8, first 2 shown]
	v_fma_f64 v[58:59], v[24:25], v[32:33], -v[82:83]
	v_fma_f64 v[66:67], v[26:27], v[32:33], v[84:85]
	v_fma_f64 v[24:25], v[24:25], v[36:37], -v[92:93]
	v_fma_f64 v[26:27], v[26:27], v[36:37], v[94:95]
	;; [unrolled: 2-line block ×4, first 2 shown]
	v_add_f64_e32 v[28:29], v[48:49], v[78:79]
	v_add_f64_e32 v[30:31], v[100:101], v[62:63]
	;; [unrolled: 1-line block ×16, first 2 shown]
	s_cbranch_scc0 .LBB116_14
.LBB116_10:                             ;   Parent Loop BB116_7 Depth=1
                                        ; =>  This Inner Loop Header: Depth=2
	s_wait_alu 0xfffe
	v_add_nc_u32_e32 v0, s20, v43
	v_mov_b32_e32 v2, 0
	v_mov_b32_e32 v3, 0
	s_delay_alu instid0(VALU_DEP_3)
	v_cmp_gt_i32_e32 vcc_lo, s15, v0
	v_mov_b32_e32 v0, 0
	v_mov_b32_e32 v1, 0
	s_and_b32 s23, s0, vcc_lo
	s_wait_alu 0xfffe
	s_and_saveexec_b32 s21, s23
	s_cbranch_execz .LBB116_12
; %bb.11:                               ;   in Loop: Header=BB116_10 Depth=2
	global_load_b128 v[0:3], v[20:21], off offset:-8
	s_wait_loadcnt 0x0
	v_xor_b32_e32 v3, 0x80000000, v3
.LBB116_12:                             ;   in Loop: Header=BB116_10 Depth=2
	s_wait_alu 0xfffe
	s_or_b32 exec_lo, exec_lo, s21
	v_add_nc_u32_e32 v4, s20, v40
	v_mov_b32_e32 v6, 0
	v_mov_b32_e32 v7, 0
	ds_store_b128 v44, v[0:3]
	v_cmp_gt_i32_e32 vcc_lo, s15, v4
	v_mov_b32_e32 v4, 0
	v_mov_b32_e32 v5, 0
	s_and_b32 s23, vcc_lo, s1
	s_wait_alu 0xfffe
	s_and_saveexec_b32 s21, s23
	s_cbranch_execz .LBB116_9
; %bb.13:                               ;   in Loop: Header=BB116_10 Depth=2
	global_load_b128 v[4:7], v[22:23], off offset:-8
	s_wait_loadcnt 0x0
	v_xor_b32_e32 v7, 0x80000000, v7
	s_branch .LBB116_9
.LBB116_14:                             ;   in Loop: Header=BB116_7 Depth=1
	s_mul_u64 s[20:21], s[28:29], s[16:17]
	s_wait_alu 0xfffe
	s_lshl_b64 s[20:21], s[20:21], 4
	s_wait_alu 0xfffe
	s_add_nc_u64 s[20:21], s[24:25], s[20:21]
	s_wait_alu 0xfffe
	v_add_co_u32 v4, vcc_lo, s20, v16
	s_wait_alu 0xfffd
	v_add_co_ci_u32_e64 v5, null, s21, v17, vcc_lo
	s_and_saveexec_b32 s23, s34
	s_cbranch_execz .LBB116_19
; %bb.15:                               ;   in Loop: Header=BB116_7 Depth=1
	v_mul_f64_e32 v[0:1], s[10:11], v[38:39]
	v_mul_f64_e32 v[2:3], s[8:9], v[38:39]
	s_and_b32 vcc_lo, exec_lo, s33
	s_mov_b32 s30, -1
	s_delay_alu instid0(VALU_DEP_2) | instskip(NEXT) | instid1(VALU_DEP_2)
	v_fma_f64 v[0:1], s[8:9], v[36:37], -v[0:1]
	v_fma_f64 v[2:3], s[10:11], v[36:37], v[2:3]
	s_wait_alu 0xfffe
	s_cbranch_vccz .LBB116_17
; %bb.16:                               ;   in Loop: Header=BB116_7 Depth=1
	v_lshlrev_b64_e32 v[6:7], 4, v[8:9]
	s_mov_b32 s30, 0
	s_delay_alu instid0(VALU_DEP_1) | instskip(SKIP_1) | instid1(VALU_DEP_2)
	v_add_co_u32 v6, vcc_lo, v4, v6
	s_wait_alu 0xfffd
	v_add_co_ci_u32_e64 v7, null, v5, v7, vcc_lo
	global_load_b128 v[20:23], v[6:7], off
	s_wait_loadcnt 0x0
	v_mul_f64_e32 v[36:37], s[6:7], v[22:23]
	v_mul_f64_e32 v[22:23], s[4:5], v[22:23]
	s_delay_alu instid0(VALU_DEP_2) | instskip(NEXT) | instid1(VALU_DEP_2)
	v_fma_f64 v[36:37], s[4:5], v[20:21], -v[36:37]
	v_fma_f64 v[22:23], s[6:7], v[20:21], v[22:23]
	s_delay_alu instid0(VALU_DEP_2) | instskip(NEXT) | instid1(VALU_DEP_2)
	v_add_f64_e32 v[20:21], v[0:1], v[36:37]
	v_add_f64_e32 v[22:23], v[2:3], v[22:23]
	global_store_b128 v[6:7], v[20:23], off
.LBB116_17:                             ;   in Loop: Header=BB116_7 Depth=1
	s_wait_alu 0xfffe
	s_and_not1_b32 vcc_lo, exec_lo, s30
	s_wait_alu 0xfffe
	s_cbranch_vccnz .LBB116_19
; %bb.18:                               ;   in Loop: Header=BB116_7 Depth=1
	v_lshlrev_b64_e32 v[6:7], 4, v[8:9]
	s_delay_alu instid0(VALU_DEP_1) | instskip(SKIP_1) | instid1(VALU_DEP_2)
	v_add_co_u32 v6, vcc_lo, v4, v6
	s_wait_alu 0xfffd
	v_add_co_ci_u32_e64 v7, null, v5, v7, vcc_lo
	global_store_b128 v[6:7], v[0:3], off
.LBB116_19:                             ;   in Loop: Header=BB116_7 Depth=1
	s_wait_alu 0xfffe
	s_or_b32 exec_lo, exec_lo, s23
	s_and_saveexec_b32 s23, s35
	s_cbranch_execz .LBB116_24
; %bb.20:                               ;   in Loop: Header=BB116_7 Depth=1
	v_mul_f64_e32 v[0:1], s[10:11], v[34:35]
	v_mul_f64_e32 v[2:3], s[8:9], v[34:35]
	s_and_not1_b32 vcc_lo, exec_lo, s33
	s_mov_b32 s30, -1
	s_delay_alu instid0(VALU_DEP_2) | instskip(NEXT) | instid1(VALU_DEP_2)
	v_fma_f64 v[0:1], s[8:9], v[32:33], -v[0:1]
	v_fma_f64 v[2:3], s[10:11], v[32:33], v[2:3]
	s_wait_alu 0xfffe
	s_cbranch_vccnz .LBB116_22
; %bb.21:                               ;   in Loop: Header=BB116_7 Depth=1
	v_lshlrev_b64_e32 v[6:7], 4, v[10:11]
	s_mov_b32 s30, 0
	s_delay_alu instid0(VALU_DEP_1) | instskip(SKIP_1) | instid1(VALU_DEP_2)
	v_add_co_u32 v6, vcc_lo, v4, v6
	s_wait_alu 0xfffd
	v_add_co_ci_u32_e64 v7, null, v5, v7, vcc_lo
	global_load_b128 v[20:23], v[6:7], off
	s_wait_loadcnt 0x0
	v_mul_f64_e32 v[32:33], s[6:7], v[22:23]
	v_mul_f64_e32 v[22:23], s[4:5], v[22:23]
	s_delay_alu instid0(VALU_DEP_2) | instskip(NEXT) | instid1(VALU_DEP_2)
	v_fma_f64 v[32:33], s[4:5], v[20:21], -v[32:33]
	v_fma_f64 v[22:23], s[6:7], v[20:21], v[22:23]
	s_delay_alu instid0(VALU_DEP_2) | instskip(NEXT) | instid1(VALU_DEP_2)
	v_add_f64_e32 v[20:21], v[0:1], v[32:33]
	v_add_f64_e32 v[22:23], v[2:3], v[22:23]
	global_store_b128 v[6:7], v[20:23], off
.LBB116_22:                             ;   in Loop: Header=BB116_7 Depth=1
	s_wait_alu 0xfffe
	s_and_not1_b32 vcc_lo, exec_lo, s30
	s_wait_alu 0xfffe
	s_cbranch_vccnz .LBB116_24
; %bb.23:                               ;   in Loop: Header=BB116_7 Depth=1
	v_lshlrev_b64_e32 v[6:7], 4, v[10:11]
	s_delay_alu instid0(VALU_DEP_1) | instskip(SKIP_1) | instid1(VALU_DEP_2)
	v_add_co_u32 v4, vcc_lo, v4, v6
	s_wait_alu 0xfffd
	v_add_co_ci_u32_e64 v5, null, v5, v7, vcc_lo
	global_store_b128 v[4:5], v[0:3], off
.LBB116_24:                             ;   in Loop: Header=BB116_7 Depth=1
	s_wait_alu 0xfffe
	s_or_b32 exec_lo, exec_lo, s23
	v_add_co_u32 v6, vcc_lo, s20, v18
	s_wait_alu 0xfffd
	v_add_co_ci_u32_e64 v7, null, s21, v19, vcc_lo
	s_and_saveexec_b32 s20, s14
	s_cbranch_execz .LBB116_29
; %bb.25:                               ;   in Loop: Header=BB116_7 Depth=1
	v_mul_f64_e32 v[0:1], s[10:11], v[30:31]
	v_mul_f64_e32 v[2:3], s[8:9], v[30:31]
	v_lshlrev_b64_e32 v[4:5], 4, v[8:9]
	s_and_not1_b32 vcc_lo, exec_lo, s33
	s_mov_b32 s21, -1
	s_delay_alu instid0(VALU_DEP_3) | instskip(NEXT) | instid1(VALU_DEP_3)
	v_fma_f64 v[0:1], s[8:9], v[28:29], -v[0:1]
	v_fma_f64 v[2:3], s[10:11], v[28:29], v[2:3]
	s_wait_alu 0xfffe
	s_cbranch_vccnz .LBB116_27
; %bb.26:                               ;   in Loop: Header=BB116_7 Depth=1
	v_add_co_u32 v28, vcc_lo, v6, v4
	s_wait_alu 0xfffd
	v_add_co_ci_u32_e64 v29, null, v7, v5, vcc_lo
	s_mov_b32 s21, 0
	global_load_b128 v[20:23], v[28:29], off
	s_wait_loadcnt 0x0
	v_mul_f64_e32 v[30:31], s[6:7], v[22:23]
	v_mul_f64_e32 v[22:23], s[4:5], v[22:23]
	s_delay_alu instid0(VALU_DEP_2) | instskip(NEXT) | instid1(VALU_DEP_2)
	v_fma_f64 v[30:31], s[4:5], v[20:21], -v[30:31]
	v_fma_f64 v[22:23], s[6:7], v[20:21], v[22:23]
	s_delay_alu instid0(VALU_DEP_2) | instskip(NEXT) | instid1(VALU_DEP_2)
	v_add_f64_e32 v[20:21], v[0:1], v[30:31]
	v_add_f64_e32 v[22:23], v[2:3], v[22:23]
	global_store_b128 v[28:29], v[20:23], off
.LBB116_27:                             ;   in Loop: Header=BB116_7 Depth=1
	s_wait_alu 0xfffe
	s_and_not1_b32 vcc_lo, exec_lo, s21
	s_wait_alu 0xfffe
	s_cbranch_vccnz .LBB116_29
; %bb.28:                               ;   in Loop: Header=BB116_7 Depth=1
	v_add_co_u32 v4, vcc_lo, v6, v4
	s_wait_alu 0xfffd
	v_add_co_ci_u32_e64 v5, null, v7, v5, vcc_lo
	global_store_b128 v[4:5], v[0:3], off
.LBB116_29:                             ;   in Loop: Header=BB116_7 Depth=1
	s_wait_alu 0xfffe
	s_or_b32 exec_lo, exec_lo, s20
	s_and_saveexec_b32 s20, s26
	s_cbranch_execz .LBB116_6
; %bb.30:                               ;   in Loop: Header=BB116_7 Depth=1
	v_mul_f64_e32 v[0:1], s[10:11], v[24:25]
	v_mul_f64_e32 v[2:3], s[8:9], v[24:25]
	v_lshlrev_b64_e32 v[4:5], 4, v[10:11]
	s_and_not1_b32 vcc_lo, exec_lo, s33
	s_mov_b32 s21, -1
	s_delay_alu instid0(VALU_DEP_3) | instskip(NEXT) | instid1(VALU_DEP_3)
	v_fma_f64 v[0:1], s[8:9], v[26:27], -v[0:1]
	v_fma_f64 v[2:3], s[10:11], v[26:27], v[2:3]
	s_wait_alu 0xfffe
	s_cbranch_vccnz .LBB116_32
; %bb.31:                               ;   in Loop: Header=BB116_7 Depth=1
	v_add_co_u32 v24, vcc_lo, v6, v4
	s_wait_alu 0xfffd
	v_add_co_ci_u32_e64 v25, null, v7, v5, vcc_lo
	s_mov_b32 s21, 0
	global_load_b128 v[20:23], v[24:25], off
	s_wait_loadcnt 0x0
	v_mul_f64_e32 v[26:27], s[6:7], v[22:23]
	v_mul_f64_e32 v[22:23], s[4:5], v[22:23]
	s_delay_alu instid0(VALU_DEP_2) | instskip(NEXT) | instid1(VALU_DEP_2)
	v_fma_f64 v[26:27], s[4:5], v[20:21], -v[26:27]
	v_fma_f64 v[22:23], s[6:7], v[20:21], v[22:23]
	s_delay_alu instid0(VALU_DEP_2) | instskip(NEXT) | instid1(VALU_DEP_2)
	v_add_f64_e32 v[20:21], v[0:1], v[26:27]
	v_add_f64_e32 v[22:23], v[2:3], v[22:23]
	global_store_b128 v[24:25], v[20:23], off
.LBB116_32:                             ;   in Loop: Header=BB116_7 Depth=1
	s_wait_alu 0xfffe
	s_and_not1_b32 vcc_lo, exec_lo, s21
	s_wait_alu 0xfffe
	s_cbranch_vccnz .LBB116_6
; %bb.33:                               ;   in Loop: Header=BB116_7 Depth=1
	v_add_co_u32 v4, vcc_lo, v6, v4
	s_wait_alu 0xfffd
	v_add_co_ci_u32_e64 v5, null, v7, v5, vcc_lo
	global_store_b128 v[4:5], v[0:3], off
	s_branch .LBB116_6
.LBB116_34:
.LBB116_35:
	s_nop 0
	s_sendmsg sendmsg(MSG_DEALLOC_VGPRS)
	s_endpgm
	.section	.rodata,"a",@progbits
	.p2align	6, 0x0
	.amdhsa_kernel _ZL29rocblas_internal_gemmt_kernelIiLi16ELi32ELi8ELc67ELc67ELc85ELb1ELb1E19rocblas_complex_numIdEPKS1_S3_PS1_EviT_T9_T10_S5_lS7_S5_lS6_T11_S5_li
		.amdhsa_group_segment_fixed_size 8192
		.amdhsa_private_segment_fixed_size 0
		.amdhsa_kernarg_size 100
		.amdhsa_user_sgpr_count 2
		.amdhsa_user_sgpr_dispatch_ptr 0
		.amdhsa_user_sgpr_queue_ptr 0
		.amdhsa_user_sgpr_kernarg_segment_ptr 1
		.amdhsa_user_sgpr_dispatch_id 0
		.amdhsa_user_sgpr_private_segment_size 0
		.amdhsa_wavefront_size32 1
		.amdhsa_uses_dynamic_stack 0
		.amdhsa_enable_private_segment 0
		.amdhsa_system_sgpr_workgroup_id_x 1
		.amdhsa_system_sgpr_workgroup_id_y 1
		.amdhsa_system_sgpr_workgroup_id_z 1
		.amdhsa_system_sgpr_workgroup_info 0
		.amdhsa_system_vgpr_workitem_id 1
		.amdhsa_next_free_vgpr 130
		.amdhsa_next_free_sgpr 40
		.amdhsa_reserve_vcc 1
		.amdhsa_float_round_mode_32 0
		.amdhsa_float_round_mode_16_64 0
		.amdhsa_float_denorm_mode_32 3
		.amdhsa_float_denorm_mode_16_64 3
		.amdhsa_fp16_overflow 0
		.amdhsa_workgroup_processor_mode 1
		.amdhsa_memory_ordered 1
		.amdhsa_forward_progress 1
		.amdhsa_inst_pref_size 27
		.amdhsa_round_robin_scheduling 0
		.amdhsa_exception_fp_ieee_invalid_op 0
		.amdhsa_exception_fp_denorm_src 0
		.amdhsa_exception_fp_ieee_div_zero 0
		.amdhsa_exception_fp_ieee_overflow 0
		.amdhsa_exception_fp_ieee_underflow 0
		.amdhsa_exception_fp_ieee_inexact 0
		.amdhsa_exception_int_div_zero 0
	.end_amdhsa_kernel
	.section	.text._ZL29rocblas_internal_gemmt_kernelIiLi16ELi32ELi8ELc67ELc67ELc85ELb1ELb1E19rocblas_complex_numIdEPKS1_S3_PS1_EviT_T9_T10_S5_lS7_S5_lS6_T11_S5_li,"axG",@progbits,_ZL29rocblas_internal_gemmt_kernelIiLi16ELi32ELi8ELc67ELc67ELc85ELb1ELb1E19rocblas_complex_numIdEPKS1_S3_PS1_EviT_T9_T10_S5_lS7_S5_lS6_T11_S5_li,comdat
.Lfunc_end116:
	.size	_ZL29rocblas_internal_gemmt_kernelIiLi16ELi32ELi8ELc67ELc67ELc85ELb1ELb1E19rocblas_complex_numIdEPKS1_S3_PS1_EviT_T9_T10_S5_lS7_S5_lS6_T11_S5_li, .Lfunc_end116-_ZL29rocblas_internal_gemmt_kernelIiLi16ELi32ELi8ELc67ELc67ELc85ELb1ELb1E19rocblas_complex_numIdEPKS1_S3_PS1_EviT_T9_T10_S5_lS7_S5_lS6_T11_S5_li
                                        ; -- End function
	.set _ZL29rocblas_internal_gemmt_kernelIiLi16ELi32ELi8ELc67ELc67ELc85ELb1ELb1E19rocblas_complex_numIdEPKS1_S3_PS1_EviT_T9_T10_S5_lS7_S5_lS6_T11_S5_li.num_vgpr, 130
	.set _ZL29rocblas_internal_gemmt_kernelIiLi16ELi32ELi8ELc67ELc67ELc85ELb1ELb1E19rocblas_complex_numIdEPKS1_S3_PS1_EviT_T9_T10_S5_lS7_S5_lS6_T11_S5_li.num_agpr, 0
	.set _ZL29rocblas_internal_gemmt_kernelIiLi16ELi32ELi8ELc67ELc67ELc85ELb1ELb1E19rocblas_complex_numIdEPKS1_S3_PS1_EviT_T9_T10_S5_lS7_S5_lS6_T11_S5_li.numbered_sgpr, 40
	.set _ZL29rocblas_internal_gemmt_kernelIiLi16ELi32ELi8ELc67ELc67ELc85ELb1ELb1E19rocblas_complex_numIdEPKS1_S3_PS1_EviT_T9_T10_S5_lS7_S5_lS6_T11_S5_li.num_named_barrier, 0
	.set _ZL29rocblas_internal_gemmt_kernelIiLi16ELi32ELi8ELc67ELc67ELc85ELb1ELb1E19rocblas_complex_numIdEPKS1_S3_PS1_EviT_T9_T10_S5_lS7_S5_lS6_T11_S5_li.private_seg_size, 0
	.set _ZL29rocblas_internal_gemmt_kernelIiLi16ELi32ELi8ELc67ELc67ELc85ELb1ELb1E19rocblas_complex_numIdEPKS1_S3_PS1_EviT_T9_T10_S5_lS7_S5_lS6_T11_S5_li.uses_vcc, 1
	.set _ZL29rocblas_internal_gemmt_kernelIiLi16ELi32ELi8ELc67ELc67ELc85ELb1ELb1E19rocblas_complex_numIdEPKS1_S3_PS1_EviT_T9_T10_S5_lS7_S5_lS6_T11_S5_li.uses_flat_scratch, 0
	.set _ZL29rocblas_internal_gemmt_kernelIiLi16ELi32ELi8ELc67ELc67ELc85ELb1ELb1E19rocblas_complex_numIdEPKS1_S3_PS1_EviT_T9_T10_S5_lS7_S5_lS6_T11_S5_li.has_dyn_sized_stack, 0
	.set _ZL29rocblas_internal_gemmt_kernelIiLi16ELi32ELi8ELc67ELc67ELc85ELb1ELb1E19rocblas_complex_numIdEPKS1_S3_PS1_EviT_T9_T10_S5_lS7_S5_lS6_T11_S5_li.has_recursion, 0
	.set _ZL29rocblas_internal_gemmt_kernelIiLi16ELi32ELi8ELc67ELc67ELc85ELb1ELb1E19rocblas_complex_numIdEPKS1_S3_PS1_EviT_T9_T10_S5_lS7_S5_lS6_T11_S5_li.has_indirect_call, 0
	.section	.AMDGPU.csdata,"",@progbits
; Kernel info:
; codeLenInByte = 3428
; TotalNumSgprs: 42
; NumVgprs: 130
; ScratchSize: 0
; MemoryBound: 1
; FloatMode: 240
; IeeeMode: 1
; LDSByteSize: 8192 bytes/workgroup (compile time only)
; SGPRBlocks: 0
; VGPRBlocks: 16
; NumSGPRsForWavesPerEU: 42
; NumVGPRsForWavesPerEU: 130
; Occupancy: 10
; WaveLimiterHint : 0
; COMPUTE_PGM_RSRC2:SCRATCH_EN: 0
; COMPUTE_PGM_RSRC2:USER_SGPR: 2
; COMPUTE_PGM_RSRC2:TRAP_HANDLER: 0
; COMPUTE_PGM_RSRC2:TGID_X_EN: 1
; COMPUTE_PGM_RSRC2:TGID_Y_EN: 1
; COMPUTE_PGM_RSRC2:TGID_Z_EN: 1
; COMPUTE_PGM_RSRC2:TIDIG_COMP_CNT: 1
	.section	.text._ZL29rocblas_internal_gemmt_kernelIiLi16ELi32ELi8ELc78ELc78ELc76ELb0ELb0E19rocblas_complex_numIdEPKS1_S3_PS1_EviT_T9_T10_S5_lS7_S5_lS6_T11_S5_li,"axG",@progbits,_ZL29rocblas_internal_gemmt_kernelIiLi16ELi32ELi8ELc78ELc78ELc76ELb0ELb0E19rocblas_complex_numIdEPKS1_S3_PS1_EviT_T9_T10_S5_lS7_S5_lS6_T11_S5_li,comdat
	.globl	_ZL29rocblas_internal_gemmt_kernelIiLi16ELi32ELi8ELc78ELc78ELc76ELb0ELb0E19rocblas_complex_numIdEPKS1_S3_PS1_EviT_T9_T10_S5_lS7_S5_lS6_T11_S5_li ; -- Begin function _ZL29rocblas_internal_gemmt_kernelIiLi16ELi32ELi8ELc78ELc78ELc76ELb0ELb0E19rocblas_complex_numIdEPKS1_S3_PS1_EviT_T9_T10_S5_lS7_S5_lS6_T11_S5_li
	.p2align	8
	.type	_ZL29rocblas_internal_gemmt_kernelIiLi16ELi32ELi8ELc78ELc78ELc76ELb0ELb0E19rocblas_complex_numIdEPKS1_S3_PS1_EviT_T9_T10_S5_lS7_S5_lS6_T11_S5_li,@function
_ZL29rocblas_internal_gemmt_kernelIiLi16ELi32ELi8ELc78ELc78ELc76ELb0ELb0E19rocblas_complex_numIdEPKS1_S3_PS1_EviT_T9_T10_S5_lS7_S5_lS6_T11_S5_li: ; @_ZL29rocblas_internal_gemmt_kernelIiLi16ELi32ELi8ELc78ELc78ELc76ELb0ELb0E19rocblas_complex_numIdEPKS1_S3_PS1_EviT_T9_T10_S5_lS7_S5_lS6_T11_S5_li
; %bb.0:
	s_load_b128 s[16:19], s[0:1], 0x38
	s_wait_kmcnt 0x0
	s_load_b128 s[8:11], s[18:19], 0x0
	s_clause 0x1
	s_load_b128 s[4:7], s[0:1], 0x8
	s_load_b64 s[18:19], s[0:1], 0x0
	s_wait_kmcnt 0x0
	s_load_b128 s[12:15], s[4:5], 0x0
	v_cmp_eq_f64_e64 s2, s[8:9], 1.0
	v_cmp_eq_f64_e64 s3, s[10:11], 0
	s_and_b32 s2, s2, s3
	s_delay_alu instid0(SALU_CYCLE_1)
	s_and_not1_b32 vcc_lo, exec_lo, s2
	s_mov_b32 s2, -1
	s_cbranch_vccnz .LBB117_3
; %bb.1:
	s_cmp_lg_u32 s19, 0
	s_cbranch_scc0 .LBB117_38
; %bb.2:
	s_wait_kmcnt 0x0
	v_cmp_neq_f64_e64 s2, s[12:13], 0
	v_cmp_neq_f64_e64 s4, s[14:15], 0
	s_or_b32 s2, s2, s4
.LBB117_3:
	s_delay_alu instid0(SALU_CYCLE_1)
	s_and_b32 vcc_lo, exec_lo, s2
	s_cbranch_vccz .LBB117_39
; %bb.4:
	s_load_b32 s27, s[0:1], 0x60
	s_lshr_b32 s28, ttmp7, 16
	s_wait_kmcnt 0x0
	s_cmp_ge_u32 s28, s27
	s_cbranch_scc1 .LBB117_39
; %bb.5:
	v_cmp_neq_f64_e64 s4, s[12:13], 0
	v_cmp_neq_f64_e64 s5, s[14:15], 0
	;; [unrolled: 1-line block ×3, first 2 shown]
	v_and_b32_e32 v1, 0x3ff, v0
	v_bfe_u32 v2, v0, 10, 10
	s_clause 0x4
	s_load_b32 s36, s[0:1], 0x18
	s_load_b128 s[20:23], s[0:1], 0x20
	s_load_b32 s35, s[0:1], 0x30
	s_load_b96 s[24:26], s[0:1], 0x48
	s_load_b64 s[30:31], s[0:1], 0x58
	v_and_b32_e32 v37, 7, v0
	s_lshl_b32 s0, ttmp7, 5
	s_lshl_b32 s1, ttmp9, 5
	v_lshl_add_u32 v0, v2, 4, v1
	s_and_b32 s2, s0, 0x1fffe0
	v_lshlrev_b32_e32 v4, 4, v37
	v_lshlrev_b32_e32 v38, 4, v1
	v_add_nc_u32_e32 v5, s1, v1
	v_add_nc_u32_e32 v1, s2, v2
	v_lshl_add_u32 v39, v2, 7, 0x1000
	v_and_b32_e32 v2, 31, v0
	v_lshrrev_b32_e32 v3, 3, v0
	v_lshrrev_b32_e32 v40, 5, v0
	v_cmp_le_i32_e32 vcc_lo, v1, v5
	v_cmp_gt_i32_e64 s0, s18, v5
	v_add_nc_u32_e32 v7, 16, v5
	v_or_b32_e32 v0, s1, v2
	v_lshlrev_b32_e32 v2, 4, v2
	v_add_nc_u32_e32 v11, s2, v3
	v_lshl_or_b32 v3, v3, 7, v4
	s_wait_kmcnt 0x0
	s_ashr_i32 s37, s36, 31
	v_mad_co_i64_i32 v[9:10], null, v40, s36, 0
	v_lshl_or_b32 v41, v40, 9, v2
	v_add_nc_u32_e32 v42, 0x1000, v3
	v_mad_co_i64_i32 v[2:3], null, v1, s26, 0
	v_add_nc_u32_e32 v13, 16, v1
	v_cmp_gt_i32_e64 s1, s18, v0
	v_cmp_gt_i32_e64 s2, s18, v11
	v_lshlrev_b64_e32 v[9:10], 4, v[9:10]
	v_mad_co_i64_i32 v[11:12], null, s35, v11, 0
	s_or_b32 s38, s4, s5
	s_cmp_gt_i32 s19, 0
	v_mad_co_i64_i32 v[15:16], null, v13, s26, 0
	s_cselect_b32 s39, -1, 0
	s_xor_b32 s3, s3, -1
	s_and_b32 s33, vcc_lo, s0
	v_cmp_le_i32_e32 vcc_lo, v1, v7
	v_ashrrev_i32_e32 v1, 31, v0
	s_wait_alu 0xfffe
	s_or_b32 s34, s34, s3
	v_cmp_gt_i32_e64 s3, s18, v7
	v_cmp_le_i32_e64 s4, v13, v7
	v_lshlrev_b64_e32 v[15:16], 4, v[15:16]
	v_lshlrev_b64_e32 v[0:1], 4, v[0:1]
	v_ashrrev_i32_e32 v6, 31, v5
	s_and_b32 s18, vcc_lo, s3
	v_cmp_le_i32_e32 vcc_lo, v13, v5
	v_lshlrev_b64_e32 v[13:14], 4, v[2:3]
	v_ashrrev_i32_e32 v8, 31, v7
	s_mov_b32 s29, 0
	s_and_b32 s3, s4, s3
	s_and_b32 s26, vcc_lo, s0
	v_add_co_u32 v9, vcc_lo, v9, v0
	s_delay_alu instid0(VALU_DEP_1) | instskip(SKIP_1) | instid1(VALU_DEP_3)
	v_add_co_ci_u32_e64 v10, null, v10, v1, vcc_lo
	v_lshlrev_b64_e32 v[0:1], 4, v[11:12]
	v_add_co_u32 v9, vcc_lo, s6, v9
	s_wait_alu 0xfffd
	s_delay_alu instid0(VALU_DEP_3)
	v_add_co_ci_u32_e64 v10, null, s7, v10, vcc_lo
	s_lshl_b64 s[4:5], s[20:21], 4
	v_add_co_u32 v0, vcc_lo, v0, v4
	s_wait_alu 0xfffd
	v_add_co_ci_u32_e64 v1, null, 0, v1, vcc_lo
	s_lshl_b64 s[6:7], s[36:37], 7
	v_add_co_u32 v11, vcc_lo, s22, v0
	s_wait_alu 0xfffd
	v_add_co_ci_u32_e64 v12, null, s23, v1, vcc_lo
	v_mov_b32_e32 v0, 0
	s_and_b32 s20, s38, s39
	s_lshl_b64 s[16:17], s[16:17], 4
	s_xor_b32 s21, s1, -1
	s_xor_b32 s2, s2, -1
	s_branch .LBB117_7
.LBB117_6:                              ;   in Loop: Header=BB117_7 Depth=1
	s_wait_alu 0xfffe
	s_or_b32 exec_lo, exec_lo, s0
	s_add_co_i32 s28, s28, 0x10000
	s_wait_alu 0xfffe
	s_cmp_lt_u32 s28, s27
	s_cbranch_scc0 .LBB117_39
.LBB117_7:                              ; =>This Loop Header: Depth=1
                                        ;     Child Loop BB117_10 Depth 2
	v_mov_b32_e32 v33, 0
	v_mov_b32_e32 v29, 0
	;; [unrolled: 1-line block ×3, first 2 shown]
	v_dual_mov_b32 v23, 0 :: v_dual_mov_b32 v34, 0
	v_dual_mov_b32 v35, 0 :: v_dual_mov_b32 v30, 0
	;; [unrolled: 1-line block ×5, first 2 shown]
	v_mov_b32_e32 v32, 0
	v_mov_b32_e32 v28, 0
	;; [unrolled: 1-line block ×3, first 2 shown]
	s_and_not1_b32 vcc_lo, exec_lo, s20
	s_wait_alu 0xfffe
	s_cbranch_vccnz .LBB117_18
; %bb.8:                                ;   in Loop: Header=BB117_7 Depth=1
	v_mad_co_u64_u32 v[17:18], null, s4, s28, v[9:10]
	v_mad_co_u64_u32 v[19:20], null, s16, s28, v[11:12]
	v_mov_b32_e32 v21, 0
	v_mov_b32_e32 v23, 0
	;; [unrolled: 1-line block ×4, first 2 shown]
	v_dual_mov_b32 v1, v18 :: v_dual_mov_b32 v22, 0
	v_mov_b32_e32 v2, v20
	v_dual_mov_b32 v24, 0 :: v_dual_mov_b32 v27, 0
	v_dual_mov_b32 v26, 0 :: v_dual_mov_b32 v31, 0
	s_delay_alu instid0(VALU_DEP_3)
	v_mad_co_u64_u32 v[3:4], null, s5, s28, v[1:2]
	v_dual_mov_b32 v30, 0 :: v_dual_mov_b32 v35, 0
	v_dual_mov_b32 v33, 0 :: v_dual_mov_b32 v28, 0
	v_mov_b32_e32 v32, 0
	v_mov_b32_e32 v36, 0
	v_mad_co_u64_u32 v[1:2], null, s17, s28, v[2:3]
	v_mov_b32_e32 v34, 0
	v_mov_b32_e32 v18, v3
	s_mov_b32 s0, 0
	s_delay_alu instid0(VALU_DEP_3)
	v_mov_b32_e32 v20, v1
	s_branch .LBB117_10
.LBB117_9:                              ;   in Loop: Header=BB117_10 Depth=2
	s_wait_alu 0xfffe
	s_or_b32 exec_lo, exec_lo, s1
	s_wait_dscnt 0x0
	s_barrier_signal -1
	s_barrier_wait -1
	global_inv scope:SCOPE_SE
	ds_load_b128 v[1:4], v39
	ds_load_b128 v[43:46], v39 offset:16
	ds_load_b128 v[47:50], v39 offset:32
	;; [unrolled: 1-line block ×3, first 2 shown]
	ds_load_b128 v[55:58], v38
	v_add_co_u32 v17, vcc_lo, v17, s6
	s_wait_alu 0xfffd
	v_add_co_ci_u32_e64 v18, null, s7, v18, vcc_lo
	v_add_co_u32 v19, vcc_lo, 0x80, v19
	s_wait_alu 0xfffd
	v_add_co_ci_u32_e64 v20, null, 0, v20, vcc_lo
	s_add_co_i32 s0, s0, 8
	s_wait_alu 0xfffe
	s_cmp_lt_i32 s0, s19
	s_wait_dscnt 0x0
	v_mul_f64_e32 v[59:60], v[3:4], v[57:58]
	v_mul_f64_e32 v[61:62], v[1:2], v[57:58]
	s_delay_alu instid0(VALU_DEP_2) | instskip(NEXT) | instid1(VALU_DEP_2)
	v_fma_f64 v[59:60], v[1:2], v[55:56], -v[59:60]
	v_fma_f64 v[61:62], v[3:4], v[55:56], v[61:62]
	s_delay_alu instid0(VALU_DEP_2) | instskip(NEXT) | instid1(VALU_DEP_2)
	v_add_f64_e32 v[59:60], v[33:34], v[59:60]
	v_add_f64_e32 v[61:62], v[61:62], v[35:36]
	ds_load_b128 v[33:36], v38 offset:256
	s_wait_dscnt 0x0
	v_mul_f64_e32 v[63:64], v[3:4], v[35:36]
	s_delay_alu instid0(VALU_DEP_1) | instskip(SKIP_1) | instid1(VALU_DEP_2)
	v_fma_f64 v[63:64], v[1:2], v[33:34], -v[63:64]
	v_mul_f64_e32 v[1:2], v[1:2], v[35:36]
	v_add_f64_e32 v[29:30], v[29:30], v[63:64]
	s_delay_alu instid0(VALU_DEP_2) | instskip(NEXT) | instid1(VALU_DEP_1)
	v_fma_f64 v[1:2], v[3:4], v[33:34], v[1:2]
	v_add_f64_e32 v[31:32], v[1:2], v[31:32]
	ds_load_b128 v[1:4], v39 offset:2048
	s_wait_dscnt 0x0
	v_mul_f64_e32 v[63:64], v[3:4], v[57:58]
	v_mul_f64_e32 v[57:58], v[1:2], v[57:58]
	s_delay_alu instid0(VALU_DEP_2) | instskip(NEXT) | instid1(VALU_DEP_2)
	v_fma_f64 v[63:64], v[1:2], v[55:56], -v[63:64]
	v_fma_f64 v[55:56], v[3:4], v[55:56], v[57:58]
	s_delay_alu instid0(VALU_DEP_2) | instskip(SKIP_1) | instid1(VALU_DEP_3)
	v_add_f64_e32 v[57:58], v[25:26], v[63:64]
	v_mul_f64_e32 v[25:26], v[3:4], v[35:36]
	v_add_f64_e32 v[55:56], v[55:56], v[27:28]
	s_delay_alu instid0(VALU_DEP_2) | instskip(SKIP_1) | instid1(VALU_DEP_1)
	v_fma_f64 v[25:26], v[1:2], v[33:34], -v[25:26]
	v_mul_f64_e32 v[1:2], v[1:2], v[35:36]
	v_fma_f64 v[1:2], v[3:4], v[33:34], v[1:2]
	s_delay_alu instid0(VALU_DEP_3) | instskip(NEXT) | instid1(VALU_DEP_2)
	v_add_f64_e32 v[33:34], v[23:24], v[25:26]
	v_add_f64_e32 v[35:36], v[1:2], v[21:22]
	ds_load_b128 v[1:4], v38 offset:512
	s_wait_dscnt 0x0
	v_mul_f64_e32 v[21:22], v[45:46], v[3:4]
	v_mul_f64_e32 v[23:24], v[43:44], v[3:4]
	s_delay_alu instid0(VALU_DEP_2) | instskip(NEXT) | instid1(VALU_DEP_2)
	v_fma_f64 v[21:22], v[43:44], v[1:2], -v[21:22]
	v_fma_f64 v[23:24], v[45:46], v[1:2], v[23:24]
	s_delay_alu instid0(VALU_DEP_2) | instskip(NEXT) | instid1(VALU_DEP_2)
	v_add_f64_e32 v[59:60], v[59:60], v[21:22]
	v_add_f64_e32 v[61:62], v[23:24], v[61:62]
	ds_load_b128 v[21:24], v38 offset:768
	s_wait_dscnt 0x0
	v_mul_f64_e32 v[25:26], v[45:46], v[23:24]
	v_mul_f64_e32 v[27:28], v[43:44], v[23:24]
	s_delay_alu instid0(VALU_DEP_2) | instskip(NEXT) | instid1(VALU_DEP_2)
	v_fma_f64 v[25:26], v[43:44], v[21:22], -v[25:26]
	v_fma_f64 v[27:28], v[45:46], v[21:22], v[27:28]
	s_delay_alu instid0(VALU_DEP_2) | instskip(NEXT) | instid1(VALU_DEP_2)
	v_add_f64_e32 v[29:30], v[29:30], v[25:26]
	v_add_f64_e32 v[31:32], v[27:28], v[31:32]
	ds_load_b128 v[25:28], v39 offset:2064
	s_wait_dscnt 0x0
	v_mul_f64_e32 v[43:44], v[27:28], v[3:4]
	v_mul_f64_e32 v[3:4], v[25:26], v[3:4]
	s_delay_alu instid0(VALU_DEP_2) | instskip(NEXT) | instid1(VALU_DEP_2)
	v_fma_f64 v[43:44], v[25:26], v[1:2], -v[43:44]
	v_fma_f64 v[1:2], v[27:28], v[1:2], v[3:4]
	v_mul_f64_e32 v[3:4], v[25:26], v[23:24]
	s_delay_alu instid0(VALU_DEP_3) | instskip(NEXT) | instid1(VALU_DEP_3)
	v_add_f64_e32 v[43:44], v[57:58], v[43:44]
	v_add_f64_e32 v[45:46], v[1:2], v[55:56]
	v_mul_f64_e32 v[1:2], v[27:28], v[23:24]
	s_delay_alu instid0(VALU_DEP_4) | instskip(NEXT) | instid1(VALU_DEP_2)
	v_fma_f64 v[3:4], v[27:28], v[21:22], v[3:4]
	v_fma_f64 v[1:2], v[25:26], v[21:22], -v[1:2]
	s_delay_alu instid0(VALU_DEP_2) | instskip(NEXT) | instid1(VALU_DEP_2)
	v_add_f64_e32 v[35:36], v[3:4], v[35:36]
	v_add_f64_e32 v[33:34], v[33:34], v[1:2]
	ds_load_b128 v[1:4], v38 offset:1024
	s_wait_dscnt 0x0
	v_mul_f64_e32 v[21:22], v[49:50], v[3:4]
	v_mul_f64_e32 v[23:24], v[47:48], v[3:4]
	s_delay_alu instid0(VALU_DEP_2) | instskip(NEXT) | instid1(VALU_DEP_2)
	v_fma_f64 v[21:22], v[47:48], v[1:2], -v[21:22]
	v_fma_f64 v[23:24], v[49:50], v[1:2], v[23:24]
	s_delay_alu instid0(VALU_DEP_2) | instskip(NEXT) | instid1(VALU_DEP_2)
	v_add_f64_e32 v[55:56], v[59:60], v[21:22]
	v_add_f64_e32 v[57:58], v[23:24], v[61:62]
	ds_load_b128 v[21:24], v38 offset:1280
	s_wait_dscnt 0x0
	v_mul_f64_e32 v[25:26], v[49:50], v[23:24]
	v_mul_f64_e32 v[27:28], v[47:48], v[23:24]
	s_delay_alu instid0(VALU_DEP_2) | instskip(NEXT) | instid1(VALU_DEP_2)
	v_fma_f64 v[25:26], v[47:48], v[21:22], -v[25:26]
	v_fma_f64 v[27:28], v[49:50], v[21:22], v[27:28]
	s_delay_alu instid0(VALU_DEP_2) | instskip(NEXT) | instid1(VALU_DEP_2)
	v_add_f64_e32 v[29:30], v[29:30], v[25:26]
	v_add_f64_e32 v[31:32], v[27:28], v[31:32]
	ds_load_b128 v[25:28], v39 offset:2080
	s_wait_dscnt 0x0
	v_mul_f64_e32 v[47:48], v[27:28], v[3:4]
	v_mul_f64_e32 v[3:4], v[25:26], v[3:4]
	s_delay_alu instid0(VALU_DEP_2) | instskip(NEXT) | instid1(VALU_DEP_2)
	v_fma_f64 v[47:48], v[25:26], v[1:2], -v[47:48]
	v_fma_f64 v[1:2], v[27:28], v[1:2], v[3:4]
	v_mul_f64_e32 v[3:4], v[25:26], v[23:24]
	s_delay_alu instid0(VALU_DEP_3) | instskip(NEXT) | instid1(VALU_DEP_3)
	v_add_f64_e32 v[43:44], v[43:44], v[47:48]
	v_add_f64_e32 v[45:46], v[1:2], v[45:46]
	v_mul_f64_e32 v[1:2], v[27:28], v[23:24]
	s_delay_alu instid0(VALU_DEP_4) | instskip(NEXT) | instid1(VALU_DEP_2)
	v_fma_f64 v[3:4], v[27:28], v[21:22], v[3:4]
	v_fma_f64 v[1:2], v[25:26], v[21:22], -v[1:2]
	s_delay_alu instid0(VALU_DEP_2) | instskip(NEXT) | instid1(VALU_DEP_2)
	;; [unrolled: 38-line block ×3, first 2 shown]
	v_add_f64_e32 v[35:36], v[3:4], v[35:36]
	v_add_f64_e32 v[33:34], v[33:34], v[1:2]
	ds_load_b128 v[1:4], v39 offset:64
	ds_load_b128 v[21:24], v38 offset:2048
	s_wait_dscnt 0x0
	v_mul_f64_e32 v[25:26], v[3:4], v[23:24]
	v_mul_f64_e32 v[27:28], v[1:2], v[23:24]
	s_delay_alu instid0(VALU_DEP_2) | instskip(NEXT) | instid1(VALU_DEP_2)
	v_fma_f64 v[25:26], v[1:2], v[21:22], -v[25:26]
	v_fma_f64 v[27:28], v[3:4], v[21:22], v[27:28]
	s_delay_alu instid0(VALU_DEP_2) | instskip(NEXT) | instid1(VALU_DEP_2)
	v_add_f64_e32 v[47:48], v[47:48], v[25:26]
	v_add_f64_e32 v[49:50], v[27:28], v[49:50]
	ds_load_b128 v[25:28], v38 offset:2304
	s_wait_dscnt 0x0
	v_mul_f64_e32 v[51:52], v[3:4], v[27:28]
	s_delay_alu instid0(VALU_DEP_1) | instskip(SKIP_1) | instid1(VALU_DEP_2)
	v_fma_f64 v[51:52], v[1:2], v[25:26], -v[51:52]
	v_mul_f64_e32 v[1:2], v[1:2], v[27:28]
	v_add_f64_e32 v[29:30], v[29:30], v[51:52]
	s_delay_alu instid0(VALU_DEP_2) | instskip(NEXT) | instid1(VALU_DEP_1)
	v_fma_f64 v[1:2], v[3:4], v[25:26], v[1:2]
	v_add_f64_e32 v[31:32], v[1:2], v[31:32]
	ds_load_b128 v[1:4], v39 offset:2112
	s_wait_dscnt 0x0
	v_mul_f64_e32 v[51:52], v[3:4], v[23:24]
	v_mul_f64_e32 v[23:24], v[1:2], v[23:24]
	s_delay_alu instid0(VALU_DEP_2) | instskip(NEXT) | instid1(VALU_DEP_2)
	v_fma_f64 v[51:52], v[1:2], v[21:22], -v[51:52]
	v_fma_f64 v[21:22], v[3:4], v[21:22], v[23:24]
	s_delay_alu instid0(VALU_DEP_2) | instskip(NEXT) | instid1(VALU_DEP_2)
	v_add_f64_e32 v[43:44], v[43:44], v[51:52]
	v_add_f64_e32 v[45:46], v[21:22], v[45:46]
	v_mul_f64_e32 v[21:22], v[3:4], v[27:28]
	s_delay_alu instid0(VALU_DEP_1) | instskip(SKIP_1) | instid1(VALU_DEP_2)
	v_fma_f64 v[21:22], v[1:2], v[25:26], -v[21:22]
	v_mul_f64_e32 v[1:2], v[1:2], v[27:28]
	v_add_f64_e32 v[33:34], v[33:34], v[21:22]
	s_delay_alu instid0(VALU_DEP_2) | instskip(NEXT) | instid1(VALU_DEP_1)
	v_fma_f64 v[1:2], v[3:4], v[25:26], v[1:2]
	v_add_f64_e32 v[35:36], v[1:2], v[35:36]
	ds_load_b128 v[1:4], v39 offset:80
	ds_load_b128 v[21:24], v38 offset:2560
	s_wait_dscnt 0x0
	v_mul_f64_e32 v[25:26], v[3:4], v[23:24]
	v_mul_f64_e32 v[27:28], v[1:2], v[23:24]
	s_delay_alu instid0(VALU_DEP_2) | instskip(NEXT) | instid1(VALU_DEP_2)
	v_fma_f64 v[25:26], v[1:2], v[21:22], -v[25:26]
	v_fma_f64 v[27:28], v[3:4], v[21:22], v[27:28]
	s_delay_alu instid0(VALU_DEP_2) | instskip(NEXT) | instid1(VALU_DEP_2)
	v_add_f64_e32 v[47:48], v[47:48], v[25:26]
	v_add_f64_e32 v[49:50], v[27:28], v[49:50]
	ds_load_b128 v[25:28], v38 offset:2816
	s_wait_dscnt 0x0
	v_mul_f64_e32 v[51:52], v[3:4], v[27:28]
	s_delay_alu instid0(VALU_DEP_1) | instskip(SKIP_1) | instid1(VALU_DEP_2)
	v_fma_f64 v[51:52], v[1:2], v[25:26], -v[51:52]
	v_mul_f64_e32 v[1:2], v[1:2], v[27:28]
	v_add_f64_e32 v[29:30], v[29:30], v[51:52]
	s_delay_alu instid0(VALU_DEP_2) | instskip(NEXT) | instid1(VALU_DEP_1)
	v_fma_f64 v[1:2], v[3:4], v[25:26], v[1:2]
	v_add_f64_e32 v[31:32], v[1:2], v[31:32]
	ds_load_b128 v[1:4], v39 offset:2128
	s_wait_dscnt 0x0
	v_mul_f64_e32 v[51:52], v[3:4], v[23:24]
	v_mul_f64_e32 v[23:24], v[1:2], v[23:24]
	s_delay_alu instid0(VALU_DEP_2) | instskip(NEXT) | instid1(VALU_DEP_2)
	v_fma_f64 v[51:52], v[1:2], v[21:22], -v[51:52]
	v_fma_f64 v[21:22], v[3:4], v[21:22], v[23:24]
	s_delay_alu instid0(VALU_DEP_2) | instskip(NEXT) | instid1(VALU_DEP_2)
	v_add_f64_e32 v[43:44], v[43:44], v[51:52]
	v_add_f64_e32 v[45:46], v[21:22], v[45:46]
	v_mul_f64_e32 v[21:22], v[3:4], v[27:28]
	s_delay_alu instid0(VALU_DEP_1) | instskip(SKIP_1) | instid1(VALU_DEP_2)
	v_fma_f64 v[21:22], v[1:2], v[25:26], -v[21:22]
	v_mul_f64_e32 v[1:2], v[1:2], v[27:28]
	v_add_f64_e32 v[33:34], v[33:34], v[21:22]
	s_delay_alu instid0(VALU_DEP_2) | instskip(NEXT) | instid1(VALU_DEP_1)
	v_fma_f64 v[1:2], v[3:4], v[25:26], v[1:2]
	v_add_f64_e32 v[35:36], v[1:2], v[35:36]
	ds_load_b128 v[1:4], v39 offset:96
	ds_load_b128 v[21:24], v38 offset:3072
	s_wait_dscnt 0x0
	v_mul_f64_e32 v[25:26], v[3:4], v[23:24]
	v_mul_f64_e32 v[27:28], v[1:2], v[23:24]
	s_delay_alu instid0(VALU_DEP_2) | instskip(NEXT) | instid1(VALU_DEP_2)
	v_fma_f64 v[25:26], v[1:2], v[21:22], -v[25:26]
	v_fma_f64 v[27:28], v[3:4], v[21:22], v[27:28]
	s_delay_alu instid0(VALU_DEP_2) | instskip(NEXT) | instid1(VALU_DEP_2)
	v_add_f64_e32 v[47:48], v[47:48], v[25:26]
	v_add_f64_e32 v[49:50], v[27:28], v[49:50]
	ds_load_b128 v[25:28], v38 offset:3328
	s_wait_dscnt 0x0
	v_mul_f64_e32 v[51:52], v[3:4], v[27:28]
	s_delay_alu instid0(VALU_DEP_1) | instskip(SKIP_1) | instid1(VALU_DEP_2)
	v_fma_f64 v[51:52], v[1:2], v[25:26], -v[51:52]
	v_mul_f64_e32 v[1:2], v[1:2], v[27:28]
	v_add_f64_e32 v[29:30], v[29:30], v[51:52]
	s_delay_alu instid0(VALU_DEP_2) | instskip(NEXT) | instid1(VALU_DEP_1)
	v_fma_f64 v[1:2], v[3:4], v[25:26], v[1:2]
	v_add_f64_e32 v[31:32], v[1:2], v[31:32]
	ds_load_b128 v[1:4], v39 offset:2144
	s_wait_dscnt 0x0
	v_mul_f64_e32 v[51:52], v[3:4], v[23:24]
	v_mul_f64_e32 v[23:24], v[1:2], v[23:24]
	s_delay_alu instid0(VALU_DEP_2) | instskip(NEXT) | instid1(VALU_DEP_2)
	v_fma_f64 v[51:52], v[1:2], v[21:22], -v[51:52]
	v_fma_f64 v[21:22], v[3:4], v[21:22], v[23:24]
	s_delay_alu instid0(VALU_DEP_2) | instskip(NEXT) | instid1(VALU_DEP_2)
	v_add_f64_e32 v[51:52], v[43:44], v[51:52]
	v_add_f64_e32 v[53:54], v[21:22], v[45:46]
	v_mul_f64_e32 v[21:22], v[3:4], v[27:28]
	s_delay_alu instid0(VALU_DEP_1) | instskip(SKIP_1) | instid1(VALU_DEP_2)
	v_fma_f64 v[21:22], v[1:2], v[25:26], -v[21:22]
	v_mul_f64_e32 v[1:2], v[1:2], v[27:28]
	v_add_f64_e32 v[55:56], v[33:34], v[21:22]
	s_delay_alu instid0(VALU_DEP_2) | instskip(NEXT) | instid1(VALU_DEP_1)
	v_fma_f64 v[1:2], v[3:4], v[25:26], v[1:2]
	v_add_f64_e32 v[57:58], v[1:2], v[35:36]
	ds_load_b128 v[1:4], v39 offset:112
	ds_load_b128 v[21:24], v38 offset:3584
	;; [unrolled: 1-line block ×3, first 2 shown]
	s_wait_dscnt 0x1
	v_mul_f64_e32 v[25:26], v[3:4], v[23:24]
	v_mul_f64_e32 v[27:28], v[1:2], v[23:24]
	s_delay_alu instid0(VALU_DEP_2) | instskip(NEXT) | instid1(VALU_DEP_2)
	v_fma_f64 v[25:26], v[1:2], v[21:22], -v[25:26]
	v_fma_f64 v[27:28], v[3:4], v[21:22], v[27:28]
	s_delay_alu instid0(VALU_DEP_2) | instskip(SKIP_2) | instid1(VALU_DEP_3)
	v_add_f64_e32 v[33:34], v[47:48], v[25:26]
	s_wait_dscnt 0x0
	v_mul_f64_e32 v[25:26], v[3:4], v[45:46]
	v_add_f64_e32 v[35:36], v[27:28], v[49:50]
	s_delay_alu instid0(VALU_DEP_2) | instskip(SKIP_1) | instid1(VALU_DEP_2)
	v_fma_f64 v[25:26], v[1:2], v[43:44], -v[25:26]
	v_mul_f64_e32 v[1:2], v[1:2], v[45:46]
	v_add_f64_e32 v[29:30], v[29:30], v[25:26]
	s_delay_alu instid0(VALU_DEP_2) | instskip(NEXT) | instid1(VALU_DEP_1)
	v_fma_f64 v[1:2], v[3:4], v[43:44], v[1:2]
	v_add_f64_e32 v[31:32], v[1:2], v[31:32]
	ds_load_b128 v[1:4], v39 offset:2160
	s_wait_loadcnt_dscnt 0x0
	s_barrier_signal -1
	s_barrier_wait -1
	global_inv scope:SCOPE_SE
	v_mul_f64_e32 v[25:26], v[3:4], v[23:24]
	v_mul_f64_e32 v[23:24], v[1:2], v[23:24]
	s_delay_alu instid0(VALU_DEP_2) | instskip(NEXT) | instid1(VALU_DEP_2)
	v_fma_f64 v[25:26], v[1:2], v[21:22], -v[25:26]
	v_fma_f64 v[21:22], v[3:4], v[21:22], v[23:24]
	s_delay_alu instid0(VALU_DEP_2) | instskip(NEXT) | instid1(VALU_DEP_2)
	v_add_f64_e32 v[25:26], v[51:52], v[25:26]
	v_add_f64_e32 v[27:28], v[21:22], v[53:54]
	v_mul_f64_e32 v[21:22], v[3:4], v[45:46]
	s_delay_alu instid0(VALU_DEP_1) | instskip(SKIP_1) | instid1(VALU_DEP_2)
	v_fma_f64 v[21:22], v[1:2], v[43:44], -v[21:22]
	v_mul_f64_e32 v[1:2], v[1:2], v[45:46]
	v_add_f64_e32 v[23:24], v[55:56], v[21:22]
	s_delay_alu instid0(VALU_DEP_2) | instskip(NEXT) | instid1(VALU_DEP_1)
	v_fma_f64 v[1:2], v[3:4], v[43:44], v[1:2]
	v_add_f64_e32 v[21:22], v[1:2], v[57:58]
	s_cbranch_scc0 .LBB117_18
.LBB117_10:                             ;   Parent Loop BB117_7 Depth=1
                                        ; =>  This Inner Loop Header: Depth=2
	s_wait_alu 0xfffe
	v_add_nc_u32_e32 v1, s0, v40
	s_delay_alu instid0(VALU_DEP_1)
	v_cmp_le_i32_e32 vcc_lo, s19, v1
	s_or_b32 s1, s21, vcc_lo
	s_wait_alu 0xfffe
	s_and_saveexec_b32 s22, s1
	s_wait_alu 0xfffe
	s_xor_b32 s1, exec_lo, s22
; %bb.11:                               ;   in Loop: Header=BB117_10 Depth=2
	v_dual_mov_b32 v1, v0 :: v_dual_mov_b32 v2, v0
	v_mov_b32_e32 v3, v0
	ds_store_b128 v41, v[0:3]
; %bb.12:                               ;   in Loop: Header=BB117_10 Depth=2
	s_wait_alu 0xfffe
	s_and_not1_saveexec_b32 s1, s1
	s_cbranch_execz .LBB117_14
; %bb.13:                               ;   in Loop: Header=BB117_10 Depth=2
	global_load_b128 v[1:4], v[17:18], off
	s_wait_loadcnt 0x0
	ds_store_2addr_b64 v41, v[1:2], v[3:4] offset1:1
.LBB117_14:                             ;   in Loop: Header=BB117_10 Depth=2
	s_wait_alu 0xfffe
	s_or_b32 exec_lo, exec_lo, s1
	v_add_nc_u32_e32 v1, s0, v37
	s_delay_alu instid0(VALU_DEP_1)
	v_cmp_le_i32_e32 vcc_lo, s19, v1
	s_or_b32 s1, vcc_lo, s2
	s_wait_alu 0xfffe
	s_and_saveexec_b32 s22, s1
	s_wait_alu 0xfffe
	s_xor_b32 s1, exec_lo, s22
; %bb.15:                               ;   in Loop: Header=BB117_10 Depth=2
	v_dual_mov_b32 v1, v0 :: v_dual_mov_b32 v2, v0
	v_mov_b32_e32 v3, v0
	ds_store_b128 v42, v[0:3]
; %bb.16:                               ;   in Loop: Header=BB117_10 Depth=2
	s_wait_alu 0xfffe
	s_and_not1_saveexec_b32 s1, s1
	s_cbranch_execz .LBB117_9
; %bb.17:                               ;   in Loop: Header=BB117_10 Depth=2
	global_load_b128 v[1:4], v[19:20], off
	s_wait_loadcnt 0x0
	ds_store_2addr_b64 v42, v[1:2], v[3:4] offset1:1
	s_branch .LBB117_9
.LBB117_18:                             ;   in Loop: Header=BB117_7 Depth=1
	s_mul_u64 s[0:1], s[30:31], s[28:29]
	s_wait_alu 0xfffe
	s_lshl_b64 s[0:1], s[0:1], 4
	s_wait_alu 0xfffe
	s_add_nc_u64 s[0:1], s[24:25], s[0:1]
	s_wait_alu 0xfffe
	v_add_co_u32 v17, vcc_lo, s0, v13
	s_wait_alu 0xfffd
	v_add_co_ci_u32_e64 v18, null, s1, v14, vcc_lo
	s_and_saveexec_b32 s22, s33
	s_cbranch_execz .LBB117_23
; %bb.19:                               ;   in Loop: Header=BB117_7 Depth=1
	v_mul_f64_e32 v[1:2], s[14:15], v[35:36]
	v_mul_f64_e32 v[3:4], s[12:13], v[35:36]
	s_and_b32 vcc_lo, exec_lo, s34
	s_mov_b32 s23, -1
	s_delay_alu instid0(VALU_DEP_2) | instskip(NEXT) | instid1(VALU_DEP_2)
	v_fma_f64 v[1:2], s[12:13], v[33:34], -v[1:2]
	v_fma_f64 v[3:4], s[14:15], v[33:34], v[3:4]
	s_wait_alu 0xfffe
	s_cbranch_vccz .LBB117_21
; %bb.20:                               ;   in Loop: Header=BB117_7 Depth=1
	v_lshlrev_b64_e32 v[19:20], 4, v[5:6]
	s_mov_b32 s23, 0
	s_delay_alu instid0(VALU_DEP_1) | instskip(SKIP_1) | instid1(VALU_DEP_2)
	v_add_co_u32 v19, vcc_lo, v17, v19
	s_wait_alu 0xfffd
	v_add_co_ci_u32_e64 v20, null, v18, v20, vcc_lo
	global_load_b128 v[33:36], v[19:20], off
	s_wait_loadcnt 0x0
	v_mul_f64_e32 v[43:44], s[10:11], v[35:36]
	v_mul_f64_e32 v[35:36], s[8:9], v[35:36]
	s_delay_alu instid0(VALU_DEP_2) | instskip(NEXT) | instid1(VALU_DEP_2)
	v_fma_f64 v[43:44], s[8:9], v[33:34], -v[43:44]
	v_fma_f64 v[35:36], s[10:11], v[33:34], v[35:36]
	s_delay_alu instid0(VALU_DEP_2) | instskip(NEXT) | instid1(VALU_DEP_2)
	v_add_f64_e32 v[33:34], v[1:2], v[43:44]
	v_add_f64_e32 v[35:36], v[3:4], v[35:36]
	global_store_b128 v[19:20], v[33:36], off
.LBB117_21:                             ;   in Loop: Header=BB117_7 Depth=1
	s_wait_alu 0xfffe
	s_and_not1_b32 vcc_lo, exec_lo, s23
	s_wait_alu 0xfffe
	s_cbranch_vccnz .LBB117_23
; %bb.22:                               ;   in Loop: Header=BB117_7 Depth=1
	v_lshlrev_b64_e32 v[19:20], 4, v[5:6]
	s_delay_alu instid0(VALU_DEP_1) | instskip(SKIP_1) | instid1(VALU_DEP_2)
	v_add_co_u32 v19, vcc_lo, v17, v19
	s_wait_alu 0xfffd
	v_add_co_ci_u32_e64 v20, null, v18, v20, vcc_lo
	global_store_b128 v[19:20], v[1:4], off
.LBB117_23:                             ;   in Loop: Header=BB117_7 Depth=1
	s_wait_alu 0xfffe
	s_or_b32 exec_lo, exec_lo, s22
	s_and_saveexec_b32 s22, s18
	s_cbranch_execz .LBB117_28
; %bb.24:                               ;   in Loop: Header=BB117_7 Depth=1
	v_mul_f64_e32 v[1:2], s[14:15], v[31:32]
	v_mul_f64_e32 v[3:4], s[12:13], v[31:32]
	s_and_not1_b32 vcc_lo, exec_lo, s34
	s_mov_b32 s23, -1
	s_delay_alu instid0(VALU_DEP_2) | instskip(NEXT) | instid1(VALU_DEP_2)
	v_fma_f64 v[1:2], s[12:13], v[29:30], -v[1:2]
	v_fma_f64 v[3:4], s[14:15], v[29:30], v[3:4]
	s_wait_alu 0xfffe
	s_cbranch_vccnz .LBB117_26
; %bb.25:                               ;   in Loop: Header=BB117_7 Depth=1
	v_lshlrev_b64_e32 v[19:20], 4, v[7:8]
	s_mov_b32 s23, 0
	s_delay_alu instid0(VALU_DEP_1) | instskip(SKIP_1) | instid1(VALU_DEP_2)
	v_add_co_u32 v19, vcc_lo, v17, v19
	s_wait_alu 0xfffd
	v_add_co_ci_u32_e64 v20, null, v18, v20, vcc_lo
	global_load_b128 v[29:32], v[19:20], off
	s_wait_loadcnt 0x0
	v_mul_f64_e32 v[33:34], s[10:11], v[31:32]
	v_mul_f64_e32 v[31:32], s[8:9], v[31:32]
	s_delay_alu instid0(VALU_DEP_2) | instskip(NEXT) | instid1(VALU_DEP_2)
	v_fma_f64 v[33:34], s[8:9], v[29:30], -v[33:34]
	v_fma_f64 v[31:32], s[10:11], v[29:30], v[31:32]
	s_delay_alu instid0(VALU_DEP_2) | instskip(NEXT) | instid1(VALU_DEP_2)
	v_add_f64_e32 v[29:30], v[1:2], v[33:34]
	v_add_f64_e32 v[31:32], v[3:4], v[31:32]
	global_store_b128 v[19:20], v[29:32], off
.LBB117_26:                             ;   in Loop: Header=BB117_7 Depth=1
	s_wait_alu 0xfffe
	s_and_not1_b32 vcc_lo, exec_lo, s23
	s_wait_alu 0xfffe
	s_cbranch_vccnz .LBB117_28
; %bb.27:                               ;   in Loop: Header=BB117_7 Depth=1
	v_lshlrev_b64_e32 v[19:20], 4, v[7:8]
	s_delay_alu instid0(VALU_DEP_1) | instskip(SKIP_1) | instid1(VALU_DEP_2)
	v_add_co_u32 v17, vcc_lo, v17, v19
	s_wait_alu 0xfffd
	v_add_co_ci_u32_e64 v18, null, v18, v20, vcc_lo
	global_store_b128 v[17:18], v[1:4], off
.LBB117_28:                             ;   in Loop: Header=BB117_7 Depth=1
	s_wait_alu 0xfffe
	s_or_b32 exec_lo, exec_lo, s22
	v_add_co_u32 v19, vcc_lo, s0, v15
	s_wait_alu 0xfffd
	v_add_co_ci_u32_e64 v20, null, s1, v16, vcc_lo
	s_and_saveexec_b32 s0, s26
	s_cbranch_execz .LBB117_33
; %bb.29:                               ;   in Loop: Header=BB117_7 Depth=1
	v_mul_f64_e32 v[1:2], s[14:15], v[27:28]
	v_mul_f64_e32 v[3:4], s[12:13], v[27:28]
	v_lshlrev_b64_e32 v[17:18], 4, v[5:6]
	s_and_not1_b32 vcc_lo, exec_lo, s34
	s_mov_b32 s1, -1
	s_delay_alu instid0(VALU_DEP_3) | instskip(NEXT) | instid1(VALU_DEP_3)
	v_fma_f64 v[1:2], s[12:13], v[25:26], -v[1:2]
	v_fma_f64 v[3:4], s[14:15], v[25:26], v[3:4]
	s_wait_alu 0xfffe
	s_cbranch_vccnz .LBB117_31
; %bb.30:                               ;   in Loop: Header=BB117_7 Depth=1
	v_add_co_u32 v29, vcc_lo, v19, v17
	s_wait_alu 0xfffd
	v_add_co_ci_u32_e64 v30, null, v20, v18, vcc_lo
	s_mov_b32 s1, 0
	global_load_b128 v[25:28], v[29:30], off
	s_wait_loadcnt 0x0
	v_mul_f64_e32 v[31:32], s[10:11], v[27:28]
	v_mul_f64_e32 v[27:28], s[8:9], v[27:28]
	s_delay_alu instid0(VALU_DEP_2) | instskip(NEXT) | instid1(VALU_DEP_2)
	v_fma_f64 v[31:32], s[8:9], v[25:26], -v[31:32]
	v_fma_f64 v[27:28], s[10:11], v[25:26], v[27:28]
	s_delay_alu instid0(VALU_DEP_2) | instskip(NEXT) | instid1(VALU_DEP_2)
	v_add_f64_e32 v[25:26], v[1:2], v[31:32]
	v_add_f64_e32 v[27:28], v[3:4], v[27:28]
	global_store_b128 v[29:30], v[25:28], off
.LBB117_31:                             ;   in Loop: Header=BB117_7 Depth=1
	s_wait_alu 0xfffe
	s_and_not1_b32 vcc_lo, exec_lo, s1
	s_wait_alu 0xfffe
	s_cbranch_vccnz .LBB117_33
; %bb.32:                               ;   in Loop: Header=BB117_7 Depth=1
	v_add_co_u32 v17, vcc_lo, v19, v17
	s_wait_alu 0xfffd
	v_add_co_ci_u32_e64 v18, null, v20, v18, vcc_lo
	global_store_b128 v[17:18], v[1:4], off
.LBB117_33:                             ;   in Loop: Header=BB117_7 Depth=1
	s_wait_alu 0xfffe
	s_or_b32 exec_lo, exec_lo, s0
	s_and_saveexec_b32 s0, s3
	s_cbranch_execz .LBB117_6
; %bb.34:                               ;   in Loop: Header=BB117_7 Depth=1
	v_mul_f64_e32 v[1:2], s[14:15], v[21:22]
	v_mul_f64_e32 v[3:4], s[12:13], v[21:22]
	v_lshlrev_b64_e32 v[17:18], 4, v[7:8]
	s_and_not1_b32 vcc_lo, exec_lo, s34
	s_mov_b32 s1, -1
	s_delay_alu instid0(VALU_DEP_3) | instskip(NEXT) | instid1(VALU_DEP_3)
	v_fma_f64 v[1:2], s[12:13], v[23:24], -v[1:2]
	v_fma_f64 v[3:4], s[14:15], v[23:24], v[3:4]
	s_wait_alu 0xfffe
	s_cbranch_vccnz .LBB117_36
; %bb.35:                               ;   in Loop: Header=BB117_7 Depth=1
	v_add_co_u32 v25, vcc_lo, v19, v17
	s_wait_alu 0xfffd
	v_add_co_ci_u32_e64 v26, null, v20, v18, vcc_lo
	s_mov_b32 s1, 0
	global_load_b128 v[21:24], v[25:26], off
	s_wait_loadcnt 0x0
	v_mul_f64_e32 v[27:28], s[10:11], v[23:24]
	v_mul_f64_e32 v[23:24], s[8:9], v[23:24]
	s_delay_alu instid0(VALU_DEP_2) | instskip(NEXT) | instid1(VALU_DEP_2)
	v_fma_f64 v[27:28], s[8:9], v[21:22], -v[27:28]
	v_fma_f64 v[23:24], s[10:11], v[21:22], v[23:24]
	s_delay_alu instid0(VALU_DEP_2) | instskip(NEXT) | instid1(VALU_DEP_2)
	v_add_f64_e32 v[21:22], v[1:2], v[27:28]
	v_add_f64_e32 v[23:24], v[3:4], v[23:24]
	global_store_b128 v[25:26], v[21:24], off
.LBB117_36:                             ;   in Loop: Header=BB117_7 Depth=1
	s_wait_alu 0xfffe
	s_and_not1_b32 vcc_lo, exec_lo, s1
	s_wait_alu 0xfffe
	s_cbranch_vccnz .LBB117_6
; %bb.37:                               ;   in Loop: Header=BB117_7 Depth=1
	v_add_co_u32 v17, vcc_lo, v19, v17
	s_wait_alu 0xfffd
	v_add_co_ci_u32_e64 v18, null, v20, v18, vcc_lo
	global_store_b128 v[17:18], v[1:4], off
	s_branch .LBB117_6
.LBB117_38:
.LBB117_39:
	s_endpgm
	.section	.rodata,"a",@progbits
	.p2align	6, 0x0
	.amdhsa_kernel _ZL29rocblas_internal_gemmt_kernelIiLi16ELi32ELi8ELc78ELc78ELc76ELb0ELb0E19rocblas_complex_numIdEPKS1_S3_PS1_EviT_T9_T10_S5_lS7_S5_lS6_T11_S5_li
		.amdhsa_group_segment_fixed_size 8192
		.amdhsa_private_segment_fixed_size 0
		.amdhsa_kernarg_size 100
		.amdhsa_user_sgpr_count 2
		.amdhsa_user_sgpr_dispatch_ptr 0
		.amdhsa_user_sgpr_queue_ptr 0
		.amdhsa_user_sgpr_kernarg_segment_ptr 1
		.amdhsa_user_sgpr_dispatch_id 0
		.amdhsa_user_sgpr_private_segment_size 0
		.amdhsa_wavefront_size32 1
		.amdhsa_uses_dynamic_stack 0
		.amdhsa_enable_private_segment 0
		.amdhsa_system_sgpr_workgroup_id_x 1
		.amdhsa_system_sgpr_workgroup_id_y 1
		.amdhsa_system_sgpr_workgroup_id_z 1
		.amdhsa_system_sgpr_workgroup_info 0
		.amdhsa_system_vgpr_workitem_id 1
		.amdhsa_next_free_vgpr 65
		.amdhsa_next_free_sgpr 40
		.amdhsa_reserve_vcc 1
		.amdhsa_float_round_mode_32 0
		.amdhsa_float_round_mode_16_64 0
		.amdhsa_float_denorm_mode_32 3
		.amdhsa_float_denorm_mode_16_64 3
		.amdhsa_fp16_overflow 0
		.amdhsa_workgroup_processor_mode 1
		.amdhsa_memory_ordered 1
		.amdhsa_forward_progress 1
		.amdhsa_inst_pref_size 29
		.amdhsa_round_robin_scheduling 0
		.amdhsa_exception_fp_ieee_invalid_op 0
		.amdhsa_exception_fp_denorm_src 0
		.amdhsa_exception_fp_ieee_div_zero 0
		.amdhsa_exception_fp_ieee_overflow 0
		.amdhsa_exception_fp_ieee_underflow 0
		.amdhsa_exception_fp_ieee_inexact 0
		.amdhsa_exception_int_div_zero 0
	.end_amdhsa_kernel
	.section	.text._ZL29rocblas_internal_gemmt_kernelIiLi16ELi32ELi8ELc78ELc78ELc76ELb0ELb0E19rocblas_complex_numIdEPKS1_S3_PS1_EviT_T9_T10_S5_lS7_S5_lS6_T11_S5_li,"axG",@progbits,_ZL29rocblas_internal_gemmt_kernelIiLi16ELi32ELi8ELc78ELc78ELc76ELb0ELb0E19rocblas_complex_numIdEPKS1_S3_PS1_EviT_T9_T10_S5_lS7_S5_lS6_T11_S5_li,comdat
.Lfunc_end117:
	.size	_ZL29rocblas_internal_gemmt_kernelIiLi16ELi32ELi8ELc78ELc78ELc76ELb0ELb0E19rocblas_complex_numIdEPKS1_S3_PS1_EviT_T9_T10_S5_lS7_S5_lS6_T11_S5_li, .Lfunc_end117-_ZL29rocblas_internal_gemmt_kernelIiLi16ELi32ELi8ELc78ELc78ELc76ELb0ELb0E19rocblas_complex_numIdEPKS1_S3_PS1_EviT_T9_T10_S5_lS7_S5_lS6_T11_S5_li
                                        ; -- End function
	.set _ZL29rocblas_internal_gemmt_kernelIiLi16ELi32ELi8ELc78ELc78ELc76ELb0ELb0E19rocblas_complex_numIdEPKS1_S3_PS1_EviT_T9_T10_S5_lS7_S5_lS6_T11_S5_li.num_vgpr, 65
	.set _ZL29rocblas_internal_gemmt_kernelIiLi16ELi32ELi8ELc78ELc78ELc76ELb0ELb0E19rocblas_complex_numIdEPKS1_S3_PS1_EviT_T9_T10_S5_lS7_S5_lS6_T11_S5_li.num_agpr, 0
	.set _ZL29rocblas_internal_gemmt_kernelIiLi16ELi32ELi8ELc78ELc78ELc76ELb0ELb0E19rocblas_complex_numIdEPKS1_S3_PS1_EviT_T9_T10_S5_lS7_S5_lS6_T11_S5_li.numbered_sgpr, 40
	.set _ZL29rocblas_internal_gemmt_kernelIiLi16ELi32ELi8ELc78ELc78ELc76ELb0ELb0E19rocblas_complex_numIdEPKS1_S3_PS1_EviT_T9_T10_S5_lS7_S5_lS6_T11_S5_li.num_named_barrier, 0
	.set _ZL29rocblas_internal_gemmt_kernelIiLi16ELi32ELi8ELc78ELc78ELc76ELb0ELb0E19rocblas_complex_numIdEPKS1_S3_PS1_EviT_T9_T10_S5_lS7_S5_lS6_T11_S5_li.private_seg_size, 0
	.set _ZL29rocblas_internal_gemmt_kernelIiLi16ELi32ELi8ELc78ELc78ELc76ELb0ELb0E19rocblas_complex_numIdEPKS1_S3_PS1_EviT_T9_T10_S5_lS7_S5_lS6_T11_S5_li.uses_vcc, 1
	.set _ZL29rocblas_internal_gemmt_kernelIiLi16ELi32ELi8ELc78ELc78ELc76ELb0ELb0E19rocblas_complex_numIdEPKS1_S3_PS1_EviT_T9_T10_S5_lS7_S5_lS6_T11_S5_li.uses_flat_scratch, 0
	.set _ZL29rocblas_internal_gemmt_kernelIiLi16ELi32ELi8ELc78ELc78ELc76ELb0ELb0E19rocblas_complex_numIdEPKS1_S3_PS1_EviT_T9_T10_S5_lS7_S5_lS6_T11_S5_li.has_dyn_sized_stack, 0
	.set _ZL29rocblas_internal_gemmt_kernelIiLi16ELi32ELi8ELc78ELc78ELc76ELb0ELb0E19rocblas_complex_numIdEPKS1_S3_PS1_EviT_T9_T10_S5_lS7_S5_lS6_T11_S5_li.has_recursion, 0
	.set _ZL29rocblas_internal_gemmt_kernelIiLi16ELi32ELi8ELc78ELc78ELc76ELb0ELb0E19rocblas_complex_numIdEPKS1_S3_PS1_EviT_T9_T10_S5_lS7_S5_lS6_T11_S5_li.has_indirect_call, 0
	.section	.AMDGPU.csdata,"",@progbits
; Kernel info:
; codeLenInByte = 3708
; TotalNumSgprs: 42
; NumVgprs: 65
; ScratchSize: 0
; MemoryBound: 0
; FloatMode: 240
; IeeeMode: 1
; LDSByteSize: 8192 bytes/workgroup (compile time only)
; SGPRBlocks: 0
; VGPRBlocks: 8
; NumSGPRsForWavesPerEU: 42
; NumVGPRsForWavesPerEU: 65
; Occupancy: 16
; WaveLimiterHint : 0
; COMPUTE_PGM_RSRC2:SCRATCH_EN: 0
; COMPUTE_PGM_RSRC2:USER_SGPR: 2
; COMPUTE_PGM_RSRC2:TRAP_HANDLER: 0
; COMPUTE_PGM_RSRC2:TGID_X_EN: 1
; COMPUTE_PGM_RSRC2:TGID_Y_EN: 1
; COMPUTE_PGM_RSRC2:TGID_Z_EN: 1
; COMPUTE_PGM_RSRC2:TIDIG_COMP_CNT: 1
	.section	.text._ZL29rocblas_internal_gemmt_kernelIiLi16ELi32ELi8ELc78ELc84ELc76ELb0ELb0E19rocblas_complex_numIdEPKS1_S3_PS1_EviT_T9_T10_S5_lS7_S5_lS6_T11_S5_li,"axG",@progbits,_ZL29rocblas_internal_gemmt_kernelIiLi16ELi32ELi8ELc78ELc84ELc76ELb0ELb0E19rocblas_complex_numIdEPKS1_S3_PS1_EviT_T9_T10_S5_lS7_S5_lS6_T11_S5_li,comdat
	.globl	_ZL29rocblas_internal_gemmt_kernelIiLi16ELi32ELi8ELc78ELc84ELc76ELb0ELb0E19rocblas_complex_numIdEPKS1_S3_PS1_EviT_T9_T10_S5_lS7_S5_lS6_T11_S5_li ; -- Begin function _ZL29rocblas_internal_gemmt_kernelIiLi16ELi32ELi8ELc78ELc84ELc76ELb0ELb0E19rocblas_complex_numIdEPKS1_S3_PS1_EviT_T9_T10_S5_lS7_S5_lS6_T11_S5_li
	.p2align	8
	.type	_ZL29rocblas_internal_gemmt_kernelIiLi16ELi32ELi8ELc78ELc84ELc76ELb0ELb0E19rocblas_complex_numIdEPKS1_S3_PS1_EviT_T9_T10_S5_lS7_S5_lS6_T11_S5_li,@function
_ZL29rocblas_internal_gemmt_kernelIiLi16ELi32ELi8ELc78ELc84ELc76ELb0ELb0E19rocblas_complex_numIdEPKS1_S3_PS1_EviT_T9_T10_S5_lS7_S5_lS6_T11_S5_li: ; @_ZL29rocblas_internal_gemmt_kernelIiLi16ELi32ELi8ELc78ELc84ELc76ELb0ELb0E19rocblas_complex_numIdEPKS1_S3_PS1_EviT_T9_T10_S5_lS7_S5_lS6_T11_S5_li
; %bb.0:
	s_load_b128 s[16:19], s[0:1], 0x38
	s_wait_kmcnt 0x0
	s_load_b128 s[8:11], s[18:19], 0x0
	s_clause 0x1
	s_load_b128 s[4:7], s[0:1], 0x8
	s_load_b64 s[18:19], s[0:1], 0x0
	s_wait_kmcnt 0x0
	s_load_b128 s[12:15], s[4:5], 0x0
	v_cmp_eq_f64_e64 s2, s[8:9], 1.0
	v_cmp_eq_f64_e64 s3, s[10:11], 0
	s_and_b32 s2, s2, s3
	s_delay_alu instid0(SALU_CYCLE_1)
	s_and_not1_b32 vcc_lo, exec_lo, s2
	s_mov_b32 s2, -1
	s_cbranch_vccnz .LBB118_3
; %bb.1:
	s_cmp_lg_u32 s19, 0
	s_cbranch_scc0 .LBB118_38
; %bb.2:
	s_wait_kmcnt 0x0
	v_cmp_neq_f64_e64 s2, s[12:13], 0
	v_cmp_neq_f64_e64 s4, s[14:15], 0
	s_or_b32 s2, s2, s4
.LBB118_3:
	s_delay_alu instid0(SALU_CYCLE_1)
	s_and_b32 vcc_lo, exec_lo, s2
	s_cbranch_vccz .LBB118_39
; %bb.4:
	s_load_b32 s27, s[0:1], 0x60
	s_lshr_b32 s28, ttmp7, 16
	s_wait_kmcnt 0x0
	s_cmp_ge_u32 s28, s27
	s_cbranch_scc1 .LBB118_39
; %bb.5:
	v_cmp_neq_f64_e64 s4, s[12:13], 0
	v_cmp_neq_f64_e64 s5, s[14:15], 0
	;; [unrolled: 1-line block ×3, first 2 shown]
	s_clause 0x4
	s_load_b32 s38, s[0:1], 0x18
	s_load_b128 s[20:23], s[0:1], 0x20
	s_load_b32 s34, s[0:1], 0x30
	s_load_b96 s[24:26], s[0:1], 0x48
	s_load_b64 s[30:31], s[0:1], 0x58
	v_and_b32_e32 v1, 0x3ff, v0
	v_bfe_u32 v2, v0, 10, 10
	v_and_b32_e32 v37, 7, v0
	s_lshl_b32 s0, ttmp7, 5
	s_lshl_b32 s1, ttmp9, 5
	s_and_b32 s2, s0, 0x1fffe0
	v_lshl_add_u32 v0, v2, 4, v1
	v_lshlrev_b32_e32 v3, 4, v37
	v_lshlrev_b32_e32 v38, 4, v1
	v_add_nc_u32_e32 v5, s1, v1
	v_add_nc_u32_e32 v1, s2, v2
	v_lshl_add_u32 v39, v2, 7, 0x1000
	v_and_b32_e32 v2, 31, v0
	v_lshrrev_b32_e32 v4, 3, v0
	v_lshrrev_b32_e32 v40, 5, v0
	v_cmp_le_i32_e32 vcc_lo, v1, v5
	v_cmp_gt_i32_e64 s0, s18, v5
	v_add_nc_u32_e32 v7, 16, v5
	v_or_b32_e32 v0, s1, v2
	v_lshlrev_b32_e32 v2, 4, v2
	v_lshl_or_b32 v3, v4, 7, v3
	s_wait_kmcnt 0x0
	s_ashr_i32 s39, s38, 31
	s_ashr_i32 s35, s34, 31
	v_mad_co_i64_i32 v[9:10], null, v40, s38, 0
	v_add_nc_u32_e32 v13, s2, v4
	v_lshl_or_b32 v41, v40, 9, v2
	v_add_nc_u32_e32 v42, 0x1000, v3
	v_mad_co_i64_i32 v[2:3], null, v1, s26, 0
	v_add_nc_u32_e32 v4, 16, v1
	v_cmp_gt_i32_e64 s1, s18, v0
	v_lshlrev_b64_e32 v[9:10], 4, v[9:10]
	v_mad_co_i64_i32 v[11:12], null, s34, v37, 0
	s_or_b32 s37, s4, s5
	s_cmp_gt_i32 s19, 0
	v_cmp_gt_i32_e64 s2, s18, v13
	s_cselect_b32 s40, -1, 0
	s_xor_b32 s3, s3, -1
	s_and_b32 s36, vcc_lo, s0
	v_cmp_le_i32_e32 vcc_lo, v1, v7
	v_ashrrev_i32_e32 v1, 31, v0
	s_wait_alu 0xfffe
	s_or_b32 s33, s33, s3
	v_cmp_gt_i32_e64 s3, s18, v7
	v_cmp_le_i32_e64 s4, v4, v7
	v_mad_co_i64_i32 v[15:16], null, v4, s26, 0
	v_lshlrev_b64_e32 v[0:1], 4, v[0:1]
	s_delay_alu instid0(VALU_DEP_4)
	s_and_b32 s18, vcc_lo, s3
	v_cmp_le_i32_e32 vcc_lo, v4, v5
	v_ashrrev_i32_e32 v6, 31, v5
	v_ashrrev_i32_e32 v8, 31, v7
	s_mov_b32 s29, 0
	v_lshlrev_b64_e32 v[15:16], 4, v[15:16]
	s_and_b32 s26, vcc_lo, s0
	v_add_co_u32 v4, vcc_lo, v9, v0
	s_delay_alu instid0(VALU_DEP_1) | instskip(SKIP_2) | instid1(VALU_DEP_4)
	v_add_co_ci_u32_e64 v10, null, v10, v1, vcc_lo
	v_lshlrev_b64_e32 v[0:1], 4, v[11:12]
	v_lshlrev_b32_e32 v11, 4, v13
	v_add_co_u32 v9, vcc_lo, s6, v4
	s_wait_alu 0xfffd
	v_add_co_ci_u32_e64 v10, null, s7, v10, vcc_lo
	s_delay_alu instid0(VALU_DEP_3) | instskip(SKIP_3) | instid1(VALU_DEP_3)
	v_add_co_u32 v0, vcc_lo, v0, v11
	s_wait_alu 0xfffd
	v_add_co_ci_u32_e64 v1, null, 0, v1, vcc_lo
	v_lshlrev_b64_e32 v[13:14], 4, v[2:3]
	v_add_co_u32 v11, vcc_lo, s22, v0
	s_wait_alu 0xfffd
	s_delay_alu instid0(VALU_DEP_3)
	v_add_co_ci_u32_e64 v12, null, s23, v1, vcc_lo
	v_mov_b32_e32 v0, 0
	s_and_b32 s3, s4, s3
	s_lshl_b64 s[4:5], s[20:21], 4
	s_lshl_b64 s[6:7], s[38:39], 7
	;; [unrolled: 1-line block ×3, first 2 shown]
	s_and_b32 s22, s37, s40
	s_lshl_b64 s[20:21], s[34:35], 7
	s_xor_b32 s23, s1, -1
	s_xor_b32 s2, s2, -1
	s_branch .LBB118_7
.LBB118_6:                              ;   in Loop: Header=BB118_7 Depth=1
	s_wait_alu 0xfffe
	s_or_b32 exec_lo, exec_lo, s0
	s_add_co_i32 s28, s28, 0x10000
	s_wait_alu 0xfffe
	s_cmp_lt_u32 s28, s27
	s_cbranch_scc0 .LBB118_39
.LBB118_7:                              ; =>This Loop Header: Depth=1
                                        ;     Child Loop BB118_10 Depth 2
	v_mov_b32_e32 v33, 0
	v_mov_b32_e32 v29, 0
	;; [unrolled: 1-line block ×3, first 2 shown]
	v_dual_mov_b32 v23, 0 :: v_dual_mov_b32 v34, 0
	v_dual_mov_b32 v35, 0 :: v_dual_mov_b32 v30, 0
	;; [unrolled: 1-line block ×5, first 2 shown]
	v_mov_b32_e32 v32, 0
	v_mov_b32_e32 v28, 0
	;; [unrolled: 1-line block ×3, first 2 shown]
	s_wait_alu 0xfffe
	s_and_not1_b32 vcc_lo, exec_lo, s22
	s_wait_alu 0xfffe
	s_cbranch_vccnz .LBB118_18
; %bb.8:                                ;   in Loop: Header=BB118_7 Depth=1
	v_mad_co_u64_u32 v[17:18], null, s4, s28, v[9:10]
	v_mad_co_u64_u32 v[19:20], null, s16, s28, v[11:12]
	v_mov_b32_e32 v21, 0
	v_mov_b32_e32 v23, 0
	;; [unrolled: 1-line block ×4, first 2 shown]
	v_dual_mov_b32 v1, v18 :: v_dual_mov_b32 v22, 0
	v_mov_b32_e32 v2, v20
	v_dual_mov_b32 v24, 0 :: v_dual_mov_b32 v27, 0
	v_dual_mov_b32 v26, 0 :: v_dual_mov_b32 v31, 0
	s_delay_alu instid0(VALU_DEP_3)
	v_mad_co_u64_u32 v[3:4], null, s5, s28, v[1:2]
	v_dual_mov_b32 v30, 0 :: v_dual_mov_b32 v35, 0
	v_dual_mov_b32 v33, 0 :: v_dual_mov_b32 v28, 0
	v_mov_b32_e32 v32, 0
	v_mov_b32_e32 v36, 0
	v_mad_co_u64_u32 v[1:2], null, s17, s28, v[2:3]
	v_mov_b32_e32 v34, 0
	v_mov_b32_e32 v18, v3
	s_mov_b32 s0, 0
	s_delay_alu instid0(VALU_DEP_3)
	v_mov_b32_e32 v20, v1
	s_branch .LBB118_10
.LBB118_9:                              ;   in Loop: Header=BB118_10 Depth=2
	s_wait_alu 0xfffe
	s_or_b32 exec_lo, exec_lo, s1
	s_wait_dscnt 0x0
	s_barrier_signal -1
	s_barrier_wait -1
	global_inv scope:SCOPE_SE
	ds_load_b128 v[1:4], v39
	ds_load_b128 v[43:46], v39 offset:16
	ds_load_b128 v[47:50], v39 offset:32
	;; [unrolled: 1-line block ×3, first 2 shown]
	ds_load_b128 v[55:58], v38
	v_add_co_u32 v17, vcc_lo, v17, s6
	s_wait_alu 0xfffd
	v_add_co_ci_u32_e64 v18, null, s7, v18, vcc_lo
	v_add_co_u32 v19, vcc_lo, v19, s20
	s_wait_alu 0xfffd
	v_add_co_ci_u32_e64 v20, null, s21, v20, vcc_lo
	s_add_co_i32 s0, s0, 8
	s_wait_alu 0xfffe
	s_cmp_lt_i32 s0, s19
	s_wait_dscnt 0x0
	v_mul_f64_e32 v[59:60], v[3:4], v[57:58]
	v_mul_f64_e32 v[61:62], v[1:2], v[57:58]
	s_delay_alu instid0(VALU_DEP_2) | instskip(NEXT) | instid1(VALU_DEP_2)
	v_fma_f64 v[59:60], v[1:2], v[55:56], -v[59:60]
	v_fma_f64 v[61:62], v[3:4], v[55:56], v[61:62]
	s_delay_alu instid0(VALU_DEP_2) | instskip(NEXT) | instid1(VALU_DEP_2)
	v_add_f64_e32 v[59:60], v[33:34], v[59:60]
	v_add_f64_e32 v[61:62], v[61:62], v[35:36]
	ds_load_b128 v[33:36], v38 offset:256
	s_wait_dscnt 0x0
	v_mul_f64_e32 v[63:64], v[3:4], v[35:36]
	s_delay_alu instid0(VALU_DEP_1) | instskip(SKIP_1) | instid1(VALU_DEP_2)
	v_fma_f64 v[63:64], v[1:2], v[33:34], -v[63:64]
	v_mul_f64_e32 v[1:2], v[1:2], v[35:36]
	v_add_f64_e32 v[29:30], v[29:30], v[63:64]
	s_delay_alu instid0(VALU_DEP_2) | instskip(NEXT) | instid1(VALU_DEP_1)
	v_fma_f64 v[1:2], v[3:4], v[33:34], v[1:2]
	v_add_f64_e32 v[31:32], v[1:2], v[31:32]
	ds_load_b128 v[1:4], v39 offset:2048
	s_wait_dscnt 0x0
	v_mul_f64_e32 v[63:64], v[3:4], v[57:58]
	v_mul_f64_e32 v[57:58], v[1:2], v[57:58]
	s_delay_alu instid0(VALU_DEP_2) | instskip(NEXT) | instid1(VALU_DEP_2)
	v_fma_f64 v[63:64], v[1:2], v[55:56], -v[63:64]
	v_fma_f64 v[55:56], v[3:4], v[55:56], v[57:58]
	s_delay_alu instid0(VALU_DEP_2) | instskip(SKIP_1) | instid1(VALU_DEP_3)
	v_add_f64_e32 v[57:58], v[25:26], v[63:64]
	v_mul_f64_e32 v[25:26], v[3:4], v[35:36]
	v_add_f64_e32 v[55:56], v[55:56], v[27:28]
	s_delay_alu instid0(VALU_DEP_2) | instskip(SKIP_1) | instid1(VALU_DEP_1)
	v_fma_f64 v[25:26], v[1:2], v[33:34], -v[25:26]
	v_mul_f64_e32 v[1:2], v[1:2], v[35:36]
	v_fma_f64 v[1:2], v[3:4], v[33:34], v[1:2]
	s_delay_alu instid0(VALU_DEP_3) | instskip(NEXT) | instid1(VALU_DEP_2)
	v_add_f64_e32 v[33:34], v[23:24], v[25:26]
	v_add_f64_e32 v[35:36], v[1:2], v[21:22]
	ds_load_b128 v[1:4], v38 offset:512
	s_wait_dscnt 0x0
	v_mul_f64_e32 v[21:22], v[45:46], v[3:4]
	v_mul_f64_e32 v[23:24], v[43:44], v[3:4]
	s_delay_alu instid0(VALU_DEP_2) | instskip(NEXT) | instid1(VALU_DEP_2)
	v_fma_f64 v[21:22], v[43:44], v[1:2], -v[21:22]
	v_fma_f64 v[23:24], v[45:46], v[1:2], v[23:24]
	s_delay_alu instid0(VALU_DEP_2) | instskip(NEXT) | instid1(VALU_DEP_2)
	v_add_f64_e32 v[59:60], v[59:60], v[21:22]
	v_add_f64_e32 v[61:62], v[23:24], v[61:62]
	ds_load_b128 v[21:24], v38 offset:768
	s_wait_dscnt 0x0
	v_mul_f64_e32 v[25:26], v[45:46], v[23:24]
	v_mul_f64_e32 v[27:28], v[43:44], v[23:24]
	s_delay_alu instid0(VALU_DEP_2) | instskip(NEXT) | instid1(VALU_DEP_2)
	v_fma_f64 v[25:26], v[43:44], v[21:22], -v[25:26]
	v_fma_f64 v[27:28], v[45:46], v[21:22], v[27:28]
	s_delay_alu instid0(VALU_DEP_2) | instskip(NEXT) | instid1(VALU_DEP_2)
	v_add_f64_e32 v[29:30], v[29:30], v[25:26]
	v_add_f64_e32 v[31:32], v[27:28], v[31:32]
	ds_load_b128 v[25:28], v39 offset:2064
	s_wait_dscnt 0x0
	v_mul_f64_e32 v[43:44], v[27:28], v[3:4]
	v_mul_f64_e32 v[3:4], v[25:26], v[3:4]
	s_delay_alu instid0(VALU_DEP_2) | instskip(NEXT) | instid1(VALU_DEP_2)
	v_fma_f64 v[43:44], v[25:26], v[1:2], -v[43:44]
	v_fma_f64 v[1:2], v[27:28], v[1:2], v[3:4]
	v_mul_f64_e32 v[3:4], v[25:26], v[23:24]
	s_delay_alu instid0(VALU_DEP_3) | instskip(NEXT) | instid1(VALU_DEP_3)
	v_add_f64_e32 v[43:44], v[57:58], v[43:44]
	v_add_f64_e32 v[45:46], v[1:2], v[55:56]
	v_mul_f64_e32 v[1:2], v[27:28], v[23:24]
	s_delay_alu instid0(VALU_DEP_4) | instskip(NEXT) | instid1(VALU_DEP_2)
	v_fma_f64 v[3:4], v[27:28], v[21:22], v[3:4]
	v_fma_f64 v[1:2], v[25:26], v[21:22], -v[1:2]
	s_delay_alu instid0(VALU_DEP_2) | instskip(NEXT) | instid1(VALU_DEP_2)
	v_add_f64_e32 v[35:36], v[3:4], v[35:36]
	v_add_f64_e32 v[33:34], v[33:34], v[1:2]
	ds_load_b128 v[1:4], v38 offset:1024
	s_wait_dscnt 0x0
	v_mul_f64_e32 v[21:22], v[49:50], v[3:4]
	v_mul_f64_e32 v[23:24], v[47:48], v[3:4]
	s_delay_alu instid0(VALU_DEP_2) | instskip(NEXT) | instid1(VALU_DEP_2)
	v_fma_f64 v[21:22], v[47:48], v[1:2], -v[21:22]
	v_fma_f64 v[23:24], v[49:50], v[1:2], v[23:24]
	s_delay_alu instid0(VALU_DEP_2) | instskip(NEXT) | instid1(VALU_DEP_2)
	v_add_f64_e32 v[55:56], v[59:60], v[21:22]
	v_add_f64_e32 v[57:58], v[23:24], v[61:62]
	ds_load_b128 v[21:24], v38 offset:1280
	s_wait_dscnt 0x0
	v_mul_f64_e32 v[25:26], v[49:50], v[23:24]
	v_mul_f64_e32 v[27:28], v[47:48], v[23:24]
	s_delay_alu instid0(VALU_DEP_2) | instskip(NEXT) | instid1(VALU_DEP_2)
	v_fma_f64 v[25:26], v[47:48], v[21:22], -v[25:26]
	v_fma_f64 v[27:28], v[49:50], v[21:22], v[27:28]
	s_delay_alu instid0(VALU_DEP_2) | instskip(NEXT) | instid1(VALU_DEP_2)
	v_add_f64_e32 v[29:30], v[29:30], v[25:26]
	v_add_f64_e32 v[31:32], v[27:28], v[31:32]
	ds_load_b128 v[25:28], v39 offset:2080
	s_wait_dscnt 0x0
	v_mul_f64_e32 v[47:48], v[27:28], v[3:4]
	v_mul_f64_e32 v[3:4], v[25:26], v[3:4]
	s_delay_alu instid0(VALU_DEP_2) | instskip(NEXT) | instid1(VALU_DEP_2)
	v_fma_f64 v[47:48], v[25:26], v[1:2], -v[47:48]
	v_fma_f64 v[1:2], v[27:28], v[1:2], v[3:4]
	v_mul_f64_e32 v[3:4], v[25:26], v[23:24]
	s_delay_alu instid0(VALU_DEP_3) | instskip(NEXT) | instid1(VALU_DEP_3)
	v_add_f64_e32 v[43:44], v[43:44], v[47:48]
	v_add_f64_e32 v[45:46], v[1:2], v[45:46]
	v_mul_f64_e32 v[1:2], v[27:28], v[23:24]
	s_delay_alu instid0(VALU_DEP_4) | instskip(NEXT) | instid1(VALU_DEP_2)
	v_fma_f64 v[3:4], v[27:28], v[21:22], v[3:4]
	v_fma_f64 v[1:2], v[25:26], v[21:22], -v[1:2]
	s_delay_alu instid0(VALU_DEP_2) | instskip(NEXT) | instid1(VALU_DEP_2)
	v_add_f64_e32 v[35:36], v[3:4], v[35:36]
	v_add_f64_e32 v[33:34], v[33:34], v[1:2]
	ds_load_b128 v[1:4], v38 offset:1536
	s_wait_dscnt 0x0
	v_mul_f64_e32 v[21:22], v[53:54], v[3:4]
	v_mul_f64_e32 v[23:24], v[51:52], v[3:4]
	s_delay_alu instid0(VALU_DEP_2) | instskip(NEXT) | instid1(VALU_DEP_2)
	v_fma_f64 v[21:22], v[51:52], v[1:2], -v[21:22]
	v_fma_f64 v[23:24], v[53:54], v[1:2], v[23:24]
	s_delay_alu instid0(VALU_DEP_2) | instskip(NEXT) | instid1(VALU_DEP_2)
	v_add_f64_e32 v[47:48], v[55:56], v[21:22]
	v_add_f64_e32 v[49:50], v[23:24], v[57:58]
	ds_load_b128 v[21:24], v38 offset:1792
	s_wait_dscnt 0x0
	v_mul_f64_e32 v[25:26], v[53:54], v[23:24]
	v_mul_f64_e32 v[27:28], v[51:52], v[23:24]
	s_delay_alu instid0(VALU_DEP_2) | instskip(NEXT) | instid1(VALU_DEP_2)
	v_fma_f64 v[25:26], v[51:52], v[21:22], -v[25:26]
	v_fma_f64 v[27:28], v[53:54], v[21:22], v[27:28]
	s_delay_alu instid0(VALU_DEP_2) | instskip(NEXT) | instid1(VALU_DEP_2)
	v_add_f64_e32 v[29:30], v[29:30], v[25:26]
	v_add_f64_e32 v[31:32], v[27:28], v[31:32]
	ds_load_b128 v[25:28], v39 offset:2096
	s_wait_dscnt 0x0
	v_mul_f64_e32 v[51:52], v[27:28], v[3:4]
	v_mul_f64_e32 v[3:4], v[25:26], v[3:4]
	s_delay_alu instid0(VALU_DEP_2) | instskip(NEXT) | instid1(VALU_DEP_2)
	v_fma_f64 v[51:52], v[25:26], v[1:2], -v[51:52]
	v_fma_f64 v[1:2], v[27:28], v[1:2], v[3:4]
	v_mul_f64_e32 v[3:4], v[25:26], v[23:24]
	s_delay_alu instid0(VALU_DEP_3) | instskip(NEXT) | instid1(VALU_DEP_3)
	v_add_f64_e32 v[43:44], v[43:44], v[51:52]
	v_add_f64_e32 v[45:46], v[1:2], v[45:46]
	v_mul_f64_e32 v[1:2], v[27:28], v[23:24]
	s_delay_alu instid0(VALU_DEP_4) | instskip(NEXT) | instid1(VALU_DEP_2)
	v_fma_f64 v[3:4], v[27:28], v[21:22], v[3:4]
	v_fma_f64 v[1:2], v[25:26], v[21:22], -v[1:2]
	s_delay_alu instid0(VALU_DEP_2) | instskip(NEXT) | instid1(VALU_DEP_2)
	v_add_f64_e32 v[35:36], v[3:4], v[35:36]
	v_add_f64_e32 v[33:34], v[33:34], v[1:2]
	ds_load_b128 v[1:4], v39 offset:64
	ds_load_b128 v[21:24], v38 offset:2048
	s_wait_dscnt 0x0
	v_mul_f64_e32 v[25:26], v[3:4], v[23:24]
	v_mul_f64_e32 v[27:28], v[1:2], v[23:24]
	s_delay_alu instid0(VALU_DEP_2) | instskip(NEXT) | instid1(VALU_DEP_2)
	v_fma_f64 v[25:26], v[1:2], v[21:22], -v[25:26]
	v_fma_f64 v[27:28], v[3:4], v[21:22], v[27:28]
	s_delay_alu instid0(VALU_DEP_2) | instskip(NEXT) | instid1(VALU_DEP_2)
	v_add_f64_e32 v[47:48], v[47:48], v[25:26]
	v_add_f64_e32 v[49:50], v[27:28], v[49:50]
	ds_load_b128 v[25:28], v38 offset:2304
	s_wait_dscnt 0x0
	v_mul_f64_e32 v[51:52], v[3:4], v[27:28]
	s_delay_alu instid0(VALU_DEP_1) | instskip(SKIP_1) | instid1(VALU_DEP_2)
	v_fma_f64 v[51:52], v[1:2], v[25:26], -v[51:52]
	v_mul_f64_e32 v[1:2], v[1:2], v[27:28]
	v_add_f64_e32 v[29:30], v[29:30], v[51:52]
	s_delay_alu instid0(VALU_DEP_2) | instskip(NEXT) | instid1(VALU_DEP_1)
	v_fma_f64 v[1:2], v[3:4], v[25:26], v[1:2]
	v_add_f64_e32 v[31:32], v[1:2], v[31:32]
	ds_load_b128 v[1:4], v39 offset:2112
	s_wait_dscnt 0x0
	v_mul_f64_e32 v[51:52], v[3:4], v[23:24]
	v_mul_f64_e32 v[23:24], v[1:2], v[23:24]
	s_delay_alu instid0(VALU_DEP_2) | instskip(NEXT) | instid1(VALU_DEP_2)
	v_fma_f64 v[51:52], v[1:2], v[21:22], -v[51:52]
	v_fma_f64 v[21:22], v[3:4], v[21:22], v[23:24]
	s_delay_alu instid0(VALU_DEP_2) | instskip(NEXT) | instid1(VALU_DEP_2)
	v_add_f64_e32 v[43:44], v[43:44], v[51:52]
	v_add_f64_e32 v[45:46], v[21:22], v[45:46]
	v_mul_f64_e32 v[21:22], v[3:4], v[27:28]
	s_delay_alu instid0(VALU_DEP_1) | instskip(SKIP_1) | instid1(VALU_DEP_2)
	v_fma_f64 v[21:22], v[1:2], v[25:26], -v[21:22]
	v_mul_f64_e32 v[1:2], v[1:2], v[27:28]
	v_add_f64_e32 v[33:34], v[33:34], v[21:22]
	s_delay_alu instid0(VALU_DEP_2) | instskip(NEXT) | instid1(VALU_DEP_1)
	v_fma_f64 v[1:2], v[3:4], v[25:26], v[1:2]
	v_add_f64_e32 v[35:36], v[1:2], v[35:36]
	ds_load_b128 v[1:4], v39 offset:80
	ds_load_b128 v[21:24], v38 offset:2560
	s_wait_dscnt 0x0
	v_mul_f64_e32 v[25:26], v[3:4], v[23:24]
	v_mul_f64_e32 v[27:28], v[1:2], v[23:24]
	s_delay_alu instid0(VALU_DEP_2) | instskip(NEXT) | instid1(VALU_DEP_2)
	v_fma_f64 v[25:26], v[1:2], v[21:22], -v[25:26]
	v_fma_f64 v[27:28], v[3:4], v[21:22], v[27:28]
	s_delay_alu instid0(VALU_DEP_2) | instskip(NEXT) | instid1(VALU_DEP_2)
	v_add_f64_e32 v[47:48], v[47:48], v[25:26]
	v_add_f64_e32 v[49:50], v[27:28], v[49:50]
	ds_load_b128 v[25:28], v38 offset:2816
	s_wait_dscnt 0x0
	v_mul_f64_e32 v[51:52], v[3:4], v[27:28]
	s_delay_alu instid0(VALU_DEP_1) | instskip(SKIP_1) | instid1(VALU_DEP_2)
	v_fma_f64 v[51:52], v[1:2], v[25:26], -v[51:52]
	v_mul_f64_e32 v[1:2], v[1:2], v[27:28]
	v_add_f64_e32 v[29:30], v[29:30], v[51:52]
	s_delay_alu instid0(VALU_DEP_2) | instskip(NEXT) | instid1(VALU_DEP_1)
	v_fma_f64 v[1:2], v[3:4], v[25:26], v[1:2]
	v_add_f64_e32 v[31:32], v[1:2], v[31:32]
	ds_load_b128 v[1:4], v39 offset:2128
	s_wait_dscnt 0x0
	v_mul_f64_e32 v[51:52], v[3:4], v[23:24]
	v_mul_f64_e32 v[23:24], v[1:2], v[23:24]
	s_delay_alu instid0(VALU_DEP_2) | instskip(NEXT) | instid1(VALU_DEP_2)
	v_fma_f64 v[51:52], v[1:2], v[21:22], -v[51:52]
	v_fma_f64 v[21:22], v[3:4], v[21:22], v[23:24]
	s_delay_alu instid0(VALU_DEP_2) | instskip(NEXT) | instid1(VALU_DEP_2)
	v_add_f64_e32 v[43:44], v[43:44], v[51:52]
	v_add_f64_e32 v[45:46], v[21:22], v[45:46]
	v_mul_f64_e32 v[21:22], v[3:4], v[27:28]
	s_delay_alu instid0(VALU_DEP_1) | instskip(SKIP_1) | instid1(VALU_DEP_2)
	v_fma_f64 v[21:22], v[1:2], v[25:26], -v[21:22]
	v_mul_f64_e32 v[1:2], v[1:2], v[27:28]
	v_add_f64_e32 v[33:34], v[33:34], v[21:22]
	s_delay_alu instid0(VALU_DEP_2) | instskip(NEXT) | instid1(VALU_DEP_1)
	v_fma_f64 v[1:2], v[3:4], v[25:26], v[1:2]
	;; [unrolled: 39-line block ×3, first 2 shown]
	v_add_f64_e32 v[57:58], v[1:2], v[35:36]
	ds_load_b128 v[1:4], v39 offset:112
	ds_load_b128 v[21:24], v38 offset:3584
	;; [unrolled: 1-line block ×3, first 2 shown]
	s_wait_dscnt 0x1
	v_mul_f64_e32 v[25:26], v[3:4], v[23:24]
	v_mul_f64_e32 v[27:28], v[1:2], v[23:24]
	s_delay_alu instid0(VALU_DEP_2) | instskip(NEXT) | instid1(VALU_DEP_2)
	v_fma_f64 v[25:26], v[1:2], v[21:22], -v[25:26]
	v_fma_f64 v[27:28], v[3:4], v[21:22], v[27:28]
	s_delay_alu instid0(VALU_DEP_2) | instskip(SKIP_2) | instid1(VALU_DEP_3)
	v_add_f64_e32 v[33:34], v[47:48], v[25:26]
	s_wait_dscnt 0x0
	v_mul_f64_e32 v[25:26], v[3:4], v[45:46]
	v_add_f64_e32 v[35:36], v[27:28], v[49:50]
	s_delay_alu instid0(VALU_DEP_2) | instskip(SKIP_1) | instid1(VALU_DEP_2)
	v_fma_f64 v[25:26], v[1:2], v[43:44], -v[25:26]
	v_mul_f64_e32 v[1:2], v[1:2], v[45:46]
	v_add_f64_e32 v[29:30], v[29:30], v[25:26]
	s_delay_alu instid0(VALU_DEP_2) | instskip(NEXT) | instid1(VALU_DEP_1)
	v_fma_f64 v[1:2], v[3:4], v[43:44], v[1:2]
	v_add_f64_e32 v[31:32], v[1:2], v[31:32]
	ds_load_b128 v[1:4], v39 offset:2160
	s_wait_loadcnt_dscnt 0x0
	s_barrier_signal -1
	s_barrier_wait -1
	global_inv scope:SCOPE_SE
	v_mul_f64_e32 v[25:26], v[3:4], v[23:24]
	v_mul_f64_e32 v[23:24], v[1:2], v[23:24]
	s_delay_alu instid0(VALU_DEP_2) | instskip(NEXT) | instid1(VALU_DEP_2)
	v_fma_f64 v[25:26], v[1:2], v[21:22], -v[25:26]
	v_fma_f64 v[21:22], v[3:4], v[21:22], v[23:24]
	s_delay_alu instid0(VALU_DEP_2) | instskip(NEXT) | instid1(VALU_DEP_2)
	v_add_f64_e32 v[25:26], v[51:52], v[25:26]
	v_add_f64_e32 v[27:28], v[21:22], v[53:54]
	v_mul_f64_e32 v[21:22], v[3:4], v[45:46]
	s_delay_alu instid0(VALU_DEP_1) | instskip(SKIP_1) | instid1(VALU_DEP_2)
	v_fma_f64 v[21:22], v[1:2], v[43:44], -v[21:22]
	v_mul_f64_e32 v[1:2], v[1:2], v[45:46]
	v_add_f64_e32 v[23:24], v[55:56], v[21:22]
	s_delay_alu instid0(VALU_DEP_2) | instskip(NEXT) | instid1(VALU_DEP_1)
	v_fma_f64 v[1:2], v[3:4], v[43:44], v[1:2]
	v_add_f64_e32 v[21:22], v[1:2], v[57:58]
	s_cbranch_scc0 .LBB118_18
.LBB118_10:                             ;   Parent Loop BB118_7 Depth=1
                                        ; =>  This Inner Loop Header: Depth=2
	s_wait_alu 0xfffe
	v_add_nc_u32_e32 v1, s0, v40
	s_delay_alu instid0(VALU_DEP_1)
	v_cmp_le_i32_e32 vcc_lo, s19, v1
	s_or_b32 s1, s23, vcc_lo
	s_wait_alu 0xfffe
	s_and_saveexec_b32 s34, s1
	s_wait_alu 0xfffe
	s_xor_b32 s1, exec_lo, s34
; %bb.11:                               ;   in Loop: Header=BB118_10 Depth=2
	v_dual_mov_b32 v1, v0 :: v_dual_mov_b32 v2, v0
	v_mov_b32_e32 v3, v0
	ds_store_b128 v41, v[0:3]
; %bb.12:                               ;   in Loop: Header=BB118_10 Depth=2
	s_wait_alu 0xfffe
	s_and_not1_saveexec_b32 s1, s1
	s_cbranch_execz .LBB118_14
; %bb.13:                               ;   in Loop: Header=BB118_10 Depth=2
	global_load_b128 v[1:4], v[17:18], off
	s_wait_loadcnt 0x0
	ds_store_2addr_b64 v41, v[1:2], v[3:4] offset1:1
.LBB118_14:                             ;   in Loop: Header=BB118_10 Depth=2
	s_wait_alu 0xfffe
	s_or_b32 exec_lo, exec_lo, s1
	v_add_nc_u32_e32 v1, s0, v37
	s_delay_alu instid0(VALU_DEP_1)
	v_cmp_le_i32_e32 vcc_lo, s19, v1
	s_or_b32 s1, vcc_lo, s2
	s_wait_alu 0xfffe
	s_and_saveexec_b32 s34, s1
	s_wait_alu 0xfffe
	s_xor_b32 s1, exec_lo, s34
; %bb.15:                               ;   in Loop: Header=BB118_10 Depth=2
	v_dual_mov_b32 v1, v0 :: v_dual_mov_b32 v2, v0
	v_mov_b32_e32 v3, v0
	ds_store_b128 v42, v[0:3]
; %bb.16:                               ;   in Loop: Header=BB118_10 Depth=2
	s_wait_alu 0xfffe
	s_and_not1_saveexec_b32 s1, s1
	s_cbranch_execz .LBB118_9
; %bb.17:                               ;   in Loop: Header=BB118_10 Depth=2
	global_load_b128 v[1:4], v[19:20], off
	s_wait_loadcnt 0x0
	ds_store_2addr_b64 v42, v[1:2], v[3:4] offset1:1
	s_branch .LBB118_9
.LBB118_18:                             ;   in Loop: Header=BB118_7 Depth=1
	s_mul_u64 s[0:1], s[30:31], s[28:29]
	s_wait_alu 0xfffe
	s_lshl_b64 s[0:1], s[0:1], 4
	s_wait_alu 0xfffe
	s_add_nc_u64 s[0:1], s[24:25], s[0:1]
	s_wait_alu 0xfffe
	v_add_co_u32 v17, vcc_lo, s0, v13
	s_wait_alu 0xfffd
	v_add_co_ci_u32_e64 v18, null, s1, v14, vcc_lo
	s_and_saveexec_b32 s34, s36
	s_cbranch_execz .LBB118_23
; %bb.19:                               ;   in Loop: Header=BB118_7 Depth=1
	v_mul_f64_e32 v[1:2], s[14:15], v[35:36]
	v_mul_f64_e32 v[3:4], s[12:13], v[35:36]
	s_and_b32 vcc_lo, exec_lo, s33
	s_mov_b32 s35, -1
	s_delay_alu instid0(VALU_DEP_2) | instskip(NEXT) | instid1(VALU_DEP_2)
	v_fma_f64 v[1:2], s[12:13], v[33:34], -v[1:2]
	v_fma_f64 v[3:4], s[14:15], v[33:34], v[3:4]
	s_wait_alu 0xfffe
	s_cbranch_vccz .LBB118_21
; %bb.20:                               ;   in Loop: Header=BB118_7 Depth=1
	v_lshlrev_b64_e32 v[19:20], 4, v[5:6]
	s_mov_b32 s35, 0
	s_delay_alu instid0(VALU_DEP_1) | instskip(SKIP_1) | instid1(VALU_DEP_2)
	v_add_co_u32 v19, vcc_lo, v17, v19
	s_wait_alu 0xfffd
	v_add_co_ci_u32_e64 v20, null, v18, v20, vcc_lo
	global_load_b128 v[33:36], v[19:20], off
	s_wait_loadcnt 0x0
	v_mul_f64_e32 v[43:44], s[10:11], v[35:36]
	v_mul_f64_e32 v[35:36], s[8:9], v[35:36]
	s_delay_alu instid0(VALU_DEP_2) | instskip(NEXT) | instid1(VALU_DEP_2)
	v_fma_f64 v[43:44], s[8:9], v[33:34], -v[43:44]
	v_fma_f64 v[35:36], s[10:11], v[33:34], v[35:36]
	s_delay_alu instid0(VALU_DEP_2) | instskip(NEXT) | instid1(VALU_DEP_2)
	v_add_f64_e32 v[33:34], v[1:2], v[43:44]
	v_add_f64_e32 v[35:36], v[3:4], v[35:36]
	global_store_b128 v[19:20], v[33:36], off
.LBB118_21:                             ;   in Loop: Header=BB118_7 Depth=1
	s_wait_alu 0xfffe
	s_and_not1_b32 vcc_lo, exec_lo, s35
	s_wait_alu 0xfffe
	s_cbranch_vccnz .LBB118_23
; %bb.22:                               ;   in Loop: Header=BB118_7 Depth=1
	v_lshlrev_b64_e32 v[19:20], 4, v[5:6]
	s_delay_alu instid0(VALU_DEP_1) | instskip(SKIP_1) | instid1(VALU_DEP_2)
	v_add_co_u32 v19, vcc_lo, v17, v19
	s_wait_alu 0xfffd
	v_add_co_ci_u32_e64 v20, null, v18, v20, vcc_lo
	global_store_b128 v[19:20], v[1:4], off
.LBB118_23:                             ;   in Loop: Header=BB118_7 Depth=1
	s_wait_alu 0xfffe
	s_or_b32 exec_lo, exec_lo, s34
	s_and_saveexec_b32 s34, s18
	s_cbranch_execz .LBB118_28
; %bb.24:                               ;   in Loop: Header=BB118_7 Depth=1
	v_mul_f64_e32 v[1:2], s[14:15], v[31:32]
	v_mul_f64_e32 v[3:4], s[12:13], v[31:32]
	s_and_not1_b32 vcc_lo, exec_lo, s33
	s_mov_b32 s35, -1
	s_delay_alu instid0(VALU_DEP_2) | instskip(NEXT) | instid1(VALU_DEP_2)
	v_fma_f64 v[1:2], s[12:13], v[29:30], -v[1:2]
	v_fma_f64 v[3:4], s[14:15], v[29:30], v[3:4]
	s_wait_alu 0xfffe
	s_cbranch_vccnz .LBB118_26
; %bb.25:                               ;   in Loop: Header=BB118_7 Depth=1
	v_lshlrev_b64_e32 v[19:20], 4, v[7:8]
	s_mov_b32 s35, 0
	s_delay_alu instid0(VALU_DEP_1) | instskip(SKIP_1) | instid1(VALU_DEP_2)
	v_add_co_u32 v19, vcc_lo, v17, v19
	s_wait_alu 0xfffd
	v_add_co_ci_u32_e64 v20, null, v18, v20, vcc_lo
	global_load_b128 v[29:32], v[19:20], off
	s_wait_loadcnt 0x0
	v_mul_f64_e32 v[33:34], s[10:11], v[31:32]
	v_mul_f64_e32 v[31:32], s[8:9], v[31:32]
	s_delay_alu instid0(VALU_DEP_2) | instskip(NEXT) | instid1(VALU_DEP_2)
	v_fma_f64 v[33:34], s[8:9], v[29:30], -v[33:34]
	v_fma_f64 v[31:32], s[10:11], v[29:30], v[31:32]
	s_delay_alu instid0(VALU_DEP_2) | instskip(NEXT) | instid1(VALU_DEP_2)
	v_add_f64_e32 v[29:30], v[1:2], v[33:34]
	v_add_f64_e32 v[31:32], v[3:4], v[31:32]
	global_store_b128 v[19:20], v[29:32], off
.LBB118_26:                             ;   in Loop: Header=BB118_7 Depth=1
	s_wait_alu 0xfffe
	s_and_not1_b32 vcc_lo, exec_lo, s35
	s_wait_alu 0xfffe
	s_cbranch_vccnz .LBB118_28
; %bb.27:                               ;   in Loop: Header=BB118_7 Depth=1
	v_lshlrev_b64_e32 v[19:20], 4, v[7:8]
	s_delay_alu instid0(VALU_DEP_1) | instskip(SKIP_1) | instid1(VALU_DEP_2)
	v_add_co_u32 v17, vcc_lo, v17, v19
	s_wait_alu 0xfffd
	v_add_co_ci_u32_e64 v18, null, v18, v20, vcc_lo
	global_store_b128 v[17:18], v[1:4], off
.LBB118_28:                             ;   in Loop: Header=BB118_7 Depth=1
	s_wait_alu 0xfffe
	s_or_b32 exec_lo, exec_lo, s34
	v_add_co_u32 v19, vcc_lo, s0, v15
	s_wait_alu 0xfffd
	v_add_co_ci_u32_e64 v20, null, s1, v16, vcc_lo
	s_and_saveexec_b32 s0, s26
	s_cbranch_execz .LBB118_33
; %bb.29:                               ;   in Loop: Header=BB118_7 Depth=1
	v_mul_f64_e32 v[1:2], s[14:15], v[27:28]
	v_mul_f64_e32 v[3:4], s[12:13], v[27:28]
	v_lshlrev_b64_e32 v[17:18], 4, v[5:6]
	s_and_not1_b32 vcc_lo, exec_lo, s33
	s_mov_b32 s1, -1
	s_delay_alu instid0(VALU_DEP_3) | instskip(NEXT) | instid1(VALU_DEP_3)
	v_fma_f64 v[1:2], s[12:13], v[25:26], -v[1:2]
	v_fma_f64 v[3:4], s[14:15], v[25:26], v[3:4]
	s_wait_alu 0xfffe
	s_cbranch_vccnz .LBB118_31
; %bb.30:                               ;   in Loop: Header=BB118_7 Depth=1
	v_add_co_u32 v29, vcc_lo, v19, v17
	s_wait_alu 0xfffd
	v_add_co_ci_u32_e64 v30, null, v20, v18, vcc_lo
	s_mov_b32 s1, 0
	global_load_b128 v[25:28], v[29:30], off
	s_wait_loadcnt 0x0
	v_mul_f64_e32 v[31:32], s[10:11], v[27:28]
	v_mul_f64_e32 v[27:28], s[8:9], v[27:28]
	s_delay_alu instid0(VALU_DEP_2) | instskip(NEXT) | instid1(VALU_DEP_2)
	v_fma_f64 v[31:32], s[8:9], v[25:26], -v[31:32]
	v_fma_f64 v[27:28], s[10:11], v[25:26], v[27:28]
	s_delay_alu instid0(VALU_DEP_2) | instskip(NEXT) | instid1(VALU_DEP_2)
	v_add_f64_e32 v[25:26], v[1:2], v[31:32]
	v_add_f64_e32 v[27:28], v[3:4], v[27:28]
	global_store_b128 v[29:30], v[25:28], off
.LBB118_31:                             ;   in Loop: Header=BB118_7 Depth=1
	s_wait_alu 0xfffe
	s_and_not1_b32 vcc_lo, exec_lo, s1
	s_wait_alu 0xfffe
	s_cbranch_vccnz .LBB118_33
; %bb.32:                               ;   in Loop: Header=BB118_7 Depth=1
	v_add_co_u32 v17, vcc_lo, v19, v17
	s_wait_alu 0xfffd
	v_add_co_ci_u32_e64 v18, null, v20, v18, vcc_lo
	global_store_b128 v[17:18], v[1:4], off
.LBB118_33:                             ;   in Loop: Header=BB118_7 Depth=1
	s_wait_alu 0xfffe
	s_or_b32 exec_lo, exec_lo, s0
	s_and_saveexec_b32 s0, s3
	s_cbranch_execz .LBB118_6
; %bb.34:                               ;   in Loop: Header=BB118_7 Depth=1
	v_mul_f64_e32 v[1:2], s[14:15], v[21:22]
	v_mul_f64_e32 v[3:4], s[12:13], v[21:22]
	v_lshlrev_b64_e32 v[17:18], 4, v[7:8]
	s_and_not1_b32 vcc_lo, exec_lo, s33
	s_mov_b32 s1, -1
	s_delay_alu instid0(VALU_DEP_3) | instskip(NEXT) | instid1(VALU_DEP_3)
	v_fma_f64 v[1:2], s[12:13], v[23:24], -v[1:2]
	v_fma_f64 v[3:4], s[14:15], v[23:24], v[3:4]
	s_wait_alu 0xfffe
	s_cbranch_vccnz .LBB118_36
; %bb.35:                               ;   in Loop: Header=BB118_7 Depth=1
	v_add_co_u32 v25, vcc_lo, v19, v17
	s_wait_alu 0xfffd
	v_add_co_ci_u32_e64 v26, null, v20, v18, vcc_lo
	s_mov_b32 s1, 0
	global_load_b128 v[21:24], v[25:26], off
	s_wait_loadcnt 0x0
	v_mul_f64_e32 v[27:28], s[10:11], v[23:24]
	v_mul_f64_e32 v[23:24], s[8:9], v[23:24]
	s_delay_alu instid0(VALU_DEP_2) | instskip(NEXT) | instid1(VALU_DEP_2)
	v_fma_f64 v[27:28], s[8:9], v[21:22], -v[27:28]
	v_fma_f64 v[23:24], s[10:11], v[21:22], v[23:24]
	s_delay_alu instid0(VALU_DEP_2) | instskip(NEXT) | instid1(VALU_DEP_2)
	v_add_f64_e32 v[21:22], v[1:2], v[27:28]
	v_add_f64_e32 v[23:24], v[3:4], v[23:24]
	global_store_b128 v[25:26], v[21:24], off
.LBB118_36:                             ;   in Loop: Header=BB118_7 Depth=1
	s_wait_alu 0xfffe
	s_and_not1_b32 vcc_lo, exec_lo, s1
	s_wait_alu 0xfffe
	s_cbranch_vccnz .LBB118_6
; %bb.37:                               ;   in Loop: Header=BB118_7 Depth=1
	v_add_co_u32 v17, vcc_lo, v19, v17
	s_wait_alu 0xfffd
	v_add_co_ci_u32_e64 v18, null, v20, v18, vcc_lo
	global_store_b128 v[17:18], v[1:4], off
	s_branch .LBB118_6
.LBB118_38:
.LBB118_39:
	s_endpgm
	.section	.rodata,"a",@progbits
	.p2align	6, 0x0
	.amdhsa_kernel _ZL29rocblas_internal_gemmt_kernelIiLi16ELi32ELi8ELc78ELc84ELc76ELb0ELb0E19rocblas_complex_numIdEPKS1_S3_PS1_EviT_T9_T10_S5_lS7_S5_lS6_T11_S5_li
		.amdhsa_group_segment_fixed_size 8192
		.amdhsa_private_segment_fixed_size 0
		.amdhsa_kernarg_size 100
		.amdhsa_user_sgpr_count 2
		.amdhsa_user_sgpr_dispatch_ptr 0
		.amdhsa_user_sgpr_queue_ptr 0
		.amdhsa_user_sgpr_kernarg_segment_ptr 1
		.amdhsa_user_sgpr_dispatch_id 0
		.amdhsa_user_sgpr_private_segment_size 0
		.amdhsa_wavefront_size32 1
		.amdhsa_uses_dynamic_stack 0
		.amdhsa_enable_private_segment 0
		.amdhsa_system_sgpr_workgroup_id_x 1
		.amdhsa_system_sgpr_workgroup_id_y 1
		.amdhsa_system_sgpr_workgroup_id_z 1
		.amdhsa_system_sgpr_workgroup_info 0
		.amdhsa_system_vgpr_workitem_id 1
		.amdhsa_next_free_vgpr 65
		.amdhsa_next_free_sgpr 41
		.amdhsa_reserve_vcc 1
		.amdhsa_float_round_mode_32 0
		.amdhsa_float_round_mode_16_64 0
		.amdhsa_float_denorm_mode_32 3
		.amdhsa_float_denorm_mode_16_64 3
		.amdhsa_fp16_overflow 0
		.amdhsa_workgroup_processor_mode 1
		.amdhsa_memory_ordered 1
		.amdhsa_forward_progress 1
		.amdhsa_inst_pref_size 30
		.amdhsa_round_robin_scheduling 0
		.amdhsa_exception_fp_ieee_invalid_op 0
		.amdhsa_exception_fp_denorm_src 0
		.amdhsa_exception_fp_ieee_div_zero 0
		.amdhsa_exception_fp_ieee_overflow 0
		.amdhsa_exception_fp_ieee_underflow 0
		.amdhsa_exception_fp_ieee_inexact 0
		.amdhsa_exception_int_div_zero 0
	.end_amdhsa_kernel
	.section	.text._ZL29rocblas_internal_gemmt_kernelIiLi16ELi32ELi8ELc78ELc84ELc76ELb0ELb0E19rocblas_complex_numIdEPKS1_S3_PS1_EviT_T9_T10_S5_lS7_S5_lS6_T11_S5_li,"axG",@progbits,_ZL29rocblas_internal_gemmt_kernelIiLi16ELi32ELi8ELc78ELc84ELc76ELb0ELb0E19rocblas_complex_numIdEPKS1_S3_PS1_EviT_T9_T10_S5_lS7_S5_lS6_T11_S5_li,comdat
.Lfunc_end118:
	.size	_ZL29rocblas_internal_gemmt_kernelIiLi16ELi32ELi8ELc78ELc84ELc76ELb0ELb0E19rocblas_complex_numIdEPKS1_S3_PS1_EviT_T9_T10_S5_lS7_S5_lS6_T11_S5_li, .Lfunc_end118-_ZL29rocblas_internal_gemmt_kernelIiLi16ELi32ELi8ELc78ELc84ELc76ELb0ELb0E19rocblas_complex_numIdEPKS1_S3_PS1_EviT_T9_T10_S5_lS7_S5_lS6_T11_S5_li
                                        ; -- End function
	.set _ZL29rocblas_internal_gemmt_kernelIiLi16ELi32ELi8ELc78ELc84ELc76ELb0ELb0E19rocblas_complex_numIdEPKS1_S3_PS1_EviT_T9_T10_S5_lS7_S5_lS6_T11_S5_li.num_vgpr, 65
	.set _ZL29rocblas_internal_gemmt_kernelIiLi16ELi32ELi8ELc78ELc84ELc76ELb0ELb0E19rocblas_complex_numIdEPKS1_S3_PS1_EviT_T9_T10_S5_lS7_S5_lS6_T11_S5_li.num_agpr, 0
	.set _ZL29rocblas_internal_gemmt_kernelIiLi16ELi32ELi8ELc78ELc84ELc76ELb0ELb0E19rocblas_complex_numIdEPKS1_S3_PS1_EviT_T9_T10_S5_lS7_S5_lS6_T11_S5_li.numbered_sgpr, 41
	.set _ZL29rocblas_internal_gemmt_kernelIiLi16ELi32ELi8ELc78ELc84ELc76ELb0ELb0E19rocblas_complex_numIdEPKS1_S3_PS1_EviT_T9_T10_S5_lS7_S5_lS6_T11_S5_li.num_named_barrier, 0
	.set _ZL29rocblas_internal_gemmt_kernelIiLi16ELi32ELi8ELc78ELc84ELc76ELb0ELb0E19rocblas_complex_numIdEPKS1_S3_PS1_EviT_T9_T10_S5_lS7_S5_lS6_T11_S5_li.private_seg_size, 0
	.set _ZL29rocblas_internal_gemmt_kernelIiLi16ELi32ELi8ELc78ELc84ELc76ELb0ELb0E19rocblas_complex_numIdEPKS1_S3_PS1_EviT_T9_T10_S5_lS7_S5_lS6_T11_S5_li.uses_vcc, 1
	.set _ZL29rocblas_internal_gemmt_kernelIiLi16ELi32ELi8ELc78ELc84ELc76ELb0ELb0E19rocblas_complex_numIdEPKS1_S3_PS1_EviT_T9_T10_S5_lS7_S5_lS6_T11_S5_li.uses_flat_scratch, 0
	.set _ZL29rocblas_internal_gemmt_kernelIiLi16ELi32ELi8ELc78ELc84ELc76ELb0ELb0E19rocblas_complex_numIdEPKS1_S3_PS1_EviT_T9_T10_S5_lS7_S5_lS6_T11_S5_li.has_dyn_sized_stack, 0
	.set _ZL29rocblas_internal_gemmt_kernelIiLi16ELi32ELi8ELc78ELc84ELc76ELb0ELb0E19rocblas_complex_numIdEPKS1_S3_PS1_EviT_T9_T10_S5_lS7_S5_lS6_T11_S5_li.has_recursion, 0
	.set _ZL29rocblas_internal_gemmt_kernelIiLi16ELi32ELi8ELc78ELc84ELc76ELb0ELb0E19rocblas_complex_numIdEPKS1_S3_PS1_EviT_T9_T10_S5_lS7_S5_lS6_T11_S5_li.has_indirect_call, 0
	.section	.AMDGPU.csdata,"",@progbits
; Kernel info:
; codeLenInByte = 3728
; TotalNumSgprs: 43
; NumVgprs: 65
; ScratchSize: 0
; MemoryBound: 0
; FloatMode: 240
; IeeeMode: 1
; LDSByteSize: 8192 bytes/workgroup (compile time only)
; SGPRBlocks: 0
; VGPRBlocks: 8
; NumSGPRsForWavesPerEU: 43
; NumVGPRsForWavesPerEU: 65
; Occupancy: 16
; WaveLimiterHint : 0
; COMPUTE_PGM_RSRC2:SCRATCH_EN: 0
; COMPUTE_PGM_RSRC2:USER_SGPR: 2
; COMPUTE_PGM_RSRC2:TRAP_HANDLER: 0
; COMPUTE_PGM_RSRC2:TGID_X_EN: 1
; COMPUTE_PGM_RSRC2:TGID_Y_EN: 1
; COMPUTE_PGM_RSRC2:TGID_Z_EN: 1
; COMPUTE_PGM_RSRC2:TIDIG_COMP_CNT: 1
	.section	.text._ZL29rocblas_internal_gemmt_kernelIiLi16ELi32ELi8ELc78ELc67ELc76ELb0ELb1E19rocblas_complex_numIdEPKS1_S3_PS1_EviT_T9_T10_S5_lS7_S5_lS6_T11_S5_li,"axG",@progbits,_ZL29rocblas_internal_gemmt_kernelIiLi16ELi32ELi8ELc78ELc67ELc76ELb0ELb1E19rocblas_complex_numIdEPKS1_S3_PS1_EviT_T9_T10_S5_lS7_S5_lS6_T11_S5_li,comdat
	.globl	_ZL29rocblas_internal_gemmt_kernelIiLi16ELi32ELi8ELc78ELc67ELc76ELb0ELb1E19rocblas_complex_numIdEPKS1_S3_PS1_EviT_T9_T10_S5_lS7_S5_lS6_T11_S5_li ; -- Begin function _ZL29rocblas_internal_gemmt_kernelIiLi16ELi32ELi8ELc78ELc67ELc76ELb0ELb1E19rocblas_complex_numIdEPKS1_S3_PS1_EviT_T9_T10_S5_lS7_S5_lS6_T11_S5_li
	.p2align	8
	.type	_ZL29rocblas_internal_gemmt_kernelIiLi16ELi32ELi8ELc78ELc67ELc76ELb0ELb1E19rocblas_complex_numIdEPKS1_S3_PS1_EviT_T9_T10_S5_lS7_S5_lS6_T11_S5_li,@function
_ZL29rocblas_internal_gemmt_kernelIiLi16ELi32ELi8ELc78ELc67ELc76ELb0ELb1E19rocblas_complex_numIdEPKS1_S3_PS1_EviT_T9_T10_S5_lS7_S5_lS6_T11_S5_li: ; @_ZL29rocblas_internal_gemmt_kernelIiLi16ELi32ELi8ELc78ELc67ELc76ELb0ELb1E19rocblas_complex_numIdEPKS1_S3_PS1_EviT_T9_T10_S5_lS7_S5_lS6_T11_S5_li
; %bb.0:
	s_load_b128 s[16:19], s[0:1], 0x38
	s_wait_kmcnt 0x0
	s_load_b128 s[8:11], s[18:19], 0x0
	s_clause 0x1
	s_load_b128 s[4:7], s[0:1], 0x8
	s_load_b64 s[18:19], s[0:1], 0x0
	s_wait_kmcnt 0x0
	s_load_b128 s[12:15], s[4:5], 0x0
	v_cmp_eq_f64_e64 s2, s[8:9], 1.0
	v_cmp_eq_f64_e64 s3, s[10:11], 0
	s_and_b32 s2, s2, s3
	s_delay_alu instid0(SALU_CYCLE_1)
	s_and_not1_b32 vcc_lo, exec_lo, s2
	s_mov_b32 s2, -1
	s_cbranch_vccnz .LBB119_3
; %bb.1:
	s_cmp_lg_u32 s19, 0
	s_cbranch_scc0 .LBB119_36
; %bb.2:
	s_wait_kmcnt 0x0
	v_cmp_neq_f64_e64 s2, s[12:13], 0
	v_cmp_neq_f64_e64 s4, s[14:15], 0
	s_or_b32 s2, s2, s4
.LBB119_3:
	s_delay_alu instid0(SALU_CYCLE_1)
	s_and_b32 vcc_lo, exec_lo, s2
	s_cbranch_vccz .LBB119_37
; %bb.4:
	s_load_b32 s27, s[0:1], 0x60
	s_lshr_b32 s28, ttmp7, 16
	s_wait_kmcnt 0x0
	s_cmp_ge_u32 s28, s27
	s_cbranch_scc1 .LBB119_37
; %bb.5:
	v_cmp_neq_f64_e64 s4, s[12:13], 0
	v_cmp_neq_f64_e64 s5, s[14:15], 0
	;; [unrolled: 1-line block ×3, first 2 shown]
	s_clause 0x4
	s_load_b32 s38, s[0:1], 0x18
	s_load_b128 s[20:23], s[0:1], 0x20
	s_load_b32 s34, s[0:1], 0x30
	s_load_b96 s[24:26], s[0:1], 0x48
	s_load_b64 s[30:31], s[0:1], 0x58
	v_and_b32_e32 v1, 0x3ff, v0
	v_bfe_u32 v2, v0, 10, 10
	v_and_b32_e32 v37, 7, v0
	s_lshl_b32 s1, ttmp7, 5
	s_lshl_b32 s0, ttmp9, 5
	s_and_b32 s2, s1, 0x1fffe0
	v_lshl_add_u32 v0, v2, 4, v1
	v_lshlrev_b32_e32 v3, 4, v37
	v_lshlrev_b32_e32 v38, 4, v1
	v_add_nc_u32_e32 v5, s0, v1
	v_add_nc_u32_e32 v1, s2, v2
	v_lshl_add_u32 v39, v2, 7, 0x1000
	v_and_b32_e32 v2, 31, v0
	v_lshrrev_b32_e32 v4, 3, v0
	v_lshrrev_b32_e32 v40, 5, v0
	v_cmp_le_i32_e32 vcc_lo, v1, v5
	v_cmp_gt_i32_e64 s1, s18, v5
	v_add_nc_u32_e32 v7, 16, v5
	v_or_b32_e32 v0, s0, v2
	v_lshlrev_b32_e32 v2, 4, v2
	v_lshl_or_b32 v3, v4, 7, v3
	s_wait_kmcnt 0x0
	s_ashr_i32 s39, s38, 31
	s_ashr_i32 s35, s34, 31
	v_mad_co_i64_i32 v[9:10], null, v40, s38, 0
	v_add_nc_u32_e32 v13, s2, v4
	v_lshl_or_b32 v41, v40, 9, v2
	v_add_nc_u32_e32 v42, 0x1000, v3
	v_mad_co_i64_i32 v[2:3], null, v1, s26, 0
	v_add_nc_u32_e32 v4, 16, v1
	v_cmp_gt_i32_e64 s2, s18, v0
	v_lshlrev_b64_e32 v[9:10], 4, v[9:10]
	v_mad_co_i64_i32 v[11:12], null, s34, v37, 0
	s_or_b32 s37, s4, s5
	s_cmp_gt_i32 s19, 0
	v_cmp_gt_i32_e64 s0, s18, v13
	s_cselect_b32 s40, -1, 0
	s_xor_b32 s3, s3, -1
	s_and_b32 s36, vcc_lo, s1
	v_cmp_le_i32_e32 vcc_lo, v1, v7
	v_ashrrev_i32_e32 v1, 31, v0
	s_wait_alu 0xfffe
	s_or_b32 s33, s33, s3
	v_cmp_gt_i32_e64 s3, s18, v7
	v_cmp_le_i32_e64 s4, v4, v7
	v_mad_co_i64_i32 v[15:16], null, v4, s26, 0
	v_lshlrev_b64_e32 v[0:1], 4, v[0:1]
	s_delay_alu instid0(VALU_DEP_4)
	s_and_b32 s18, vcc_lo, s3
	v_cmp_le_i32_e32 vcc_lo, v4, v5
	v_ashrrev_i32_e32 v6, 31, v5
	v_ashrrev_i32_e32 v8, 31, v7
	s_mov_b32 s29, 0
	v_lshlrev_b64_e32 v[15:16], 4, v[15:16]
	s_and_b32 s1, vcc_lo, s1
	v_add_co_u32 v4, vcc_lo, v9, v0
	s_delay_alu instid0(VALU_DEP_1) | instskip(SKIP_2) | instid1(VALU_DEP_4)
	v_add_co_ci_u32_e64 v10, null, v10, v1, vcc_lo
	v_lshlrev_b64_e32 v[0:1], 4, v[11:12]
	v_lshlrev_b32_e32 v11, 4, v13
	v_add_co_u32 v9, vcc_lo, s6, v4
	s_wait_alu 0xfffd
	v_add_co_ci_u32_e64 v10, null, s7, v10, vcc_lo
	s_delay_alu instid0(VALU_DEP_3) | instskip(SKIP_3) | instid1(VALU_DEP_3)
	v_add_co_u32 v0, vcc_lo, v0, v11
	s_wait_alu 0xfffd
	v_add_co_ci_u32_e64 v1, null, 0, v1, vcc_lo
	v_lshlrev_b64_e32 v[13:14], 4, v[2:3]
	v_add_co_u32 v0, vcc_lo, s22, v0
	s_wait_alu 0xfffd
	s_delay_alu instid0(VALU_DEP_3)
	v_add_co_ci_u32_e64 v1, null, s23, v1, vcc_lo
	s_and_b32 s26, s4, s3
	v_add_co_u32 v11, vcc_lo, v0, 8
	s_wait_alu 0xfffd
	v_add_co_ci_u32_e64 v12, null, 0, v1, vcc_lo
	v_mov_b32_e32 v0, 0
	s_lshl_b64 s[4:5], s[20:21], 4
	s_lshl_b64 s[6:7], s[38:39], 7
	s_and_b32 s22, s37, s40
	s_lshl_b64 s[16:17], s[16:17], 4
	s_lshl_b64 s[20:21], s[34:35], 7
	s_xor_b32 s23, s2, -1
	s_branch .LBB119_7
.LBB119_6:                              ;   in Loop: Header=BB119_7 Depth=1
	s_wait_alu 0xfffe
	s_or_b32 exec_lo, exec_lo, s2
	s_add_co_i32 s28, s28, 0x10000
	s_wait_alu 0xfffe
	s_cmp_lt_u32 s28, s27
	s_cbranch_scc0 .LBB119_37
.LBB119_7:                              ; =>This Loop Header: Depth=1
                                        ;     Child Loop BB119_10 Depth 2
	v_mov_b32_e32 v33, 0
	v_mov_b32_e32 v29, 0
	v_mov_b32_e32 v25, 0
	v_dual_mov_b32 v23, 0 :: v_dual_mov_b32 v34, 0
	v_dual_mov_b32 v35, 0 :: v_dual_mov_b32 v30, 0
	;; [unrolled: 1-line block ×5, first 2 shown]
	v_mov_b32_e32 v32, 0
	v_mov_b32_e32 v28, 0
	;; [unrolled: 1-line block ×3, first 2 shown]
	s_wait_alu 0xfffe
	s_and_not1_b32 vcc_lo, exec_lo, s22
	s_wait_alu 0xfffe
	s_cbranch_vccnz .LBB119_16
; %bb.8:                                ;   in Loop: Header=BB119_7 Depth=1
	v_mad_co_u64_u32 v[17:18], null, s4, s28, v[9:10]
	v_mad_co_u64_u32 v[19:20], null, s16, s28, v[11:12]
	v_mov_b32_e32 v21, 0
	v_mov_b32_e32 v23, 0
	;; [unrolled: 1-line block ×4, first 2 shown]
	v_dual_mov_b32 v1, v18 :: v_dual_mov_b32 v22, 0
	v_mov_b32_e32 v2, v20
	v_dual_mov_b32 v24, 0 :: v_dual_mov_b32 v27, 0
	v_dual_mov_b32 v26, 0 :: v_dual_mov_b32 v31, 0
	s_delay_alu instid0(VALU_DEP_3)
	v_mad_co_u64_u32 v[3:4], null, s5, s28, v[1:2]
	v_dual_mov_b32 v30, 0 :: v_dual_mov_b32 v35, 0
	v_dual_mov_b32 v33, 0 :: v_dual_mov_b32 v28, 0
	v_mov_b32_e32 v32, 0
	v_mov_b32_e32 v36, 0
	v_mad_co_u64_u32 v[1:2], null, s17, s28, v[2:3]
	v_mov_b32_e32 v34, 0
	v_mov_b32_e32 v18, v3
	s_mov_b32 s2, 0
	s_delay_alu instid0(VALU_DEP_3)
	v_mov_b32_e32 v20, v1
	s_branch .LBB119_10
.LBB119_9:                              ;   in Loop: Header=BB119_10 Depth=2
	s_wait_alu 0xfffe
	s_or_b32 exec_lo, exec_lo, s3
	ds_store_b128 v42, v[1:4]
	s_wait_dscnt 0x0
	s_barrier_signal -1
	s_barrier_wait -1
	global_inv scope:SCOPE_SE
	ds_load_b128 v[1:4], v39
	ds_load_b128 v[43:46], v38
	ds_load_b128 v[47:50], v38 offset:256
	ds_load_b128 v[51:54], v39 offset:2048
	;; [unrolled: 1-line block ×10, first 2 shown]
	v_add_co_u32 v17, vcc_lo, v17, s6
	s_wait_alu 0xfffd
	v_add_co_ci_u32_e64 v18, null, s7, v18, vcc_lo
	v_add_co_u32 v19, vcc_lo, v19, s20
	s_wait_alu 0xfffd
	v_add_co_ci_u32_e64 v20, null, s21, v20, vcc_lo
	s_add_co_i32 s2, s2, 8
	s_wait_alu 0xfffe
	s_cmp_lt_i32 s2, s19
	s_wait_dscnt 0xa
	v_mul_f64_e32 v[87:88], v[3:4], v[45:46]
	v_mul_f64_e32 v[89:90], v[1:2], v[45:46]
	s_wait_dscnt 0x9
	v_mul_f64_e32 v[91:92], v[3:4], v[49:50]
	v_mul_f64_e32 v[93:94], v[1:2], v[49:50]
	;; [unrolled: 3-line block ×3, first 2 shown]
	v_mul_f64_e32 v[97:98], v[53:54], v[49:50]
	v_mul_f64_e32 v[49:50], v[51:52], v[49:50]
	s_wait_dscnt 0x5
	v_mul_f64_e32 v[99:100], v[57:58], v[65:66]
	v_mul_f64_e32 v[101:102], v[55:56], v[65:66]
	s_wait_dscnt 0x4
	v_mul_f64_e32 v[103:104], v[57:58], v[69:70]
	v_mul_f64_e32 v[105:106], v[55:56], v[69:70]
	;; [unrolled: 1-line block ×6, first 2 shown]
	s_wait_dscnt 0x2
	v_mul_f64_e32 v[115:116], v[73:74], v[77:78]
	v_mul_f64_e32 v[117:118], v[71:72], v[77:78]
	s_wait_dscnt 0x1
	v_mul_f64_e32 v[119:120], v[73:74], v[81:82]
	v_mul_f64_e32 v[121:122], v[71:72], v[81:82]
	;; [unrolled: 3-line block ×3, first 2 shown]
	v_mul_f64_e32 v[125:126], v[85:86], v[81:82]
	v_mul_f64_e32 v[81:82], v[83:84], v[81:82]
	v_fma_f64 v[87:88], v[1:2], v[43:44], -v[87:88]
	v_fma_f64 v[89:90], v[3:4], v[43:44], v[89:90]
	v_fma_f64 v[91:92], v[1:2], v[47:48], -v[91:92]
	v_fma_f64 v[93:94], v[3:4], v[47:48], v[93:94]
	;; [unrolled: 2-line block ×8, first 2 shown]
	ds_load_b128 v[1:4], v39 offset:48
	ds_load_b128 v[43:46], v39 offset:2096
	;; [unrolled: 1-line block ×4, first 2 shown]
	v_fma_f64 v[115:116], v[71:72], v[75:76], -v[115:116]
	v_fma_f64 v[117:118], v[73:74], v[75:76], v[117:118]
	v_fma_f64 v[71:72], v[71:72], v[79:80], -v[119:120]
	v_fma_f64 v[73:74], v[73:74], v[79:80], v[121:122]
	;; [unrolled: 2-line block ×4, first 2 shown]
	s_wait_dscnt 0x1
	v_mul_f64_e32 v[105:106], v[1:2], v[49:50]
	s_wait_dscnt 0x0
	v_mul_f64_e32 v[107:108], v[3:4], v[53:54]
	v_mul_f64_e32 v[109:110], v[1:2], v[53:54]
	v_add_f64_e32 v[65:66], v[33:34], v[87:88]
	v_add_f64_e32 v[67:68], v[89:90], v[35:36]
	;; [unrolled: 1-line block ×8, first 2 shown]
	v_mul_f64_e32 v[97:98], v[3:4], v[49:50]
	v_mul_f64_e32 v[111:112], v[45:46], v[49:50]
	;; [unrolled: 1-line block ×5, first 2 shown]
	ds_load_b128 v[21:24], v39 offset:64
	ds_load_b128 v[25:28], v38 offset:2048
	;; [unrolled: 1-line block ×4, first 2 shown]
	s_wait_dscnt 0x0
	v_mul_f64_e32 v[121:122], v[35:36], v[27:28]
	v_mul_f64_e32 v[123:124], v[35:36], v[31:32]
	v_fma_f64 v[105:106], v[3:4], v[47:48], v[105:106]
	v_fma_f64 v[107:108], v[1:2], v[51:52], -v[107:108]
	v_fma_f64 v[109:110], v[3:4], v[51:52], v[109:110]
	v_add_f64_e32 v[81:82], v[65:66], v[99:100]
	v_add_f64_e32 v[83:84], v[101:102], v[67:68]
	;; [unrolled: 1-line block ×8, first 2 shown]
	v_mul_f64_e32 v[95:96], v[23:24], v[27:28]
	v_mul_f64_e32 v[99:100], v[21:22], v[27:28]
	;; [unrolled: 1-line block ×6, first 2 shown]
	v_fma_f64 v[97:98], v[1:2], v[47:48], -v[97:98]
	v_fma_f64 v[111:112], v[43:44], v[47:48], -v[111:112]
	v_fma_f64 v[125:126], v[45:46], v[47:48], v[49:50]
	v_fma_f64 v[113:114], v[43:44], v[51:52], -v[113:114]
	v_fma_f64 v[51:52], v[45:46], v[51:52], v[127:128]
	ds_load_b128 v[53:56], v39 offset:80
	ds_load_b128 v[57:60], v39 offset:2128
	ds_load_b128 v[61:64], v38 offset:2560
	ds_load_b128 v[65:68], v38 offset:2816
	v_fma_f64 v[121:122], v[33:34], v[25:26], -v[121:122]
	v_fma_f64 v[123:124], v[33:34], v[29:30], -v[123:124]
	v_add_f64_e32 v[81:82], v[81:82], v[115:116]
	v_add_f64_e32 v[83:84], v[117:118], v[83:84]
	;; [unrolled: 1-line block ×8, first 2 shown]
	s_wait_dscnt 0x1
	v_mul_f64_e32 v[87:88], v[55:56], v[63:64]
	v_mul_f64_e32 v[89:90], v[53:54], v[63:64]
	s_wait_dscnt 0x0
	v_mul_f64_e32 v[91:92], v[55:56], v[67:68]
	v_mul_f64_e32 v[93:94], v[53:54], v[67:68]
	;; [unrolled: 1-line block ×6, first 2 shown]
	v_fma_f64 v[95:96], v[21:22], v[25:26], -v[95:96]
	v_fma_f64 v[99:100], v[23:24], v[25:26], v[99:100]
	v_fma_f64 v[101:102], v[21:22], v[29:30], -v[101:102]
	v_fma_f64 v[103:104], v[23:24], v[29:30], v[103:104]
	v_fma_f64 v[127:128], v[35:36], v[25:26], v[27:28]
	;; [unrolled: 1-line block ×3, first 2 shown]
	ds_load_b128 v[1:4], v39 offset:96
	ds_load_b128 v[43:46], v38 offset:3072
	;; [unrolled: 1-line block ×8, first 2 shown]
	s_wait_loadcnt_dscnt 0x0
	s_barrier_signal -1
	s_barrier_wait -1
	global_inv scope:SCOPE_SE
	v_add_f64_e32 v[81:82], v[81:82], v[97:98]
	v_add_f64_e32 v[83:84], v[105:106], v[83:84]
	;; [unrolled: 1-line block ×8, first 2 shown]
	v_mul_f64_e32 v[79:80], v[3:4], v[45:46]
	v_mul_f64_e32 v[105:106], v[1:2], v[45:46]
	;; [unrolled: 1-line block ×8, first 2 shown]
	v_fma_f64 v[87:88], v[53:54], v[61:62], -v[87:88]
	v_fma_f64 v[89:90], v[55:56], v[61:62], v[89:90]
	v_fma_f64 v[53:54], v[53:54], v[65:66], -v[91:92]
	v_fma_f64 v[55:56], v[55:56], v[65:66], v[93:94]
	;; [unrolled: 2-line block ×4, first 2 shown]
	v_mul_f64_e32 v[93:94], v[23:24], v[35:36]
	v_add_f64_e32 v[63:64], v[81:82], v[95:96]
	v_add_f64_e32 v[65:66], v[99:100], v[83:84]
	;; [unrolled: 1-line block ×8, first 2 shown]
	v_mul_f64_e32 v[83:84], v[23:24], v[31:32]
	v_mul_f64_e32 v[85:86], v[21:22], v[31:32]
	;; [unrolled: 1-line block ×7, first 2 shown]
	v_fma_f64 v[79:80], v[1:2], v[43:44], -v[79:80]
	v_fma_f64 v[101:102], v[3:4], v[43:44], v[105:106]
	v_fma_f64 v[1:2], v[1:2], v[47:48], -v[107:108]
	v_fma_f64 v[3:4], v[3:4], v[47:48], v[109:110]
	;; [unrolled: 2-line block ×4, first 2 shown]
	v_add_f64_e32 v[49:50], v[63:64], v[87:88]
	v_add_f64_e32 v[63:64], v[89:90], v[65:66]
	;; [unrolled: 1-line block ×8, first 2 shown]
	v_fma_f64 v[59:60], v[21:22], v[29:30], -v[83:84]
	v_fma_f64 v[67:68], v[23:24], v[29:30], v[85:86]
	v_fma_f64 v[21:22], v[21:22], v[33:34], -v[93:94]
	v_fma_f64 v[23:24], v[23:24], v[33:34], v[95:96]
	;; [unrolled: 2-line block ×4, first 2 shown]
	v_add_f64_e32 v[25:26], v[49:50], v[79:80]
	v_add_f64_e32 v[27:28], v[101:102], v[63:64]
	;; [unrolled: 1-line block ×16, first 2 shown]
	s_cbranch_scc0 .LBB119_16
.LBB119_10:                             ;   Parent Loop BB119_7 Depth=1
                                        ; =>  This Inner Loop Header: Depth=2
	s_wait_alu 0xfffe
	v_add_nc_u32_e32 v1, s2, v40
	s_delay_alu instid0(VALU_DEP_1)
	v_cmp_le_i32_e32 vcc_lo, s19, v1
	s_or_b32 s3, s23, vcc_lo
	s_wait_alu 0xfffe
	s_and_saveexec_b32 s34, s3
	s_wait_alu 0xfffe
	s_xor_b32 s3, exec_lo, s34
; %bb.11:                               ;   in Loop: Header=BB119_10 Depth=2
	v_dual_mov_b32 v1, v0 :: v_dual_mov_b32 v2, v0
	v_mov_b32_e32 v3, v0
	ds_store_b128 v41, v[0:3]
; %bb.12:                               ;   in Loop: Header=BB119_10 Depth=2
	s_wait_alu 0xfffe
	s_and_not1_saveexec_b32 s3, s3
	s_cbranch_execz .LBB119_14
; %bb.13:                               ;   in Loop: Header=BB119_10 Depth=2
	global_load_b128 v[1:4], v[17:18], off
	s_wait_loadcnt 0x0
	ds_store_2addr_b64 v41, v[1:2], v[3:4] offset1:1
.LBB119_14:                             ;   in Loop: Header=BB119_10 Depth=2
	s_wait_alu 0xfffe
	s_or_b32 exec_lo, exec_lo, s3
	v_add_nc_u32_e32 v1, s2, v37
	v_mov_b32_e32 v3, 0
	v_mov_b32_e32 v4, 0
	s_delay_alu instid0(VALU_DEP_3)
	v_cmp_gt_i32_e32 vcc_lo, s19, v1
	v_mov_b32_e32 v1, 0
	v_mov_b32_e32 v2, 0
	s_and_b32 s34, vcc_lo, s0
	s_wait_alu 0xfffe
	s_and_saveexec_b32 s3, s34
	s_cbranch_execz .LBB119_9
; %bb.15:                               ;   in Loop: Header=BB119_10 Depth=2
	global_load_b128 v[1:4], v[19:20], off offset:-8
	s_wait_loadcnt 0x0
	v_xor_b32_e32 v4, 0x80000000, v4
	s_branch .LBB119_9
.LBB119_16:                             ;   in Loop: Header=BB119_7 Depth=1
	s_mul_u64 s[2:3], s[30:31], s[28:29]
	s_wait_alu 0xfffe
	s_lshl_b64 s[2:3], s[2:3], 4
	s_wait_alu 0xfffe
	s_add_nc_u64 s[2:3], s[24:25], s[2:3]
	s_wait_alu 0xfffe
	v_add_co_u32 v17, vcc_lo, s2, v13
	s_wait_alu 0xfffd
	v_add_co_ci_u32_e64 v18, null, s3, v14, vcc_lo
	s_and_saveexec_b32 s34, s36
	s_cbranch_execz .LBB119_21
; %bb.17:                               ;   in Loop: Header=BB119_7 Depth=1
	v_mul_f64_e32 v[1:2], s[14:15], v[35:36]
	v_mul_f64_e32 v[3:4], s[12:13], v[35:36]
	s_and_b32 vcc_lo, exec_lo, s33
	s_mov_b32 s35, -1
	s_delay_alu instid0(VALU_DEP_2) | instskip(NEXT) | instid1(VALU_DEP_2)
	v_fma_f64 v[1:2], s[12:13], v[33:34], -v[1:2]
	v_fma_f64 v[3:4], s[14:15], v[33:34], v[3:4]
	s_wait_alu 0xfffe
	s_cbranch_vccz .LBB119_19
; %bb.18:                               ;   in Loop: Header=BB119_7 Depth=1
	v_lshlrev_b64_e32 v[19:20], 4, v[5:6]
	s_mov_b32 s35, 0
	s_delay_alu instid0(VALU_DEP_1) | instskip(SKIP_1) | instid1(VALU_DEP_2)
	v_add_co_u32 v19, vcc_lo, v17, v19
	s_wait_alu 0xfffd
	v_add_co_ci_u32_e64 v20, null, v18, v20, vcc_lo
	global_load_b128 v[33:36], v[19:20], off
	s_wait_loadcnt 0x0
	v_mul_f64_e32 v[43:44], s[10:11], v[35:36]
	v_mul_f64_e32 v[35:36], s[8:9], v[35:36]
	s_delay_alu instid0(VALU_DEP_2) | instskip(NEXT) | instid1(VALU_DEP_2)
	v_fma_f64 v[43:44], s[8:9], v[33:34], -v[43:44]
	v_fma_f64 v[35:36], s[10:11], v[33:34], v[35:36]
	s_delay_alu instid0(VALU_DEP_2) | instskip(NEXT) | instid1(VALU_DEP_2)
	v_add_f64_e32 v[33:34], v[1:2], v[43:44]
	v_add_f64_e32 v[35:36], v[3:4], v[35:36]
	global_store_b128 v[19:20], v[33:36], off
.LBB119_19:                             ;   in Loop: Header=BB119_7 Depth=1
	s_wait_alu 0xfffe
	s_and_not1_b32 vcc_lo, exec_lo, s35
	s_wait_alu 0xfffe
	s_cbranch_vccnz .LBB119_21
; %bb.20:                               ;   in Loop: Header=BB119_7 Depth=1
	v_lshlrev_b64_e32 v[19:20], 4, v[5:6]
	s_delay_alu instid0(VALU_DEP_1) | instskip(SKIP_1) | instid1(VALU_DEP_2)
	v_add_co_u32 v19, vcc_lo, v17, v19
	s_wait_alu 0xfffd
	v_add_co_ci_u32_e64 v20, null, v18, v20, vcc_lo
	global_store_b128 v[19:20], v[1:4], off
.LBB119_21:                             ;   in Loop: Header=BB119_7 Depth=1
	s_wait_alu 0xfffe
	s_or_b32 exec_lo, exec_lo, s34
	s_and_saveexec_b32 s34, s18
	s_cbranch_execz .LBB119_26
; %bb.22:                               ;   in Loop: Header=BB119_7 Depth=1
	v_mul_f64_e32 v[1:2], s[14:15], v[31:32]
	v_mul_f64_e32 v[3:4], s[12:13], v[31:32]
	s_and_not1_b32 vcc_lo, exec_lo, s33
	s_mov_b32 s35, -1
	s_delay_alu instid0(VALU_DEP_2) | instskip(NEXT) | instid1(VALU_DEP_2)
	v_fma_f64 v[1:2], s[12:13], v[29:30], -v[1:2]
	v_fma_f64 v[3:4], s[14:15], v[29:30], v[3:4]
	s_wait_alu 0xfffe
	s_cbranch_vccnz .LBB119_24
; %bb.23:                               ;   in Loop: Header=BB119_7 Depth=1
	v_lshlrev_b64_e32 v[19:20], 4, v[7:8]
	s_mov_b32 s35, 0
	s_delay_alu instid0(VALU_DEP_1) | instskip(SKIP_1) | instid1(VALU_DEP_2)
	v_add_co_u32 v19, vcc_lo, v17, v19
	s_wait_alu 0xfffd
	v_add_co_ci_u32_e64 v20, null, v18, v20, vcc_lo
	global_load_b128 v[29:32], v[19:20], off
	s_wait_loadcnt 0x0
	v_mul_f64_e32 v[33:34], s[10:11], v[31:32]
	v_mul_f64_e32 v[31:32], s[8:9], v[31:32]
	s_delay_alu instid0(VALU_DEP_2) | instskip(NEXT) | instid1(VALU_DEP_2)
	v_fma_f64 v[33:34], s[8:9], v[29:30], -v[33:34]
	v_fma_f64 v[31:32], s[10:11], v[29:30], v[31:32]
	s_delay_alu instid0(VALU_DEP_2) | instskip(NEXT) | instid1(VALU_DEP_2)
	v_add_f64_e32 v[29:30], v[1:2], v[33:34]
	v_add_f64_e32 v[31:32], v[3:4], v[31:32]
	global_store_b128 v[19:20], v[29:32], off
.LBB119_24:                             ;   in Loop: Header=BB119_7 Depth=1
	s_wait_alu 0xfffe
	s_and_not1_b32 vcc_lo, exec_lo, s35
	s_wait_alu 0xfffe
	s_cbranch_vccnz .LBB119_26
; %bb.25:                               ;   in Loop: Header=BB119_7 Depth=1
	v_lshlrev_b64_e32 v[19:20], 4, v[7:8]
	s_delay_alu instid0(VALU_DEP_1) | instskip(SKIP_1) | instid1(VALU_DEP_2)
	v_add_co_u32 v17, vcc_lo, v17, v19
	s_wait_alu 0xfffd
	v_add_co_ci_u32_e64 v18, null, v18, v20, vcc_lo
	global_store_b128 v[17:18], v[1:4], off
.LBB119_26:                             ;   in Loop: Header=BB119_7 Depth=1
	s_wait_alu 0xfffe
	s_or_b32 exec_lo, exec_lo, s34
	v_add_co_u32 v19, vcc_lo, s2, v15
	s_wait_alu 0xfffd
	v_add_co_ci_u32_e64 v20, null, s3, v16, vcc_lo
	s_and_saveexec_b32 s2, s1
	s_cbranch_execz .LBB119_31
; %bb.27:                               ;   in Loop: Header=BB119_7 Depth=1
	v_mul_f64_e32 v[1:2], s[14:15], v[27:28]
	v_mul_f64_e32 v[3:4], s[12:13], v[27:28]
	v_lshlrev_b64_e32 v[17:18], 4, v[5:6]
	s_and_not1_b32 vcc_lo, exec_lo, s33
	s_mov_b32 s3, -1
	s_delay_alu instid0(VALU_DEP_3) | instskip(NEXT) | instid1(VALU_DEP_3)
	v_fma_f64 v[1:2], s[12:13], v[25:26], -v[1:2]
	v_fma_f64 v[3:4], s[14:15], v[25:26], v[3:4]
	s_wait_alu 0xfffe
	s_cbranch_vccnz .LBB119_29
; %bb.28:                               ;   in Loop: Header=BB119_7 Depth=1
	v_add_co_u32 v29, vcc_lo, v19, v17
	s_wait_alu 0xfffd
	v_add_co_ci_u32_e64 v30, null, v20, v18, vcc_lo
	s_mov_b32 s3, 0
	global_load_b128 v[25:28], v[29:30], off
	s_wait_loadcnt 0x0
	v_mul_f64_e32 v[31:32], s[10:11], v[27:28]
	v_mul_f64_e32 v[27:28], s[8:9], v[27:28]
	s_delay_alu instid0(VALU_DEP_2) | instskip(NEXT) | instid1(VALU_DEP_2)
	v_fma_f64 v[31:32], s[8:9], v[25:26], -v[31:32]
	v_fma_f64 v[27:28], s[10:11], v[25:26], v[27:28]
	s_delay_alu instid0(VALU_DEP_2) | instskip(NEXT) | instid1(VALU_DEP_2)
	v_add_f64_e32 v[25:26], v[1:2], v[31:32]
	v_add_f64_e32 v[27:28], v[3:4], v[27:28]
	global_store_b128 v[29:30], v[25:28], off
.LBB119_29:                             ;   in Loop: Header=BB119_7 Depth=1
	s_wait_alu 0xfffe
	s_and_not1_b32 vcc_lo, exec_lo, s3
	s_wait_alu 0xfffe
	s_cbranch_vccnz .LBB119_31
; %bb.30:                               ;   in Loop: Header=BB119_7 Depth=1
	v_add_co_u32 v17, vcc_lo, v19, v17
	s_wait_alu 0xfffd
	v_add_co_ci_u32_e64 v18, null, v20, v18, vcc_lo
	global_store_b128 v[17:18], v[1:4], off
.LBB119_31:                             ;   in Loop: Header=BB119_7 Depth=1
	s_wait_alu 0xfffe
	s_or_b32 exec_lo, exec_lo, s2
	s_and_saveexec_b32 s2, s26
	s_cbranch_execz .LBB119_6
; %bb.32:                               ;   in Loop: Header=BB119_7 Depth=1
	v_mul_f64_e32 v[1:2], s[14:15], v[21:22]
	v_mul_f64_e32 v[3:4], s[12:13], v[21:22]
	v_lshlrev_b64_e32 v[17:18], 4, v[7:8]
	s_and_not1_b32 vcc_lo, exec_lo, s33
	s_mov_b32 s3, -1
	s_delay_alu instid0(VALU_DEP_3) | instskip(NEXT) | instid1(VALU_DEP_3)
	v_fma_f64 v[1:2], s[12:13], v[23:24], -v[1:2]
	v_fma_f64 v[3:4], s[14:15], v[23:24], v[3:4]
	s_wait_alu 0xfffe
	s_cbranch_vccnz .LBB119_34
; %bb.33:                               ;   in Loop: Header=BB119_7 Depth=1
	v_add_co_u32 v25, vcc_lo, v19, v17
	s_wait_alu 0xfffd
	v_add_co_ci_u32_e64 v26, null, v20, v18, vcc_lo
	s_mov_b32 s3, 0
	global_load_b128 v[21:24], v[25:26], off
	s_wait_loadcnt 0x0
	v_mul_f64_e32 v[27:28], s[10:11], v[23:24]
	v_mul_f64_e32 v[23:24], s[8:9], v[23:24]
	s_delay_alu instid0(VALU_DEP_2) | instskip(NEXT) | instid1(VALU_DEP_2)
	v_fma_f64 v[27:28], s[8:9], v[21:22], -v[27:28]
	v_fma_f64 v[23:24], s[10:11], v[21:22], v[23:24]
	s_delay_alu instid0(VALU_DEP_2) | instskip(NEXT) | instid1(VALU_DEP_2)
	v_add_f64_e32 v[21:22], v[1:2], v[27:28]
	v_add_f64_e32 v[23:24], v[3:4], v[23:24]
	global_store_b128 v[25:26], v[21:24], off
.LBB119_34:                             ;   in Loop: Header=BB119_7 Depth=1
	s_wait_alu 0xfffe
	s_and_not1_b32 vcc_lo, exec_lo, s3
	s_wait_alu 0xfffe
	s_cbranch_vccnz .LBB119_6
; %bb.35:                               ;   in Loop: Header=BB119_7 Depth=1
	v_add_co_u32 v17, vcc_lo, v19, v17
	s_wait_alu 0xfffd
	v_add_co_ci_u32_e64 v18, null, v20, v18, vcc_lo
	global_store_b128 v[17:18], v[1:4], off
	s_branch .LBB119_6
.LBB119_36:
.LBB119_37:
	s_nop 0
	s_sendmsg sendmsg(MSG_DEALLOC_VGPRS)
	s_endpgm
	.section	.rodata,"a",@progbits
	.p2align	6, 0x0
	.amdhsa_kernel _ZL29rocblas_internal_gemmt_kernelIiLi16ELi32ELi8ELc78ELc67ELc76ELb0ELb1E19rocblas_complex_numIdEPKS1_S3_PS1_EviT_T9_T10_S5_lS7_S5_lS6_T11_S5_li
		.amdhsa_group_segment_fixed_size 8192
		.amdhsa_private_segment_fixed_size 0
		.amdhsa_kernarg_size 100
		.amdhsa_user_sgpr_count 2
		.amdhsa_user_sgpr_dispatch_ptr 0
		.amdhsa_user_sgpr_queue_ptr 0
		.amdhsa_user_sgpr_kernarg_segment_ptr 1
		.amdhsa_user_sgpr_dispatch_id 0
		.amdhsa_user_sgpr_private_segment_size 0
		.amdhsa_wavefront_size32 1
		.amdhsa_uses_dynamic_stack 0
		.amdhsa_enable_private_segment 0
		.amdhsa_system_sgpr_workgroup_id_x 1
		.amdhsa_system_sgpr_workgroup_id_y 1
		.amdhsa_system_sgpr_workgroup_id_z 1
		.amdhsa_system_sgpr_workgroup_info 0
		.amdhsa_system_vgpr_workitem_id 1
		.amdhsa_next_free_vgpr 131
		.amdhsa_next_free_sgpr 41
		.amdhsa_reserve_vcc 1
		.amdhsa_float_round_mode_32 0
		.amdhsa_float_round_mode_16_64 0
		.amdhsa_float_denorm_mode_32 3
		.amdhsa_float_denorm_mode_16_64 3
		.amdhsa_fp16_overflow 0
		.amdhsa_workgroup_processor_mode 1
		.amdhsa_memory_ordered 1
		.amdhsa_forward_progress 1
		.amdhsa_inst_pref_size 27
		.amdhsa_round_robin_scheduling 0
		.amdhsa_exception_fp_ieee_invalid_op 0
		.amdhsa_exception_fp_denorm_src 0
		.amdhsa_exception_fp_ieee_div_zero 0
		.amdhsa_exception_fp_ieee_overflow 0
		.amdhsa_exception_fp_ieee_underflow 0
		.amdhsa_exception_fp_ieee_inexact 0
		.amdhsa_exception_int_div_zero 0
	.end_amdhsa_kernel
	.section	.text._ZL29rocblas_internal_gemmt_kernelIiLi16ELi32ELi8ELc78ELc67ELc76ELb0ELb1E19rocblas_complex_numIdEPKS1_S3_PS1_EviT_T9_T10_S5_lS7_S5_lS6_T11_S5_li,"axG",@progbits,_ZL29rocblas_internal_gemmt_kernelIiLi16ELi32ELi8ELc78ELc67ELc76ELb0ELb1E19rocblas_complex_numIdEPKS1_S3_PS1_EviT_T9_T10_S5_lS7_S5_lS6_T11_S5_li,comdat
.Lfunc_end119:
	.size	_ZL29rocblas_internal_gemmt_kernelIiLi16ELi32ELi8ELc78ELc67ELc76ELb0ELb1E19rocblas_complex_numIdEPKS1_S3_PS1_EviT_T9_T10_S5_lS7_S5_lS6_T11_S5_li, .Lfunc_end119-_ZL29rocblas_internal_gemmt_kernelIiLi16ELi32ELi8ELc78ELc67ELc76ELb0ELb1E19rocblas_complex_numIdEPKS1_S3_PS1_EviT_T9_T10_S5_lS7_S5_lS6_T11_S5_li
                                        ; -- End function
	.set _ZL29rocblas_internal_gemmt_kernelIiLi16ELi32ELi8ELc78ELc67ELc76ELb0ELb1E19rocblas_complex_numIdEPKS1_S3_PS1_EviT_T9_T10_S5_lS7_S5_lS6_T11_S5_li.num_vgpr, 131
	.set _ZL29rocblas_internal_gemmt_kernelIiLi16ELi32ELi8ELc78ELc67ELc76ELb0ELb1E19rocblas_complex_numIdEPKS1_S3_PS1_EviT_T9_T10_S5_lS7_S5_lS6_T11_S5_li.num_agpr, 0
	.set _ZL29rocblas_internal_gemmt_kernelIiLi16ELi32ELi8ELc78ELc67ELc76ELb0ELb1E19rocblas_complex_numIdEPKS1_S3_PS1_EviT_T9_T10_S5_lS7_S5_lS6_T11_S5_li.numbered_sgpr, 41
	.set _ZL29rocblas_internal_gemmt_kernelIiLi16ELi32ELi8ELc78ELc67ELc76ELb0ELb1E19rocblas_complex_numIdEPKS1_S3_PS1_EviT_T9_T10_S5_lS7_S5_lS6_T11_S5_li.num_named_barrier, 0
	.set _ZL29rocblas_internal_gemmt_kernelIiLi16ELi32ELi8ELc78ELc67ELc76ELb0ELb1E19rocblas_complex_numIdEPKS1_S3_PS1_EviT_T9_T10_S5_lS7_S5_lS6_T11_S5_li.private_seg_size, 0
	.set _ZL29rocblas_internal_gemmt_kernelIiLi16ELi32ELi8ELc78ELc67ELc76ELb0ELb1E19rocblas_complex_numIdEPKS1_S3_PS1_EviT_T9_T10_S5_lS7_S5_lS6_T11_S5_li.uses_vcc, 1
	.set _ZL29rocblas_internal_gemmt_kernelIiLi16ELi32ELi8ELc78ELc67ELc76ELb0ELb1E19rocblas_complex_numIdEPKS1_S3_PS1_EviT_T9_T10_S5_lS7_S5_lS6_T11_S5_li.uses_flat_scratch, 0
	.set _ZL29rocblas_internal_gemmt_kernelIiLi16ELi32ELi8ELc78ELc67ELc76ELb0ELb1E19rocblas_complex_numIdEPKS1_S3_PS1_EviT_T9_T10_S5_lS7_S5_lS6_T11_S5_li.has_dyn_sized_stack, 0
	.set _ZL29rocblas_internal_gemmt_kernelIiLi16ELi32ELi8ELc78ELc67ELc76ELb0ELb1E19rocblas_complex_numIdEPKS1_S3_PS1_EviT_T9_T10_S5_lS7_S5_lS6_T11_S5_li.has_recursion, 0
	.set _ZL29rocblas_internal_gemmt_kernelIiLi16ELi32ELi8ELc78ELc67ELc76ELb0ELb1E19rocblas_complex_numIdEPKS1_S3_PS1_EviT_T9_T10_S5_lS7_S5_lS6_T11_S5_li.has_indirect_call, 0
	.section	.AMDGPU.csdata,"",@progbits
; Kernel info:
; codeLenInByte = 3444
; TotalNumSgprs: 43
; NumVgprs: 131
; ScratchSize: 0
; MemoryBound: 1
; FloatMode: 240
; IeeeMode: 1
; LDSByteSize: 8192 bytes/workgroup (compile time only)
; SGPRBlocks: 0
; VGPRBlocks: 16
; NumSGPRsForWavesPerEU: 43
; NumVGPRsForWavesPerEU: 131
; Occupancy: 10
; WaveLimiterHint : 0
; COMPUTE_PGM_RSRC2:SCRATCH_EN: 0
; COMPUTE_PGM_RSRC2:USER_SGPR: 2
; COMPUTE_PGM_RSRC2:TRAP_HANDLER: 0
; COMPUTE_PGM_RSRC2:TGID_X_EN: 1
; COMPUTE_PGM_RSRC2:TGID_Y_EN: 1
; COMPUTE_PGM_RSRC2:TGID_Z_EN: 1
; COMPUTE_PGM_RSRC2:TIDIG_COMP_CNT: 1
	.section	.text._ZL29rocblas_internal_gemmt_kernelIiLi16ELi32ELi8ELc84ELc78ELc76ELb0ELb0E19rocblas_complex_numIdEPKS1_S3_PS1_EviT_T9_T10_S5_lS7_S5_lS6_T11_S5_li,"axG",@progbits,_ZL29rocblas_internal_gemmt_kernelIiLi16ELi32ELi8ELc84ELc78ELc76ELb0ELb0E19rocblas_complex_numIdEPKS1_S3_PS1_EviT_T9_T10_S5_lS7_S5_lS6_T11_S5_li,comdat
	.globl	_ZL29rocblas_internal_gemmt_kernelIiLi16ELi32ELi8ELc84ELc78ELc76ELb0ELb0E19rocblas_complex_numIdEPKS1_S3_PS1_EviT_T9_T10_S5_lS7_S5_lS6_T11_S5_li ; -- Begin function _ZL29rocblas_internal_gemmt_kernelIiLi16ELi32ELi8ELc84ELc78ELc76ELb0ELb0E19rocblas_complex_numIdEPKS1_S3_PS1_EviT_T9_T10_S5_lS7_S5_lS6_T11_S5_li
	.p2align	8
	.type	_ZL29rocblas_internal_gemmt_kernelIiLi16ELi32ELi8ELc84ELc78ELc76ELb0ELb0E19rocblas_complex_numIdEPKS1_S3_PS1_EviT_T9_T10_S5_lS7_S5_lS6_T11_S5_li,@function
_ZL29rocblas_internal_gemmt_kernelIiLi16ELi32ELi8ELc84ELc78ELc76ELb0ELb0E19rocblas_complex_numIdEPKS1_S3_PS1_EviT_T9_T10_S5_lS7_S5_lS6_T11_S5_li: ; @_ZL29rocblas_internal_gemmt_kernelIiLi16ELi32ELi8ELc84ELc78ELc76ELb0ELb0E19rocblas_complex_numIdEPKS1_S3_PS1_EviT_T9_T10_S5_lS7_S5_lS6_T11_S5_li
; %bb.0:
	s_load_b128 s[16:19], s[0:1], 0x38
	s_wait_kmcnt 0x0
	s_load_b128 s[8:11], s[18:19], 0x0
	s_clause 0x1
	s_load_b128 s[4:7], s[0:1], 0x8
	s_load_b64 s[18:19], s[0:1], 0x0
	s_wait_kmcnt 0x0
	s_load_b128 s[12:15], s[4:5], 0x0
	v_cmp_eq_f64_e64 s2, s[8:9], 1.0
	v_cmp_eq_f64_e64 s27, s[10:11], 0
	s_and_b32 s2, s2, s27
	s_delay_alu instid0(SALU_CYCLE_1)
	s_and_not1_b32 vcc_lo, exec_lo, s2
	s_mov_b32 s2, -1
	s_cbranch_vccnz .LBB120_3
; %bb.1:
	s_cmp_lg_u32 s19, 0
	s_cbranch_scc0 .LBB120_38
; %bb.2:
	s_wait_kmcnt 0x0
	v_cmp_neq_f64_e64 s2, s[12:13], 0
	v_cmp_neq_f64_e64 s3, s[14:15], 0
	s_or_b32 s2, s2, s3
.LBB120_3:
	s_delay_alu instid0(SALU_CYCLE_1)
	s_and_b32 vcc_lo, exec_lo, s2
	s_cbranch_vccz .LBB120_39
; %bb.4:
	s_load_b32 s5, s[0:1], 0x60
	s_lshr_b32 s28, ttmp7, 16
	s_wait_kmcnt 0x0
	s_cmp_ge_u32 s28, s5
	s_cbranch_scc1 .LBB120_39
; %bb.5:
	v_cmp_neq_f64_e64 s33, s[12:13], 0
	v_cmp_neq_f64_e64 s34, s[14:15], 0
	v_and_b32_e32 v1, 0x3ff, v0
	v_bfe_u32 v2, v0, 10, 10
	s_clause 0x4
	s_load_b32 s36, s[0:1], 0x18
	s_load_b128 s[20:23], s[0:1], 0x20
	s_load_b32 s37, s[0:1], 0x30
	s_load_b96 s[24:26], s[0:1], 0x48
	s_load_b64 s[30:31], s[0:1], 0x58
	v_and_b32_e32 v37, 7, v0
	s_lshl_b32 s1, ttmp9, 5
	v_lshlrev_b32_e32 v38, 4, v1
	v_lshl_add_u32 v0, v2, 4, v1
	v_add_nc_u32_e32 v5, s1, v1
	s_lshl_b32 s0, ttmp7, 5
	v_cmp_neq_f64_e64 s35, s[8:9], 0
	s_wait_alu 0xfffe
	s_and_b32 s2, s0, 0x1fffe0
	v_and_b32_e32 v1, 31, v0
	v_add_nc_u32_e32 v6, s2, v2
	v_lshl_add_u32 v39, v2, 7, 0x1000
	v_lshrrev_b32_e32 v40, 5, v0
	v_lshrrev_b32_e32 v0, 3, v0
	v_or_b32_e32 v2, s1, v1
	v_lshlrev_b32_e32 v4, 4, v37
	v_cmp_le_i32_e32 vcc_lo, v6, v5
	v_cmp_gt_i32_e64 s0, s18, v5
	v_add_nc_u32_e32 v9, s2, v0
	v_cmp_gt_i32_e64 s3, s18, v2
	s_wait_kmcnt 0x0
	v_mad_co_i64_i32 v[2:3], null, s36, v2, 0
	v_add_nc_u32_e32 v7, 16, v5
	v_add_nc_u32_e32 v11, 16, v6
	v_cmp_gt_i32_e64 s4, s18, v9
	v_mad_co_i64_i32 v[9:10], null, s37, v9, 0
	v_lshlrev_b32_e32 v1, 4, v1
	v_lshlrev_b64_e32 v[2:3], 4, v[2:3]
	v_lshl_or_b32 v0, v0, 7, v4
	v_cmp_le_i32_e64 s1, v6, v7
	v_cmp_gt_i32_e64 s2, s18, v7
	v_lshlrev_b32_e32 v12, 4, v40
	v_lshl_or_b32 v41, v40, 9, v1
	v_add_nc_u32_e32 v42, 0x1000, v0
	s_or_b32 s38, s33, s34
	s_cmp_gt_i32 s19, 0
	v_mad_co_i64_i32 v[0:1], null, v6, s26, 0
	s_cselect_b32 s39, -1, 0
	s_xor_b32 s18, s27, -1
	s_and_b32 s27, vcc_lo, s0
	v_cmp_le_i32_e32 vcc_lo, v11, v5
	s_and_b32 s33, s1, s2
	v_cmp_le_i32_e64 s1, v11, v7
	v_mad_co_i64_i32 v[15:16], null, v11, s26, 0
	s_and_b32 s26, vcc_lo, s0
	v_add_co_u32 v11, vcc_lo, v2, v12
	s_delay_alu instid0(VALU_DEP_1) | instskip(SKIP_1) | instid1(VALU_DEP_3)
	v_add_co_ci_u32_e64 v12, null, 0, v3, vcc_lo
	v_lshlrev_b64_e32 v[2:3], 4, v[9:10]
	v_add_co_u32 v9, vcc_lo, s6, v11
	s_wait_alu 0xfffd
	s_delay_alu instid0(VALU_DEP_3) | instskip(SKIP_1) | instid1(VALU_DEP_4)
	v_add_co_ci_u32_e64 v10, null, s7, v12, vcc_lo
	v_lshlrev_b64_e32 v[13:14], 4, v[0:1]
	v_add_co_u32 v2, vcc_lo, v2, v4
	s_wait_alu 0xfffd
	v_add_co_ci_u32_e64 v3, null, 0, v3, vcc_lo
	v_lshlrev_b64_e32 v[15:16], 4, v[15:16]
	s_delay_alu instid0(VALU_DEP_3)
	v_add_co_u32 v11, vcc_lo, s22, v2
	v_ashrrev_i32_e32 v6, 31, v5
	v_ashrrev_i32_e32 v8, 31, v7
	s_wait_alu 0xfffd
	v_add_co_ci_u32_e64 v12, null, s23, v3, vcc_lo
	v_mov_b32_e32 v0, 0
	s_mov_b32 s29, 0
	s_wait_alu 0xfffe
	s_or_b32 s18, s35, s18
	s_and_b32 s34, s1, s2
	s_lshl_b64 s[0:1], s[20:21], 4
	s_and_b32 s20, s38, s39
	s_lshl_b64 s[6:7], s[16:17], 4
	s_xor_b32 s16, s3, -1
	s_xor_b32 s4, s4, -1
	s_branch .LBB120_7
.LBB120_6:                              ;   in Loop: Header=BB120_7 Depth=1
	s_wait_alu 0xfffe
	s_or_b32 exec_lo, exec_lo, s2
	s_add_co_i32 s28, s28, 0x10000
	s_wait_alu 0xfffe
	s_cmp_lt_u32 s28, s5
	s_cbranch_scc0 .LBB120_39
.LBB120_7:                              ; =>This Loop Header: Depth=1
                                        ;     Child Loop BB120_10 Depth 2
	v_mov_b32_e32 v33, 0
	v_mov_b32_e32 v29, 0
	;; [unrolled: 1-line block ×3, first 2 shown]
	v_dual_mov_b32 v23, 0 :: v_dual_mov_b32 v34, 0
	v_dual_mov_b32 v35, 0 :: v_dual_mov_b32 v30, 0
	;; [unrolled: 1-line block ×5, first 2 shown]
	v_mov_b32_e32 v32, 0
	v_mov_b32_e32 v28, 0
	;; [unrolled: 1-line block ×3, first 2 shown]
	s_and_not1_b32 vcc_lo, exec_lo, s20
	s_wait_alu 0xfffe
	s_cbranch_vccnz .LBB120_18
; %bb.8:                                ;   in Loop: Header=BB120_7 Depth=1
	v_mad_co_u64_u32 v[17:18], null, s0, s28, v[9:10]
	v_mad_co_u64_u32 v[19:20], null, s6, s28, v[11:12]
	v_mov_b32_e32 v21, 0
	v_mov_b32_e32 v23, 0
	;; [unrolled: 1-line block ×4, first 2 shown]
	v_dual_mov_b32 v1, v18 :: v_dual_mov_b32 v22, 0
	v_mov_b32_e32 v2, v20
	v_dual_mov_b32 v24, 0 :: v_dual_mov_b32 v27, 0
	v_dual_mov_b32 v26, 0 :: v_dual_mov_b32 v31, 0
	s_delay_alu instid0(VALU_DEP_3)
	v_mad_co_u64_u32 v[3:4], null, s1, s28, v[1:2]
	v_dual_mov_b32 v30, 0 :: v_dual_mov_b32 v35, 0
	v_dual_mov_b32 v33, 0 :: v_dual_mov_b32 v28, 0
	v_mov_b32_e32 v32, 0
	v_mov_b32_e32 v36, 0
	v_mad_co_u64_u32 v[1:2], null, s7, s28, v[2:3]
	v_mov_b32_e32 v34, 0
	v_mov_b32_e32 v18, v3
	s_mov_b32 s2, 0
	s_delay_alu instid0(VALU_DEP_3)
	v_mov_b32_e32 v20, v1
	s_branch .LBB120_10
.LBB120_9:                              ;   in Loop: Header=BB120_10 Depth=2
	s_wait_alu 0xfffe
	s_or_b32 exec_lo, exec_lo, s3
	s_wait_dscnt 0x0
	s_barrier_signal -1
	s_barrier_wait -1
	global_inv scope:SCOPE_SE
	ds_load_b128 v[1:4], v39
	ds_load_b128 v[43:46], v39 offset:16
	ds_load_b128 v[47:50], v39 offset:32
	;; [unrolled: 1-line block ×3, first 2 shown]
	ds_load_b128 v[55:58], v38
	v_add_co_u32 v17, vcc_lo, 0x80, v17
	s_wait_alu 0xfffd
	v_add_co_ci_u32_e64 v18, null, 0, v18, vcc_lo
	v_add_co_u32 v19, vcc_lo, 0x80, v19
	s_wait_alu 0xfffd
	v_add_co_ci_u32_e64 v20, null, 0, v20, vcc_lo
	s_add_co_i32 s2, s2, 8
	s_wait_alu 0xfffe
	s_cmp_lt_i32 s2, s19
	s_wait_dscnt 0x0
	v_mul_f64_e32 v[59:60], v[3:4], v[57:58]
	v_mul_f64_e32 v[61:62], v[1:2], v[57:58]
	s_delay_alu instid0(VALU_DEP_2) | instskip(NEXT) | instid1(VALU_DEP_2)
	v_fma_f64 v[59:60], v[1:2], v[55:56], -v[59:60]
	v_fma_f64 v[61:62], v[3:4], v[55:56], v[61:62]
	s_delay_alu instid0(VALU_DEP_2) | instskip(NEXT) | instid1(VALU_DEP_2)
	v_add_f64_e32 v[59:60], v[33:34], v[59:60]
	v_add_f64_e32 v[61:62], v[61:62], v[35:36]
	ds_load_b128 v[33:36], v38 offset:256
	s_wait_dscnt 0x0
	v_mul_f64_e32 v[63:64], v[3:4], v[35:36]
	s_delay_alu instid0(VALU_DEP_1) | instskip(SKIP_1) | instid1(VALU_DEP_2)
	v_fma_f64 v[63:64], v[1:2], v[33:34], -v[63:64]
	v_mul_f64_e32 v[1:2], v[1:2], v[35:36]
	v_add_f64_e32 v[29:30], v[29:30], v[63:64]
	s_delay_alu instid0(VALU_DEP_2) | instskip(NEXT) | instid1(VALU_DEP_1)
	v_fma_f64 v[1:2], v[3:4], v[33:34], v[1:2]
	v_add_f64_e32 v[31:32], v[1:2], v[31:32]
	ds_load_b128 v[1:4], v39 offset:2048
	s_wait_dscnt 0x0
	v_mul_f64_e32 v[63:64], v[3:4], v[57:58]
	v_mul_f64_e32 v[57:58], v[1:2], v[57:58]
	s_delay_alu instid0(VALU_DEP_2) | instskip(NEXT) | instid1(VALU_DEP_2)
	v_fma_f64 v[63:64], v[1:2], v[55:56], -v[63:64]
	v_fma_f64 v[55:56], v[3:4], v[55:56], v[57:58]
	s_delay_alu instid0(VALU_DEP_2) | instskip(SKIP_1) | instid1(VALU_DEP_3)
	v_add_f64_e32 v[57:58], v[25:26], v[63:64]
	v_mul_f64_e32 v[25:26], v[3:4], v[35:36]
	v_add_f64_e32 v[55:56], v[55:56], v[27:28]
	s_delay_alu instid0(VALU_DEP_2) | instskip(SKIP_1) | instid1(VALU_DEP_1)
	v_fma_f64 v[25:26], v[1:2], v[33:34], -v[25:26]
	v_mul_f64_e32 v[1:2], v[1:2], v[35:36]
	v_fma_f64 v[1:2], v[3:4], v[33:34], v[1:2]
	s_delay_alu instid0(VALU_DEP_3) | instskip(NEXT) | instid1(VALU_DEP_2)
	v_add_f64_e32 v[33:34], v[23:24], v[25:26]
	v_add_f64_e32 v[35:36], v[1:2], v[21:22]
	ds_load_b128 v[1:4], v38 offset:512
	s_wait_dscnt 0x0
	v_mul_f64_e32 v[21:22], v[45:46], v[3:4]
	v_mul_f64_e32 v[23:24], v[43:44], v[3:4]
	s_delay_alu instid0(VALU_DEP_2) | instskip(NEXT) | instid1(VALU_DEP_2)
	v_fma_f64 v[21:22], v[43:44], v[1:2], -v[21:22]
	v_fma_f64 v[23:24], v[45:46], v[1:2], v[23:24]
	s_delay_alu instid0(VALU_DEP_2) | instskip(NEXT) | instid1(VALU_DEP_2)
	v_add_f64_e32 v[59:60], v[59:60], v[21:22]
	v_add_f64_e32 v[61:62], v[23:24], v[61:62]
	ds_load_b128 v[21:24], v38 offset:768
	s_wait_dscnt 0x0
	v_mul_f64_e32 v[25:26], v[45:46], v[23:24]
	v_mul_f64_e32 v[27:28], v[43:44], v[23:24]
	s_delay_alu instid0(VALU_DEP_2) | instskip(NEXT) | instid1(VALU_DEP_2)
	v_fma_f64 v[25:26], v[43:44], v[21:22], -v[25:26]
	v_fma_f64 v[27:28], v[45:46], v[21:22], v[27:28]
	s_delay_alu instid0(VALU_DEP_2) | instskip(NEXT) | instid1(VALU_DEP_2)
	v_add_f64_e32 v[29:30], v[29:30], v[25:26]
	v_add_f64_e32 v[31:32], v[27:28], v[31:32]
	ds_load_b128 v[25:28], v39 offset:2064
	s_wait_dscnt 0x0
	v_mul_f64_e32 v[43:44], v[27:28], v[3:4]
	v_mul_f64_e32 v[3:4], v[25:26], v[3:4]
	s_delay_alu instid0(VALU_DEP_2) | instskip(NEXT) | instid1(VALU_DEP_2)
	v_fma_f64 v[43:44], v[25:26], v[1:2], -v[43:44]
	v_fma_f64 v[1:2], v[27:28], v[1:2], v[3:4]
	v_mul_f64_e32 v[3:4], v[25:26], v[23:24]
	s_delay_alu instid0(VALU_DEP_3) | instskip(NEXT) | instid1(VALU_DEP_3)
	v_add_f64_e32 v[43:44], v[57:58], v[43:44]
	v_add_f64_e32 v[45:46], v[1:2], v[55:56]
	v_mul_f64_e32 v[1:2], v[27:28], v[23:24]
	s_delay_alu instid0(VALU_DEP_4) | instskip(NEXT) | instid1(VALU_DEP_2)
	v_fma_f64 v[3:4], v[27:28], v[21:22], v[3:4]
	v_fma_f64 v[1:2], v[25:26], v[21:22], -v[1:2]
	s_delay_alu instid0(VALU_DEP_2) | instskip(NEXT) | instid1(VALU_DEP_2)
	v_add_f64_e32 v[35:36], v[3:4], v[35:36]
	v_add_f64_e32 v[33:34], v[33:34], v[1:2]
	ds_load_b128 v[1:4], v38 offset:1024
	s_wait_dscnt 0x0
	v_mul_f64_e32 v[21:22], v[49:50], v[3:4]
	v_mul_f64_e32 v[23:24], v[47:48], v[3:4]
	s_delay_alu instid0(VALU_DEP_2) | instskip(NEXT) | instid1(VALU_DEP_2)
	v_fma_f64 v[21:22], v[47:48], v[1:2], -v[21:22]
	v_fma_f64 v[23:24], v[49:50], v[1:2], v[23:24]
	s_delay_alu instid0(VALU_DEP_2) | instskip(NEXT) | instid1(VALU_DEP_2)
	v_add_f64_e32 v[55:56], v[59:60], v[21:22]
	v_add_f64_e32 v[57:58], v[23:24], v[61:62]
	ds_load_b128 v[21:24], v38 offset:1280
	s_wait_dscnt 0x0
	v_mul_f64_e32 v[25:26], v[49:50], v[23:24]
	v_mul_f64_e32 v[27:28], v[47:48], v[23:24]
	s_delay_alu instid0(VALU_DEP_2) | instskip(NEXT) | instid1(VALU_DEP_2)
	v_fma_f64 v[25:26], v[47:48], v[21:22], -v[25:26]
	v_fma_f64 v[27:28], v[49:50], v[21:22], v[27:28]
	s_delay_alu instid0(VALU_DEP_2) | instskip(NEXT) | instid1(VALU_DEP_2)
	v_add_f64_e32 v[29:30], v[29:30], v[25:26]
	v_add_f64_e32 v[31:32], v[27:28], v[31:32]
	ds_load_b128 v[25:28], v39 offset:2080
	s_wait_dscnt 0x0
	v_mul_f64_e32 v[47:48], v[27:28], v[3:4]
	v_mul_f64_e32 v[3:4], v[25:26], v[3:4]
	s_delay_alu instid0(VALU_DEP_2) | instskip(NEXT) | instid1(VALU_DEP_2)
	v_fma_f64 v[47:48], v[25:26], v[1:2], -v[47:48]
	v_fma_f64 v[1:2], v[27:28], v[1:2], v[3:4]
	v_mul_f64_e32 v[3:4], v[25:26], v[23:24]
	s_delay_alu instid0(VALU_DEP_3) | instskip(NEXT) | instid1(VALU_DEP_3)
	v_add_f64_e32 v[43:44], v[43:44], v[47:48]
	v_add_f64_e32 v[45:46], v[1:2], v[45:46]
	v_mul_f64_e32 v[1:2], v[27:28], v[23:24]
	s_delay_alu instid0(VALU_DEP_4) | instskip(NEXT) | instid1(VALU_DEP_2)
	v_fma_f64 v[3:4], v[27:28], v[21:22], v[3:4]
	v_fma_f64 v[1:2], v[25:26], v[21:22], -v[1:2]
	s_delay_alu instid0(VALU_DEP_2) | instskip(NEXT) | instid1(VALU_DEP_2)
	;; [unrolled: 38-line block ×3, first 2 shown]
	v_add_f64_e32 v[35:36], v[3:4], v[35:36]
	v_add_f64_e32 v[33:34], v[33:34], v[1:2]
	ds_load_b128 v[1:4], v39 offset:64
	ds_load_b128 v[21:24], v38 offset:2048
	s_wait_dscnt 0x0
	v_mul_f64_e32 v[25:26], v[3:4], v[23:24]
	v_mul_f64_e32 v[27:28], v[1:2], v[23:24]
	s_delay_alu instid0(VALU_DEP_2) | instskip(NEXT) | instid1(VALU_DEP_2)
	v_fma_f64 v[25:26], v[1:2], v[21:22], -v[25:26]
	v_fma_f64 v[27:28], v[3:4], v[21:22], v[27:28]
	s_delay_alu instid0(VALU_DEP_2) | instskip(NEXT) | instid1(VALU_DEP_2)
	v_add_f64_e32 v[47:48], v[47:48], v[25:26]
	v_add_f64_e32 v[49:50], v[27:28], v[49:50]
	ds_load_b128 v[25:28], v38 offset:2304
	s_wait_dscnt 0x0
	v_mul_f64_e32 v[51:52], v[3:4], v[27:28]
	s_delay_alu instid0(VALU_DEP_1) | instskip(SKIP_1) | instid1(VALU_DEP_2)
	v_fma_f64 v[51:52], v[1:2], v[25:26], -v[51:52]
	v_mul_f64_e32 v[1:2], v[1:2], v[27:28]
	v_add_f64_e32 v[29:30], v[29:30], v[51:52]
	s_delay_alu instid0(VALU_DEP_2) | instskip(NEXT) | instid1(VALU_DEP_1)
	v_fma_f64 v[1:2], v[3:4], v[25:26], v[1:2]
	v_add_f64_e32 v[31:32], v[1:2], v[31:32]
	ds_load_b128 v[1:4], v39 offset:2112
	s_wait_dscnt 0x0
	v_mul_f64_e32 v[51:52], v[3:4], v[23:24]
	v_mul_f64_e32 v[23:24], v[1:2], v[23:24]
	s_delay_alu instid0(VALU_DEP_2) | instskip(NEXT) | instid1(VALU_DEP_2)
	v_fma_f64 v[51:52], v[1:2], v[21:22], -v[51:52]
	v_fma_f64 v[21:22], v[3:4], v[21:22], v[23:24]
	s_delay_alu instid0(VALU_DEP_2) | instskip(NEXT) | instid1(VALU_DEP_2)
	v_add_f64_e32 v[43:44], v[43:44], v[51:52]
	v_add_f64_e32 v[45:46], v[21:22], v[45:46]
	v_mul_f64_e32 v[21:22], v[3:4], v[27:28]
	s_delay_alu instid0(VALU_DEP_1) | instskip(SKIP_1) | instid1(VALU_DEP_2)
	v_fma_f64 v[21:22], v[1:2], v[25:26], -v[21:22]
	v_mul_f64_e32 v[1:2], v[1:2], v[27:28]
	v_add_f64_e32 v[33:34], v[33:34], v[21:22]
	s_delay_alu instid0(VALU_DEP_2) | instskip(NEXT) | instid1(VALU_DEP_1)
	v_fma_f64 v[1:2], v[3:4], v[25:26], v[1:2]
	v_add_f64_e32 v[35:36], v[1:2], v[35:36]
	ds_load_b128 v[1:4], v39 offset:80
	ds_load_b128 v[21:24], v38 offset:2560
	s_wait_dscnt 0x0
	v_mul_f64_e32 v[25:26], v[3:4], v[23:24]
	v_mul_f64_e32 v[27:28], v[1:2], v[23:24]
	s_delay_alu instid0(VALU_DEP_2) | instskip(NEXT) | instid1(VALU_DEP_2)
	v_fma_f64 v[25:26], v[1:2], v[21:22], -v[25:26]
	v_fma_f64 v[27:28], v[3:4], v[21:22], v[27:28]
	s_delay_alu instid0(VALU_DEP_2) | instskip(NEXT) | instid1(VALU_DEP_2)
	v_add_f64_e32 v[47:48], v[47:48], v[25:26]
	v_add_f64_e32 v[49:50], v[27:28], v[49:50]
	ds_load_b128 v[25:28], v38 offset:2816
	s_wait_dscnt 0x0
	v_mul_f64_e32 v[51:52], v[3:4], v[27:28]
	s_delay_alu instid0(VALU_DEP_1) | instskip(SKIP_1) | instid1(VALU_DEP_2)
	v_fma_f64 v[51:52], v[1:2], v[25:26], -v[51:52]
	v_mul_f64_e32 v[1:2], v[1:2], v[27:28]
	v_add_f64_e32 v[29:30], v[29:30], v[51:52]
	s_delay_alu instid0(VALU_DEP_2) | instskip(NEXT) | instid1(VALU_DEP_1)
	v_fma_f64 v[1:2], v[3:4], v[25:26], v[1:2]
	v_add_f64_e32 v[31:32], v[1:2], v[31:32]
	ds_load_b128 v[1:4], v39 offset:2128
	s_wait_dscnt 0x0
	v_mul_f64_e32 v[51:52], v[3:4], v[23:24]
	v_mul_f64_e32 v[23:24], v[1:2], v[23:24]
	s_delay_alu instid0(VALU_DEP_2) | instskip(NEXT) | instid1(VALU_DEP_2)
	v_fma_f64 v[51:52], v[1:2], v[21:22], -v[51:52]
	v_fma_f64 v[21:22], v[3:4], v[21:22], v[23:24]
	s_delay_alu instid0(VALU_DEP_2) | instskip(NEXT) | instid1(VALU_DEP_2)
	v_add_f64_e32 v[43:44], v[43:44], v[51:52]
	v_add_f64_e32 v[45:46], v[21:22], v[45:46]
	v_mul_f64_e32 v[21:22], v[3:4], v[27:28]
	s_delay_alu instid0(VALU_DEP_1) | instskip(SKIP_1) | instid1(VALU_DEP_2)
	v_fma_f64 v[21:22], v[1:2], v[25:26], -v[21:22]
	v_mul_f64_e32 v[1:2], v[1:2], v[27:28]
	v_add_f64_e32 v[33:34], v[33:34], v[21:22]
	s_delay_alu instid0(VALU_DEP_2) | instskip(NEXT) | instid1(VALU_DEP_1)
	v_fma_f64 v[1:2], v[3:4], v[25:26], v[1:2]
	;; [unrolled: 39-line block ×3, first 2 shown]
	v_add_f64_e32 v[57:58], v[1:2], v[35:36]
	ds_load_b128 v[1:4], v39 offset:112
	ds_load_b128 v[21:24], v38 offset:3584
	;; [unrolled: 1-line block ×3, first 2 shown]
	s_wait_dscnt 0x1
	v_mul_f64_e32 v[25:26], v[3:4], v[23:24]
	v_mul_f64_e32 v[27:28], v[1:2], v[23:24]
	s_delay_alu instid0(VALU_DEP_2) | instskip(NEXT) | instid1(VALU_DEP_2)
	v_fma_f64 v[25:26], v[1:2], v[21:22], -v[25:26]
	v_fma_f64 v[27:28], v[3:4], v[21:22], v[27:28]
	s_delay_alu instid0(VALU_DEP_2) | instskip(SKIP_2) | instid1(VALU_DEP_3)
	v_add_f64_e32 v[33:34], v[47:48], v[25:26]
	s_wait_dscnt 0x0
	v_mul_f64_e32 v[25:26], v[3:4], v[45:46]
	v_add_f64_e32 v[35:36], v[27:28], v[49:50]
	s_delay_alu instid0(VALU_DEP_2) | instskip(SKIP_1) | instid1(VALU_DEP_2)
	v_fma_f64 v[25:26], v[1:2], v[43:44], -v[25:26]
	v_mul_f64_e32 v[1:2], v[1:2], v[45:46]
	v_add_f64_e32 v[29:30], v[29:30], v[25:26]
	s_delay_alu instid0(VALU_DEP_2) | instskip(NEXT) | instid1(VALU_DEP_1)
	v_fma_f64 v[1:2], v[3:4], v[43:44], v[1:2]
	v_add_f64_e32 v[31:32], v[1:2], v[31:32]
	ds_load_b128 v[1:4], v39 offset:2160
	s_wait_loadcnt_dscnt 0x0
	s_barrier_signal -1
	s_barrier_wait -1
	global_inv scope:SCOPE_SE
	v_mul_f64_e32 v[25:26], v[3:4], v[23:24]
	v_mul_f64_e32 v[23:24], v[1:2], v[23:24]
	s_delay_alu instid0(VALU_DEP_2) | instskip(NEXT) | instid1(VALU_DEP_2)
	v_fma_f64 v[25:26], v[1:2], v[21:22], -v[25:26]
	v_fma_f64 v[21:22], v[3:4], v[21:22], v[23:24]
	s_delay_alu instid0(VALU_DEP_2) | instskip(NEXT) | instid1(VALU_DEP_2)
	v_add_f64_e32 v[25:26], v[51:52], v[25:26]
	v_add_f64_e32 v[27:28], v[21:22], v[53:54]
	v_mul_f64_e32 v[21:22], v[3:4], v[45:46]
	s_delay_alu instid0(VALU_DEP_1) | instskip(SKIP_1) | instid1(VALU_DEP_2)
	v_fma_f64 v[21:22], v[1:2], v[43:44], -v[21:22]
	v_mul_f64_e32 v[1:2], v[1:2], v[45:46]
	v_add_f64_e32 v[23:24], v[55:56], v[21:22]
	s_delay_alu instid0(VALU_DEP_2) | instskip(NEXT) | instid1(VALU_DEP_1)
	v_fma_f64 v[1:2], v[3:4], v[43:44], v[1:2]
	v_add_f64_e32 v[21:22], v[1:2], v[57:58]
	s_cbranch_scc0 .LBB120_18
.LBB120_10:                             ;   Parent Loop BB120_7 Depth=1
                                        ; =>  This Inner Loop Header: Depth=2
	s_wait_alu 0xfffe
	v_add_nc_u32_e32 v1, s2, v40
	s_delay_alu instid0(VALU_DEP_1) | instskip(SKIP_3) | instid1(SALU_CYCLE_1)
	v_cmp_le_i32_e32 vcc_lo, s19, v1
	s_or_b32 s3, s16, vcc_lo
	s_wait_alu 0xfffe
	s_and_saveexec_b32 s17, s3
	s_xor_b32 s3, exec_lo, s17
; %bb.11:                               ;   in Loop: Header=BB120_10 Depth=2
	v_dual_mov_b32 v1, v0 :: v_dual_mov_b32 v2, v0
	v_mov_b32_e32 v3, v0
	ds_store_b128 v41, v[0:3]
; %bb.12:                               ;   in Loop: Header=BB120_10 Depth=2
	s_wait_alu 0xfffe
	s_and_not1_saveexec_b32 s3, s3
	s_cbranch_execz .LBB120_14
; %bb.13:                               ;   in Loop: Header=BB120_10 Depth=2
	global_load_b128 v[1:4], v[17:18], off
	s_wait_loadcnt 0x0
	ds_store_2addr_b64 v41, v[1:2], v[3:4] offset1:1
.LBB120_14:                             ;   in Loop: Header=BB120_10 Depth=2
	s_wait_alu 0xfffe
	s_or_b32 exec_lo, exec_lo, s3
	v_add_nc_u32_e32 v1, s2, v37
	s_delay_alu instid0(VALU_DEP_1) | instskip(SKIP_3) | instid1(SALU_CYCLE_1)
	v_cmp_le_i32_e32 vcc_lo, s19, v1
	s_or_b32 s3, vcc_lo, s4
	s_wait_alu 0xfffe
	s_and_saveexec_b32 s17, s3
	s_xor_b32 s3, exec_lo, s17
; %bb.15:                               ;   in Loop: Header=BB120_10 Depth=2
	v_dual_mov_b32 v1, v0 :: v_dual_mov_b32 v2, v0
	v_mov_b32_e32 v3, v0
	ds_store_b128 v42, v[0:3]
; %bb.16:                               ;   in Loop: Header=BB120_10 Depth=2
	s_wait_alu 0xfffe
	s_and_not1_saveexec_b32 s3, s3
	s_cbranch_execz .LBB120_9
; %bb.17:                               ;   in Loop: Header=BB120_10 Depth=2
	global_load_b128 v[1:4], v[19:20], off
	s_wait_loadcnt 0x0
	ds_store_2addr_b64 v42, v[1:2], v[3:4] offset1:1
	s_branch .LBB120_9
.LBB120_18:                             ;   in Loop: Header=BB120_7 Depth=1
	s_mul_u64 s[2:3], s[30:31], s[28:29]
	s_wait_alu 0xfffe
	s_lshl_b64 s[2:3], s[2:3], 4
	s_wait_alu 0xfffe
	s_add_nc_u64 s[2:3], s[24:25], s[2:3]
	s_wait_alu 0xfffe
	v_add_co_u32 v17, vcc_lo, s2, v13
	s_wait_alu 0xfffd
	v_add_co_ci_u32_e64 v18, null, s3, v14, vcc_lo
	s_and_saveexec_b32 s17, s27
	s_cbranch_execz .LBB120_23
; %bb.19:                               ;   in Loop: Header=BB120_7 Depth=1
	v_mul_f64_e32 v[1:2], s[14:15], v[35:36]
	v_mul_f64_e32 v[3:4], s[12:13], v[35:36]
	s_and_b32 vcc_lo, exec_lo, s18
	s_mov_b32 s21, -1
	s_delay_alu instid0(VALU_DEP_2) | instskip(NEXT) | instid1(VALU_DEP_2)
	v_fma_f64 v[1:2], s[12:13], v[33:34], -v[1:2]
	v_fma_f64 v[3:4], s[14:15], v[33:34], v[3:4]
	s_wait_alu 0xfffe
	s_cbranch_vccz .LBB120_21
; %bb.20:                               ;   in Loop: Header=BB120_7 Depth=1
	v_lshlrev_b64_e32 v[19:20], 4, v[5:6]
	s_mov_b32 s21, 0
	s_delay_alu instid0(VALU_DEP_1) | instskip(SKIP_1) | instid1(VALU_DEP_2)
	v_add_co_u32 v19, vcc_lo, v17, v19
	s_wait_alu 0xfffd
	v_add_co_ci_u32_e64 v20, null, v18, v20, vcc_lo
	global_load_b128 v[33:36], v[19:20], off
	s_wait_loadcnt 0x0
	v_mul_f64_e32 v[43:44], s[10:11], v[35:36]
	v_mul_f64_e32 v[35:36], s[8:9], v[35:36]
	s_delay_alu instid0(VALU_DEP_2) | instskip(NEXT) | instid1(VALU_DEP_2)
	v_fma_f64 v[43:44], s[8:9], v[33:34], -v[43:44]
	v_fma_f64 v[35:36], s[10:11], v[33:34], v[35:36]
	s_delay_alu instid0(VALU_DEP_2) | instskip(NEXT) | instid1(VALU_DEP_2)
	v_add_f64_e32 v[33:34], v[1:2], v[43:44]
	v_add_f64_e32 v[35:36], v[3:4], v[35:36]
	global_store_b128 v[19:20], v[33:36], off
.LBB120_21:                             ;   in Loop: Header=BB120_7 Depth=1
	s_and_not1_b32 vcc_lo, exec_lo, s21
	s_wait_alu 0xfffe
	s_cbranch_vccnz .LBB120_23
; %bb.22:                               ;   in Loop: Header=BB120_7 Depth=1
	v_lshlrev_b64_e32 v[19:20], 4, v[5:6]
	s_delay_alu instid0(VALU_DEP_1) | instskip(SKIP_1) | instid1(VALU_DEP_2)
	v_add_co_u32 v19, vcc_lo, v17, v19
	s_wait_alu 0xfffd
	v_add_co_ci_u32_e64 v20, null, v18, v20, vcc_lo
	global_store_b128 v[19:20], v[1:4], off
.LBB120_23:                             ;   in Loop: Header=BB120_7 Depth=1
	s_or_b32 exec_lo, exec_lo, s17
	s_and_saveexec_b32 s17, s33
	s_cbranch_execz .LBB120_28
; %bb.24:                               ;   in Loop: Header=BB120_7 Depth=1
	v_mul_f64_e32 v[1:2], s[14:15], v[31:32]
	v_mul_f64_e32 v[3:4], s[12:13], v[31:32]
	s_and_not1_b32 vcc_lo, exec_lo, s18
	s_mov_b32 s21, -1
	s_delay_alu instid0(VALU_DEP_2) | instskip(NEXT) | instid1(VALU_DEP_2)
	v_fma_f64 v[1:2], s[12:13], v[29:30], -v[1:2]
	v_fma_f64 v[3:4], s[14:15], v[29:30], v[3:4]
	s_wait_alu 0xfffe
	s_cbranch_vccnz .LBB120_26
; %bb.25:                               ;   in Loop: Header=BB120_7 Depth=1
	v_lshlrev_b64_e32 v[19:20], 4, v[7:8]
	s_mov_b32 s21, 0
	s_delay_alu instid0(VALU_DEP_1) | instskip(SKIP_1) | instid1(VALU_DEP_2)
	v_add_co_u32 v19, vcc_lo, v17, v19
	s_wait_alu 0xfffd
	v_add_co_ci_u32_e64 v20, null, v18, v20, vcc_lo
	global_load_b128 v[29:32], v[19:20], off
	s_wait_loadcnt 0x0
	v_mul_f64_e32 v[33:34], s[10:11], v[31:32]
	v_mul_f64_e32 v[31:32], s[8:9], v[31:32]
	s_delay_alu instid0(VALU_DEP_2) | instskip(NEXT) | instid1(VALU_DEP_2)
	v_fma_f64 v[33:34], s[8:9], v[29:30], -v[33:34]
	v_fma_f64 v[31:32], s[10:11], v[29:30], v[31:32]
	s_delay_alu instid0(VALU_DEP_2) | instskip(NEXT) | instid1(VALU_DEP_2)
	v_add_f64_e32 v[29:30], v[1:2], v[33:34]
	v_add_f64_e32 v[31:32], v[3:4], v[31:32]
	global_store_b128 v[19:20], v[29:32], off
.LBB120_26:                             ;   in Loop: Header=BB120_7 Depth=1
	s_and_not1_b32 vcc_lo, exec_lo, s21
	s_wait_alu 0xfffe
	s_cbranch_vccnz .LBB120_28
; %bb.27:                               ;   in Loop: Header=BB120_7 Depth=1
	v_lshlrev_b64_e32 v[19:20], 4, v[7:8]
	s_delay_alu instid0(VALU_DEP_1) | instskip(SKIP_1) | instid1(VALU_DEP_2)
	v_add_co_u32 v17, vcc_lo, v17, v19
	s_wait_alu 0xfffd
	v_add_co_ci_u32_e64 v18, null, v18, v20, vcc_lo
	global_store_b128 v[17:18], v[1:4], off
.LBB120_28:                             ;   in Loop: Header=BB120_7 Depth=1
	s_or_b32 exec_lo, exec_lo, s17
	v_add_co_u32 v19, vcc_lo, s2, v15
	s_wait_alu 0xfffd
	v_add_co_ci_u32_e64 v20, null, s3, v16, vcc_lo
	s_and_saveexec_b32 s2, s26
	s_cbranch_execz .LBB120_33
; %bb.29:                               ;   in Loop: Header=BB120_7 Depth=1
	v_mul_f64_e32 v[1:2], s[14:15], v[27:28]
	v_mul_f64_e32 v[3:4], s[12:13], v[27:28]
	v_lshlrev_b64_e32 v[17:18], 4, v[5:6]
	s_and_not1_b32 vcc_lo, exec_lo, s18
	s_mov_b32 s3, -1
	s_delay_alu instid0(VALU_DEP_3) | instskip(NEXT) | instid1(VALU_DEP_3)
	v_fma_f64 v[1:2], s[12:13], v[25:26], -v[1:2]
	v_fma_f64 v[3:4], s[14:15], v[25:26], v[3:4]
	s_wait_alu 0xfffe
	s_cbranch_vccnz .LBB120_31
; %bb.30:                               ;   in Loop: Header=BB120_7 Depth=1
	v_add_co_u32 v29, vcc_lo, v19, v17
	s_wait_alu 0xfffd
	v_add_co_ci_u32_e64 v30, null, v20, v18, vcc_lo
	s_mov_b32 s3, 0
	global_load_b128 v[25:28], v[29:30], off
	s_wait_loadcnt 0x0
	v_mul_f64_e32 v[31:32], s[10:11], v[27:28]
	v_mul_f64_e32 v[27:28], s[8:9], v[27:28]
	s_delay_alu instid0(VALU_DEP_2) | instskip(NEXT) | instid1(VALU_DEP_2)
	v_fma_f64 v[31:32], s[8:9], v[25:26], -v[31:32]
	v_fma_f64 v[27:28], s[10:11], v[25:26], v[27:28]
	s_delay_alu instid0(VALU_DEP_2) | instskip(NEXT) | instid1(VALU_DEP_2)
	v_add_f64_e32 v[25:26], v[1:2], v[31:32]
	v_add_f64_e32 v[27:28], v[3:4], v[27:28]
	global_store_b128 v[29:30], v[25:28], off
.LBB120_31:                             ;   in Loop: Header=BB120_7 Depth=1
	s_wait_alu 0xfffe
	s_and_not1_b32 vcc_lo, exec_lo, s3
	s_wait_alu 0xfffe
	s_cbranch_vccnz .LBB120_33
; %bb.32:                               ;   in Loop: Header=BB120_7 Depth=1
	v_add_co_u32 v17, vcc_lo, v19, v17
	s_wait_alu 0xfffd
	v_add_co_ci_u32_e64 v18, null, v20, v18, vcc_lo
	global_store_b128 v[17:18], v[1:4], off
.LBB120_33:                             ;   in Loop: Header=BB120_7 Depth=1
	s_wait_alu 0xfffe
	s_or_b32 exec_lo, exec_lo, s2
	s_and_saveexec_b32 s2, s34
	s_cbranch_execz .LBB120_6
; %bb.34:                               ;   in Loop: Header=BB120_7 Depth=1
	v_mul_f64_e32 v[1:2], s[14:15], v[21:22]
	v_mul_f64_e32 v[3:4], s[12:13], v[21:22]
	v_lshlrev_b64_e32 v[17:18], 4, v[7:8]
	s_and_not1_b32 vcc_lo, exec_lo, s18
	s_mov_b32 s3, -1
	s_delay_alu instid0(VALU_DEP_3) | instskip(NEXT) | instid1(VALU_DEP_3)
	v_fma_f64 v[1:2], s[12:13], v[23:24], -v[1:2]
	v_fma_f64 v[3:4], s[14:15], v[23:24], v[3:4]
	s_wait_alu 0xfffe
	s_cbranch_vccnz .LBB120_36
; %bb.35:                               ;   in Loop: Header=BB120_7 Depth=1
	v_add_co_u32 v25, vcc_lo, v19, v17
	s_wait_alu 0xfffd
	v_add_co_ci_u32_e64 v26, null, v20, v18, vcc_lo
	s_mov_b32 s3, 0
	global_load_b128 v[21:24], v[25:26], off
	s_wait_loadcnt 0x0
	v_mul_f64_e32 v[27:28], s[10:11], v[23:24]
	v_mul_f64_e32 v[23:24], s[8:9], v[23:24]
	s_delay_alu instid0(VALU_DEP_2) | instskip(NEXT) | instid1(VALU_DEP_2)
	v_fma_f64 v[27:28], s[8:9], v[21:22], -v[27:28]
	v_fma_f64 v[23:24], s[10:11], v[21:22], v[23:24]
	s_delay_alu instid0(VALU_DEP_2) | instskip(NEXT) | instid1(VALU_DEP_2)
	v_add_f64_e32 v[21:22], v[1:2], v[27:28]
	v_add_f64_e32 v[23:24], v[3:4], v[23:24]
	global_store_b128 v[25:26], v[21:24], off
.LBB120_36:                             ;   in Loop: Header=BB120_7 Depth=1
	s_wait_alu 0xfffe
	s_and_not1_b32 vcc_lo, exec_lo, s3
	s_wait_alu 0xfffe
	s_cbranch_vccnz .LBB120_6
; %bb.37:                               ;   in Loop: Header=BB120_7 Depth=1
	v_add_co_u32 v17, vcc_lo, v19, v17
	s_wait_alu 0xfffd
	v_add_co_ci_u32_e64 v18, null, v20, v18, vcc_lo
	global_store_b128 v[17:18], v[1:4], off
	s_branch .LBB120_6
.LBB120_38:
.LBB120_39:
	s_endpgm
	.section	.rodata,"a",@progbits
	.p2align	6, 0x0
	.amdhsa_kernel _ZL29rocblas_internal_gemmt_kernelIiLi16ELi32ELi8ELc84ELc78ELc76ELb0ELb0E19rocblas_complex_numIdEPKS1_S3_PS1_EviT_T9_T10_S5_lS7_S5_lS6_T11_S5_li
		.amdhsa_group_segment_fixed_size 8192
		.amdhsa_private_segment_fixed_size 0
		.amdhsa_kernarg_size 100
		.amdhsa_user_sgpr_count 2
		.amdhsa_user_sgpr_dispatch_ptr 0
		.amdhsa_user_sgpr_queue_ptr 0
		.amdhsa_user_sgpr_kernarg_segment_ptr 1
		.amdhsa_user_sgpr_dispatch_id 0
		.amdhsa_user_sgpr_private_segment_size 0
		.amdhsa_wavefront_size32 1
		.amdhsa_uses_dynamic_stack 0
		.amdhsa_enable_private_segment 0
		.amdhsa_system_sgpr_workgroup_id_x 1
		.amdhsa_system_sgpr_workgroup_id_y 1
		.amdhsa_system_sgpr_workgroup_id_z 1
		.amdhsa_system_sgpr_workgroup_info 0
		.amdhsa_system_vgpr_workitem_id 1
		.amdhsa_next_free_vgpr 65
		.amdhsa_next_free_sgpr 40
		.amdhsa_reserve_vcc 1
		.amdhsa_float_round_mode_32 0
		.amdhsa_float_round_mode_16_64 0
		.amdhsa_float_denorm_mode_32 3
		.amdhsa_float_denorm_mode_16_64 3
		.amdhsa_fp16_overflow 0
		.amdhsa_workgroup_processor_mode 1
		.amdhsa_memory_ordered 1
		.amdhsa_forward_progress 1
		.amdhsa_inst_pref_size 29
		.amdhsa_round_robin_scheduling 0
		.amdhsa_exception_fp_ieee_invalid_op 0
		.amdhsa_exception_fp_denorm_src 0
		.amdhsa_exception_fp_ieee_div_zero 0
		.amdhsa_exception_fp_ieee_overflow 0
		.amdhsa_exception_fp_ieee_underflow 0
		.amdhsa_exception_fp_ieee_inexact 0
		.amdhsa_exception_int_div_zero 0
	.end_amdhsa_kernel
	.section	.text._ZL29rocblas_internal_gemmt_kernelIiLi16ELi32ELi8ELc84ELc78ELc76ELb0ELb0E19rocblas_complex_numIdEPKS1_S3_PS1_EviT_T9_T10_S5_lS7_S5_lS6_T11_S5_li,"axG",@progbits,_ZL29rocblas_internal_gemmt_kernelIiLi16ELi32ELi8ELc84ELc78ELc76ELb0ELb0E19rocblas_complex_numIdEPKS1_S3_PS1_EviT_T9_T10_S5_lS7_S5_lS6_T11_S5_li,comdat
.Lfunc_end120:
	.size	_ZL29rocblas_internal_gemmt_kernelIiLi16ELi32ELi8ELc84ELc78ELc76ELb0ELb0E19rocblas_complex_numIdEPKS1_S3_PS1_EviT_T9_T10_S5_lS7_S5_lS6_T11_S5_li, .Lfunc_end120-_ZL29rocblas_internal_gemmt_kernelIiLi16ELi32ELi8ELc84ELc78ELc76ELb0ELb0E19rocblas_complex_numIdEPKS1_S3_PS1_EviT_T9_T10_S5_lS7_S5_lS6_T11_S5_li
                                        ; -- End function
	.set _ZL29rocblas_internal_gemmt_kernelIiLi16ELi32ELi8ELc84ELc78ELc76ELb0ELb0E19rocblas_complex_numIdEPKS1_S3_PS1_EviT_T9_T10_S5_lS7_S5_lS6_T11_S5_li.num_vgpr, 65
	.set _ZL29rocblas_internal_gemmt_kernelIiLi16ELi32ELi8ELc84ELc78ELc76ELb0ELb0E19rocblas_complex_numIdEPKS1_S3_PS1_EviT_T9_T10_S5_lS7_S5_lS6_T11_S5_li.num_agpr, 0
	.set _ZL29rocblas_internal_gemmt_kernelIiLi16ELi32ELi8ELc84ELc78ELc76ELb0ELb0E19rocblas_complex_numIdEPKS1_S3_PS1_EviT_T9_T10_S5_lS7_S5_lS6_T11_S5_li.numbered_sgpr, 40
	.set _ZL29rocblas_internal_gemmt_kernelIiLi16ELi32ELi8ELc84ELc78ELc76ELb0ELb0E19rocblas_complex_numIdEPKS1_S3_PS1_EviT_T9_T10_S5_lS7_S5_lS6_T11_S5_li.num_named_barrier, 0
	.set _ZL29rocblas_internal_gemmt_kernelIiLi16ELi32ELi8ELc84ELc78ELc76ELb0ELb0E19rocblas_complex_numIdEPKS1_S3_PS1_EviT_T9_T10_S5_lS7_S5_lS6_T11_S5_li.private_seg_size, 0
	.set _ZL29rocblas_internal_gemmt_kernelIiLi16ELi32ELi8ELc84ELc78ELc76ELb0ELb0E19rocblas_complex_numIdEPKS1_S3_PS1_EviT_T9_T10_S5_lS7_S5_lS6_T11_S5_li.uses_vcc, 1
	.set _ZL29rocblas_internal_gemmt_kernelIiLi16ELi32ELi8ELc84ELc78ELc76ELb0ELb0E19rocblas_complex_numIdEPKS1_S3_PS1_EviT_T9_T10_S5_lS7_S5_lS6_T11_S5_li.uses_flat_scratch, 0
	.set _ZL29rocblas_internal_gemmt_kernelIiLi16ELi32ELi8ELc84ELc78ELc76ELb0ELb0E19rocblas_complex_numIdEPKS1_S3_PS1_EviT_T9_T10_S5_lS7_S5_lS6_T11_S5_li.has_dyn_sized_stack, 0
	.set _ZL29rocblas_internal_gemmt_kernelIiLi16ELi32ELi8ELc84ELc78ELc76ELb0ELb0E19rocblas_complex_numIdEPKS1_S3_PS1_EviT_T9_T10_S5_lS7_S5_lS6_T11_S5_li.has_recursion, 0
	.set _ZL29rocblas_internal_gemmt_kernelIiLi16ELi32ELi8ELc84ELc78ELc76ELb0ELb0E19rocblas_complex_numIdEPKS1_S3_PS1_EviT_T9_T10_S5_lS7_S5_lS6_T11_S5_li.has_indirect_call, 0
	.section	.AMDGPU.csdata,"",@progbits
; Kernel info:
; codeLenInByte = 3688
; TotalNumSgprs: 42
; NumVgprs: 65
; ScratchSize: 0
; MemoryBound: 0
; FloatMode: 240
; IeeeMode: 1
; LDSByteSize: 8192 bytes/workgroup (compile time only)
; SGPRBlocks: 0
; VGPRBlocks: 8
; NumSGPRsForWavesPerEU: 42
; NumVGPRsForWavesPerEU: 65
; Occupancy: 16
; WaveLimiterHint : 0
; COMPUTE_PGM_RSRC2:SCRATCH_EN: 0
; COMPUTE_PGM_RSRC2:USER_SGPR: 2
; COMPUTE_PGM_RSRC2:TRAP_HANDLER: 0
; COMPUTE_PGM_RSRC2:TGID_X_EN: 1
; COMPUTE_PGM_RSRC2:TGID_Y_EN: 1
; COMPUTE_PGM_RSRC2:TGID_Z_EN: 1
; COMPUTE_PGM_RSRC2:TIDIG_COMP_CNT: 1
	.section	.text._ZL29rocblas_internal_gemmt_kernelIiLi16ELi32ELi8ELc84ELc84ELc76ELb0ELb0E19rocblas_complex_numIdEPKS1_S3_PS1_EviT_T9_T10_S5_lS7_S5_lS6_T11_S5_li,"axG",@progbits,_ZL29rocblas_internal_gemmt_kernelIiLi16ELi32ELi8ELc84ELc84ELc76ELb0ELb0E19rocblas_complex_numIdEPKS1_S3_PS1_EviT_T9_T10_S5_lS7_S5_lS6_T11_S5_li,comdat
	.globl	_ZL29rocblas_internal_gemmt_kernelIiLi16ELi32ELi8ELc84ELc84ELc76ELb0ELb0E19rocblas_complex_numIdEPKS1_S3_PS1_EviT_T9_T10_S5_lS7_S5_lS6_T11_S5_li ; -- Begin function _ZL29rocblas_internal_gemmt_kernelIiLi16ELi32ELi8ELc84ELc84ELc76ELb0ELb0E19rocblas_complex_numIdEPKS1_S3_PS1_EviT_T9_T10_S5_lS7_S5_lS6_T11_S5_li
	.p2align	8
	.type	_ZL29rocblas_internal_gemmt_kernelIiLi16ELi32ELi8ELc84ELc84ELc76ELb0ELb0E19rocblas_complex_numIdEPKS1_S3_PS1_EviT_T9_T10_S5_lS7_S5_lS6_T11_S5_li,@function
_ZL29rocblas_internal_gemmt_kernelIiLi16ELi32ELi8ELc84ELc84ELc76ELb0ELb0E19rocblas_complex_numIdEPKS1_S3_PS1_EviT_T9_T10_S5_lS7_S5_lS6_T11_S5_li: ; @_ZL29rocblas_internal_gemmt_kernelIiLi16ELi32ELi8ELc84ELc84ELc76ELb0ELb0E19rocblas_complex_numIdEPKS1_S3_PS1_EviT_T9_T10_S5_lS7_S5_lS6_T11_S5_li
; %bb.0:
	s_load_b128 s[16:19], s[0:1], 0x38
	s_wait_kmcnt 0x0
	s_load_b128 s[8:11], s[18:19], 0x0
	s_clause 0x1
	s_load_b128 s[4:7], s[0:1], 0x8
	s_load_b64 s[18:19], s[0:1], 0x0
	s_wait_kmcnt 0x0
	s_load_b128 s[12:15], s[4:5], 0x0
	v_cmp_eq_f64_e64 s2, s[8:9], 1.0
	v_cmp_eq_f64_e64 s33, s[10:11], 0
	s_and_b32 s2, s2, s33
	s_delay_alu instid0(SALU_CYCLE_1)
	s_and_not1_b32 vcc_lo, exec_lo, s2
	s_mov_b32 s2, -1
	s_cbranch_vccnz .LBB121_3
; %bb.1:
	s_cmp_lg_u32 s19, 0
	s_cbranch_scc0 .LBB121_38
; %bb.2:
	s_wait_kmcnt 0x0
	v_cmp_neq_f64_e64 s2, s[12:13], 0
	v_cmp_neq_f64_e64 s3, s[14:15], 0
	s_or_b32 s2, s2, s3
.LBB121_3:
	s_delay_alu instid0(SALU_CYCLE_1)
	s_and_b32 vcc_lo, exec_lo, s2
	s_cbranch_vccz .LBB121_39
; %bb.4:
	s_load_b32 s27, s[0:1], 0x60
	s_lshr_b32 s28, ttmp7, 16
	s_wait_kmcnt 0x0
	s_cmp_ge_u32 s28, s27
	s_cbranch_scc1 .LBB121_39
; %bb.5:
	v_cmp_neq_f64_e64 s4, s[12:13], 0
	v_cmp_neq_f64_e64 s5, s[14:15], 0
	;; [unrolled: 1-line block ×3, first 2 shown]
	v_and_b32_e32 v1, 0x3ff, v0
	v_bfe_u32 v2, v0, 10, 10
	s_clause 0x4
	s_load_b32 s37, s[0:1], 0x18
	s_load_b128 s[20:23], s[0:1], 0x20
	s_load_b32 s34, s[0:1], 0x30
	s_load_b96 s[24:26], s[0:1], 0x48
	s_load_b64 s[30:31], s[0:1], 0x58
	v_and_b32_e32 v37, 7, v0
	s_lshl_b32 s1, ttmp9, 5
	v_lshlrev_b32_e32 v38, 4, v1
	v_lshl_add_u32 v0, v2, 4, v1
	v_add_nc_u32_e32 v5, s1, v1
	s_lshl_b32 s0, ttmp7, 5
	v_lshlrev_b32_e32 v3, 4, v37
	s_wait_alu 0xfffe
	s_and_b32 s2, s0, 0x1fffe0
	v_and_b32_e32 v1, 31, v0
	v_lshrrev_b32_e32 v40, 5, v0
	v_lshrrev_b32_e32 v0, 3, v0
	v_add_nc_u32_e32 v4, s2, v2
	v_lshl_add_u32 v39, v2, 7, 0x1000
	v_or_b32_e32 v2, s1, v1
	v_add_nc_u32_e32 v7, 16, v5
	v_add_nc_u32_e32 v11, s2, v0
	v_lshlrev_b32_e32 v1, 4, v1
	v_lshl_or_b32 v0, v0, 7, v3
	v_cmp_gt_i32_e64 s2, s18, v2
	s_wait_kmcnt 0x0
	v_mad_co_i64_i32 v[2:3], null, s37, v2, 0
	v_cmp_le_i32_e32 vcc_lo, v4, v5
	v_cmp_gt_i32_e64 s0, s18, v5
	v_cmp_le_i32_e64 s1, v4, v7
	s_ashr_i32 s35, s34, 31
	v_lshl_or_b32 v41, v40, 9, v1
	v_add_nc_u32_e32 v42, 0x1000, v0
	v_mad_co_i64_i32 v[0:1], null, v4, s26, 0
	v_add_nc_u32_e32 v4, 16, v4
	v_lshlrev_b64_e32 v[2:3], 4, v[2:3]
	v_mad_co_i64_i32 v[9:10], null, s34, v37, 0
	s_or_b32 s38, s4, s5
	s_cmp_gt_i32 s19, 0
	v_cmp_gt_i32_e64 s3, s18, v11
	s_cselect_b32 s39, -1, 0
	s_xor_b32 s4, s33, -1
	v_lshlrev_b32_e32 v12, 4, v40
	s_or_b32 s33, s36, s4
	v_cmp_gt_i32_e64 s4, s18, v7
	s_and_b32 s18, vcc_lo, s0
	v_cmp_le_i32_e32 vcc_lo, v4, v5
	v_mad_co_i64_i32 v[15:16], null, v4, s26, 0
	s_and_b32 s36, s1, s4
	v_cmp_le_i32_e64 s1, v4, v7
	s_and_b32 s26, vcc_lo, s0
	v_add_co_u32 v4, vcc_lo, v2, v12
	s_delay_alu instid0(VALU_DEP_1) | instskip(SKIP_2) | instid1(VALU_DEP_4)
	v_add_co_ci_u32_e64 v12, null, 0, v3, vcc_lo
	v_lshlrev_b64_e32 v[2:3], 4, v[9:10]
	v_lshlrev_b32_e32 v11, 4, v11
	v_add_co_u32 v9, vcc_lo, s6, v4
	s_wait_alu 0xfffd
	v_add_co_ci_u32_e64 v10, null, s7, v12, vcc_lo
	s_delay_alu instid0(VALU_DEP_3) | instskip(SKIP_3) | instid1(VALU_DEP_3)
	v_add_co_u32 v2, vcc_lo, v2, v11
	s_wait_alu 0xfffd
	v_add_co_ci_u32_e64 v3, null, 0, v3, vcc_lo
	v_lshlrev_b64_e32 v[13:14], 4, v[0:1]
	v_add_co_u32 v11, vcc_lo, s22, v2
	v_lshlrev_b64_e32 v[15:16], 4, v[15:16]
	v_ashrrev_i32_e32 v6, 31, v5
	v_ashrrev_i32_e32 v8, 31, v7
	s_wait_alu 0xfffd
	v_add_co_ci_u32_e64 v12, null, s23, v3, vcc_lo
	v_mov_b32_e32 v0, 0
	s_mov_b32 s29, 0
	s_and_b32 s37, s1, s4
	s_lshl_b64 s[0:1], s[20:21], 4
	s_lshl_b64 s[4:5], s[16:17], 4
	s_and_b32 s16, s38, s39
	s_lshl_b64 s[6:7], s[34:35], 7
	s_xor_b32 s17, s2, -1
	s_xor_b32 s20, s3, -1
	s_branch .LBB121_7
.LBB121_6:                              ;   in Loop: Header=BB121_7 Depth=1
	s_wait_alu 0xfffe
	s_or_b32 exec_lo, exec_lo, s2
	s_add_co_i32 s28, s28, 0x10000
	s_wait_alu 0xfffe
	s_cmp_lt_u32 s28, s27
	s_cbranch_scc0 .LBB121_39
.LBB121_7:                              ; =>This Loop Header: Depth=1
                                        ;     Child Loop BB121_10 Depth 2
	v_mov_b32_e32 v33, 0
	v_mov_b32_e32 v29, 0
	;; [unrolled: 1-line block ×3, first 2 shown]
	v_dual_mov_b32 v23, 0 :: v_dual_mov_b32 v34, 0
	v_dual_mov_b32 v35, 0 :: v_dual_mov_b32 v30, 0
	;; [unrolled: 1-line block ×5, first 2 shown]
	v_mov_b32_e32 v32, 0
	v_mov_b32_e32 v28, 0
	;; [unrolled: 1-line block ×3, first 2 shown]
	s_and_not1_b32 vcc_lo, exec_lo, s16
	s_wait_alu 0xfffe
	s_cbranch_vccnz .LBB121_18
; %bb.8:                                ;   in Loop: Header=BB121_7 Depth=1
	v_mad_co_u64_u32 v[17:18], null, s0, s28, v[9:10]
	v_mad_co_u64_u32 v[19:20], null, s4, s28, v[11:12]
	v_mov_b32_e32 v21, 0
	v_mov_b32_e32 v23, 0
	;; [unrolled: 1-line block ×4, first 2 shown]
	v_dual_mov_b32 v1, v18 :: v_dual_mov_b32 v22, 0
	v_mov_b32_e32 v2, v20
	v_dual_mov_b32 v24, 0 :: v_dual_mov_b32 v27, 0
	v_dual_mov_b32 v26, 0 :: v_dual_mov_b32 v31, 0
	s_delay_alu instid0(VALU_DEP_3)
	v_mad_co_u64_u32 v[3:4], null, s1, s28, v[1:2]
	v_dual_mov_b32 v30, 0 :: v_dual_mov_b32 v35, 0
	v_dual_mov_b32 v33, 0 :: v_dual_mov_b32 v28, 0
	v_mov_b32_e32 v32, 0
	v_mov_b32_e32 v36, 0
	v_mad_co_u64_u32 v[1:2], null, s5, s28, v[2:3]
	v_mov_b32_e32 v34, 0
	v_mov_b32_e32 v18, v3
	s_mov_b32 s2, 0
	s_delay_alu instid0(VALU_DEP_3)
	v_mov_b32_e32 v20, v1
	s_branch .LBB121_10
.LBB121_9:                              ;   in Loop: Header=BB121_10 Depth=2
	s_wait_alu 0xfffe
	s_or_b32 exec_lo, exec_lo, s3
	s_wait_dscnt 0x0
	s_barrier_signal -1
	s_barrier_wait -1
	global_inv scope:SCOPE_SE
	ds_load_b128 v[1:4], v39
	ds_load_b128 v[43:46], v39 offset:16
	ds_load_b128 v[47:50], v39 offset:32
	;; [unrolled: 1-line block ×3, first 2 shown]
	ds_load_b128 v[55:58], v38
	v_add_co_u32 v17, vcc_lo, 0x80, v17
	s_wait_alu 0xfffd
	v_add_co_ci_u32_e64 v18, null, 0, v18, vcc_lo
	v_add_co_u32 v19, vcc_lo, v19, s6
	s_wait_alu 0xfffd
	v_add_co_ci_u32_e64 v20, null, s7, v20, vcc_lo
	s_add_co_i32 s2, s2, 8
	s_wait_alu 0xfffe
	s_cmp_lt_i32 s2, s19
	s_wait_dscnt 0x0
	v_mul_f64_e32 v[59:60], v[3:4], v[57:58]
	v_mul_f64_e32 v[61:62], v[1:2], v[57:58]
	s_delay_alu instid0(VALU_DEP_2) | instskip(NEXT) | instid1(VALU_DEP_2)
	v_fma_f64 v[59:60], v[1:2], v[55:56], -v[59:60]
	v_fma_f64 v[61:62], v[3:4], v[55:56], v[61:62]
	s_delay_alu instid0(VALU_DEP_2) | instskip(NEXT) | instid1(VALU_DEP_2)
	v_add_f64_e32 v[59:60], v[33:34], v[59:60]
	v_add_f64_e32 v[61:62], v[61:62], v[35:36]
	ds_load_b128 v[33:36], v38 offset:256
	s_wait_dscnt 0x0
	v_mul_f64_e32 v[63:64], v[3:4], v[35:36]
	s_delay_alu instid0(VALU_DEP_1) | instskip(SKIP_1) | instid1(VALU_DEP_2)
	v_fma_f64 v[63:64], v[1:2], v[33:34], -v[63:64]
	v_mul_f64_e32 v[1:2], v[1:2], v[35:36]
	v_add_f64_e32 v[29:30], v[29:30], v[63:64]
	s_delay_alu instid0(VALU_DEP_2) | instskip(NEXT) | instid1(VALU_DEP_1)
	v_fma_f64 v[1:2], v[3:4], v[33:34], v[1:2]
	v_add_f64_e32 v[31:32], v[1:2], v[31:32]
	ds_load_b128 v[1:4], v39 offset:2048
	s_wait_dscnt 0x0
	v_mul_f64_e32 v[63:64], v[3:4], v[57:58]
	v_mul_f64_e32 v[57:58], v[1:2], v[57:58]
	s_delay_alu instid0(VALU_DEP_2) | instskip(NEXT) | instid1(VALU_DEP_2)
	v_fma_f64 v[63:64], v[1:2], v[55:56], -v[63:64]
	v_fma_f64 v[55:56], v[3:4], v[55:56], v[57:58]
	s_delay_alu instid0(VALU_DEP_2) | instskip(SKIP_1) | instid1(VALU_DEP_3)
	v_add_f64_e32 v[57:58], v[25:26], v[63:64]
	v_mul_f64_e32 v[25:26], v[3:4], v[35:36]
	v_add_f64_e32 v[55:56], v[55:56], v[27:28]
	s_delay_alu instid0(VALU_DEP_2) | instskip(SKIP_1) | instid1(VALU_DEP_1)
	v_fma_f64 v[25:26], v[1:2], v[33:34], -v[25:26]
	v_mul_f64_e32 v[1:2], v[1:2], v[35:36]
	v_fma_f64 v[1:2], v[3:4], v[33:34], v[1:2]
	s_delay_alu instid0(VALU_DEP_3) | instskip(NEXT) | instid1(VALU_DEP_2)
	v_add_f64_e32 v[33:34], v[23:24], v[25:26]
	v_add_f64_e32 v[35:36], v[1:2], v[21:22]
	ds_load_b128 v[1:4], v38 offset:512
	s_wait_dscnt 0x0
	v_mul_f64_e32 v[21:22], v[45:46], v[3:4]
	v_mul_f64_e32 v[23:24], v[43:44], v[3:4]
	s_delay_alu instid0(VALU_DEP_2) | instskip(NEXT) | instid1(VALU_DEP_2)
	v_fma_f64 v[21:22], v[43:44], v[1:2], -v[21:22]
	v_fma_f64 v[23:24], v[45:46], v[1:2], v[23:24]
	s_delay_alu instid0(VALU_DEP_2) | instskip(NEXT) | instid1(VALU_DEP_2)
	v_add_f64_e32 v[59:60], v[59:60], v[21:22]
	v_add_f64_e32 v[61:62], v[23:24], v[61:62]
	ds_load_b128 v[21:24], v38 offset:768
	s_wait_dscnt 0x0
	v_mul_f64_e32 v[25:26], v[45:46], v[23:24]
	v_mul_f64_e32 v[27:28], v[43:44], v[23:24]
	s_delay_alu instid0(VALU_DEP_2) | instskip(NEXT) | instid1(VALU_DEP_2)
	v_fma_f64 v[25:26], v[43:44], v[21:22], -v[25:26]
	v_fma_f64 v[27:28], v[45:46], v[21:22], v[27:28]
	s_delay_alu instid0(VALU_DEP_2) | instskip(NEXT) | instid1(VALU_DEP_2)
	v_add_f64_e32 v[29:30], v[29:30], v[25:26]
	v_add_f64_e32 v[31:32], v[27:28], v[31:32]
	ds_load_b128 v[25:28], v39 offset:2064
	s_wait_dscnt 0x0
	v_mul_f64_e32 v[43:44], v[27:28], v[3:4]
	v_mul_f64_e32 v[3:4], v[25:26], v[3:4]
	s_delay_alu instid0(VALU_DEP_2) | instskip(NEXT) | instid1(VALU_DEP_2)
	v_fma_f64 v[43:44], v[25:26], v[1:2], -v[43:44]
	v_fma_f64 v[1:2], v[27:28], v[1:2], v[3:4]
	v_mul_f64_e32 v[3:4], v[25:26], v[23:24]
	s_delay_alu instid0(VALU_DEP_3) | instskip(NEXT) | instid1(VALU_DEP_3)
	v_add_f64_e32 v[43:44], v[57:58], v[43:44]
	v_add_f64_e32 v[45:46], v[1:2], v[55:56]
	v_mul_f64_e32 v[1:2], v[27:28], v[23:24]
	s_delay_alu instid0(VALU_DEP_4) | instskip(NEXT) | instid1(VALU_DEP_2)
	v_fma_f64 v[3:4], v[27:28], v[21:22], v[3:4]
	v_fma_f64 v[1:2], v[25:26], v[21:22], -v[1:2]
	s_delay_alu instid0(VALU_DEP_2) | instskip(NEXT) | instid1(VALU_DEP_2)
	v_add_f64_e32 v[35:36], v[3:4], v[35:36]
	v_add_f64_e32 v[33:34], v[33:34], v[1:2]
	ds_load_b128 v[1:4], v38 offset:1024
	s_wait_dscnt 0x0
	v_mul_f64_e32 v[21:22], v[49:50], v[3:4]
	v_mul_f64_e32 v[23:24], v[47:48], v[3:4]
	s_delay_alu instid0(VALU_DEP_2) | instskip(NEXT) | instid1(VALU_DEP_2)
	v_fma_f64 v[21:22], v[47:48], v[1:2], -v[21:22]
	v_fma_f64 v[23:24], v[49:50], v[1:2], v[23:24]
	s_delay_alu instid0(VALU_DEP_2) | instskip(NEXT) | instid1(VALU_DEP_2)
	v_add_f64_e32 v[55:56], v[59:60], v[21:22]
	v_add_f64_e32 v[57:58], v[23:24], v[61:62]
	ds_load_b128 v[21:24], v38 offset:1280
	s_wait_dscnt 0x0
	v_mul_f64_e32 v[25:26], v[49:50], v[23:24]
	v_mul_f64_e32 v[27:28], v[47:48], v[23:24]
	s_delay_alu instid0(VALU_DEP_2) | instskip(NEXT) | instid1(VALU_DEP_2)
	v_fma_f64 v[25:26], v[47:48], v[21:22], -v[25:26]
	v_fma_f64 v[27:28], v[49:50], v[21:22], v[27:28]
	s_delay_alu instid0(VALU_DEP_2) | instskip(NEXT) | instid1(VALU_DEP_2)
	v_add_f64_e32 v[29:30], v[29:30], v[25:26]
	v_add_f64_e32 v[31:32], v[27:28], v[31:32]
	ds_load_b128 v[25:28], v39 offset:2080
	s_wait_dscnt 0x0
	v_mul_f64_e32 v[47:48], v[27:28], v[3:4]
	v_mul_f64_e32 v[3:4], v[25:26], v[3:4]
	s_delay_alu instid0(VALU_DEP_2) | instskip(NEXT) | instid1(VALU_DEP_2)
	v_fma_f64 v[47:48], v[25:26], v[1:2], -v[47:48]
	v_fma_f64 v[1:2], v[27:28], v[1:2], v[3:4]
	v_mul_f64_e32 v[3:4], v[25:26], v[23:24]
	s_delay_alu instid0(VALU_DEP_3) | instskip(NEXT) | instid1(VALU_DEP_3)
	v_add_f64_e32 v[43:44], v[43:44], v[47:48]
	v_add_f64_e32 v[45:46], v[1:2], v[45:46]
	v_mul_f64_e32 v[1:2], v[27:28], v[23:24]
	s_delay_alu instid0(VALU_DEP_4) | instskip(NEXT) | instid1(VALU_DEP_2)
	v_fma_f64 v[3:4], v[27:28], v[21:22], v[3:4]
	v_fma_f64 v[1:2], v[25:26], v[21:22], -v[1:2]
	s_delay_alu instid0(VALU_DEP_2) | instskip(NEXT) | instid1(VALU_DEP_2)
	;; [unrolled: 38-line block ×3, first 2 shown]
	v_add_f64_e32 v[35:36], v[3:4], v[35:36]
	v_add_f64_e32 v[33:34], v[33:34], v[1:2]
	ds_load_b128 v[1:4], v39 offset:64
	ds_load_b128 v[21:24], v38 offset:2048
	s_wait_dscnt 0x0
	v_mul_f64_e32 v[25:26], v[3:4], v[23:24]
	v_mul_f64_e32 v[27:28], v[1:2], v[23:24]
	s_delay_alu instid0(VALU_DEP_2) | instskip(NEXT) | instid1(VALU_DEP_2)
	v_fma_f64 v[25:26], v[1:2], v[21:22], -v[25:26]
	v_fma_f64 v[27:28], v[3:4], v[21:22], v[27:28]
	s_delay_alu instid0(VALU_DEP_2) | instskip(NEXT) | instid1(VALU_DEP_2)
	v_add_f64_e32 v[47:48], v[47:48], v[25:26]
	v_add_f64_e32 v[49:50], v[27:28], v[49:50]
	ds_load_b128 v[25:28], v38 offset:2304
	s_wait_dscnt 0x0
	v_mul_f64_e32 v[51:52], v[3:4], v[27:28]
	s_delay_alu instid0(VALU_DEP_1) | instskip(SKIP_1) | instid1(VALU_DEP_2)
	v_fma_f64 v[51:52], v[1:2], v[25:26], -v[51:52]
	v_mul_f64_e32 v[1:2], v[1:2], v[27:28]
	v_add_f64_e32 v[29:30], v[29:30], v[51:52]
	s_delay_alu instid0(VALU_DEP_2) | instskip(NEXT) | instid1(VALU_DEP_1)
	v_fma_f64 v[1:2], v[3:4], v[25:26], v[1:2]
	v_add_f64_e32 v[31:32], v[1:2], v[31:32]
	ds_load_b128 v[1:4], v39 offset:2112
	s_wait_dscnt 0x0
	v_mul_f64_e32 v[51:52], v[3:4], v[23:24]
	v_mul_f64_e32 v[23:24], v[1:2], v[23:24]
	s_delay_alu instid0(VALU_DEP_2) | instskip(NEXT) | instid1(VALU_DEP_2)
	v_fma_f64 v[51:52], v[1:2], v[21:22], -v[51:52]
	v_fma_f64 v[21:22], v[3:4], v[21:22], v[23:24]
	s_delay_alu instid0(VALU_DEP_2) | instskip(NEXT) | instid1(VALU_DEP_2)
	v_add_f64_e32 v[43:44], v[43:44], v[51:52]
	v_add_f64_e32 v[45:46], v[21:22], v[45:46]
	v_mul_f64_e32 v[21:22], v[3:4], v[27:28]
	s_delay_alu instid0(VALU_DEP_1) | instskip(SKIP_1) | instid1(VALU_DEP_2)
	v_fma_f64 v[21:22], v[1:2], v[25:26], -v[21:22]
	v_mul_f64_e32 v[1:2], v[1:2], v[27:28]
	v_add_f64_e32 v[33:34], v[33:34], v[21:22]
	s_delay_alu instid0(VALU_DEP_2) | instskip(NEXT) | instid1(VALU_DEP_1)
	v_fma_f64 v[1:2], v[3:4], v[25:26], v[1:2]
	v_add_f64_e32 v[35:36], v[1:2], v[35:36]
	ds_load_b128 v[1:4], v39 offset:80
	ds_load_b128 v[21:24], v38 offset:2560
	s_wait_dscnt 0x0
	v_mul_f64_e32 v[25:26], v[3:4], v[23:24]
	v_mul_f64_e32 v[27:28], v[1:2], v[23:24]
	s_delay_alu instid0(VALU_DEP_2) | instskip(NEXT) | instid1(VALU_DEP_2)
	v_fma_f64 v[25:26], v[1:2], v[21:22], -v[25:26]
	v_fma_f64 v[27:28], v[3:4], v[21:22], v[27:28]
	s_delay_alu instid0(VALU_DEP_2) | instskip(NEXT) | instid1(VALU_DEP_2)
	v_add_f64_e32 v[47:48], v[47:48], v[25:26]
	v_add_f64_e32 v[49:50], v[27:28], v[49:50]
	ds_load_b128 v[25:28], v38 offset:2816
	s_wait_dscnt 0x0
	v_mul_f64_e32 v[51:52], v[3:4], v[27:28]
	s_delay_alu instid0(VALU_DEP_1) | instskip(SKIP_1) | instid1(VALU_DEP_2)
	v_fma_f64 v[51:52], v[1:2], v[25:26], -v[51:52]
	v_mul_f64_e32 v[1:2], v[1:2], v[27:28]
	v_add_f64_e32 v[29:30], v[29:30], v[51:52]
	s_delay_alu instid0(VALU_DEP_2) | instskip(NEXT) | instid1(VALU_DEP_1)
	v_fma_f64 v[1:2], v[3:4], v[25:26], v[1:2]
	v_add_f64_e32 v[31:32], v[1:2], v[31:32]
	ds_load_b128 v[1:4], v39 offset:2128
	s_wait_dscnt 0x0
	v_mul_f64_e32 v[51:52], v[3:4], v[23:24]
	v_mul_f64_e32 v[23:24], v[1:2], v[23:24]
	s_delay_alu instid0(VALU_DEP_2) | instskip(NEXT) | instid1(VALU_DEP_2)
	v_fma_f64 v[51:52], v[1:2], v[21:22], -v[51:52]
	v_fma_f64 v[21:22], v[3:4], v[21:22], v[23:24]
	s_delay_alu instid0(VALU_DEP_2) | instskip(NEXT) | instid1(VALU_DEP_2)
	v_add_f64_e32 v[43:44], v[43:44], v[51:52]
	v_add_f64_e32 v[45:46], v[21:22], v[45:46]
	v_mul_f64_e32 v[21:22], v[3:4], v[27:28]
	s_delay_alu instid0(VALU_DEP_1) | instskip(SKIP_1) | instid1(VALU_DEP_2)
	v_fma_f64 v[21:22], v[1:2], v[25:26], -v[21:22]
	v_mul_f64_e32 v[1:2], v[1:2], v[27:28]
	v_add_f64_e32 v[33:34], v[33:34], v[21:22]
	s_delay_alu instid0(VALU_DEP_2) | instskip(NEXT) | instid1(VALU_DEP_1)
	v_fma_f64 v[1:2], v[3:4], v[25:26], v[1:2]
	;; [unrolled: 39-line block ×3, first 2 shown]
	v_add_f64_e32 v[57:58], v[1:2], v[35:36]
	ds_load_b128 v[1:4], v39 offset:112
	ds_load_b128 v[21:24], v38 offset:3584
	;; [unrolled: 1-line block ×3, first 2 shown]
	s_wait_dscnt 0x1
	v_mul_f64_e32 v[25:26], v[3:4], v[23:24]
	v_mul_f64_e32 v[27:28], v[1:2], v[23:24]
	s_delay_alu instid0(VALU_DEP_2) | instskip(NEXT) | instid1(VALU_DEP_2)
	v_fma_f64 v[25:26], v[1:2], v[21:22], -v[25:26]
	v_fma_f64 v[27:28], v[3:4], v[21:22], v[27:28]
	s_delay_alu instid0(VALU_DEP_2) | instskip(SKIP_2) | instid1(VALU_DEP_3)
	v_add_f64_e32 v[33:34], v[47:48], v[25:26]
	s_wait_dscnt 0x0
	v_mul_f64_e32 v[25:26], v[3:4], v[45:46]
	v_add_f64_e32 v[35:36], v[27:28], v[49:50]
	s_delay_alu instid0(VALU_DEP_2) | instskip(SKIP_1) | instid1(VALU_DEP_2)
	v_fma_f64 v[25:26], v[1:2], v[43:44], -v[25:26]
	v_mul_f64_e32 v[1:2], v[1:2], v[45:46]
	v_add_f64_e32 v[29:30], v[29:30], v[25:26]
	s_delay_alu instid0(VALU_DEP_2) | instskip(NEXT) | instid1(VALU_DEP_1)
	v_fma_f64 v[1:2], v[3:4], v[43:44], v[1:2]
	v_add_f64_e32 v[31:32], v[1:2], v[31:32]
	ds_load_b128 v[1:4], v39 offset:2160
	s_wait_loadcnt_dscnt 0x0
	s_barrier_signal -1
	s_barrier_wait -1
	global_inv scope:SCOPE_SE
	v_mul_f64_e32 v[25:26], v[3:4], v[23:24]
	v_mul_f64_e32 v[23:24], v[1:2], v[23:24]
	s_delay_alu instid0(VALU_DEP_2) | instskip(NEXT) | instid1(VALU_DEP_2)
	v_fma_f64 v[25:26], v[1:2], v[21:22], -v[25:26]
	v_fma_f64 v[21:22], v[3:4], v[21:22], v[23:24]
	s_delay_alu instid0(VALU_DEP_2) | instskip(NEXT) | instid1(VALU_DEP_2)
	v_add_f64_e32 v[25:26], v[51:52], v[25:26]
	v_add_f64_e32 v[27:28], v[21:22], v[53:54]
	v_mul_f64_e32 v[21:22], v[3:4], v[45:46]
	s_delay_alu instid0(VALU_DEP_1) | instskip(SKIP_1) | instid1(VALU_DEP_2)
	v_fma_f64 v[21:22], v[1:2], v[43:44], -v[21:22]
	v_mul_f64_e32 v[1:2], v[1:2], v[45:46]
	v_add_f64_e32 v[23:24], v[55:56], v[21:22]
	s_delay_alu instid0(VALU_DEP_2) | instskip(NEXT) | instid1(VALU_DEP_1)
	v_fma_f64 v[1:2], v[3:4], v[43:44], v[1:2]
	v_add_f64_e32 v[21:22], v[1:2], v[57:58]
	s_cbranch_scc0 .LBB121_18
.LBB121_10:                             ;   Parent Loop BB121_7 Depth=1
                                        ; =>  This Inner Loop Header: Depth=2
	s_wait_alu 0xfffe
	v_add_nc_u32_e32 v1, s2, v40
	s_delay_alu instid0(VALU_DEP_1) | instskip(SKIP_3) | instid1(SALU_CYCLE_1)
	v_cmp_le_i32_e32 vcc_lo, s19, v1
	s_or_b32 s3, s17, vcc_lo
	s_wait_alu 0xfffe
	s_and_saveexec_b32 s21, s3
	s_xor_b32 s3, exec_lo, s21
; %bb.11:                               ;   in Loop: Header=BB121_10 Depth=2
	v_dual_mov_b32 v1, v0 :: v_dual_mov_b32 v2, v0
	v_mov_b32_e32 v3, v0
	ds_store_b128 v41, v[0:3]
; %bb.12:                               ;   in Loop: Header=BB121_10 Depth=2
	s_wait_alu 0xfffe
	s_and_not1_saveexec_b32 s3, s3
	s_cbranch_execz .LBB121_14
; %bb.13:                               ;   in Loop: Header=BB121_10 Depth=2
	global_load_b128 v[1:4], v[17:18], off
	s_wait_loadcnt 0x0
	ds_store_2addr_b64 v41, v[1:2], v[3:4] offset1:1
.LBB121_14:                             ;   in Loop: Header=BB121_10 Depth=2
	s_wait_alu 0xfffe
	s_or_b32 exec_lo, exec_lo, s3
	v_add_nc_u32_e32 v1, s2, v37
	s_delay_alu instid0(VALU_DEP_1) | instskip(SKIP_3) | instid1(SALU_CYCLE_1)
	v_cmp_le_i32_e32 vcc_lo, s19, v1
	s_or_b32 s3, vcc_lo, s20
	s_wait_alu 0xfffe
	s_and_saveexec_b32 s21, s3
	s_xor_b32 s3, exec_lo, s21
; %bb.15:                               ;   in Loop: Header=BB121_10 Depth=2
	v_dual_mov_b32 v1, v0 :: v_dual_mov_b32 v2, v0
	v_mov_b32_e32 v3, v0
	ds_store_b128 v42, v[0:3]
; %bb.16:                               ;   in Loop: Header=BB121_10 Depth=2
	s_wait_alu 0xfffe
	s_and_not1_saveexec_b32 s3, s3
	s_cbranch_execz .LBB121_9
; %bb.17:                               ;   in Loop: Header=BB121_10 Depth=2
	global_load_b128 v[1:4], v[19:20], off
	s_wait_loadcnt 0x0
	ds_store_2addr_b64 v42, v[1:2], v[3:4] offset1:1
	s_branch .LBB121_9
.LBB121_18:                             ;   in Loop: Header=BB121_7 Depth=1
	s_mul_u64 s[2:3], s[30:31], s[28:29]
	s_wait_alu 0xfffe
	s_lshl_b64 s[2:3], s[2:3], 4
	s_wait_alu 0xfffe
	s_add_nc_u64 s[2:3], s[24:25], s[2:3]
	s_wait_alu 0xfffe
	v_add_co_u32 v17, vcc_lo, s2, v13
	s_wait_alu 0xfffd
	v_add_co_ci_u32_e64 v18, null, s3, v14, vcc_lo
	s_and_saveexec_b32 s21, s18
	s_cbranch_execz .LBB121_23
; %bb.19:                               ;   in Loop: Header=BB121_7 Depth=1
	v_mul_f64_e32 v[1:2], s[14:15], v[35:36]
	v_mul_f64_e32 v[3:4], s[12:13], v[35:36]
	s_and_b32 vcc_lo, exec_lo, s33
	s_mov_b32 s22, -1
	s_delay_alu instid0(VALU_DEP_2) | instskip(NEXT) | instid1(VALU_DEP_2)
	v_fma_f64 v[1:2], s[12:13], v[33:34], -v[1:2]
	v_fma_f64 v[3:4], s[14:15], v[33:34], v[3:4]
	s_wait_alu 0xfffe
	s_cbranch_vccz .LBB121_21
; %bb.20:                               ;   in Loop: Header=BB121_7 Depth=1
	v_lshlrev_b64_e32 v[19:20], 4, v[5:6]
	s_mov_b32 s22, 0
	s_delay_alu instid0(VALU_DEP_1) | instskip(SKIP_1) | instid1(VALU_DEP_2)
	v_add_co_u32 v19, vcc_lo, v17, v19
	s_wait_alu 0xfffd
	v_add_co_ci_u32_e64 v20, null, v18, v20, vcc_lo
	global_load_b128 v[33:36], v[19:20], off
	s_wait_loadcnt 0x0
	v_mul_f64_e32 v[43:44], s[10:11], v[35:36]
	v_mul_f64_e32 v[35:36], s[8:9], v[35:36]
	s_delay_alu instid0(VALU_DEP_2) | instskip(NEXT) | instid1(VALU_DEP_2)
	v_fma_f64 v[43:44], s[8:9], v[33:34], -v[43:44]
	v_fma_f64 v[35:36], s[10:11], v[33:34], v[35:36]
	s_delay_alu instid0(VALU_DEP_2) | instskip(NEXT) | instid1(VALU_DEP_2)
	v_add_f64_e32 v[33:34], v[1:2], v[43:44]
	v_add_f64_e32 v[35:36], v[3:4], v[35:36]
	global_store_b128 v[19:20], v[33:36], off
.LBB121_21:                             ;   in Loop: Header=BB121_7 Depth=1
	s_wait_alu 0xfffe
	s_and_not1_b32 vcc_lo, exec_lo, s22
	s_wait_alu 0xfffe
	s_cbranch_vccnz .LBB121_23
; %bb.22:                               ;   in Loop: Header=BB121_7 Depth=1
	v_lshlrev_b64_e32 v[19:20], 4, v[5:6]
	s_delay_alu instid0(VALU_DEP_1) | instskip(SKIP_1) | instid1(VALU_DEP_2)
	v_add_co_u32 v19, vcc_lo, v17, v19
	s_wait_alu 0xfffd
	v_add_co_ci_u32_e64 v20, null, v18, v20, vcc_lo
	global_store_b128 v[19:20], v[1:4], off
.LBB121_23:                             ;   in Loop: Header=BB121_7 Depth=1
	s_or_b32 exec_lo, exec_lo, s21
	s_and_saveexec_b32 s21, s36
	s_cbranch_execz .LBB121_28
; %bb.24:                               ;   in Loop: Header=BB121_7 Depth=1
	v_mul_f64_e32 v[1:2], s[14:15], v[31:32]
	v_mul_f64_e32 v[3:4], s[12:13], v[31:32]
	s_and_not1_b32 vcc_lo, exec_lo, s33
	s_mov_b32 s22, -1
	s_delay_alu instid0(VALU_DEP_2) | instskip(NEXT) | instid1(VALU_DEP_2)
	v_fma_f64 v[1:2], s[12:13], v[29:30], -v[1:2]
	v_fma_f64 v[3:4], s[14:15], v[29:30], v[3:4]
	s_wait_alu 0xfffe
	s_cbranch_vccnz .LBB121_26
; %bb.25:                               ;   in Loop: Header=BB121_7 Depth=1
	v_lshlrev_b64_e32 v[19:20], 4, v[7:8]
	s_mov_b32 s22, 0
	s_delay_alu instid0(VALU_DEP_1) | instskip(SKIP_1) | instid1(VALU_DEP_2)
	v_add_co_u32 v19, vcc_lo, v17, v19
	s_wait_alu 0xfffd
	v_add_co_ci_u32_e64 v20, null, v18, v20, vcc_lo
	global_load_b128 v[29:32], v[19:20], off
	s_wait_loadcnt 0x0
	v_mul_f64_e32 v[33:34], s[10:11], v[31:32]
	v_mul_f64_e32 v[31:32], s[8:9], v[31:32]
	s_delay_alu instid0(VALU_DEP_2) | instskip(NEXT) | instid1(VALU_DEP_2)
	v_fma_f64 v[33:34], s[8:9], v[29:30], -v[33:34]
	v_fma_f64 v[31:32], s[10:11], v[29:30], v[31:32]
	s_delay_alu instid0(VALU_DEP_2) | instskip(NEXT) | instid1(VALU_DEP_2)
	v_add_f64_e32 v[29:30], v[1:2], v[33:34]
	v_add_f64_e32 v[31:32], v[3:4], v[31:32]
	global_store_b128 v[19:20], v[29:32], off
.LBB121_26:                             ;   in Loop: Header=BB121_7 Depth=1
	s_wait_alu 0xfffe
	s_and_not1_b32 vcc_lo, exec_lo, s22
	s_wait_alu 0xfffe
	s_cbranch_vccnz .LBB121_28
; %bb.27:                               ;   in Loop: Header=BB121_7 Depth=1
	v_lshlrev_b64_e32 v[19:20], 4, v[7:8]
	s_delay_alu instid0(VALU_DEP_1) | instskip(SKIP_1) | instid1(VALU_DEP_2)
	v_add_co_u32 v17, vcc_lo, v17, v19
	s_wait_alu 0xfffd
	v_add_co_ci_u32_e64 v18, null, v18, v20, vcc_lo
	global_store_b128 v[17:18], v[1:4], off
.LBB121_28:                             ;   in Loop: Header=BB121_7 Depth=1
	s_or_b32 exec_lo, exec_lo, s21
	v_add_co_u32 v19, vcc_lo, s2, v15
	s_wait_alu 0xfffd
	v_add_co_ci_u32_e64 v20, null, s3, v16, vcc_lo
	s_and_saveexec_b32 s2, s26
	s_cbranch_execz .LBB121_33
; %bb.29:                               ;   in Loop: Header=BB121_7 Depth=1
	v_mul_f64_e32 v[1:2], s[14:15], v[27:28]
	v_mul_f64_e32 v[3:4], s[12:13], v[27:28]
	v_lshlrev_b64_e32 v[17:18], 4, v[5:6]
	s_and_not1_b32 vcc_lo, exec_lo, s33
	s_mov_b32 s3, -1
	s_delay_alu instid0(VALU_DEP_3) | instskip(NEXT) | instid1(VALU_DEP_3)
	v_fma_f64 v[1:2], s[12:13], v[25:26], -v[1:2]
	v_fma_f64 v[3:4], s[14:15], v[25:26], v[3:4]
	s_wait_alu 0xfffe
	s_cbranch_vccnz .LBB121_31
; %bb.30:                               ;   in Loop: Header=BB121_7 Depth=1
	v_add_co_u32 v29, vcc_lo, v19, v17
	s_wait_alu 0xfffd
	v_add_co_ci_u32_e64 v30, null, v20, v18, vcc_lo
	s_mov_b32 s3, 0
	global_load_b128 v[25:28], v[29:30], off
	s_wait_loadcnt 0x0
	v_mul_f64_e32 v[31:32], s[10:11], v[27:28]
	v_mul_f64_e32 v[27:28], s[8:9], v[27:28]
	s_delay_alu instid0(VALU_DEP_2) | instskip(NEXT) | instid1(VALU_DEP_2)
	v_fma_f64 v[31:32], s[8:9], v[25:26], -v[31:32]
	v_fma_f64 v[27:28], s[10:11], v[25:26], v[27:28]
	s_delay_alu instid0(VALU_DEP_2) | instskip(NEXT) | instid1(VALU_DEP_2)
	v_add_f64_e32 v[25:26], v[1:2], v[31:32]
	v_add_f64_e32 v[27:28], v[3:4], v[27:28]
	global_store_b128 v[29:30], v[25:28], off
.LBB121_31:                             ;   in Loop: Header=BB121_7 Depth=1
	s_wait_alu 0xfffe
	s_and_not1_b32 vcc_lo, exec_lo, s3
	s_wait_alu 0xfffe
	s_cbranch_vccnz .LBB121_33
; %bb.32:                               ;   in Loop: Header=BB121_7 Depth=1
	v_add_co_u32 v17, vcc_lo, v19, v17
	s_wait_alu 0xfffd
	v_add_co_ci_u32_e64 v18, null, v20, v18, vcc_lo
	global_store_b128 v[17:18], v[1:4], off
.LBB121_33:                             ;   in Loop: Header=BB121_7 Depth=1
	s_wait_alu 0xfffe
	s_or_b32 exec_lo, exec_lo, s2
	s_and_saveexec_b32 s2, s37
	s_cbranch_execz .LBB121_6
; %bb.34:                               ;   in Loop: Header=BB121_7 Depth=1
	v_mul_f64_e32 v[1:2], s[14:15], v[21:22]
	v_mul_f64_e32 v[3:4], s[12:13], v[21:22]
	v_lshlrev_b64_e32 v[17:18], 4, v[7:8]
	s_and_not1_b32 vcc_lo, exec_lo, s33
	s_mov_b32 s3, -1
	s_delay_alu instid0(VALU_DEP_3) | instskip(NEXT) | instid1(VALU_DEP_3)
	v_fma_f64 v[1:2], s[12:13], v[23:24], -v[1:2]
	v_fma_f64 v[3:4], s[14:15], v[23:24], v[3:4]
	s_wait_alu 0xfffe
	s_cbranch_vccnz .LBB121_36
; %bb.35:                               ;   in Loop: Header=BB121_7 Depth=1
	v_add_co_u32 v25, vcc_lo, v19, v17
	s_wait_alu 0xfffd
	v_add_co_ci_u32_e64 v26, null, v20, v18, vcc_lo
	s_mov_b32 s3, 0
	global_load_b128 v[21:24], v[25:26], off
	s_wait_loadcnt 0x0
	v_mul_f64_e32 v[27:28], s[10:11], v[23:24]
	v_mul_f64_e32 v[23:24], s[8:9], v[23:24]
	s_delay_alu instid0(VALU_DEP_2) | instskip(NEXT) | instid1(VALU_DEP_2)
	v_fma_f64 v[27:28], s[8:9], v[21:22], -v[27:28]
	v_fma_f64 v[23:24], s[10:11], v[21:22], v[23:24]
	s_delay_alu instid0(VALU_DEP_2) | instskip(NEXT) | instid1(VALU_DEP_2)
	v_add_f64_e32 v[21:22], v[1:2], v[27:28]
	v_add_f64_e32 v[23:24], v[3:4], v[23:24]
	global_store_b128 v[25:26], v[21:24], off
.LBB121_36:                             ;   in Loop: Header=BB121_7 Depth=1
	s_wait_alu 0xfffe
	s_and_not1_b32 vcc_lo, exec_lo, s3
	s_wait_alu 0xfffe
	s_cbranch_vccnz .LBB121_6
; %bb.37:                               ;   in Loop: Header=BB121_7 Depth=1
	v_add_co_u32 v17, vcc_lo, v19, v17
	s_wait_alu 0xfffd
	v_add_co_ci_u32_e64 v18, null, v20, v18, vcc_lo
	global_store_b128 v[17:18], v[1:4], off
	s_branch .LBB121_6
.LBB121_38:
.LBB121_39:
	s_endpgm
	.section	.rodata,"a",@progbits
	.p2align	6, 0x0
	.amdhsa_kernel _ZL29rocblas_internal_gemmt_kernelIiLi16ELi32ELi8ELc84ELc84ELc76ELb0ELb0E19rocblas_complex_numIdEPKS1_S3_PS1_EviT_T9_T10_S5_lS7_S5_lS6_T11_S5_li
		.amdhsa_group_segment_fixed_size 8192
		.amdhsa_private_segment_fixed_size 0
		.amdhsa_kernarg_size 100
		.amdhsa_user_sgpr_count 2
		.amdhsa_user_sgpr_dispatch_ptr 0
		.amdhsa_user_sgpr_queue_ptr 0
		.amdhsa_user_sgpr_kernarg_segment_ptr 1
		.amdhsa_user_sgpr_dispatch_id 0
		.amdhsa_user_sgpr_private_segment_size 0
		.amdhsa_wavefront_size32 1
		.amdhsa_uses_dynamic_stack 0
		.amdhsa_enable_private_segment 0
		.amdhsa_system_sgpr_workgroup_id_x 1
		.amdhsa_system_sgpr_workgroup_id_y 1
		.amdhsa_system_sgpr_workgroup_id_z 1
		.amdhsa_system_sgpr_workgroup_info 0
		.amdhsa_system_vgpr_workitem_id 1
		.amdhsa_next_free_vgpr 65
		.amdhsa_next_free_sgpr 40
		.amdhsa_reserve_vcc 1
		.amdhsa_float_round_mode_32 0
		.amdhsa_float_round_mode_16_64 0
		.amdhsa_float_denorm_mode_32 3
		.amdhsa_float_denorm_mode_16_64 3
		.amdhsa_fp16_overflow 0
		.amdhsa_workgroup_processor_mode 1
		.amdhsa_memory_ordered 1
		.amdhsa_forward_progress 1
		.amdhsa_inst_pref_size 29
		.amdhsa_round_robin_scheduling 0
		.amdhsa_exception_fp_ieee_invalid_op 0
		.amdhsa_exception_fp_denorm_src 0
		.amdhsa_exception_fp_ieee_div_zero 0
		.amdhsa_exception_fp_ieee_overflow 0
		.amdhsa_exception_fp_ieee_underflow 0
		.amdhsa_exception_fp_ieee_inexact 0
		.amdhsa_exception_int_div_zero 0
	.end_amdhsa_kernel
	.section	.text._ZL29rocblas_internal_gemmt_kernelIiLi16ELi32ELi8ELc84ELc84ELc76ELb0ELb0E19rocblas_complex_numIdEPKS1_S3_PS1_EviT_T9_T10_S5_lS7_S5_lS6_T11_S5_li,"axG",@progbits,_ZL29rocblas_internal_gemmt_kernelIiLi16ELi32ELi8ELc84ELc84ELc76ELb0ELb0E19rocblas_complex_numIdEPKS1_S3_PS1_EviT_T9_T10_S5_lS7_S5_lS6_T11_S5_li,comdat
.Lfunc_end121:
	.size	_ZL29rocblas_internal_gemmt_kernelIiLi16ELi32ELi8ELc84ELc84ELc76ELb0ELb0E19rocblas_complex_numIdEPKS1_S3_PS1_EviT_T9_T10_S5_lS7_S5_lS6_T11_S5_li, .Lfunc_end121-_ZL29rocblas_internal_gemmt_kernelIiLi16ELi32ELi8ELc84ELc84ELc76ELb0ELb0E19rocblas_complex_numIdEPKS1_S3_PS1_EviT_T9_T10_S5_lS7_S5_lS6_T11_S5_li
                                        ; -- End function
	.set _ZL29rocblas_internal_gemmt_kernelIiLi16ELi32ELi8ELc84ELc84ELc76ELb0ELb0E19rocblas_complex_numIdEPKS1_S3_PS1_EviT_T9_T10_S5_lS7_S5_lS6_T11_S5_li.num_vgpr, 65
	.set _ZL29rocblas_internal_gemmt_kernelIiLi16ELi32ELi8ELc84ELc84ELc76ELb0ELb0E19rocblas_complex_numIdEPKS1_S3_PS1_EviT_T9_T10_S5_lS7_S5_lS6_T11_S5_li.num_agpr, 0
	.set _ZL29rocblas_internal_gemmt_kernelIiLi16ELi32ELi8ELc84ELc84ELc76ELb0ELb0E19rocblas_complex_numIdEPKS1_S3_PS1_EviT_T9_T10_S5_lS7_S5_lS6_T11_S5_li.numbered_sgpr, 40
	.set _ZL29rocblas_internal_gemmt_kernelIiLi16ELi32ELi8ELc84ELc84ELc76ELb0ELb0E19rocblas_complex_numIdEPKS1_S3_PS1_EviT_T9_T10_S5_lS7_S5_lS6_T11_S5_li.num_named_barrier, 0
	.set _ZL29rocblas_internal_gemmt_kernelIiLi16ELi32ELi8ELc84ELc84ELc76ELb0ELb0E19rocblas_complex_numIdEPKS1_S3_PS1_EviT_T9_T10_S5_lS7_S5_lS6_T11_S5_li.private_seg_size, 0
	.set _ZL29rocblas_internal_gemmt_kernelIiLi16ELi32ELi8ELc84ELc84ELc76ELb0ELb0E19rocblas_complex_numIdEPKS1_S3_PS1_EviT_T9_T10_S5_lS7_S5_lS6_T11_S5_li.uses_vcc, 1
	.set _ZL29rocblas_internal_gemmt_kernelIiLi16ELi32ELi8ELc84ELc84ELc76ELb0ELb0E19rocblas_complex_numIdEPKS1_S3_PS1_EviT_T9_T10_S5_lS7_S5_lS6_T11_S5_li.uses_flat_scratch, 0
	.set _ZL29rocblas_internal_gemmt_kernelIiLi16ELi32ELi8ELc84ELc84ELc76ELb0ELb0E19rocblas_complex_numIdEPKS1_S3_PS1_EviT_T9_T10_S5_lS7_S5_lS6_T11_S5_li.has_dyn_sized_stack, 0
	.set _ZL29rocblas_internal_gemmt_kernelIiLi16ELi32ELi8ELc84ELc84ELc76ELb0ELb0E19rocblas_complex_numIdEPKS1_S3_PS1_EviT_T9_T10_S5_lS7_S5_lS6_T11_S5_li.has_recursion, 0
	.set _ZL29rocblas_internal_gemmt_kernelIiLi16ELi32ELi8ELc84ELc84ELc76ELb0ELb0E19rocblas_complex_numIdEPKS1_S3_PS1_EviT_T9_T10_S5_lS7_S5_lS6_T11_S5_li.has_indirect_call, 0
	.section	.AMDGPU.csdata,"",@progbits
; Kernel info:
; codeLenInByte = 3696
; TotalNumSgprs: 42
; NumVgprs: 65
; ScratchSize: 0
; MemoryBound: 0
; FloatMode: 240
; IeeeMode: 1
; LDSByteSize: 8192 bytes/workgroup (compile time only)
; SGPRBlocks: 0
; VGPRBlocks: 8
; NumSGPRsForWavesPerEU: 42
; NumVGPRsForWavesPerEU: 65
; Occupancy: 16
; WaveLimiterHint : 0
; COMPUTE_PGM_RSRC2:SCRATCH_EN: 0
; COMPUTE_PGM_RSRC2:USER_SGPR: 2
; COMPUTE_PGM_RSRC2:TRAP_HANDLER: 0
; COMPUTE_PGM_RSRC2:TGID_X_EN: 1
; COMPUTE_PGM_RSRC2:TGID_Y_EN: 1
; COMPUTE_PGM_RSRC2:TGID_Z_EN: 1
; COMPUTE_PGM_RSRC2:TIDIG_COMP_CNT: 1
	.section	.text._ZL29rocblas_internal_gemmt_kernelIiLi16ELi32ELi8ELc84ELc67ELc76ELb0ELb1E19rocblas_complex_numIdEPKS1_S3_PS1_EviT_T9_T10_S5_lS7_S5_lS6_T11_S5_li,"axG",@progbits,_ZL29rocblas_internal_gemmt_kernelIiLi16ELi32ELi8ELc84ELc67ELc76ELb0ELb1E19rocblas_complex_numIdEPKS1_S3_PS1_EviT_T9_T10_S5_lS7_S5_lS6_T11_S5_li,comdat
	.globl	_ZL29rocblas_internal_gemmt_kernelIiLi16ELi32ELi8ELc84ELc67ELc76ELb0ELb1E19rocblas_complex_numIdEPKS1_S3_PS1_EviT_T9_T10_S5_lS7_S5_lS6_T11_S5_li ; -- Begin function _ZL29rocblas_internal_gemmt_kernelIiLi16ELi32ELi8ELc84ELc67ELc76ELb0ELb1E19rocblas_complex_numIdEPKS1_S3_PS1_EviT_T9_T10_S5_lS7_S5_lS6_T11_S5_li
	.p2align	8
	.type	_ZL29rocblas_internal_gemmt_kernelIiLi16ELi32ELi8ELc84ELc67ELc76ELb0ELb1E19rocblas_complex_numIdEPKS1_S3_PS1_EviT_T9_T10_S5_lS7_S5_lS6_T11_S5_li,@function
_ZL29rocblas_internal_gemmt_kernelIiLi16ELi32ELi8ELc84ELc67ELc76ELb0ELb1E19rocblas_complex_numIdEPKS1_S3_PS1_EviT_T9_T10_S5_lS7_S5_lS6_T11_S5_li: ; @_ZL29rocblas_internal_gemmt_kernelIiLi16ELi32ELi8ELc84ELc67ELc76ELb0ELb1E19rocblas_complex_numIdEPKS1_S3_PS1_EviT_T9_T10_S5_lS7_S5_lS6_T11_S5_li
; %bb.0:
	s_load_b128 s[16:19], s[0:1], 0x38
	s_wait_kmcnt 0x0
	s_load_b128 s[8:11], s[18:19], 0x0
	s_clause 0x1
	s_load_b128 s[4:7], s[0:1], 0x8
	s_load_b64 s[18:19], s[0:1], 0x0
	s_wait_kmcnt 0x0
	s_load_b128 s[12:15], s[4:5], 0x0
	v_cmp_eq_f64_e64 s2, s[8:9], 1.0
	v_cmp_eq_f64_e64 s33, s[10:11], 0
	s_and_b32 s2, s2, s33
	s_delay_alu instid0(SALU_CYCLE_1)
	s_and_not1_b32 vcc_lo, exec_lo, s2
	s_mov_b32 s2, -1
	s_cbranch_vccnz .LBB122_3
; %bb.1:
	s_cmp_lg_u32 s19, 0
	s_cbranch_scc0 .LBB122_36
; %bb.2:
	s_wait_kmcnt 0x0
	v_cmp_neq_f64_e64 s2, s[12:13], 0
	v_cmp_neq_f64_e64 s3, s[14:15], 0
	s_or_b32 s2, s2, s3
.LBB122_3:
	s_delay_alu instid0(SALU_CYCLE_1)
	s_and_b32 vcc_lo, exec_lo, s2
	s_cbranch_vccz .LBB122_37
; %bb.4:
	s_load_b32 s27, s[0:1], 0x60
	s_lshr_b32 s28, ttmp7, 16
	s_wait_kmcnt 0x0
	s_cmp_ge_u32 s28, s27
	s_cbranch_scc1 .LBB122_37
; %bb.5:
	v_cmp_neq_f64_e64 s5, s[12:13], 0
	v_cmp_neq_f64_e64 s36, s[14:15], 0
	v_and_b32_e32 v1, 0x3ff, v0
	v_bfe_u32 v2, v0, 10, 10
	s_clause 0x4
	s_load_b32 s38, s[0:1], 0x18
	s_load_b128 s[20:23], s[0:1], 0x20
	s_load_b32 s34, s[0:1], 0x30
	s_load_b96 s[24:26], s[0:1], 0x48
	s_load_b64 s[30:31], s[0:1], 0x58
	v_and_b32_e32 v37, 7, v0
	s_lshl_b32 s0, ttmp9, 5
	v_lshlrev_b32_e32 v38, 4, v1
	v_lshl_add_u32 v0, v2, 4, v1
	v_add_nc_u32_e32 v5, s0, v1
	s_lshl_b32 s1, ttmp7, 5
	v_cmp_neq_f64_e64 s37, s[8:9], 0
	s_wait_alu 0xfffe
	s_and_b32 s2, s1, 0x1fffe0
	v_and_b32_e32 v1, 31, v0
	v_lshlrev_b32_e32 v3, 4, v37
	v_lshrrev_b32_e32 v40, 5, v0
	v_lshrrev_b32_e32 v0, 3, v0
	v_add_nc_u32_e32 v4, s2, v2
	v_lshl_add_u32 v39, v2, 7, 0x1000
	v_or_b32_e32 v2, s0, v1
	v_add_nc_u32_e32 v7, 16, v5
	v_add_nc_u32_e32 v11, s2, v0
	v_lshlrev_b32_e32 v1, 4, v1
	v_lshl_or_b32 v0, v0, 7, v3
	v_cmp_gt_i32_e64 s4, s18, v2
	s_wait_kmcnt 0x0
	v_mad_co_i64_i32 v[2:3], null, s38, v2, 0
	v_mad_co_i64_i32 v[9:10], null, s34, v37, 0
	v_cmp_le_i32_e32 vcc_lo, v4, v5
	v_cmp_gt_i32_e64 s1, s18, v5
	v_cmp_le_i32_e64 s2, v4, v7
	v_cmp_gt_i32_e64 s3, s18, v7
	v_lshl_or_b32 v41, v40, 9, v1
	v_add_nc_u32_e32 v42, 0x1000, v0
	v_mad_co_i64_i32 v[0:1], null, v4, s26, 0
	v_add_nc_u32_e32 v4, 16, v4
	s_ashr_i32 s35, s34, 31
	s_or_b32 s5, s5, s36
	s_cmp_gt_i32 s19, 0
	v_lshlrev_b64_e32 v[2:3], 4, v[2:3]
	v_cmp_gt_i32_e64 s0, s18, v11
	s_cselect_b32 s39, -1, 0
	s_xor_b32 s18, s33, -1
	s_and_b32 s33, vcc_lo, s1
	s_and_b32 s36, s2, s3
	v_cmp_le_i32_e32 vcc_lo, v4, v5
	v_cmp_le_i32_e64 s2, v4, v7
	v_mad_co_i64_i32 v[15:16], null, v4, s26, 0
	v_lshlrev_b32_e32 v4, 4, v40
	v_lshlrev_b64_e32 v[9:10], 4, v[9:10]
	v_lshlrev_b32_e32 v11, 4, v11
	s_and_b32 s1, vcc_lo, s1
	v_lshlrev_b64_e32 v[13:14], 4, v[0:1]
	v_add_co_u32 v2, vcc_lo, v2, v4
	s_delay_alu instid0(VALU_DEP_1)
	v_add_co_ci_u32_e64 v3, null, 0, v3, vcc_lo
	v_add_co_u32 v4, vcc_lo, v9, v11
	s_wait_alu 0xfffd
	v_add_co_ci_u32_e64 v11, null, 0, v10, vcc_lo
	v_add_co_u32 v9, vcc_lo, s6, v2
	s_wait_alu 0xfffd
	;; [unrolled: 3-line block ×3, first 2 shown]
	v_add_co_ci_u32_e64 v3, null, s23, v11, vcc_lo
	v_lshlrev_b64_e32 v[15:16], 4, v[15:16]
	s_delay_alu instid0(VALU_DEP_3)
	v_add_co_u32 v11, vcc_lo, v2, 8
	v_ashrrev_i32_e32 v6, 31, v5
	v_ashrrev_i32_e32 v8, 31, v7
	s_wait_alu 0xfffd
	v_add_co_ci_u32_e64 v12, null, 0, v3, vcc_lo
	v_mov_b32_e32 v0, 0
	s_mov_b32 s29, 0
	s_wait_alu 0xfffe
	s_or_b32 s18, s37, s18
	s_and_b32 s26, s2, s3
	s_lshl_b64 s[2:3], s[20:21], 4
	s_and_b32 s20, s5, s39
	s_lshl_b64 s[6:7], s[16:17], 4
	s_lshl_b64 s[16:17], s[34:35], 7
	s_xor_b32 s21, s4, -1
	s_branch .LBB122_7
.LBB122_6:                              ;   in Loop: Header=BB122_7 Depth=1
	s_wait_alu 0xfffe
	s_or_b32 exec_lo, exec_lo, s4
	s_add_co_i32 s28, s28, 0x10000
	s_wait_alu 0xfffe
	s_cmp_lt_u32 s28, s27
	s_cbranch_scc0 .LBB122_37
.LBB122_7:                              ; =>This Loop Header: Depth=1
                                        ;     Child Loop BB122_10 Depth 2
	v_mov_b32_e32 v33, 0
	v_mov_b32_e32 v29, 0
	;; [unrolled: 1-line block ×3, first 2 shown]
	v_dual_mov_b32 v23, 0 :: v_dual_mov_b32 v34, 0
	v_dual_mov_b32 v35, 0 :: v_dual_mov_b32 v30, 0
	;; [unrolled: 1-line block ×5, first 2 shown]
	v_mov_b32_e32 v32, 0
	v_mov_b32_e32 v28, 0
	;; [unrolled: 1-line block ×3, first 2 shown]
	s_and_not1_b32 vcc_lo, exec_lo, s20
	s_wait_alu 0xfffe
	s_cbranch_vccnz .LBB122_16
; %bb.8:                                ;   in Loop: Header=BB122_7 Depth=1
	v_mad_co_u64_u32 v[17:18], null, s2, s28, v[9:10]
	v_mad_co_u64_u32 v[19:20], null, s6, s28, v[11:12]
	v_mov_b32_e32 v21, 0
	v_mov_b32_e32 v23, 0
	;; [unrolled: 1-line block ×4, first 2 shown]
	v_dual_mov_b32 v1, v18 :: v_dual_mov_b32 v22, 0
	v_mov_b32_e32 v2, v20
	v_dual_mov_b32 v24, 0 :: v_dual_mov_b32 v27, 0
	v_dual_mov_b32 v26, 0 :: v_dual_mov_b32 v31, 0
	s_delay_alu instid0(VALU_DEP_3)
	v_mad_co_u64_u32 v[3:4], null, s3, s28, v[1:2]
	v_dual_mov_b32 v30, 0 :: v_dual_mov_b32 v35, 0
	v_dual_mov_b32 v33, 0 :: v_dual_mov_b32 v28, 0
	v_mov_b32_e32 v32, 0
	v_mov_b32_e32 v36, 0
	v_mad_co_u64_u32 v[1:2], null, s7, s28, v[2:3]
	v_mov_b32_e32 v34, 0
	v_mov_b32_e32 v18, v3
	s_mov_b32 s4, 0
	s_delay_alu instid0(VALU_DEP_3)
	v_mov_b32_e32 v20, v1
	s_branch .LBB122_10
.LBB122_9:                              ;   in Loop: Header=BB122_10 Depth=2
	s_wait_alu 0xfffe
	s_or_b32 exec_lo, exec_lo, s5
	ds_store_b128 v42, v[1:4]
	s_wait_dscnt 0x0
	s_barrier_signal -1
	s_barrier_wait -1
	global_inv scope:SCOPE_SE
	ds_load_b128 v[1:4], v39
	ds_load_b128 v[43:46], v38
	ds_load_b128 v[47:50], v38 offset:256
	ds_load_b128 v[51:54], v39 offset:2048
	;; [unrolled: 1-line block ×10, first 2 shown]
	v_add_co_u32 v17, vcc_lo, 0x80, v17
	s_wait_alu 0xfffd
	v_add_co_ci_u32_e64 v18, null, 0, v18, vcc_lo
	v_add_co_u32 v19, vcc_lo, v19, s16
	s_wait_alu 0xfffd
	v_add_co_ci_u32_e64 v20, null, s17, v20, vcc_lo
	s_add_co_i32 s4, s4, 8
	s_wait_alu 0xfffe
	s_cmp_lt_i32 s4, s19
	s_wait_dscnt 0xa
	v_mul_f64_e32 v[87:88], v[3:4], v[45:46]
	v_mul_f64_e32 v[89:90], v[1:2], v[45:46]
	s_wait_dscnt 0x9
	v_mul_f64_e32 v[91:92], v[3:4], v[49:50]
	v_mul_f64_e32 v[93:94], v[1:2], v[49:50]
	;; [unrolled: 3-line block ×3, first 2 shown]
	v_mul_f64_e32 v[97:98], v[53:54], v[49:50]
	v_mul_f64_e32 v[49:50], v[51:52], v[49:50]
	s_wait_dscnt 0x5
	v_mul_f64_e32 v[99:100], v[57:58], v[65:66]
	v_mul_f64_e32 v[101:102], v[55:56], v[65:66]
	s_wait_dscnt 0x4
	v_mul_f64_e32 v[103:104], v[57:58], v[69:70]
	v_mul_f64_e32 v[105:106], v[55:56], v[69:70]
	;; [unrolled: 1-line block ×6, first 2 shown]
	s_wait_dscnt 0x2
	v_mul_f64_e32 v[115:116], v[73:74], v[77:78]
	v_mul_f64_e32 v[117:118], v[71:72], v[77:78]
	s_wait_dscnt 0x1
	v_mul_f64_e32 v[119:120], v[73:74], v[81:82]
	v_mul_f64_e32 v[121:122], v[71:72], v[81:82]
	;; [unrolled: 3-line block ×3, first 2 shown]
	v_mul_f64_e32 v[125:126], v[85:86], v[81:82]
	v_mul_f64_e32 v[81:82], v[83:84], v[81:82]
	v_fma_f64 v[87:88], v[1:2], v[43:44], -v[87:88]
	v_fma_f64 v[89:90], v[3:4], v[43:44], v[89:90]
	v_fma_f64 v[91:92], v[1:2], v[47:48], -v[91:92]
	v_fma_f64 v[93:94], v[3:4], v[47:48], v[93:94]
	;; [unrolled: 2-line block ×8, first 2 shown]
	ds_load_b128 v[1:4], v39 offset:48
	ds_load_b128 v[43:46], v39 offset:2096
	;; [unrolled: 1-line block ×4, first 2 shown]
	v_fma_f64 v[115:116], v[71:72], v[75:76], -v[115:116]
	v_fma_f64 v[117:118], v[73:74], v[75:76], v[117:118]
	v_fma_f64 v[71:72], v[71:72], v[79:80], -v[119:120]
	v_fma_f64 v[73:74], v[73:74], v[79:80], v[121:122]
	;; [unrolled: 2-line block ×4, first 2 shown]
	s_wait_dscnt 0x1
	v_mul_f64_e32 v[105:106], v[1:2], v[49:50]
	s_wait_dscnt 0x0
	v_mul_f64_e32 v[107:108], v[3:4], v[53:54]
	v_mul_f64_e32 v[109:110], v[1:2], v[53:54]
	v_add_f64_e32 v[65:66], v[33:34], v[87:88]
	v_add_f64_e32 v[67:68], v[89:90], v[35:36]
	v_add_f64_e32 v[69:70], v[29:30], v[91:92]
	v_add_f64_e32 v[87:88], v[93:94], v[31:32]
	v_add_f64_e32 v[89:90], v[25:26], v[95:96]
	v_add_f64_e32 v[91:92], v[111:112], v[27:28]
	v_add_f64_e32 v[93:94], v[23:24], v[97:98]
	v_add_f64_e32 v[95:96], v[113:114], v[21:22]
	v_mul_f64_e32 v[97:98], v[3:4], v[49:50]
	v_mul_f64_e32 v[111:112], v[45:46], v[49:50]
	;; [unrolled: 1-line block ×5, first 2 shown]
	ds_load_b128 v[21:24], v39 offset:64
	ds_load_b128 v[25:28], v38 offset:2048
	;; [unrolled: 1-line block ×4, first 2 shown]
	s_wait_dscnt 0x0
	v_mul_f64_e32 v[121:122], v[35:36], v[27:28]
	v_mul_f64_e32 v[123:124], v[35:36], v[31:32]
	v_fma_f64 v[105:106], v[3:4], v[47:48], v[105:106]
	v_fma_f64 v[107:108], v[1:2], v[51:52], -v[107:108]
	v_fma_f64 v[109:110], v[3:4], v[51:52], v[109:110]
	v_add_f64_e32 v[81:82], v[65:66], v[99:100]
	v_add_f64_e32 v[83:84], v[101:102], v[67:68]
	;; [unrolled: 1-line block ×8, first 2 shown]
	v_mul_f64_e32 v[95:96], v[23:24], v[27:28]
	v_mul_f64_e32 v[99:100], v[21:22], v[27:28]
	;; [unrolled: 1-line block ×6, first 2 shown]
	v_fma_f64 v[97:98], v[1:2], v[47:48], -v[97:98]
	v_fma_f64 v[111:112], v[43:44], v[47:48], -v[111:112]
	v_fma_f64 v[125:126], v[45:46], v[47:48], v[49:50]
	v_fma_f64 v[113:114], v[43:44], v[51:52], -v[113:114]
	v_fma_f64 v[51:52], v[45:46], v[51:52], v[127:128]
	ds_load_b128 v[53:56], v39 offset:80
	ds_load_b128 v[57:60], v39 offset:2128
	;; [unrolled: 1-line block ×4, first 2 shown]
	v_fma_f64 v[121:122], v[33:34], v[25:26], -v[121:122]
	v_fma_f64 v[123:124], v[33:34], v[29:30], -v[123:124]
	v_add_f64_e32 v[81:82], v[81:82], v[115:116]
	v_add_f64_e32 v[83:84], v[117:118], v[83:84]
	;; [unrolled: 1-line block ×8, first 2 shown]
	s_wait_dscnt 0x1
	v_mul_f64_e32 v[87:88], v[55:56], v[63:64]
	v_mul_f64_e32 v[89:90], v[53:54], v[63:64]
	s_wait_dscnt 0x0
	v_mul_f64_e32 v[91:92], v[55:56], v[67:68]
	v_mul_f64_e32 v[93:94], v[53:54], v[67:68]
	v_mul_f64_e32 v[117:118], v[59:60], v[63:64]
	v_mul_f64_e32 v[63:64], v[57:58], v[63:64]
	v_mul_f64_e32 v[119:120], v[59:60], v[67:68]
	v_mul_f64_e32 v[67:68], v[57:58], v[67:68]
	v_fma_f64 v[95:96], v[21:22], v[25:26], -v[95:96]
	v_fma_f64 v[99:100], v[23:24], v[25:26], v[99:100]
	v_fma_f64 v[101:102], v[21:22], v[29:30], -v[101:102]
	v_fma_f64 v[103:104], v[23:24], v[29:30], v[103:104]
	v_fma_f64 v[127:128], v[35:36], v[25:26], v[27:28]
	;; [unrolled: 1-line block ×3, first 2 shown]
	ds_load_b128 v[1:4], v39 offset:96
	ds_load_b128 v[43:46], v38 offset:3072
	;; [unrolled: 1-line block ×8, first 2 shown]
	s_wait_loadcnt_dscnt 0x0
	s_barrier_signal -1
	s_barrier_wait -1
	global_inv scope:SCOPE_SE
	v_add_f64_e32 v[81:82], v[81:82], v[97:98]
	v_add_f64_e32 v[83:84], v[105:106], v[83:84]
	;; [unrolled: 1-line block ×8, first 2 shown]
	v_mul_f64_e32 v[79:80], v[3:4], v[45:46]
	v_mul_f64_e32 v[105:106], v[1:2], v[45:46]
	;; [unrolled: 1-line block ×8, first 2 shown]
	v_fma_f64 v[87:88], v[53:54], v[61:62], -v[87:88]
	v_fma_f64 v[89:90], v[55:56], v[61:62], v[89:90]
	v_fma_f64 v[53:54], v[53:54], v[65:66], -v[91:92]
	v_fma_f64 v[55:56], v[55:56], v[65:66], v[93:94]
	v_fma_f64 v[91:92], v[57:58], v[61:62], -v[117:118]
	v_fma_f64 v[61:62], v[59:60], v[61:62], v[63:64]
	v_fma_f64 v[57:58], v[57:58], v[65:66], -v[119:120]
	v_fma_f64 v[59:60], v[59:60], v[65:66], v[67:68]
	v_mul_f64_e32 v[93:94], v[23:24], v[35:36]
	v_add_f64_e32 v[63:64], v[81:82], v[95:96]
	v_add_f64_e32 v[65:66], v[99:100], v[83:84]
	;; [unrolled: 1-line block ×8, first 2 shown]
	v_mul_f64_e32 v[83:84], v[23:24], v[31:32]
	v_mul_f64_e32 v[85:86], v[21:22], v[31:32]
	;; [unrolled: 1-line block ×7, first 2 shown]
	v_fma_f64 v[79:80], v[1:2], v[43:44], -v[79:80]
	v_fma_f64 v[101:102], v[3:4], v[43:44], v[105:106]
	v_fma_f64 v[1:2], v[1:2], v[47:48], -v[107:108]
	v_fma_f64 v[3:4], v[3:4], v[47:48], v[109:110]
	;; [unrolled: 2-line block ×4, first 2 shown]
	v_add_f64_e32 v[49:50], v[63:64], v[87:88]
	v_add_f64_e32 v[63:64], v[89:90], v[65:66]
	v_add_f64_e32 v[53:54], v[67:68], v[53:54]
	v_add_f64_e32 v[55:56], v[55:56], v[73:74]
	v_add_f64_e32 v[65:66], v[81:82], v[91:92]
	v_add_f64_e32 v[61:62], v[61:62], v[75:76]
	v_add_f64_e32 v[57:58], v[77:78], v[57:58]
	v_add_f64_e32 v[51:52], v[59:60], v[51:52]
	v_fma_f64 v[59:60], v[21:22], v[29:30], -v[83:84]
	v_fma_f64 v[67:68], v[23:24], v[29:30], v[85:86]
	v_fma_f64 v[21:22], v[21:22], v[33:34], -v[93:94]
	v_fma_f64 v[23:24], v[23:24], v[33:34], v[95:96]
	;; [unrolled: 2-line block ×4, first 2 shown]
	v_add_f64_e32 v[25:26], v[49:50], v[79:80]
	v_add_f64_e32 v[27:28], v[101:102], v[63:64]
	;; [unrolled: 1-line block ×16, first 2 shown]
	s_cbranch_scc0 .LBB122_16
.LBB122_10:                             ;   Parent Loop BB122_7 Depth=1
                                        ; =>  This Inner Loop Header: Depth=2
	s_wait_alu 0xfffe
	v_add_nc_u32_e32 v1, s4, v40
	s_delay_alu instid0(VALU_DEP_1)
	v_cmp_le_i32_e32 vcc_lo, s19, v1
	s_or_b32 s5, s21, vcc_lo
	s_wait_alu 0xfffe
	s_and_saveexec_b32 s22, s5
	s_wait_alu 0xfffe
	s_xor_b32 s5, exec_lo, s22
; %bb.11:                               ;   in Loop: Header=BB122_10 Depth=2
	v_dual_mov_b32 v1, v0 :: v_dual_mov_b32 v2, v0
	v_mov_b32_e32 v3, v0
	ds_store_b128 v41, v[0:3]
; %bb.12:                               ;   in Loop: Header=BB122_10 Depth=2
	s_wait_alu 0xfffe
	s_and_not1_saveexec_b32 s5, s5
	s_cbranch_execz .LBB122_14
; %bb.13:                               ;   in Loop: Header=BB122_10 Depth=2
	global_load_b128 v[1:4], v[17:18], off
	s_wait_loadcnt 0x0
	ds_store_2addr_b64 v41, v[1:2], v[3:4] offset1:1
.LBB122_14:                             ;   in Loop: Header=BB122_10 Depth=2
	s_wait_alu 0xfffe
	s_or_b32 exec_lo, exec_lo, s5
	v_add_nc_u32_e32 v1, s4, v37
	v_mov_b32_e32 v3, 0
	v_mov_b32_e32 v4, 0
	s_delay_alu instid0(VALU_DEP_3)
	v_cmp_gt_i32_e32 vcc_lo, s19, v1
	v_mov_b32_e32 v1, 0
	v_mov_b32_e32 v2, 0
	s_and_b32 s22, vcc_lo, s0
	s_wait_alu 0xfffe
	s_and_saveexec_b32 s5, s22
	s_cbranch_execz .LBB122_9
; %bb.15:                               ;   in Loop: Header=BB122_10 Depth=2
	global_load_b128 v[1:4], v[19:20], off offset:-8
	s_wait_loadcnt 0x0
	v_xor_b32_e32 v4, 0x80000000, v4
	s_branch .LBB122_9
.LBB122_16:                             ;   in Loop: Header=BB122_7 Depth=1
	s_mul_u64 s[4:5], s[30:31], s[28:29]
	s_wait_alu 0xfffe
	s_lshl_b64 s[4:5], s[4:5], 4
	s_wait_alu 0xfffe
	s_add_nc_u64 s[4:5], s[24:25], s[4:5]
	s_wait_alu 0xfffe
	v_add_co_u32 v17, vcc_lo, s4, v13
	s_wait_alu 0xfffd
	v_add_co_ci_u32_e64 v18, null, s5, v14, vcc_lo
	s_and_saveexec_b32 s22, s33
	s_cbranch_execz .LBB122_21
; %bb.17:                               ;   in Loop: Header=BB122_7 Depth=1
	v_mul_f64_e32 v[1:2], s[14:15], v[35:36]
	v_mul_f64_e32 v[3:4], s[12:13], v[35:36]
	s_and_b32 vcc_lo, exec_lo, s18
	s_mov_b32 s23, -1
	s_delay_alu instid0(VALU_DEP_2) | instskip(NEXT) | instid1(VALU_DEP_2)
	v_fma_f64 v[1:2], s[12:13], v[33:34], -v[1:2]
	v_fma_f64 v[3:4], s[14:15], v[33:34], v[3:4]
	s_wait_alu 0xfffe
	s_cbranch_vccz .LBB122_19
; %bb.18:                               ;   in Loop: Header=BB122_7 Depth=1
	v_lshlrev_b64_e32 v[19:20], 4, v[5:6]
	s_mov_b32 s23, 0
	s_delay_alu instid0(VALU_DEP_1) | instskip(SKIP_1) | instid1(VALU_DEP_2)
	v_add_co_u32 v19, vcc_lo, v17, v19
	s_wait_alu 0xfffd
	v_add_co_ci_u32_e64 v20, null, v18, v20, vcc_lo
	global_load_b128 v[33:36], v[19:20], off
	s_wait_loadcnt 0x0
	v_mul_f64_e32 v[43:44], s[10:11], v[35:36]
	v_mul_f64_e32 v[35:36], s[8:9], v[35:36]
	s_delay_alu instid0(VALU_DEP_2) | instskip(NEXT) | instid1(VALU_DEP_2)
	v_fma_f64 v[43:44], s[8:9], v[33:34], -v[43:44]
	v_fma_f64 v[35:36], s[10:11], v[33:34], v[35:36]
	s_delay_alu instid0(VALU_DEP_2) | instskip(NEXT) | instid1(VALU_DEP_2)
	v_add_f64_e32 v[33:34], v[1:2], v[43:44]
	v_add_f64_e32 v[35:36], v[3:4], v[35:36]
	global_store_b128 v[19:20], v[33:36], off
.LBB122_19:                             ;   in Loop: Header=BB122_7 Depth=1
	s_wait_alu 0xfffe
	s_and_not1_b32 vcc_lo, exec_lo, s23
	s_wait_alu 0xfffe
	s_cbranch_vccnz .LBB122_21
; %bb.20:                               ;   in Loop: Header=BB122_7 Depth=1
	v_lshlrev_b64_e32 v[19:20], 4, v[5:6]
	s_delay_alu instid0(VALU_DEP_1) | instskip(SKIP_1) | instid1(VALU_DEP_2)
	v_add_co_u32 v19, vcc_lo, v17, v19
	s_wait_alu 0xfffd
	v_add_co_ci_u32_e64 v20, null, v18, v20, vcc_lo
	global_store_b128 v[19:20], v[1:4], off
.LBB122_21:                             ;   in Loop: Header=BB122_7 Depth=1
	s_wait_alu 0xfffe
	s_or_b32 exec_lo, exec_lo, s22
	s_and_saveexec_b32 s22, s36
	s_cbranch_execz .LBB122_26
; %bb.22:                               ;   in Loop: Header=BB122_7 Depth=1
	v_mul_f64_e32 v[1:2], s[14:15], v[31:32]
	v_mul_f64_e32 v[3:4], s[12:13], v[31:32]
	s_and_not1_b32 vcc_lo, exec_lo, s18
	s_mov_b32 s23, -1
	s_delay_alu instid0(VALU_DEP_2) | instskip(NEXT) | instid1(VALU_DEP_2)
	v_fma_f64 v[1:2], s[12:13], v[29:30], -v[1:2]
	v_fma_f64 v[3:4], s[14:15], v[29:30], v[3:4]
	s_wait_alu 0xfffe
	s_cbranch_vccnz .LBB122_24
; %bb.23:                               ;   in Loop: Header=BB122_7 Depth=1
	v_lshlrev_b64_e32 v[19:20], 4, v[7:8]
	s_mov_b32 s23, 0
	s_delay_alu instid0(VALU_DEP_1) | instskip(SKIP_1) | instid1(VALU_DEP_2)
	v_add_co_u32 v19, vcc_lo, v17, v19
	s_wait_alu 0xfffd
	v_add_co_ci_u32_e64 v20, null, v18, v20, vcc_lo
	global_load_b128 v[29:32], v[19:20], off
	s_wait_loadcnt 0x0
	v_mul_f64_e32 v[33:34], s[10:11], v[31:32]
	v_mul_f64_e32 v[31:32], s[8:9], v[31:32]
	s_delay_alu instid0(VALU_DEP_2) | instskip(NEXT) | instid1(VALU_DEP_2)
	v_fma_f64 v[33:34], s[8:9], v[29:30], -v[33:34]
	v_fma_f64 v[31:32], s[10:11], v[29:30], v[31:32]
	s_delay_alu instid0(VALU_DEP_2) | instskip(NEXT) | instid1(VALU_DEP_2)
	v_add_f64_e32 v[29:30], v[1:2], v[33:34]
	v_add_f64_e32 v[31:32], v[3:4], v[31:32]
	global_store_b128 v[19:20], v[29:32], off
.LBB122_24:                             ;   in Loop: Header=BB122_7 Depth=1
	s_wait_alu 0xfffe
	s_and_not1_b32 vcc_lo, exec_lo, s23
	s_wait_alu 0xfffe
	s_cbranch_vccnz .LBB122_26
; %bb.25:                               ;   in Loop: Header=BB122_7 Depth=1
	v_lshlrev_b64_e32 v[19:20], 4, v[7:8]
	s_delay_alu instid0(VALU_DEP_1) | instskip(SKIP_1) | instid1(VALU_DEP_2)
	v_add_co_u32 v17, vcc_lo, v17, v19
	s_wait_alu 0xfffd
	v_add_co_ci_u32_e64 v18, null, v18, v20, vcc_lo
	global_store_b128 v[17:18], v[1:4], off
.LBB122_26:                             ;   in Loop: Header=BB122_7 Depth=1
	s_wait_alu 0xfffe
	s_or_b32 exec_lo, exec_lo, s22
	v_add_co_u32 v19, vcc_lo, s4, v15
	s_wait_alu 0xfffd
	v_add_co_ci_u32_e64 v20, null, s5, v16, vcc_lo
	s_and_saveexec_b32 s4, s1
	s_cbranch_execz .LBB122_31
; %bb.27:                               ;   in Loop: Header=BB122_7 Depth=1
	v_mul_f64_e32 v[1:2], s[14:15], v[27:28]
	v_mul_f64_e32 v[3:4], s[12:13], v[27:28]
	v_lshlrev_b64_e32 v[17:18], 4, v[5:6]
	s_and_not1_b32 vcc_lo, exec_lo, s18
	s_mov_b32 s5, -1
	s_delay_alu instid0(VALU_DEP_3) | instskip(NEXT) | instid1(VALU_DEP_3)
	v_fma_f64 v[1:2], s[12:13], v[25:26], -v[1:2]
	v_fma_f64 v[3:4], s[14:15], v[25:26], v[3:4]
	s_wait_alu 0xfffe
	s_cbranch_vccnz .LBB122_29
; %bb.28:                               ;   in Loop: Header=BB122_7 Depth=1
	v_add_co_u32 v29, vcc_lo, v19, v17
	s_wait_alu 0xfffd
	v_add_co_ci_u32_e64 v30, null, v20, v18, vcc_lo
	s_mov_b32 s5, 0
	global_load_b128 v[25:28], v[29:30], off
	s_wait_loadcnt 0x0
	v_mul_f64_e32 v[31:32], s[10:11], v[27:28]
	v_mul_f64_e32 v[27:28], s[8:9], v[27:28]
	s_delay_alu instid0(VALU_DEP_2) | instskip(NEXT) | instid1(VALU_DEP_2)
	v_fma_f64 v[31:32], s[8:9], v[25:26], -v[31:32]
	v_fma_f64 v[27:28], s[10:11], v[25:26], v[27:28]
	s_delay_alu instid0(VALU_DEP_2) | instskip(NEXT) | instid1(VALU_DEP_2)
	v_add_f64_e32 v[25:26], v[1:2], v[31:32]
	v_add_f64_e32 v[27:28], v[3:4], v[27:28]
	global_store_b128 v[29:30], v[25:28], off
.LBB122_29:                             ;   in Loop: Header=BB122_7 Depth=1
	s_wait_alu 0xfffe
	s_and_not1_b32 vcc_lo, exec_lo, s5
	s_wait_alu 0xfffe
	s_cbranch_vccnz .LBB122_31
; %bb.30:                               ;   in Loop: Header=BB122_7 Depth=1
	v_add_co_u32 v17, vcc_lo, v19, v17
	s_wait_alu 0xfffd
	v_add_co_ci_u32_e64 v18, null, v20, v18, vcc_lo
	global_store_b128 v[17:18], v[1:4], off
.LBB122_31:                             ;   in Loop: Header=BB122_7 Depth=1
	s_wait_alu 0xfffe
	s_or_b32 exec_lo, exec_lo, s4
	s_and_saveexec_b32 s4, s26
	s_cbranch_execz .LBB122_6
; %bb.32:                               ;   in Loop: Header=BB122_7 Depth=1
	v_mul_f64_e32 v[1:2], s[14:15], v[21:22]
	v_mul_f64_e32 v[3:4], s[12:13], v[21:22]
	v_lshlrev_b64_e32 v[17:18], 4, v[7:8]
	s_and_not1_b32 vcc_lo, exec_lo, s18
	s_mov_b32 s5, -1
	s_delay_alu instid0(VALU_DEP_3) | instskip(NEXT) | instid1(VALU_DEP_3)
	v_fma_f64 v[1:2], s[12:13], v[23:24], -v[1:2]
	v_fma_f64 v[3:4], s[14:15], v[23:24], v[3:4]
	s_wait_alu 0xfffe
	s_cbranch_vccnz .LBB122_34
; %bb.33:                               ;   in Loop: Header=BB122_7 Depth=1
	v_add_co_u32 v25, vcc_lo, v19, v17
	s_wait_alu 0xfffd
	v_add_co_ci_u32_e64 v26, null, v20, v18, vcc_lo
	s_mov_b32 s5, 0
	global_load_b128 v[21:24], v[25:26], off
	s_wait_loadcnt 0x0
	v_mul_f64_e32 v[27:28], s[10:11], v[23:24]
	v_mul_f64_e32 v[23:24], s[8:9], v[23:24]
	s_delay_alu instid0(VALU_DEP_2) | instskip(NEXT) | instid1(VALU_DEP_2)
	v_fma_f64 v[27:28], s[8:9], v[21:22], -v[27:28]
	v_fma_f64 v[23:24], s[10:11], v[21:22], v[23:24]
	s_delay_alu instid0(VALU_DEP_2) | instskip(NEXT) | instid1(VALU_DEP_2)
	v_add_f64_e32 v[21:22], v[1:2], v[27:28]
	v_add_f64_e32 v[23:24], v[3:4], v[23:24]
	global_store_b128 v[25:26], v[21:24], off
.LBB122_34:                             ;   in Loop: Header=BB122_7 Depth=1
	s_wait_alu 0xfffe
	s_and_not1_b32 vcc_lo, exec_lo, s5
	s_wait_alu 0xfffe
	s_cbranch_vccnz .LBB122_6
; %bb.35:                               ;   in Loop: Header=BB122_7 Depth=1
	v_add_co_u32 v17, vcc_lo, v19, v17
	s_wait_alu 0xfffd
	v_add_co_ci_u32_e64 v18, null, v20, v18, vcc_lo
	global_store_b128 v[17:18], v[1:4], off
	s_branch .LBB122_6
.LBB122_36:
.LBB122_37:
	s_nop 0
	s_sendmsg sendmsg(MSG_DEALLOC_VGPRS)
	s_endpgm
	.section	.rodata,"a",@progbits
	.p2align	6, 0x0
	.amdhsa_kernel _ZL29rocblas_internal_gemmt_kernelIiLi16ELi32ELi8ELc84ELc67ELc76ELb0ELb1E19rocblas_complex_numIdEPKS1_S3_PS1_EviT_T9_T10_S5_lS7_S5_lS6_T11_S5_li
		.amdhsa_group_segment_fixed_size 8192
		.amdhsa_private_segment_fixed_size 0
		.amdhsa_kernarg_size 100
		.amdhsa_user_sgpr_count 2
		.amdhsa_user_sgpr_dispatch_ptr 0
		.amdhsa_user_sgpr_queue_ptr 0
		.amdhsa_user_sgpr_kernarg_segment_ptr 1
		.amdhsa_user_sgpr_dispatch_id 0
		.amdhsa_user_sgpr_private_segment_size 0
		.amdhsa_wavefront_size32 1
		.amdhsa_uses_dynamic_stack 0
		.amdhsa_enable_private_segment 0
		.amdhsa_system_sgpr_workgroup_id_x 1
		.amdhsa_system_sgpr_workgroup_id_y 1
		.amdhsa_system_sgpr_workgroup_id_z 1
		.amdhsa_system_sgpr_workgroup_info 0
		.amdhsa_system_vgpr_workitem_id 1
		.amdhsa_next_free_vgpr 131
		.amdhsa_next_free_sgpr 40
		.amdhsa_reserve_vcc 1
		.amdhsa_float_round_mode_32 0
		.amdhsa_float_round_mode_16_64 0
		.amdhsa_float_denorm_mode_32 3
		.amdhsa_float_denorm_mode_16_64 3
		.amdhsa_fp16_overflow 0
		.amdhsa_workgroup_processor_mode 1
		.amdhsa_memory_ordered 1
		.amdhsa_forward_progress 1
		.amdhsa_inst_pref_size 27
		.amdhsa_round_robin_scheduling 0
		.amdhsa_exception_fp_ieee_invalid_op 0
		.amdhsa_exception_fp_denorm_src 0
		.amdhsa_exception_fp_ieee_div_zero 0
		.amdhsa_exception_fp_ieee_overflow 0
		.amdhsa_exception_fp_ieee_underflow 0
		.amdhsa_exception_fp_ieee_inexact 0
		.amdhsa_exception_int_div_zero 0
	.end_amdhsa_kernel
	.section	.text._ZL29rocblas_internal_gemmt_kernelIiLi16ELi32ELi8ELc84ELc67ELc76ELb0ELb1E19rocblas_complex_numIdEPKS1_S3_PS1_EviT_T9_T10_S5_lS7_S5_lS6_T11_S5_li,"axG",@progbits,_ZL29rocblas_internal_gemmt_kernelIiLi16ELi32ELi8ELc84ELc67ELc76ELb0ELb1E19rocblas_complex_numIdEPKS1_S3_PS1_EviT_T9_T10_S5_lS7_S5_lS6_T11_S5_li,comdat
.Lfunc_end122:
	.size	_ZL29rocblas_internal_gemmt_kernelIiLi16ELi32ELi8ELc84ELc67ELc76ELb0ELb1E19rocblas_complex_numIdEPKS1_S3_PS1_EviT_T9_T10_S5_lS7_S5_lS6_T11_S5_li, .Lfunc_end122-_ZL29rocblas_internal_gemmt_kernelIiLi16ELi32ELi8ELc84ELc67ELc76ELb0ELb1E19rocblas_complex_numIdEPKS1_S3_PS1_EviT_T9_T10_S5_lS7_S5_lS6_T11_S5_li
                                        ; -- End function
	.set _ZL29rocblas_internal_gemmt_kernelIiLi16ELi32ELi8ELc84ELc67ELc76ELb0ELb1E19rocblas_complex_numIdEPKS1_S3_PS1_EviT_T9_T10_S5_lS7_S5_lS6_T11_S5_li.num_vgpr, 131
	.set _ZL29rocblas_internal_gemmt_kernelIiLi16ELi32ELi8ELc84ELc67ELc76ELb0ELb1E19rocblas_complex_numIdEPKS1_S3_PS1_EviT_T9_T10_S5_lS7_S5_lS6_T11_S5_li.num_agpr, 0
	.set _ZL29rocblas_internal_gemmt_kernelIiLi16ELi32ELi8ELc84ELc67ELc76ELb0ELb1E19rocblas_complex_numIdEPKS1_S3_PS1_EviT_T9_T10_S5_lS7_S5_lS6_T11_S5_li.numbered_sgpr, 40
	.set _ZL29rocblas_internal_gemmt_kernelIiLi16ELi32ELi8ELc84ELc67ELc76ELb0ELb1E19rocblas_complex_numIdEPKS1_S3_PS1_EviT_T9_T10_S5_lS7_S5_lS6_T11_S5_li.num_named_barrier, 0
	.set _ZL29rocblas_internal_gemmt_kernelIiLi16ELi32ELi8ELc84ELc67ELc76ELb0ELb1E19rocblas_complex_numIdEPKS1_S3_PS1_EviT_T9_T10_S5_lS7_S5_lS6_T11_S5_li.private_seg_size, 0
	.set _ZL29rocblas_internal_gemmt_kernelIiLi16ELi32ELi8ELc84ELc67ELc76ELb0ELb1E19rocblas_complex_numIdEPKS1_S3_PS1_EviT_T9_T10_S5_lS7_S5_lS6_T11_S5_li.uses_vcc, 1
	.set _ZL29rocblas_internal_gemmt_kernelIiLi16ELi32ELi8ELc84ELc67ELc76ELb0ELb1E19rocblas_complex_numIdEPKS1_S3_PS1_EviT_T9_T10_S5_lS7_S5_lS6_T11_S5_li.uses_flat_scratch, 0
	.set _ZL29rocblas_internal_gemmt_kernelIiLi16ELi32ELi8ELc84ELc67ELc76ELb0ELb1E19rocblas_complex_numIdEPKS1_S3_PS1_EviT_T9_T10_S5_lS7_S5_lS6_T11_S5_li.has_dyn_sized_stack, 0
	.set _ZL29rocblas_internal_gemmt_kernelIiLi16ELi32ELi8ELc84ELc67ELc76ELb0ELb1E19rocblas_complex_numIdEPKS1_S3_PS1_EviT_T9_T10_S5_lS7_S5_lS6_T11_S5_li.has_recursion, 0
	.set _ZL29rocblas_internal_gemmt_kernelIiLi16ELi32ELi8ELc84ELc67ELc76ELb0ELb1E19rocblas_complex_numIdEPKS1_S3_PS1_EviT_T9_T10_S5_lS7_S5_lS6_T11_S5_li.has_indirect_call, 0
	.section	.AMDGPU.csdata,"",@progbits
; Kernel info:
; codeLenInByte = 3432
; TotalNumSgprs: 42
; NumVgprs: 131
; ScratchSize: 0
; MemoryBound: 1
; FloatMode: 240
; IeeeMode: 1
; LDSByteSize: 8192 bytes/workgroup (compile time only)
; SGPRBlocks: 0
; VGPRBlocks: 16
; NumSGPRsForWavesPerEU: 42
; NumVGPRsForWavesPerEU: 131
; Occupancy: 10
; WaveLimiterHint : 0
; COMPUTE_PGM_RSRC2:SCRATCH_EN: 0
; COMPUTE_PGM_RSRC2:USER_SGPR: 2
; COMPUTE_PGM_RSRC2:TRAP_HANDLER: 0
; COMPUTE_PGM_RSRC2:TGID_X_EN: 1
; COMPUTE_PGM_RSRC2:TGID_Y_EN: 1
; COMPUTE_PGM_RSRC2:TGID_Z_EN: 1
; COMPUTE_PGM_RSRC2:TIDIG_COMP_CNT: 1
	.section	.text._ZL29rocblas_internal_gemmt_kernelIiLi16ELi32ELi8ELc67ELc78ELc76ELb1ELb0E19rocblas_complex_numIdEPKS1_S3_PS1_EviT_T9_T10_S5_lS7_S5_lS6_T11_S5_li,"axG",@progbits,_ZL29rocblas_internal_gemmt_kernelIiLi16ELi32ELi8ELc67ELc78ELc76ELb1ELb0E19rocblas_complex_numIdEPKS1_S3_PS1_EviT_T9_T10_S5_lS7_S5_lS6_T11_S5_li,comdat
	.globl	_ZL29rocblas_internal_gemmt_kernelIiLi16ELi32ELi8ELc67ELc78ELc76ELb1ELb0E19rocblas_complex_numIdEPKS1_S3_PS1_EviT_T9_T10_S5_lS7_S5_lS6_T11_S5_li ; -- Begin function _ZL29rocblas_internal_gemmt_kernelIiLi16ELi32ELi8ELc67ELc78ELc76ELb1ELb0E19rocblas_complex_numIdEPKS1_S3_PS1_EviT_T9_T10_S5_lS7_S5_lS6_T11_S5_li
	.p2align	8
	.type	_ZL29rocblas_internal_gemmt_kernelIiLi16ELi32ELi8ELc67ELc78ELc76ELb1ELb0E19rocblas_complex_numIdEPKS1_S3_PS1_EviT_T9_T10_S5_lS7_S5_lS6_T11_S5_li,@function
_ZL29rocblas_internal_gemmt_kernelIiLi16ELi32ELi8ELc67ELc78ELc76ELb1ELb0E19rocblas_complex_numIdEPKS1_S3_PS1_EviT_T9_T10_S5_lS7_S5_lS6_T11_S5_li: ; @_ZL29rocblas_internal_gemmt_kernelIiLi16ELi32ELi8ELc67ELc78ELc76ELb1ELb0E19rocblas_complex_numIdEPKS1_S3_PS1_EviT_T9_T10_S5_lS7_S5_lS6_T11_S5_li
; %bb.0:
	s_load_b128 s[16:19], s[0:1], 0x38
	s_wait_kmcnt 0x0
	s_load_b128 s[8:11], s[18:19], 0x0
	s_clause 0x1
	s_load_b128 s[4:7], s[0:1], 0x8
	s_load_b64 s[18:19], s[0:1], 0x0
	s_wait_kmcnt 0x0
	s_load_b128 s[12:15], s[4:5], 0x0
	v_cmp_eq_f64_e64 s2, s[8:9], 1.0
	v_cmp_eq_f64_e64 s33, s[10:11], 0
	s_and_b32 s2, s2, s33
	s_delay_alu instid0(SALU_CYCLE_1)
	s_and_not1_b32 vcc_lo, exec_lo, s2
	s_mov_b32 s2, -1
	s_cbranch_vccnz .LBB123_3
; %bb.1:
	s_cmp_lg_u32 s19, 0
	s_cbranch_scc0 .LBB123_36
; %bb.2:
	s_wait_kmcnt 0x0
	v_cmp_neq_f64_e64 s2, s[12:13], 0
	v_cmp_neq_f64_e64 s3, s[14:15], 0
	s_or_b32 s2, s2, s3
.LBB123_3:
	s_delay_alu instid0(SALU_CYCLE_1)
	s_and_b32 vcc_lo, exec_lo, s2
	s_cbranch_vccz .LBB123_37
; %bb.4:
	s_load_b32 s27, s[0:1], 0x60
	s_lshr_b32 s28, ttmp7, 16
	s_wait_kmcnt 0x0
	s_cmp_ge_u32 s28, s27
	s_cbranch_scc1 .LBB123_37
; %bb.5:
	v_cmp_neq_f64_e64 s5, s[12:13], 0
	v_cmp_neq_f64_e64 s34, s[14:15], 0
	v_and_b32_e32 v1, 0x3ff, v0
	v_bfe_u32 v2, v0, 10, 10
	s_clause 0x4
	s_load_b32 s36, s[0:1], 0x18
	s_load_b128 s[20:23], s[0:1], 0x20
	s_load_b32 s37, s[0:1], 0x30
	s_load_b96 s[24:26], s[0:1], 0x48
	s_load_b64 s[30:31], s[0:1], 0x58
	v_and_b32_e32 v37, 7, v0
	s_lshl_b32 s0, ttmp9, 5
	v_lshlrev_b32_e32 v38, 4, v1
	v_lshl_add_u32 v0, v2, 4, v1
	v_add_nc_u32_e32 v5, s0, v1
	s_lshl_b32 s1, ttmp7, 5
	v_cmp_neq_f64_e64 s35, s[8:9], 0
	s_wait_alu 0xfffe
	s_and_b32 s2, s1, 0x1fffe0
	v_and_b32_e32 v1, 31, v0
	v_add_nc_u32_e32 v6, s2, v2
	v_lshl_add_u32 v39, v2, 7, 0x1000
	v_lshrrev_b32_e32 v40, 5, v0
	v_lshrrev_b32_e32 v0, 3, v0
	v_or_b32_e32 v2, s0, v1
	v_cmp_le_i32_e32 vcc_lo, v6, v5
	v_cmp_gt_i32_e64 s1, s18, v5
	v_add_nc_u32_e32 v7, 16, v5
	v_add_nc_u32_e32 v9, s2, v0
	v_cmp_gt_i32_e64 s0, s18, v2
	s_wait_kmcnt 0x0
	v_mad_co_i64_i32 v[2:3], null, s36, v2, 0
	v_add_nc_u32_e32 v11, 16, v6
	v_cmp_gt_i32_e64 s4, s18, v9
	v_mad_co_i64_i32 v[9:10], null, s37, v9, 0
	v_cmp_le_i32_e64 s2, v6, v7
	v_cmp_gt_i32_e64 s3, s18, v7
	v_lshlrev_b64_e32 v[2:3], 4, v[2:3]
	v_lshlrev_b32_e32 v12, 4, v40
	v_lshlrev_b32_e32 v4, 4, v37
	v_mad_co_i64_i32 v[15:16], null, v11, s26, 0
	v_lshlrev_b32_e32 v1, 4, v1
	v_ashrrev_i32_e32 v8, 31, v7
	s_or_b32 s5, s5, s34
	s_cmp_gt_i32 s19, 0
	v_lshl_or_b32 v0, v0, 7, v4
	s_cselect_b32 s38, -1, 0
	s_xor_b32 s18, s33, -1
	s_and_b32 s33, vcc_lo, s1
	v_cmp_le_i32_e32 vcc_lo, v11, v5
	s_and_b32 s34, s2, s3
	v_cmp_le_i32_e64 s2, v11, v7
	v_lshl_or_b32 v41, v40, 9, v1
	v_add_nc_u32_e32 v42, 0x1000, v0
	s_and_b32 s1, vcc_lo, s1
	v_add_co_u32 v11, vcc_lo, v2, v12
	s_delay_alu instid0(VALU_DEP_1) | instskip(SKIP_2) | instid1(VALU_DEP_4)
	v_add_co_ci_u32_e64 v12, null, 0, v3, vcc_lo
	v_lshlrev_b64_e32 v[2:3], 4, v[9:10]
	v_mad_co_i64_i32 v[0:1], null, v6, s26, 0
	v_add_co_u32 v9, vcc_lo, s6, v11
	s_wait_alu 0xfffd
	v_add_co_ci_u32_e64 v10, null, s7, v12, vcc_lo
	s_delay_alu instid0(VALU_DEP_4)
	v_add_co_u32 v2, vcc_lo, v2, v4
	s_wait_alu 0xfffd
	v_add_co_ci_u32_e64 v3, null, 0, v3, vcc_lo
	v_add_co_u32 v9, vcc_lo, v9, 8
	s_wait_alu 0xfffd
	v_add_co_ci_u32_e64 v10, null, 0, v10, vcc_lo
	v_add_co_u32 v11, vcc_lo, s22, v2
	v_lshlrev_b64_e32 v[13:14], 4, v[0:1]
	v_lshlrev_b64_e32 v[15:16], 4, v[15:16]
	v_ashrrev_i32_e32 v6, 31, v5
	s_wait_alu 0xfffd
	v_add_co_ci_u32_e64 v12, null, s23, v3, vcc_lo
	v_mov_b32_e32 v0, 0
	s_mov_b32 s29, 0
	s_wait_alu 0xfffe
	s_or_b32 s18, s35, s18
	s_and_b32 s26, s2, s3
	s_and_b32 s22, s5, s38
	s_lshl_b64 s[2:3], s[20:21], 4
	s_lshl_b64 s[6:7], s[16:17], 4
	s_xor_b32 s16, s4, -1
	s_branch .LBB123_7
.LBB123_6:                              ;   in Loop: Header=BB123_7 Depth=1
	s_wait_alu 0xfffe
	s_or_b32 exec_lo, exec_lo, s4
	s_add_co_i32 s28, s28, 0x10000
	s_wait_alu 0xfffe
	s_cmp_lt_u32 s28, s27
	s_cbranch_scc0 .LBB123_37
.LBB123_7:                              ; =>This Loop Header: Depth=1
                                        ;     Child Loop BB123_10 Depth 2
	v_mov_b32_e32 v33, 0
	v_mov_b32_e32 v29, 0
	;; [unrolled: 1-line block ×3, first 2 shown]
	v_dual_mov_b32 v23, 0 :: v_dual_mov_b32 v34, 0
	v_dual_mov_b32 v35, 0 :: v_dual_mov_b32 v30, 0
	;; [unrolled: 1-line block ×5, first 2 shown]
	v_mov_b32_e32 v32, 0
	v_mov_b32_e32 v28, 0
	;; [unrolled: 1-line block ×3, first 2 shown]
	s_wait_alu 0xfffe
	s_and_not1_b32 vcc_lo, exec_lo, s22
	s_wait_alu 0xfffe
	s_cbranch_vccnz .LBB123_16
; %bb.8:                                ;   in Loop: Header=BB123_7 Depth=1
	v_mad_co_u64_u32 v[17:18], null, s2, s28, v[9:10]
	v_mad_co_u64_u32 v[19:20], null, s6, s28, v[11:12]
	v_mov_b32_e32 v21, 0
	v_mov_b32_e32 v23, 0
	;; [unrolled: 1-line block ×4, first 2 shown]
	v_dual_mov_b32 v1, v18 :: v_dual_mov_b32 v22, 0
	v_mov_b32_e32 v2, v20
	v_dual_mov_b32 v24, 0 :: v_dual_mov_b32 v27, 0
	v_dual_mov_b32 v26, 0 :: v_dual_mov_b32 v31, 0
	s_delay_alu instid0(VALU_DEP_3)
	v_mad_co_u64_u32 v[3:4], null, s3, s28, v[1:2]
	v_dual_mov_b32 v30, 0 :: v_dual_mov_b32 v35, 0
	v_dual_mov_b32 v33, 0 :: v_dual_mov_b32 v28, 0
	v_mov_b32_e32 v32, 0
	v_mov_b32_e32 v36, 0
	v_mad_co_u64_u32 v[1:2], null, s7, s28, v[2:3]
	v_mov_b32_e32 v34, 0
	v_mov_b32_e32 v18, v3
	s_mov_b32 s4, 0
	s_delay_alu instid0(VALU_DEP_3)
	v_mov_b32_e32 v20, v1
	s_branch .LBB123_10
.LBB123_9:                              ;   in Loop: Header=BB123_10 Depth=2
	s_wait_alu 0xfffe
	s_or_b32 exec_lo, exec_lo, s5
	s_wait_dscnt 0x0
	s_barrier_signal -1
	s_barrier_wait -1
	global_inv scope:SCOPE_SE
	ds_load_b128 v[1:4], v39
	ds_load_b128 v[43:46], v38
	ds_load_b128 v[47:50], v38 offset:256
	ds_load_b128 v[51:54], v39 offset:2048
	;; [unrolled: 1-line block ×10, first 2 shown]
	v_add_co_u32 v17, vcc_lo, 0x80, v17
	s_wait_alu 0xfffd
	v_add_co_ci_u32_e64 v18, null, 0, v18, vcc_lo
	v_add_co_u32 v19, vcc_lo, 0x80, v19
	s_wait_alu 0xfffd
	v_add_co_ci_u32_e64 v20, null, 0, v20, vcc_lo
	s_add_co_i32 s4, s4, 8
	s_wait_alu 0xfffe
	s_cmp_lt_i32 s4, s19
	s_wait_dscnt 0xa
	v_mul_f64_e32 v[87:88], v[3:4], v[45:46]
	v_mul_f64_e32 v[89:90], v[1:2], v[45:46]
	s_wait_dscnt 0x9
	v_mul_f64_e32 v[91:92], v[3:4], v[49:50]
	v_mul_f64_e32 v[93:94], v[1:2], v[49:50]
	;; [unrolled: 3-line block ×3, first 2 shown]
	v_mul_f64_e32 v[97:98], v[53:54], v[49:50]
	v_mul_f64_e32 v[49:50], v[51:52], v[49:50]
	s_wait_dscnt 0x5
	v_mul_f64_e32 v[99:100], v[57:58], v[65:66]
	v_mul_f64_e32 v[101:102], v[55:56], v[65:66]
	s_wait_dscnt 0x4
	v_mul_f64_e32 v[103:104], v[57:58], v[69:70]
	v_mul_f64_e32 v[105:106], v[55:56], v[69:70]
	;; [unrolled: 1-line block ×6, first 2 shown]
	s_wait_dscnt 0x2
	v_mul_f64_e32 v[115:116], v[73:74], v[77:78]
	v_mul_f64_e32 v[117:118], v[71:72], v[77:78]
	s_wait_dscnt 0x1
	v_mul_f64_e32 v[119:120], v[73:74], v[81:82]
	v_mul_f64_e32 v[121:122], v[71:72], v[81:82]
	;; [unrolled: 3-line block ×3, first 2 shown]
	v_mul_f64_e32 v[125:126], v[85:86], v[81:82]
	v_mul_f64_e32 v[81:82], v[83:84], v[81:82]
	v_fma_f64 v[87:88], v[1:2], v[43:44], -v[87:88]
	v_fma_f64 v[89:90], v[3:4], v[43:44], v[89:90]
	v_fma_f64 v[91:92], v[1:2], v[47:48], -v[91:92]
	v_fma_f64 v[93:94], v[3:4], v[47:48], v[93:94]
	;; [unrolled: 2-line block ×8, first 2 shown]
	ds_load_b128 v[1:4], v39 offset:48
	ds_load_b128 v[43:46], v39 offset:2096
	;; [unrolled: 1-line block ×4, first 2 shown]
	v_fma_f64 v[115:116], v[71:72], v[75:76], -v[115:116]
	v_fma_f64 v[117:118], v[73:74], v[75:76], v[117:118]
	v_fma_f64 v[71:72], v[71:72], v[79:80], -v[119:120]
	v_fma_f64 v[73:74], v[73:74], v[79:80], v[121:122]
	;; [unrolled: 2-line block ×4, first 2 shown]
	s_wait_dscnt 0x1
	v_mul_f64_e32 v[105:106], v[1:2], v[49:50]
	s_wait_dscnt 0x0
	v_mul_f64_e32 v[107:108], v[3:4], v[53:54]
	v_mul_f64_e32 v[109:110], v[1:2], v[53:54]
	v_add_f64_e32 v[65:66], v[33:34], v[87:88]
	v_add_f64_e32 v[67:68], v[89:90], v[35:36]
	;; [unrolled: 1-line block ×8, first 2 shown]
	v_mul_f64_e32 v[97:98], v[3:4], v[49:50]
	v_mul_f64_e32 v[111:112], v[45:46], v[49:50]
	;; [unrolled: 1-line block ×5, first 2 shown]
	ds_load_b128 v[21:24], v39 offset:64
	ds_load_b128 v[25:28], v38 offset:2048
	;; [unrolled: 1-line block ×4, first 2 shown]
	s_wait_dscnt 0x0
	v_mul_f64_e32 v[121:122], v[35:36], v[27:28]
	v_mul_f64_e32 v[123:124], v[35:36], v[31:32]
	v_fma_f64 v[105:106], v[3:4], v[47:48], v[105:106]
	v_fma_f64 v[107:108], v[1:2], v[51:52], -v[107:108]
	v_fma_f64 v[109:110], v[3:4], v[51:52], v[109:110]
	v_add_f64_e32 v[81:82], v[65:66], v[99:100]
	v_add_f64_e32 v[83:84], v[101:102], v[67:68]
	;; [unrolled: 1-line block ×8, first 2 shown]
	v_mul_f64_e32 v[95:96], v[23:24], v[27:28]
	v_mul_f64_e32 v[99:100], v[21:22], v[27:28]
	;; [unrolled: 1-line block ×6, first 2 shown]
	v_fma_f64 v[97:98], v[1:2], v[47:48], -v[97:98]
	v_fma_f64 v[111:112], v[43:44], v[47:48], -v[111:112]
	v_fma_f64 v[125:126], v[45:46], v[47:48], v[49:50]
	v_fma_f64 v[113:114], v[43:44], v[51:52], -v[113:114]
	v_fma_f64 v[51:52], v[45:46], v[51:52], v[127:128]
	ds_load_b128 v[53:56], v39 offset:80
	ds_load_b128 v[57:60], v39 offset:2128
	;; [unrolled: 1-line block ×4, first 2 shown]
	v_fma_f64 v[121:122], v[33:34], v[25:26], -v[121:122]
	v_fma_f64 v[123:124], v[33:34], v[29:30], -v[123:124]
	v_add_f64_e32 v[81:82], v[81:82], v[115:116]
	v_add_f64_e32 v[83:84], v[117:118], v[83:84]
	v_add_f64_e32 v[115:116], v[69:70], v[71:72]
	v_add_f64_e32 v[73:74], v[73:74], v[85:86]
	v_add_f64_e32 v[85:86], v[87:88], v[119:120]
	v_add_f64_e32 v[75:76], v[75:76], v[89:90]
	v_add_f64_e32 v[77:78], v[91:92], v[77:78]
	v_add_f64_e32 v[79:80], v[79:80], v[93:94]
	s_wait_dscnt 0x1
	v_mul_f64_e32 v[87:88], v[55:56], v[63:64]
	v_mul_f64_e32 v[89:90], v[53:54], v[63:64]
	s_wait_dscnt 0x0
	v_mul_f64_e32 v[91:92], v[55:56], v[67:68]
	v_mul_f64_e32 v[93:94], v[53:54], v[67:68]
	;; [unrolled: 1-line block ×6, first 2 shown]
	v_fma_f64 v[95:96], v[21:22], v[25:26], -v[95:96]
	v_fma_f64 v[99:100], v[23:24], v[25:26], v[99:100]
	v_fma_f64 v[101:102], v[21:22], v[29:30], -v[101:102]
	v_fma_f64 v[103:104], v[23:24], v[29:30], v[103:104]
	v_fma_f64 v[127:128], v[35:36], v[25:26], v[27:28]
	;; [unrolled: 1-line block ×3, first 2 shown]
	ds_load_b128 v[1:4], v39 offset:96
	ds_load_b128 v[43:46], v38 offset:3072
	;; [unrolled: 1-line block ×8, first 2 shown]
	s_wait_loadcnt_dscnt 0x0
	s_barrier_signal -1
	s_barrier_wait -1
	global_inv scope:SCOPE_SE
	v_add_f64_e32 v[81:82], v[81:82], v[97:98]
	v_add_f64_e32 v[83:84], v[105:106], v[83:84]
	;; [unrolled: 1-line block ×8, first 2 shown]
	v_mul_f64_e32 v[79:80], v[3:4], v[45:46]
	v_mul_f64_e32 v[105:106], v[1:2], v[45:46]
	;; [unrolled: 1-line block ×8, first 2 shown]
	v_fma_f64 v[87:88], v[53:54], v[61:62], -v[87:88]
	v_fma_f64 v[89:90], v[55:56], v[61:62], v[89:90]
	v_fma_f64 v[53:54], v[53:54], v[65:66], -v[91:92]
	v_fma_f64 v[55:56], v[55:56], v[65:66], v[93:94]
	;; [unrolled: 2-line block ×4, first 2 shown]
	v_mul_f64_e32 v[93:94], v[23:24], v[35:36]
	v_add_f64_e32 v[63:64], v[81:82], v[95:96]
	v_add_f64_e32 v[65:66], v[99:100], v[83:84]
	;; [unrolled: 1-line block ×8, first 2 shown]
	v_mul_f64_e32 v[83:84], v[23:24], v[31:32]
	v_mul_f64_e32 v[85:86], v[21:22], v[31:32]
	;; [unrolled: 1-line block ×7, first 2 shown]
	v_fma_f64 v[79:80], v[1:2], v[43:44], -v[79:80]
	v_fma_f64 v[101:102], v[3:4], v[43:44], v[105:106]
	v_fma_f64 v[1:2], v[1:2], v[47:48], -v[107:108]
	v_fma_f64 v[3:4], v[3:4], v[47:48], v[109:110]
	;; [unrolled: 2-line block ×4, first 2 shown]
	v_add_f64_e32 v[49:50], v[63:64], v[87:88]
	v_add_f64_e32 v[63:64], v[89:90], v[65:66]
	;; [unrolled: 1-line block ×8, first 2 shown]
	v_fma_f64 v[59:60], v[21:22], v[29:30], -v[83:84]
	v_fma_f64 v[67:68], v[23:24], v[29:30], v[85:86]
	v_fma_f64 v[21:22], v[21:22], v[33:34], -v[93:94]
	v_fma_f64 v[23:24], v[23:24], v[33:34], v[95:96]
	;; [unrolled: 2-line block ×4, first 2 shown]
	v_add_f64_e32 v[25:26], v[49:50], v[79:80]
	v_add_f64_e32 v[27:28], v[101:102], v[63:64]
	;; [unrolled: 1-line block ×16, first 2 shown]
	s_cbranch_scc0 .LBB123_16
.LBB123_10:                             ;   Parent Loop BB123_7 Depth=1
                                        ; =>  This Inner Loop Header: Depth=2
	s_wait_alu 0xfffe
	v_add_nc_u32_e32 v1, s4, v40
	v_mov_b32_e32 v3, 0
	v_mov_b32_e32 v4, 0
	s_delay_alu instid0(VALU_DEP_3) | instskip(SKIP_3) | instid1(SALU_CYCLE_1)
	v_cmp_gt_i32_e32 vcc_lo, s19, v1
	v_mov_b32_e32 v1, 0
	v_mov_b32_e32 v2, 0
	s_and_b32 s17, s0, vcc_lo
	s_and_saveexec_b32 s5, s17
	s_cbranch_execz .LBB123_12
; %bb.11:                               ;   in Loop: Header=BB123_10 Depth=2
	global_load_b128 v[1:4], v[17:18], off offset:-8
	s_wait_loadcnt 0x0
	v_xor_b32_e32 v4, 0x80000000, v4
.LBB123_12:                             ;   in Loop: Header=BB123_10 Depth=2
	s_wait_alu 0xfffe
	s_or_b32 exec_lo, exec_lo, s5
	v_add_nc_u32_e32 v43, s4, v37
	ds_store_b128 v41, v[1:4]
	v_cmp_le_i32_e32 vcc_lo, s19, v43
	s_or_b32 s5, vcc_lo, s16
	s_wait_alu 0xfffe
	s_and_saveexec_b32 s17, s5
	s_delay_alu instid0(SALU_CYCLE_1)
	s_xor_b32 s5, exec_lo, s17
; %bb.13:                               ;   in Loop: Header=BB123_10 Depth=2
	v_dual_mov_b32 v1, v0 :: v_dual_mov_b32 v2, v0
	v_mov_b32_e32 v3, v0
	ds_store_b128 v42, v[0:3]
; %bb.14:                               ;   in Loop: Header=BB123_10 Depth=2
	s_wait_alu 0xfffe
	s_and_not1_saveexec_b32 s5, s5
	s_cbranch_execz .LBB123_9
; %bb.15:                               ;   in Loop: Header=BB123_10 Depth=2
	global_load_b128 v[1:4], v[19:20], off
	s_wait_loadcnt 0x0
	ds_store_2addr_b64 v42, v[1:2], v[3:4] offset1:1
	s_branch .LBB123_9
.LBB123_16:                             ;   in Loop: Header=BB123_7 Depth=1
	s_mul_u64 s[4:5], s[30:31], s[28:29]
	s_wait_alu 0xfffe
	s_lshl_b64 s[4:5], s[4:5], 4
	s_wait_alu 0xfffe
	s_add_nc_u64 s[4:5], s[24:25], s[4:5]
	s_wait_alu 0xfffe
	v_add_co_u32 v17, vcc_lo, s4, v13
	s_wait_alu 0xfffd
	v_add_co_ci_u32_e64 v18, null, s5, v14, vcc_lo
	s_and_saveexec_b32 s17, s33
	s_cbranch_execz .LBB123_21
; %bb.17:                               ;   in Loop: Header=BB123_7 Depth=1
	v_mul_f64_e32 v[1:2], s[14:15], v[35:36]
	v_mul_f64_e32 v[3:4], s[12:13], v[35:36]
	s_and_b32 vcc_lo, exec_lo, s18
	s_mov_b32 s20, -1
	s_delay_alu instid0(VALU_DEP_2) | instskip(NEXT) | instid1(VALU_DEP_2)
	v_fma_f64 v[1:2], s[12:13], v[33:34], -v[1:2]
	v_fma_f64 v[3:4], s[14:15], v[33:34], v[3:4]
	s_wait_alu 0xfffe
	s_cbranch_vccz .LBB123_19
; %bb.18:                               ;   in Loop: Header=BB123_7 Depth=1
	v_lshlrev_b64_e32 v[19:20], 4, v[5:6]
	s_mov_b32 s20, 0
	s_delay_alu instid0(VALU_DEP_1) | instskip(SKIP_1) | instid1(VALU_DEP_2)
	v_add_co_u32 v19, vcc_lo, v17, v19
	s_wait_alu 0xfffd
	v_add_co_ci_u32_e64 v20, null, v18, v20, vcc_lo
	global_load_b128 v[33:36], v[19:20], off
	s_wait_loadcnt 0x0
	v_mul_f64_e32 v[43:44], s[10:11], v[35:36]
	v_mul_f64_e32 v[35:36], s[8:9], v[35:36]
	s_delay_alu instid0(VALU_DEP_2) | instskip(NEXT) | instid1(VALU_DEP_2)
	v_fma_f64 v[43:44], s[8:9], v[33:34], -v[43:44]
	v_fma_f64 v[35:36], s[10:11], v[33:34], v[35:36]
	s_delay_alu instid0(VALU_DEP_2) | instskip(NEXT) | instid1(VALU_DEP_2)
	v_add_f64_e32 v[33:34], v[1:2], v[43:44]
	v_add_f64_e32 v[35:36], v[3:4], v[35:36]
	global_store_b128 v[19:20], v[33:36], off
.LBB123_19:                             ;   in Loop: Header=BB123_7 Depth=1
	s_and_not1_b32 vcc_lo, exec_lo, s20
	s_wait_alu 0xfffe
	s_cbranch_vccnz .LBB123_21
; %bb.20:                               ;   in Loop: Header=BB123_7 Depth=1
	v_lshlrev_b64_e32 v[19:20], 4, v[5:6]
	s_delay_alu instid0(VALU_DEP_1) | instskip(SKIP_1) | instid1(VALU_DEP_2)
	v_add_co_u32 v19, vcc_lo, v17, v19
	s_wait_alu 0xfffd
	v_add_co_ci_u32_e64 v20, null, v18, v20, vcc_lo
	global_store_b128 v[19:20], v[1:4], off
.LBB123_21:                             ;   in Loop: Header=BB123_7 Depth=1
	s_or_b32 exec_lo, exec_lo, s17
	s_and_saveexec_b32 s17, s34
	s_cbranch_execz .LBB123_26
; %bb.22:                               ;   in Loop: Header=BB123_7 Depth=1
	v_mul_f64_e32 v[1:2], s[14:15], v[31:32]
	v_mul_f64_e32 v[3:4], s[12:13], v[31:32]
	s_and_not1_b32 vcc_lo, exec_lo, s18
	s_mov_b32 s20, -1
	s_delay_alu instid0(VALU_DEP_2) | instskip(NEXT) | instid1(VALU_DEP_2)
	v_fma_f64 v[1:2], s[12:13], v[29:30], -v[1:2]
	v_fma_f64 v[3:4], s[14:15], v[29:30], v[3:4]
	s_wait_alu 0xfffe
	s_cbranch_vccnz .LBB123_24
; %bb.23:                               ;   in Loop: Header=BB123_7 Depth=1
	v_lshlrev_b64_e32 v[19:20], 4, v[7:8]
	s_mov_b32 s20, 0
	s_delay_alu instid0(VALU_DEP_1) | instskip(SKIP_1) | instid1(VALU_DEP_2)
	v_add_co_u32 v19, vcc_lo, v17, v19
	s_wait_alu 0xfffd
	v_add_co_ci_u32_e64 v20, null, v18, v20, vcc_lo
	global_load_b128 v[29:32], v[19:20], off
	s_wait_loadcnt 0x0
	v_mul_f64_e32 v[33:34], s[10:11], v[31:32]
	v_mul_f64_e32 v[31:32], s[8:9], v[31:32]
	s_delay_alu instid0(VALU_DEP_2) | instskip(NEXT) | instid1(VALU_DEP_2)
	v_fma_f64 v[33:34], s[8:9], v[29:30], -v[33:34]
	v_fma_f64 v[31:32], s[10:11], v[29:30], v[31:32]
	s_delay_alu instid0(VALU_DEP_2) | instskip(NEXT) | instid1(VALU_DEP_2)
	v_add_f64_e32 v[29:30], v[1:2], v[33:34]
	v_add_f64_e32 v[31:32], v[3:4], v[31:32]
	global_store_b128 v[19:20], v[29:32], off
.LBB123_24:                             ;   in Loop: Header=BB123_7 Depth=1
	s_and_not1_b32 vcc_lo, exec_lo, s20
	s_wait_alu 0xfffe
	s_cbranch_vccnz .LBB123_26
; %bb.25:                               ;   in Loop: Header=BB123_7 Depth=1
	v_lshlrev_b64_e32 v[19:20], 4, v[7:8]
	s_delay_alu instid0(VALU_DEP_1) | instskip(SKIP_1) | instid1(VALU_DEP_2)
	v_add_co_u32 v17, vcc_lo, v17, v19
	s_wait_alu 0xfffd
	v_add_co_ci_u32_e64 v18, null, v18, v20, vcc_lo
	global_store_b128 v[17:18], v[1:4], off
.LBB123_26:                             ;   in Loop: Header=BB123_7 Depth=1
	s_or_b32 exec_lo, exec_lo, s17
	v_add_co_u32 v19, vcc_lo, s4, v15
	s_wait_alu 0xfffd
	v_add_co_ci_u32_e64 v20, null, s5, v16, vcc_lo
	s_and_saveexec_b32 s4, s1
	s_cbranch_execz .LBB123_31
; %bb.27:                               ;   in Loop: Header=BB123_7 Depth=1
	v_mul_f64_e32 v[1:2], s[14:15], v[27:28]
	v_mul_f64_e32 v[3:4], s[12:13], v[27:28]
	v_lshlrev_b64_e32 v[17:18], 4, v[5:6]
	s_and_not1_b32 vcc_lo, exec_lo, s18
	s_mov_b32 s5, -1
	s_delay_alu instid0(VALU_DEP_3) | instskip(NEXT) | instid1(VALU_DEP_3)
	v_fma_f64 v[1:2], s[12:13], v[25:26], -v[1:2]
	v_fma_f64 v[3:4], s[14:15], v[25:26], v[3:4]
	s_wait_alu 0xfffe
	s_cbranch_vccnz .LBB123_29
; %bb.28:                               ;   in Loop: Header=BB123_7 Depth=1
	v_add_co_u32 v29, vcc_lo, v19, v17
	s_wait_alu 0xfffd
	v_add_co_ci_u32_e64 v30, null, v20, v18, vcc_lo
	s_mov_b32 s5, 0
	global_load_b128 v[25:28], v[29:30], off
	s_wait_loadcnt 0x0
	v_mul_f64_e32 v[31:32], s[10:11], v[27:28]
	v_mul_f64_e32 v[27:28], s[8:9], v[27:28]
	s_delay_alu instid0(VALU_DEP_2) | instskip(NEXT) | instid1(VALU_DEP_2)
	v_fma_f64 v[31:32], s[8:9], v[25:26], -v[31:32]
	v_fma_f64 v[27:28], s[10:11], v[25:26], v[27:28]
	s_delay_alu instid0(VALU_DEP_2) | instskip(NEXT) | instid1(VALU_DEP_2)
	v_add_f64_e32 v[25:26], v[1:2], v[31:32]
	v_add_f64_e32 v[27:28], v[3:4], v[27:28]
	global_store_b128 v[29:30], v[25:28], off
.LBB123_29:                             ;   in Loop: Header=BB123_7 Depth=1
	s_wait_alu 0xfffe
	s_and_not1_b32 vcc_lo, exec_lo, s5
	s_wait_alu 0xfffe
	s_cbranch_vccnz .LBB123_31
; %bb.30:                               ;   in Loop: Header=BB123_7 Depth=1
	v_add_co_u32 v17, vcc_lo, v19, v17
	s_wait_alu 0xfffd
	v_add_co_ci_u32_e64 v18, null, v20, v18, vcc_lo
	global_store_b128 v[17:18], v[1:4], off
.LBB123_31:                             ;   in Loop: Header=BB123_7 Depth=1
	s_wait_alu 0xfffe
	s_or_b32 exec_lo, exec_lo, s4
	s_and_saveexec_b32 s4, s26
	s_cbranch_execz .LBB123_6
; %bb.32:                               ;   in Loop: Header=BB123_7 Depth=1
	v_mul_f64_e32 v[1:2], s[14:15], v[21:22]
	v_mul_f64_e32 v[3:4], s[12:13], v[21:22]
	v_lshlrev_b64_e32 v[17:18], 4, v[7:8]
	s_and_not1_b32 vcc_lo, exec_lo, s18
	s_mov_b32 s5, -1
	s_delay_alu instid0(VALU_DEP_3) | instskip(NEXT) | instid1(VALU_DEP_3)
	v_fma_f64 v[1:2], s[12:13], v[23:24], -v[1:2]
	v_fma_f64 v[3:4], s[14:15], v[23:24], v[3:4]
	s_wait_alu 0xfffe
	s_cbranch_vccnz .LBB123_34
; %bb.33:                               ;   in Loop: Header=BB123_7 Depth=1
	v_add_co_u32 v25, vcc_lo, v19, v17
	s_wait_alu 0xfffd
	v_add_co_ci_u32_e64 v26, null, v20, v18, vcc_lo
	s_mov_b32 s5, 0
	global_load_b128 v[21:24], v[25:26], off
	s_wait_loadcnt 0x0
	v_mul_f64_e32 v[27:28], s[10:11], v[23:24]
	v_mul_f64_e32 v[23:24], s[8:9], v[23:24]
	s_delay_alu instid0(VALU_DEP_2) | instskip(NEXT) | instid1(VALU_DEP_2)
	v_fma_f64 v[27:28], s[8:9], v[21:22], -v[27:28]
	v_fma_f64 v[23:24], s[10:11], v[21:22], v[23:24]
	s_delay_alu instid0(VALU_DEP_2) | instskip(NEXT) | instid1(VALU_DEP_2)
	v_add_f64_e32 v[21:22], v[1:2], v[27:28]
	v_add_f64_e32 v[23:24], v[3:4], v[23:24]
	global_store_b128 v[25:26], v[21:24], off
.LBB123_34:                             ;   in Loop: Header=BB123_7 Depth=1
	s_wait_alu 0xfffe
	s_and_not1_b32 vcc_lo, exec_lo, s5
	s_wait_alu 0xfffe
	s_cbranch_vccnz .LBB123_6
; %bb.35:                               ;   in Loop: Header=BB123_7 Depth=1
	v_add_co_u32 v17, vcc_lo, v19, v17
	s_wait_alu 0xfffd
	v_add_co_ci_u32_e64 v18, null, v20, v18, vcc_lo
	global_store_b128 v[17:18], v[1:4], off
	s_branch .LBB123_6
.LBB123_36:
.LBB123_37:
	s_nop 0
	s_sendmsg sendmsg(MSG_DEALLOC_VGPRS)
	s_endpgm
	.section	.rodata,"a",@progbits
	.p2align	6, 0x0
	.amdhsa_kernel _ZL29rocblas_internal_gemmt_kernelIiLi16ELi32ELi8ELc67ELc78ELc76ELb1ELb0E19rocblas_complex_numIdEPKS1_S3_PS1_EviT_T9_T10_S5_lS7_S5_lS6_T11_S5_li
		.amdhsa_group_segment_fixed_size 8192
		.amdhsa_private_segment_fixed_size 0
		.amdhsa_kernarg_size 100
		.amdhsa_user_sgpr_count 2
		.amdhsa_user_sgpr_dispatch_ptr 0
		.amdhsa_user_sgpr_queue_ptr 0
		.amdhsa_user_sgpr_kernarg_segment_ptr 1
		.amdhsa_user_sgpr_dispatch_id 0
		.amdhsa_user_sgpr_private_segment_size 0
		.amdhsa_wavefront_size32 1
		.amdhsa_uses_dynamic_stack 0
		.amdhsa_enable_private_segment 0
		.amdhsa_system_sgpr_workgroup_id_x 1
		.amdhsa_system_sgpr_workgroup_id_y 1
		.amdhsa_system_sgpr_workgroup_id_z 1
		.amdhsa_system_sgpr_workgroup_info 0
		.amdhsa_system_vgpr_workitem_id 1
		.amdhsa_next_free_vgpr 131
		.amdhsa_next_free_sgpr 39
		.amdhsa_reserve_vcc 1
		.amdhsa_float_round_mode_32 0
		.amdhsa_float_round_mode_16_64 0
		.amdhsa_float_denorm_mode_32 3
		.amdhsa_float_denorm_mode_16_64 3
		.amdhsa_fp16_overflow 0
		.amdhsa_workgroup_processor_mode 1
		.amdhsa_memory_ordered 1
		.amdhsa_forward_progress 1
		.amdhsa_inst_pref_size 27
		.amdhsa_round_robin_scheduling 0
		.amdhsa_exception_fp_ieee_invalid_op 0
		.amdhsa_exception_fp_denorm_src 0
		.amdhsa_exception_fp_ieee_div_zero 0
		.amdhsa_exception_fp_ieee_overflow 0
		.amdhsa_exception_fp_ieee_underflow 0
		.amdhsa_exception_fp_ieee_inexact 0
		.amdhsa_exception_int_div_zero 0
	.end_amdhsa_kernel
	.section	.text._ZL29rocblas_internal_gemmt_kernelIiLi16ELi32ELi8ELc67ELc78ELc76ELb1ELb0E19rocblas_complex_numIdEPKS1_S3_PS1_EviT_T9_T10_S5_lS7_S5_lS6_T11_S5_li,"axG",@progbits,_ZL29rocblas_internal_gemmt_kernelIiLi16ELi32ELi8ELc67ELc78ELc76ELb1ELb0E19rocblas_complex_numIdEPKS1_S3_PS1_EviT_T9_T10_S5_lS7_S5_lS6_T11_S5_li,comdat
.Lfunc_end123:
	.size	_ZL29rocblas_internal_gemmt_kernelIiLi16ELi32ELi8ELc67ELc78ELc76ELb1ELb0E19rocblas_complex_numIdEPKS1_S3_PS1_EviT_T9_T10_S5_lS7_S5_lS6_T11_S5_li, .Lfunc_end123-_ZL29rocblas_internal_gemmt_kernelIiLi16ELi32ELi8ELc67ELc78ELc76ELb1ELb0E19rocblas_complex_numIdEPKS1_S3_PS1_EviT_T9_T10_S5_lS7_S5_lS6_T11_S5_li
                                        ; -- End function
	.set _ZL29rocblas_internal_gemmt_kernelIiLi16ELi32ELi8ELc67ELc78ELc76ELb1ELb0E19rocblas_complex_numIdEPKS1_S3_PS1_EviT_T9_T10_S5_lS7_S5_lS6_T11_S5_li.num_vgpr, 131
	.set _ZL29rocblas_internal_gemmt_kernelIiLi16ELi32ELi8ELc67ELc78ELc76ELb1ELb0E19rocblas_complex_numIdEPKS1_S3_PS1_EviT_T9_T10_S5_lS7_S5_lS6_T11_S5_li.num_agpr, 0
	.set _ZL29rocblas_internal_gemmt_kernelIiLi16ELi32ELi8ELc67ELc78ELc76ELb1ELb0E19rocblas_complex_numIdEPKS1_S3_PS1_EviT_T9_T10_S5_lS7_S5_lS6_T11_S5_li.numbered_sgpr, 39
	.set _ZL29rocblas_internal_gemmt_kernelIiLi16ELi32ELi8ELc67ELc78ELc76ELb1ELb0E19rocblas_complex_numIdEPKS1_S3_PS1_EviT_T9_T10_S5_lS7_S5_lS6_T11_S5_li.num_named_barrier, 0
	.set _ZL29rocblas_internal_gemmt_kernelIiLi16ELi32ELi8ELc67ELc78ELc76ELb1ELb0E19rocblas_complex_numIdEPKS1_S3_PS1_EviT_T9_T10_S5_lS7_S5_lS6_T11_S5_li.private_seg_size, 0
	.set _ZL29rocblas_internal_gemmt_kernelIiLi16ELi32ELi8ELc67ELc78ELc76ELb1ELb0E19rocblas_complex_numIdEPKS1_S3_PS1_EviT_T9_T10_S5_lS7_S5_lS6_T11_S5_li.uses_vcc, 1
	.set _ZL29rocblas_internal_gemmt_kernelIiLi16ELi32ELi8ELc67ELc78ELc76ELb1ELb0E19rocblas_complex_numIdEPKS1_S3_PS1_EviT_T9_T10_S5_lS7_S5_lS6_T11_S5_li.uses_flat_scratch, 0
	.set _ZL29rocblas_internal_gemmt_kernelIiLi16ELi32ELi8ELc67ELc78ELc76ELb1ELb0E19rocblas_complex_numIdEPKS1_S3_PS1_EviT_T9_T10_S5_lS7_S5_lS6_T11_S5_li.has_dyn_sized_stack, 0
	.set _ZL29rocblas_internal_gemmt_kernelIiLi16ELi32ELi8ELc67ELc78ELc76ELb1ELb0E19rocblas_complex_numIdEPKS1_S3_PS1_EviT_T9_T10_S5_lS7_S5_lS6_T11_S5_li.has_recursion, 0
	.set _ZL29rocblas_internal_gemmt_kernelIiLi16ELi32ELi8ELc67ELc78ELc76ELb1ELb0E19rocblas_complex_numIdEPKS1_S3_PS1_EviT_T9_T10_S5_lS7_S5_lS6_T11_S5_li.has_indirect_call, 0
	.section	.AMDGPU.csdata,"",@progbits
; Kernel info:
; codeLenInByte = 3404
; TotalNumSgprs: 41
; NumVgprs: 131
; ScratchSize: 0
; MemoryBound: 1
; FloatMode: 240
; IeeeMode: 1
; LDSByteSize: 8192 bytes/workgroup (compile time only)
; SGPRBlocks: 0
; VGPRBlocks: 16
; NumSGPRsForWavesPerEU: 41
; NumVGPRsForWavesPerEU: 131
; Occupancy: 10
; WaveLimiterHint : 0
; COMPUTE_PGM_RSRC2:SCRATCH_EN: 0
; COMPUTE_PGM_RSRC2:USER_SGPR: 2
; COMPUTE_PGM_RSRC2:TRAP_HANDLER: 0
; COMPUTE_PGM_RSRC2:TGID_X_EN: 1
; COMPUTE_PGM_RSRC2:TGID_Y_EN: 1
; COMPUTE_PGM_RSRC2:TGID_Z_EN: 1
; COMPUTE_PGM_RSRC2:TIDIG_COMP_CNT: 1
	.section	.text._ZL29rocblas_internal_gemmt_kernelIiLi16ELi32ELi8ELc67ELc84ELc76ELb1ELb0E19rocblas_complex_numIdEPKS1_S3_PS1_EviT_T9_T10_S5_lS7_S5_lS6_T11_S5_li,"axG",@progbits,_ZL29rocblas_internal_gemmt_kernelIiLi16ELi32ELi8ELc67ELc84ELc76ELb1ELb0E19rocblas_complex_numIdEPKS1_S3_PS1_EviT_T9_T10_S5_lS7_S5_lS6_T11_S5_li,comdat
	.globl	_ZL29rocblas_internal_gemmt_kernelIiLi16ELi32ELi8ELc67ELc84ELc76ELb1ELb0E19rocblas_complex_numIdEPKS1_S3_PS1_EviT_T9_T10_S5_lS7_S5_lS6_T11_S5_li ; -- Begin function _ZL29rocblas_internal_gemmt_kernelIiLi16ELi32ELi8ELc67ELc84ELc76ELb1ELb0E19rocblas_complex_numIdEPKS1_S3_PS1_EviT_T9_T10_S5_lS7_S5_lS6_T11_S5_li
	.p2align	8
	.type	_ZL29rocblas_internal_gemmt_kernelIiLi16ELi32ELi8ELc67ELc84ELc76ELb1ELb0E19rocblas_complex_numIdEPKS1_S3_PS1_EviT_T9_T10_S5_lS7_S5_lS6_T11_S5_li,@function
_ZL29rocblas_internal_gemmt_kernelIiLi16ELi32ELi8ELc67ELc84ELc76ELb1ELb0E19rocblas_complex_numIdEPKS1_S3_PS1_EviT_T9_T10_S5_lS7_S5_lS6_T11_S5_li: ; @_ZL29rocblas_internal_gemmt_kernelIiLi16ELi32ELi8ELc67ELc84ELc76ELb1ELb0E19rocblas_complex_numIdEPKS1_S3_PS1_EviT_T9_T10_S5_lS7_S5_lS6_T11_S5_li
; %bb.0:
	s_load_b128 s[16:19], s[0:1], 0x38
	s_wait_kmcnt 0x0
	s_load_b128 s[8:11], s[18:19], 0x0
	s_clause 0x1
	s_load_b128 s[4:7], s[0:1], 0x8
	s_load_b64 s[18:19], s[0:1], 0x0
	s_wait_kmcnt 0x0
	s_load_b128 s[12:15], s[4:5], 0x0
	v_cmp_eq_f64_e64 s2, s[8:9], 1.0
	v_cmp_eq_f64_e64 s3, s[10:11], 0
	s_and_b32 s2, s2, s3
	s_delay_alu instid0(SALU_CYCLE_1)
	s_and_not1_b32 vcc_lo, exec_lo, s2
	s_mov_b32 s2, -1
	s_cbranch_vccnz .LBB124_3
; %bb.1:
	s_cmp_lg_u32 s19, 0
	s_cbranch_scc0 .LBB124_36
; %bb.2:
	s_wait_kmcnt 0x0
	v_cmp_neq_f64_e64 s2, s[12:13], 0
	v_cmp_neq_f64_e64 s4, s[14:15], 0
	s_or_b32 s2, s2, s4
.LBB124_3:
	s_delay_alu instid0(SALU_CYCLE_1)
	s_and_b32 vcc_lo, exec_lo, s2
	s_cbranch_vccz .LBB124_37
; %bb.4:
	s_load_b32 s27, s[0:1], 0x60
	s_lshr_b32 s28, ttmp7, 16
	s_wait_kmcnt 0x0
	s_cmp_ge_u32 s28, s27
	s_cbranch_scc1 .LBB124_37
; %bb.5:
	v_cmp_neq_f64_e64 s4, s[12:13], 0
	v_cmp_neq_f64_e64 s5, s[14:15], 0
	;; [unrolled: 1-line block ×3, first 2 shown]
	v_and_b32_e32 v1, 0x3ff, v0
	v_bfe_u32 v2, v0, 10, 10
	s_clause 0x4
	s_load_b32 s37, s[0:1], 0x18
	s_load_b128 s[20:23], s[0:1], 0x20
	s_load_b32 s34, s[0:1], 0x30
	s_load_b96 s[24:26], s[0:1], 0x48
	s_load_b64 s[30:31], s[0:1], 0x58
	v_and_b32_e32 v37, 7, v0
	s_lshl_b32 s0, ttmp9, 5
	s_lshl_b32 s1, ttmp7, 5
	v_lshl_add_u32 v0, v2, 4, v1
	v_lshlrev_b32_e32 v38, 4, v1
	v_add_nc_u32_e32 v5, s0, v1
	s_and_b32 s2, s1, 0x1fffe0
	v_lshlrev_b32_e32 v3, 4, v37
	v_and_b32_e32 v1, 31, v0
	v_add_nc_u32_e32 v4, s2, v2
	v_lshrrev_b32_e32 v40, 5, v0
	v_lshrrev_b32_e32 v0, 3, v0
	v_lshl_add_u32 v39, v2, 7, 0x1000
	v_or_b32_e32 v2, s0, v1
	v_cmp_le_i32_e32 vcc_lo, v4, v5
	v_cmp_gt_i32_e64 s1, s18, v5
	v_add_nc_u32_e32 v7, 16, v5
	v_lshlrev_b32_e32 v1, 4, v1
	v_add_nc_u32_e32 v11, s2, v0
	v_lshl_or_b32 v0, v0, 7, v3
	v_cmp_gt_i32_e64 s0, s18, v2
	s_wait_kmcnt 0x0
	v_mad_co_i64_i32 v[2:3], null, s37, v2, 0
	s_ashr_i32 s35, s34, 31
	v_lshl_or_b32 v41, v40, 9, v1
	v_add_nc_u32_e32 v42, 0x1000, v0
	v_mad_co_i64_i32 v[0:1], null, v4, s26, 0
	v_lshlrev_b32_e32 v12, 4, v40
	v_lshlrev_b64_e32 v[2:3], 4, v[2:3]
	v_mad_co_i64_i32 v[9:10], null, s34, v37, 0
	v_cmp_gt_i32_e64 s2, s18, v11
	s_or_b32 s38, s4, s5
	s_cmp_gt_i32 s19, 0
	v_lshlrev_b32_e32 v11, 4, v11
	s_cselect_b32 s39, -1, 0
	s_and_b32 s33, vcc_lo, s1
	v_cmp_le_i32_e32 vcc_lo, v4, v7
	v_add_nc_u32_e32 v4, 16, v4
	s_xor_b32 s3, s3, -1
	v_lshlrev_b64_e32 v[13:14], 4, v[0:1]
	s_wait_alu 0xfffe
	s_or_b32 s36, s36, s3
	v_cmp_gt_i32_e64 s3, s18, v7
	v_cmp_le_i32_e64 s4, v4, v5
	v_mad_co_i64_i32 v[15:16], null, v4, s26, 0
	v_ashrrev_i32_e32 v6, 31, v5
	s_delay_alu instid0(VALU_DEP_4) | instskip(NEXT) | instid1(VALU_DEP_3)
	s_and_b32 s18, vcc_lo, s3
	s_and_b32 s26, s4, s1
	v_cmp_le_i32_e32 vcc_lo, v4, v7
	v_add_co_u32 v2, s1, v2, v12
	s_wait_alu 0xf1ff
	v_add_co_ci_u32_e64 v3, null, 0, v3, s1
	s_and_b32 s1, vcc_lo, s3
	v_add_co_u32 v4, vcc_lo, s6, v2
	s_delay_alu instid0(VALU_DEP_1) | instskip(SKIP_1) | instid1(VALU_DEP_3)
	v_add_co_ci_u32_e64 v12, null, s7, v3, vcc_lo
	v_lshlrev_b64_e32 v[2:3], 4, v[9:10]
	v_add_co_u32 v9, vcc_lo, v4, 8
	s_wait_alu 0xfffd
	s_delay_alu instid0(VALU_DEP_3) | instskip(SKIP_1) | instid1(VALU_DEP_4)
	v_add_co_ci_u32_e64 v10, null, 0, v12, vcc_lo
	v_lshlrev_b64_e32 v[15:16], 4, v[15:16]
	v_add_co_u32 v2, vcc_lo, v2, v11
	s_wait_alu 0xfffd
	v_add_co_ci_u32_e64 v3, null, 0, v3, vcc_lo
	v_ashrrev_i32_e32 v8, 31, v7
	s_delay_alu instid0(VALU_DEP_3) | instskip(SKIP_1) | instid1(VALU_DEP_3)
	v_add_co_u32 v11, vcc_lo, s22, v2
	s_wait_alu 0xfffd
	v_add_co_ci_u32_e64 v12, null, s23, v3, vcc_lo
	v_mov_b32_e32 v0, 0
	s_mov_b32 s29, 0
	s_lshl_b64 s[4:5], s[20:21], 4
	s_and_b32 s20, s38, s39
	s_lshl_b64 s[6:7], s[16:17], 4
	s_lshl_b64 s[16:17], s[34:35], 7
	s_xor_b32 s21, s2, -1
	s_branch .LBB124_7
.LBB124_6:                              ;   in Loop: Header=BB124_7 Depth=1
	s_wait_alu 0xfffe
	s_or_b32 exec_lo, exec_lo, s2
	s_add_co_i32 s28, s28, 0x10000
	s_wait_alu 0xfffe
	s_cmp_lt_u32 s28, s27
	s_cbranch_scc0 .LBB124_37
.LBB124_7:                              ; =>This Loop Header: Depth=1
                                        ;     Child Loop BB124_10 Depth 2
	v_mov_b32_e32 v33, 0
	v_mov_b32_e32 v29, 0
	;; [unrolled: 1-line block ×3, first 2 shown]
	v_dual_mov_b32 v23, 0 :: v_dual_mov_b32 v34, 0
	v_dual_mov_b32 v35, 0 :: v_dual_mov_b32 v30, 0
	;; [unrolled: 1-line block ×5, first 2 shown]
	v_mov_b32_e32 v32, 0
	v_mov_b32_e32 v28, 0
	;; [unrolled: 1-line block ×3, first 2 shown]
	s_and_not1_b32 vcc_lo, exec_lo, s20
	s_wait_alu 0xfffe
	s_cbranch_vccnz .LBB124_16
; %bb.8:                                ;   in Loop: Header=BB124_7 Depth=1
	v_mad_co_u64_u32 v[17:18], null, s4, s28, v[9:10]
	v_mad_co_u64_u32 v[19:20], null, s6, s28, v[11:12]
	v_mov_b32_e32 v21, 0
	v_mov_b32_e32 v23, 0
	v_mov_b32_e32 v25, 0
	v_mov_b32_e32 v29, 0
	v_dual_mov_b32 v1, v18 :: v_dual_mov_b32 v22, 0
	v_mov_b32_e32 v2, v20
	v_dual_mov_b32 v24, 0 :: v_dual_mov_b32 v27, 0
	v_dual_mov_b32 v26, 0 :: v_dual_mov_b32 v31, 0
	s_delay_alu instid0(VALU_DEP_3)
	v_mad_co_u64_u32 v[3:4], null, s5, s28, v[1:2]
	v_dual_mov_b32 v30, 0 :: v_dual_mov_b32 v35, 0
	v_dual_mov_b32 v33, 0 :: v_dual_mov_b32 v28, 0
	v_mov_b32_e32 v32, 0
	v_mov_b32_e32 v36, 0
	v_mad_co_u64_u32 v[1:2], null, s7, s28, v[2:3]
	v_mov_b32_e32 v34, 0
	v_mov_b32_e32 v18, v3
	s_mov_b32 s2, 0
	s_delay_alu instid0(VALU_DEP_3)
	v_mov_b32_e32 v20, v1
	s_branch .LBB124_10
.LBB124_9:                              ;   in Loop: Header=BB124_10 Depth=2
	s_wait_alu 0xfffe
	s_or_b32 exec_lo, exec_lo, s3
	s_wait_dscnt 0x0
	s_barrier_signal -1
	s_barrier_wait -1
	global_inv scope:SCOPE_SE
	ds_load_b128 v[1:4], v39
	ds_load_b128 v[43:46], v38
	ds_load_b128 v[47:50], v38 offset:256
	ds_load_b128 v[51:54], v39 offset:2048
	;; [unrolled: 1-line block ×10, first 2 shown]
	v_add_co_u32 v17, vcc_lo, 0x80, v17
	s_wait_alu 0xfffd
	v_add_co_ci_u32_e64 v18, null, 0, v18, vcc_lo
	v_add_co_u32 v19, vcc_lo, v19, s16
	s_wait_alu 0xfffd
	v_add_co_ci_u32_e64 v20, null, s17, v20, vcc_lo
	s_add_co_i32 s2, s2, 8
	s_wait_alu 0xfffe
	s_cmp_lt_i32 s2, s19
	s_wait_dscnt 0xa
	v_mul_f64_e32 v[87:88], v[3:4], v[45:46]
	v_mul_f64_e32 v[89:90], v[1:2], v[45:46]
	s_wait_dscnt 0x9
	v_mul_f64_e32 v[91:92], v[3:4], v[49:50]
	v_mul_f64_e32 v[93:94], v[1:2], v[49:50]
	;; [unrolled: 3-line block ×3, first 2 shown]
	v_mul_f64_e32 v[97:98], v[53:54], v[49:50]
	v_mul_f64_e32 v[49:50], v[51:52], v[49:50]
	s_wait_dscnt 0x5
	v_mul_f64_e32 v[99:100], v[57:58], v[65:66]
	v_mul_f64_e32 v[101:102], v[55:56], v[65:66]
	s_wait_dscnt 0x4
	v_mul_f64_e32 v[103:104], v[57:58], v[69:70]
	v_mul_f64_e32 v[105:106], v[55:56], v[69:70]
	;; [unrolled: 1-line block ×6, first 2 shown]
	s_wait_dscnt 0x2
	v_mul_f64_e32 v[115:116], v[73:74], v[77:78]
	v_mul_f64_e32 v[117:118], v[71:72], v[77:78]
	s_wait_dscnt 0x1
	v_mul_f64_e32 v[119:120], v[73:74], v[81:82]
	v_mul_f64_e32 v[121:122], v[71:72], v[81:82]
	;; [unrolled: 3-line block ×3, first 2 shown]
	v_mul_f64_e32 v[125:126], v[85:86], v[81:82]
	v_mul_f64_e32 v[81:82], v[83:84], v[81:82]
	v_fma_f64 v[87:88], v[1:2], v[43:44], -v[87:88]
	v_fma_f64 v[89:90], v[3:4], v[43:44], v[89:90]
	v_fma_f64 v[91:92], v[1:2], v[47:48], -v[91:92]
	v_fma_f64 v[93:94], v[3:4], v[47:48], v[93:94]
	v_fma_f64 v[95:96], v[51:52], v[43:44], -v[95:96]
	v_fma_f64 v[111:112], v[53:54], v[43:44], v[45:46]
	v_fma_f64 v[97:98], v[51:52], v[47:48], -v[97:98]
	v_fma_f64 v[113:114], v[53:54], v[47:48], v[49:50]
	v_fma_f64 v[99:100], v[55:56], v[63:64], -v[99:100]
	v_fma_f64 v[101:102], v[57:58], v[63:64], v[101:102]
	v_fma_f64 v[55:56], v[55:56], v[67:68], -v[103:104]
	v_fma_f64 v[57:58], v[57:58], v[67:68], v[105:106]
	v_fma_f64 v[103:104], v[59:60], v[63:64], -v[107:108]
	v_fma_f64 v[63:64], v[61:62], v[63:64], v[65:66]
	v_fma_f64 v[59:60], v[59:60], v[67:68], -v[109:110]
	v_fma_f64 v[61:62], v[61:62], v[67:68], v[69:70]
	ds_load_b128 v[1:4], v39 offset:48
	ds_load_b128 v[43:46], v39 offset:2096
	;; [unrolled: 1-line block ×4, first 2 shown]
	v_fma_f64 v[115:116], v[71:72], v[75:76], -v[115:116]
	v_fma_f64 v[117:118], v[73:74], v[75:76], v[117:118]
	v_fma_f64 v[71:72], v[71:72], v[79:80], -v[119:120]
	v_fma_f64 v[73:74], v[73:74], v[79:80], v[121:122]
	;; [unrolled: 2-line block ×4, first 2 shown]
	s_wait_dscnt 0x1
	v_mul_f64_e32 v[105:106], v[1:2], v[49:50]
	s_wait_dscnt 0x0
	v_mul_f64_e32 v[107:108], v[3:4], v[53:54]
	v_mul_f64_e32 v[109:110], v[1:2], v[53:54]
	v_add_f64_e32 v[65:66], v[33:34], v[87:88]
	v_add_f64_e32 v[67:68], v[89:90], v[35:36]
	;; [unrolled: 1-line block ×8, first 2 shown]
	v_mul_f64_e32 v[97:98], v[3:4], v[49:50]
	v_mul_f64_e32 v[111:112], v[45:46], v[49:50]
	;; [unrolled: 1-line block ×5, first 2 shown]
	ds_load_b128 v[21:24], v39 offset:64
	ds_load_b128 v[25:28], v38 offset:2048
	;; [unrolled: 1-line block ×4, first 2 shown]
	s_wait_dscnt 0x0
	v_mul_f64_e32 v[121:122], v[35:36], v[27:28]
	v_mul_f64_e32 v[123:124], v[35:36], v[31:32]
	v_fma_f64 v[105:106], v[3:4], v[47:48], v[105:106]
	v_fma_f64 v[107:108], v[1:2], v[51:52], -v[107:108]
	v_fma_f64 v[109:110], v[3:4], v[51:52], v[109:110]
	v_add_f64_e32 v[81:82], v[65:66], v[99:100]
	v_add_f64_e32 v[83:84], v[101:102], v[67:68]
	;; [unrolled: 1-line block ×8, first 2 shown]
	v_mul_f64_e32 v[95:96], v[23:24], v[27:28]
	v_mul_f64_e32 v[99:100], v[21:22], v[27:28]
	;; [unrolled: 1-line block ×6, first 2 shown]
	v_fma_f64 v[97:98], v[1:2], v[47:48], -v[97:98]
	v_fma_f64 v[111:112], v[43:44], v[47:48], -v[111:112]
	v_fma_f64 v[125:126], v[45:46], v[47:48], v[49:50]
	v_fma_f64 v[113:114], v[43:44], v[51:52], -v[113:114]
	v_fma_f64 v[51:52], v[45:46], v[51:52], v[127:128]
	ds_load_b128 v[53:56], v39 offset:80
	ds_load_b128 v[57:60], v39 offset:2128
	ds_load_b128 v[61:64], v38 offset:2560
	ds_load_b128 v[65:68], v38 offset:2816
	v_fma_f64 v[121:122], v[33:34], v[25:26], -v[121:122]
	v_fma_f64 v[123:124], v[33:34], v[29:30], -v[123:124]
	v_add_f64_e32 v[81:82], v[81:82], v[115:116]
	v_add_f64_e32 v[83:84], v[117:118], v[83:84]
	;; [unrolled: 1-line block ×8, first 2 shown]
	s_wait_dscnt 0x1
	v_mul_f64_e32 v[87:88], v[55:56], v[63:64]
	v_mul_f64_e32 v[89:90], v[53:54], v[63:64]
	s_wait_dscnt 0x0
	v_mul_f64_e32 v[91:92], v[55:56], v[67:68]
	v_mul_f64_e32 v[93:94], v[53:54], v[67:68]
	;; [unrolled: 1-line block ×6, first 2 shown]
	v_fma_f64 v[95:96], v[21:22], v[25:26], -v[95:96]
	v_fma_f64 v[99:100], v[23:24], v[25:26], v[99:100]
	v_fma_f64 v[101:102], v[21:22], v[29:30], -v[101:102]
	v_fma_f64 v[103:104], v[23:24], v[29:30], v[103:104]
	v_fma_f64 v[127:128], v[35:36], v[25:26], v[27:28]
	;; [unrolled: 1-line block ×3, first 2 shown]
	ds_load_b128 v[1:4], v39 offset:96
	ds_load_b128 v[43:46], v38 offset:3072
	;; [unrolled: 1-line block ×8, first 2 shown]
	s_wait_loadcnt_dscnt 0x0
	s_barrier_signal -1
	s_barrier_wait -1
	global_inv scope:SCOPE_SE
	v_add_f64_e32 v[81:82], v[81:82], v[97:98]
	v_add_f64_e32 v[83:84], v[105:106], v[83:84]
	;; [unrolled: 1-line block ×8, first 2 shown]
	v_mul_f64_e32 v[79:80], v[3:4], v[45:46]
	v_mul_f64_e32 v[105:106], v[1:2], v[45:46]
	;; [unrolled: 1-line block ×8, first 2 shown]
	v_fma_f64 v[87:88], v[53:54], v[61:62], -v[87:88]
	v_fma_f64 v[89:90], v[55:56], v[61:62], v[89:90]
	v_fma_f64 v[53:54], v[53:54], v[65:66], -v[91:92]
	v_fma_f64 v[55:56], v[55:56], v[65:66], v[93:94]
	;; [unrolled: 2-line block ×4, first 2 shown]
	v_mul_f64_e32 v[93:94], v[23:24], v[35:36]
	v_add_f64_e32 v[63:64], v[81:82], v[95:96]
	v_add_f64_e32 v[65:66], v[99:100], v[83:84]
	;; [unrolled: 1-line block ×8, first 2 shown]
	v_mul_f64_e32 v[83:84], v[23:24], v[31:32]
	v_mul_f64_e32 v[85:86], v[21:22], v[31:32]
	;; [unrolled: 1-line block ×7, first 2 shown]
	v_fma_f64 v[79:80], v[1:2], v[43:44], -v[79:80]
	v_fma_f64 v[101:102], v[3:4], v[43:44], v[105:106]
	v_fma_f64 v[1:2], v[1:2], v[47:48], -v[107:108]
	v_fma_f64 v[3:4], v[3:4], v[47:48], v[109:110]
	v_fma_f64 v[103:104], v[69:70], v[43:44], -v[111:112]
	v_fma_f64 v[43:44], v[71:72], v[43:44], v[45:46]
	v_fma_f64 v[45:46], v[69:70], v[47:48], -v[113:114]
	v_fma_f64 v[47:48], v[71:72], v[47:48], v[49:50]
	v_add_f64_e32 v[49:50], v[63:64], v[87:88]
	v_add_f64_e32 v[63:64], v[89:90], v[65:66]
	;; [unrolled: 1-line block ×8, first 2 shown]
	v_fma_f64 v[59:60], v[21:22], v[29:30], -v[83:84]
	v_fma_f64 v[67:68], v[23:24], v[29:30], v[85:86]
	v_fma_f64 v[21:22], v[21:22], v[33:34], -v[93:94]
	v_fma_f64 v[23:24], v[23:24], v[33:34], v[95:96]
	;; [unrolled: 2-line block ×4, first 2 shown]
	v_add_f64_e32 v[25:26], v[49:50], v[79:80]
	v_add_f64_e32 v[27:28], v[101:102], v[63:64]
	;; [unrolled: 1-line block ×16, first 2 shown]
	s_cbranch_scc0 .LBB124_16
.LBB124_10:                             ;   Parent Loop BB124_7 Depth=1
                                        ; =>  This Inner Loop Header: Depth=2
	s_wait_alu 0xfffe
	v_add_nc_u32_e32 v1, s2, v40
	v_mov_b32_e32 v3, 0
	v_mov_b32_e32 v4, 0
	s_delay_alu instid0(VALU_DEP_3)
	v_cmp_gt_i32_e32 vcc_lo, s19, v1
	v_mov_b32_e32 v1, 0
	v_mov_b32_e32 v2, 0
	s_and_b32 s22, s0, vcc_lo
	s_wait_alu 0xfffe
	s_and_saveexec_b32 s3, s22
	s_cbranch_execz .LBB124_12
; %bb.11:                               ;   in Loop: Header=BB124_10 Depth=2
	global_load_b128 v[1:4], v[17:18], off offset:-8
	s_wait_loadcnt 0x0
	v_xor_b32_e32 v4, 0x80000000, v4
.LBB124_12:                             ;   in Loop: Header=BB124_10 Depth=2
	s_wait_alu 0xfffe
	s_or_b32 exec_lo, exec_lo, s3
	v_add_nc_u32_e32 v43, s2, v37
	ds_store_b128 v41, v[1:4]
	v_cmp_le_i32_e32 vcc_lo, s19, v43
	s_or_b32 s3, vcc_lo, s21
	s_wait_alu 0xfffe
	s_and_saveexec_b32 s22, s3
	s_wait_alu 0xfffe
	s_xor_b32 s3, exec_lo, s22
; %bb.13:                               ;   in Loop: Header=BB124_10 Depth=2
	v_dual_mov_b32 v1, v0 :: v_dual_mov_b32 v2, v0
	v_mov_b32_e32 v3, v0
	ds_store_b128 v42, v[0:3]
; %bb.14:                               ;   in Loop: Header=BB124_10 Depth=2
	s_wait_alu 0xfffe
	s_and_not1_saveexec_b32 s3, s3
	s_cbranch_execz .LBB124_9
; %bb.15:                               ;   in Loop: Header=BB124_10 Depth=2
	global_load_b128 v[1:4], v[19:20], off
	s_wait_loadcnt 0x0
	ds_store_2addr_b64 v42, v[1:2], v[3:4] offset1:1
	s_branch .LBB124_9
.LBB124_16:                             ;   in Loop: Header=BB124_7 Depth=1
	s_mul_u64 s[2:3], s[30:31], s[28:29]
	s_wait_alu 0xfffe
	s_lshl_b64 s[2:3], s[2:3], 4
	s_wait_alu 0xfffe
	s_add_nc_u64 s[2:3], s[24:25], s[2:3]
	s_wait_alu 0xfffe
	v_add_co_u32 v17, vcc_lo, s2, v13
	s_wait_alu 0xfffd
	v_add_co_ci_u32_e64 v18, null, s3, v14, vcc_lo
	s_and_saveexec_b32 s22, s33
	s_cbranch_execz .LBB124_21
; %bb.17:                               ;   in Loop: Header=BB124_7 Depth=1
	v_mul_f64_e32 v[1:2], s[14:15], v[35:36]
	v_mul_f64_e32 v[3:4], s[12:13], v[35:36]
	s_and_b32 vcc_lo, exec_lo, s36
	s_mov_b32 s23, -1
	s_delay_alu instid0(VALU_DEP_2) | instskip(NEXT) | instid1(VALU_DEP_2)
	v_fma_f64 v[1:2], s[12:13], v[33:34], -v[1:2]
	v_fma_f64 v[3:4], s[14:15], v[33:34], v[3:4]
	s_wait_alu 0xfffe
	s_cbranch_vccz .LBB124_19
; %bb.18:                               ;   in Loop: Header=BB124_7 Depth=1
	v_lshlrev_b64_e32 v[19:20], 4, v[5:6]
	s_mov_b32 s23, 0
	s_delay_alu instid0(VALU_DEP_1) | instskip(SKIP_1) | instid1(VALU_DEP_2)
	v_add_co_u32 v19, vcc_lo, v17, v19
	s_wait_alu 0xfffd
	v_add_co_ci_u32_e64 v20, null, v18, v20, vcc_lo
	global_load_b128 v[33:36], v[19:20], off
	s_wait_loadcnt 0x0
	v_mul_f64_e32 v[43:44], s[10:11], v[35:36]
	v_mul_f64_e32 v[35:36], s[8:9], v[35:36]
	s_delay_alu instid0(VALU_DEP_2) | instskip(NEXT) | instid1(VALU_DEP_2)
	v_fma_f64 v[43:44], s[8:9], v[33:34], -v[43:44]
	v_fma_f64 v[35:36], s[10:11], v[33:34], v[35:36]
	s_delay_alu instid0(VALU_DEP_2) | instskip(NEXT) | instid1(VALU_DEP_2)
	v_add_f64_e32 v[33:34], v[1:2], v[43:44]
	v_add_f64_e32 v[35:36], v[3:4], v[35:36]
	global_store_b128 v[19:20], v[33:36], off
.LBB124_19:                             ;   in Loop: Header=BB124_7 Depth=1
	s_wait_alu 0xfffe
	s_and_not1_b32 vcc_lo, exec_lo, s23
	s_wait_alu 0xfffe
	s_cbranch_vccnz .LBB124_21
; %bb.20:                               ;   in Loop: Header=BB124_7 Depth=1
	v_lshlrev_b64_e32 v[19:20], 4, v[5:6]
	s_delay_alu instid0(VALU_DEP_1) | instskip(SKIP_1) | instid1(VALU_DEP_2)
	v_add_co_u32 v19, vcc_lo, v17, v19
	s_wait_alu 0xfffd
	v_add_co_ci_u32_e64 v20, null, v18, v20, vcc_lo
	global_store_b128 v[19:20], v[1:4], off
.LBB124_21:                             ;   in Loop: Header=BB124_7 Depth=1
	s_wait_alu 0xfffe
	s_or_b32 exec_lo, exec_lo, s22
	s_and_saveexec_b32 s22, s18
	s_cbranch_execz .LBB124_26
; %bb.22:                               ;   in Loop: Header=BB124_7 Depth=1
	v_mul_f64_e32 v[1:2], s[14:15], v[31:32]
	v_mul_f64_e32 v[3:4], s[12:13], v[31:32]
	s_and_not1_b32 vcc_lo, exec_lo, s36
	s_mov_b32 s23, -1
	s_delay_alu instid0(VALU_DEP_2) | instskip(NEXT) | instid1(VALU_DEP_2)
	v_fma_f64 v[1:2], s[12:13], v[29:30], -v[1:2]
	v_fma_f64 v[3:4], s[14:15], v[29:30], v[3:4]
	s_wait_alu 0xfffe
	s_cbranch_vccnz .LBB124_24
; %bb.23:                               ;   in Loop: Header=BB124_7 Depth=1
	v_lshlrev_b64_e32 v[19:20], 4, v[7:8]
	s_mov_b32 s23, 0
	s_delay_alu instid0(VALU_DEP_1) | instskip(SKIP_1) | instid1(VALU_DEP_2)
	v_add_co_u32 v19, vcc_lo, v17, v19
	s_wait_alu 0xfffd
	v_add_co_ci_u32_e64 v20, null, v18, v20, vcc_lo
	global_load_b128 v[29:32], v[19:20], off
	s_wait_loadcnt 0x0
	v_mul_f64_e32 v[33:34], s[10:11], v[31:32]
	v_mul_f64_e32 v[31:32], s[8:9], v[31:32]
	s_delay_alu instid0(VALU_DEP_2) | instskip(NEXT) | instid1(VALU_DEP_2)
	v_fma_f64 v[33:34], s[8:9], v[29:30], -v[33:34]
	v_fma_f64 v[31:32], s[10:11], v[29:30], v[31:32]
	s_delay_alu instid0(VALU_DEP_2) | instskip(NEXT) | instid1(VALU_DEP_2)
	v_add_f64_e32 v[29:30], v[1:2], v[33:34]
	v_add_f64_e32 v[31:32], v[3:4], v[31:32]
	global_store_b128 v[19:20], v[29:32], off
.LBB124_24:                             ;   in Loop: Header=BB124_7 Depth=1
	s_wait_alu 0xfffe
	s_and_not1_b32 vcc_lo, exec_lo, s23
	s_wait_alu 0xfffe
	s_cbranch_vccnz .LBB124_26
; %bb.25:                               ;   in Loop: Header=BB124_7 Depth=1
	v_lshlrev_b64_e32 v[19:20], 4, v[7:8]
	s_delay_alu instid0(VALU_DEP_1) | instskip(SKIP_1) | instid1(VALU_DEP_2)
	v_add_co_u32 v17, vcc_lo, v17, v19
	s_wait_alu 0xfffd
	v_add_co_ci_u32_e64 v18, null, v18, v20, vcc_lo
	global_store_b128 v[17:18], v[1:4], off
.LBB124_26:                             ;   in Loop: Header=BB124_7 Depth=1
	s_wait_alu 0xfffe
	s_or_b32 exec_lo, exec_lo, s22
	v_add_co_u32 v19, vcc_lo, s2, v15
	s_wait_alu 0xfffd
	v_add_co_ci_u32_e64 v20, null, s3, v16, vcc_lo
	s_and_saveexec_b32 s2, s26
	s_cbranch_execz .LBB124_31
; %bb.27:                               ;   in Loop: Header=BB124_7 Depth=1
	v_mul_f64_e32 v[1:2], s[14:15], v[27:28]
	v_mul_f64_e32 v[3:4], s[12:13], v[27:28]
	v_lshlrev_b64_e32 v[17:18], 4, v[5:6]
	s_and_not1_b32 vcc_lo, exec_lo, s36
	s_mov_b32 s3, -1
	s_delay_alu instid0(VALU_DEP_3) | instskip(NEXT) | instid1(VALU_DEP_3)
	v_fma_f64 v[1:2], s[12:13], v[25:26], -v[1:2]
	v_fma_f64 v[3:4], s[14:15], v[25:26], v[3:4]
	s_wait_alu 0xfffe
	s_cbranch_vccnz .LBB124_29
; %bb.28:                               ;   in Loop: Header=BB124_7 Depth=1
	v_add_co_u32 v29, vcc_lo, v19, v17
	s_wait_alu 0xfffd
	v_add_co_ci_u32_e64 v30, null, v20, v18, vcc_lo
	s_mov_b32 s3, 0
	global_load_b128 v[25:28], v[29:30], off
	s_wait_loadcnt 0x0
	v_mul_f64_e32 v[31:32], s[10:11], v[27:28]
	v_mul_f64_e32 v[27:28], s[8:9], v[27:28]
	s_delay_alu instid0(VALU_DEP_2) | instskip(NEXT) | instid1(VALU_DEP_2)
	v_fma_f64 v[31:32], s[8:9], v[25:26], -v[31:32]
	v_fma_f64 v[27:28], s[10:11], v[25:26], v[27:28]
	s_delay_alu instid0(VALU_DEP_2) | instskip(NEXT) | instid1(VALU_DEP_2)
	v_add_f64_e32 v[25:26], v[1:2], v[31:32]
	v_add_f64_e32 v[27:28], v[3:4], v[27:28]
	global_store_b128 v[29:30], v[25:28], off
.LBB124_29:                             ;   in Loop: Header=BB124_7 Depth=1
	s_wait_alu 0xfffe
	s_and_not1_b32 vcc_lo, exec_lo, s3
	s_wait_alu 0xfffe
	s_cbranch_vccnz .LBB124_31
; %bb.30:                               ;   in Loop: Header=BB124_7 Depth=1
	v_add_co_u32 v17, vcc_lo, v19, v17
	s_wait_alu 0xfffd
	v_add_co_ci_u32_e64 v18, null, v20, v18, vcc_lo
	global_store_b128 v[17:18], v[1:4], off
.LBB124_31:                             ;   in Loop: Header=BB124_7 Depth=1
	s_wait_alu 0xfffe
	s_or_b32 exec_lo, exec_lo, s2
	s_and_saveexec_b32 s2, s1
	s_cbranch_execz .LBB124_6
; %bb.32:                               ;   in Loop: Header=BB124_7 Depth=1
	v_mul_f64_e32 v[1:2], s[14:15], v[21:22]
	v_mul_f64_e32 v[3:4], s[12:13], v[21:22]
	v_lshlrev_b64_e32 v[17:18], 4, v[7:8]
	s_and_not1_b32 vcc_lo, exec_lo, s36
	s_mov_b32 s3, -1
	s_delay_alu instid0(VALU_DEP_3) | instskip(NEXT) | instid1(VALU_DEP_3)
	v_fma_f64 v[1:2], s[12:13], v[23:24], -v[1:2]
	v_fma_f64 v[3:4], s[14:15], v[23:24], v[3:4]
	s_wait_alu 0xfffe
	s_cbranch_vccnz .LBB124_34
; %bb.33:                               ;   in Loop: Header=BB124_7 Depth=1
	v_add_co_u32 v25, vcc_lo, v19, v17
	s_wait_alu 0xfffd
	v_add_co_ci_u32_e64 v26, null, v20, v18, vcc_lo
	s_mov_b32 s3, 0
	global_load_b128 v[21:24], v[25:26], off
	s_wait_loadcnt 0x0
	v_mul_f64_e32 v[27:28], s[10:11], v[23:24]
	v_mul_f64_e32 v[23:24], s[8:9], v[23:24]
	s_delay_alu instid0(VALU_DEP_2) | instskip(NEXT) | instid1(VALU_DEP_2)
	v_fma_f64 v[27:28], s[8:9], v[21:22], -v[27:28]
	v_fma_f64 v[23:24], s[10:11], v[21:22], v[23:24]
	s_delay_alu instid0(VALU_DEP_2) | instskip(NEXT) | instid1(VALU_DEP_2)
	v_add_f64_e32 v[21:22], v[1:2], v[27:28]
	v_add_f64_e32 v[23:24], v[3:4], v[23:24]
	global_store_b128 v[25:26], v[21:24], off
.LBB124_34:                             ;   in Loop: Header=BB124_7 Depth=1
	s_wait_alu 0xfffe
	s_and_not1_b32 vcc_lo, exec_lo, s3
	s_wait_alu 0xfffe
	s_cbranch_vccnz .LBB124_6
; %bb.35:                               ;   in Loop: Header=BB124_7 Depth=1
	v_add_co_u32 v17, vcc_lo, v19, v17
	s_wait_alu 0xfffd
	v_add_co_ci_u32_e64 v18, null, v20, v18, vcc_lo
	global_store_b128 v[17:18], v[1:4], off
	s_branch .LBB124_6
.LBB124_36:
.LBB124_37:
	s_nop 0
	s_sendmsg sendmsg(MSG_DEALLOC_VGPRS)
	s_endpgm
	.section	.rodata,"a",@progbits
	.p2align	6, 0x0
	.amdhsa_kernel _ZL29rocblas_internal_gemmt_kernelIiLi16ELi32ELi8ELc67ELc84ELc76ELb1ELb0E19rocblas_complex_numIdEPKS1_S3_PS1_EviT_T9_T10_S5_lS7_S5_lS6_T11_S5_li
		.amdhsa_group_segment_fixed_size 8192
		.amdhsa_private_segment_fixed_size 0
		.amdhsa_kernarg_size 100
		.amdhsa_user_sgpr_count 2
		.amdhsa_user_sgpr_dispatch_ptr 0
		.amdhsa_user_sgpr_queue_ptr 0
		.amdhsa_user_sgpr_kernarg_segment_ptr 1
		.amdhsa_user_sgpr_dispatch_id 0
		.amdhsa_user_sgpr_private_segment_size 0
		.amdhsa_wavefront_size32 1
		.amdhsa_uses_dynamic_stack 0
		.amdhsa_enable_private_segment 0
		.amdhsa_system_sgpr_workgroup_id_x 1
		.amdhsa_system_sgpr_workgroup_id_y 1
		.amdhsa_system_sgpr_workgroup_id_z 1
		.amdhsa_system_sgpr_workgroup_info 0
		.amdhsa_system_vgpr_workitem_id 1
		.amdhsa_next_free_vgpr 131
		.amdhsa_next_free_sgpr 40
		.amdhsa_reserve_vcc 1
		.amdhsa_float_round_mode_32 0
		.amdhsa_float_round_mode_16_64 0
		.amdhsa_float_denorm_mode_32 3
		.amdhsa_float_denorm_mode_16_64 3
		.amdhsa_fp16_overflow 0
		.amdhsa_workgroup_processor_mode 1
		.amdhsa_memory_ordered 1
		.amdhsa_forward_progress 1
		.amdhsa_inst_pref_size 27
		.amdhsa_round_robin_scheduling 0
		.amdhsa_exception_fp_ieee_invalid_op 0
		.amdhsa_exception_fp_denorm_src 0
		.amdhsa_exception_fp_ieee_div_zero 0
		.amdhsa_exception_fp_ieee_overflow 0
		.amdhsa_exception_fp_ieee_underflow 0
		.amdhsa_exception_fp_ieee_inexact 0
		.amdhsa_exception_int_div_zero 0
	.end_amdhsa_kernel
	.section	.text._ZL29rocblas_internal_gemmt_kernelIiLi16ELi32ELi8ELc67ELc84ELc76ELb1ELb0E19rocblas_complex_numIdEPKS1_S3_PS1_EviT_T9_T10_S5_lS7_S5_lS6_T11_S5_li,"axG",@progbits,_ZL29rocblas_internal_gemmt_kernelIiLi16ELi32ELi8ELc67ELc84ELc76ELb1ELb0E19rocblas_complex_numIdEPKS1_S3_PS1_EviT_T9_T10_S5_lS7_S5_lS6_T11_S5_li,comdat
.Lfunc_end124:
	.size	_ZL29rocblas_internal_gemmt_kernelIiLi16ELi32ELi8ELc67ELc84ELc76ELb1ELb0E19rocblas_complex_numIdEPKS1_S3_PS1_EviT_T9_T10_S5_lS7_S5_lS6_T11_S5_li, .Lfunc_end124-_ZL29rocblas_internal_gemmt_kernelIiLi16ELi32ELi8ELc67ELc84ELc76ELb1ELb0E19rocblas_complex_numIdEPKS1_S3_PS1_EviT_T9_T10_S5_lS7_S5_lS6_T11_S5_li
                                        ; -- End function
	.set _ZL29rocblas_internal_gemmt_kernelIiLi16ELi32ELi8ELc67ELc84ELc76ELb1ELb0E19rocblas_complex_numIdEPKS1_S3_PS1_EviT_T9_T10_S5_lS7_S5_lS6_T11_S5_li.num_vgpr, 131
	.set _ZL29rocblas_internal_gemmt_kernelIiLi16ELi32ELi8ELc67ELc84ELc76ELb1ELb0E19rocblas_complex_numIdEPKS1_S3_PS1_EviT_T9_T10_S5_lS7_S5_lS6_T11_S5_li.num_agpr, 0
	.set _ZL29rocblas_internal_gemmt_kernelIiLi16ELi32ELi8ELc67ELc84ELc76ELb1ELb0E19rocblas_complex_numIdEPKS1_S3_PS1_EviT_T9_T10_S5_lS7_S5_lS6_T11_S5_li.numbered_sgpr, 40
	.set _ZL29rocblas_internal_gemmt_kernelIiLi16ELi32ELi8ELc67ELc84ELc76ELb1ELb0E19rocblas_complex_numIdEPKS1_S3_PS1_EviT_T9_T10_S5_lS7_S5_lS6_T11_S5_li.num_named_barrier, 0
	.set _ZL29rocblas_internal_gemmt_kernelIiLi16ELi32ELi8ELc67ELc84ELc76ELb1ELb0E19rocblas_complex_numIdEPKS1_S3_PS1_EviT_T9_T10_S5_lS7_S5_lS6_T11_S5_li.private_seg_size, 0
	.set _ZL29rocblas_internal_gemmt_kernelIiLi16ELi32ELi8ELc67ELc84ELc76ELb1ELb0E19rocblas_complex_numIdEPKS1_S3_PS1_EviT_T9_T10_S5_lS7_S5_lS6_T11_S5_li.uses_vcc, 1
	.set _ZL29rocblas_internal_gemmt_kernelIiLi16ELi32ELi8ELc67ELc84ELc76ELb1ELb0E19rocblas_complex_numIdEPKS1_S3_PS1_EviT_T9_T10_S5_lS7_S5_lS6_T11_S5_li.uses_flat_scratch, 0
	.set _ZL29rocblas_internal_gemmt_kernelIiLi16ELi32ELi8ELc67ELc84ELc76ELb1ELb0E19rocblas_complex_numIdEPKS1_S3_PS1_EviT_T9_T10_S5_lS7_S5_lS6_T11_S5_li.has_dyn_sized_stack, 0
	.set _ZL29rocblas_internal_gemmt_kernelIiLi16ELi32ELi8ELc67ELc84ELc76ELb1ELb0E19rocblas_complex_numIdEPKS1_S3_PS1_EviT_T9_T10_S5_lS7_S5_lS6_T11_S5_li.has_recursion, 0
	.set _ZL29rocblas_internal_gemmt_kernelIiLi16ELi32ELi8ELc67ELc84ELc76ELb1ELb0E19rocblas_complex_numIdEPKS1_S3_PS1_EviT_T9_T10_S5_lS7_S5_lS6_T11_S5_li.has_indirect_call, 0
	.section	.AMDGPU.csdata,"",@progbits
; Kernel info:
; codeLenInByte = 3428
; TotalNumSgprs: 42
; NumVgprs: 131
; ScratchSize: 0
; MemoryBound: 1
; FloatMode: 240
; IeeeMode: 1
; LDSByteSize: 8192 bytes/workgroup (compile time only)
; SGPRBlocks: 0
; VGPRBlocks: 16
; NumSGPRsForWavesPerEU: 42
; NumVGPRsForWavesPerEU: 131
; Occupancy: 10
; WaveLimiterHint : 0
; COMPUTE_PGM_RSRC2:SCRATCH_EN: 0
; COMPUTE_PGM_RSRC2:USER_SGPR: 2
; COMPUTE_PGM_RSRC2:TRAP_HANDLER: 0
; COMPUTE_PGM_RSRC2:TGID_X_EN: 1
; COMPUTE_PGM_RSRC2:TGID_Y_EN: 1
; COMPUTE_PGM_RSRC2:TGID_Z_EN: 1
; COMPUTE_PGM_RSRC2:TIDIG_COMP_CNT: 1
	.section	.text._ZL29rocblas_internal_gemmt_kernelIiLi16ELi32ELi8ELc67ELc67ELc76ELb1ELb1E19rocblas_complex_numIdEPKS1_S3_PS1_EviT_T9_T10_S5_lS7_S5_lS6_T11_S5_li,"axG",@progbits,_ZL29rocblas_internal_gemmt_kernelIiLi16ELi32ELi8ELc67ELc67ELc76ELb1ELb1E19rocblas_complex_numIdEPKS1_S3_PS1_EviT_T9_T10_S5_lS7_S5_lS6_T11_S5_li,comdat
	.globl	_ZL29rocblas_internal_gemmt_kernelIiLi16ELi32ELi8ELc67ELc67ELc76ELb1ELb1E19rocblas_complex_numIdEPKS1_S3_PS1_EviT_T9_T10_S5_lS7_S5_lS6_T11_S5_li ; -- Begin function _ZL29rocblas_internal_gemmt_kernelIiLi16ELi32ELi8ELc67ELc67ELc76ELb1ELb1E19rocblas_complex_numIdEPKS1_S3_PS1_EviT_T9_T10_S5_lS7_S5_lS6_T11_S5_li
	.p2align	8
	.type	_ZL29rocblas_internal_gemmt_kernelIiLi16ELi32ELi8ELc67ELc67ELc76ELb1ELb1E19rocblas_complex_numIdEPKS1_S3_PS1_EviT_T9_T10_S5_lS7_S5_lS6_T11_S5_li,@function
_ZL29rocblas_internal_gemmt_kernelIiLi16ELi32ELi8ELc67ELc67ELc76ELb1ELb1E19rocblas_complex_numIdEPKS1_S3_PS1_EviT_T9_T10_S5_lS7_S5_lS6_T11_S5_li: ; @_ZL29rocblas_internal_gemmt_kernelIiLi16ELi32ELi8ELc67ELc67ELc76ELb1ELb1E19rocblas_complex_numIdEPKS1_S3_PS1_EviT_T9_T10_S5_lS7_S5_lS6_T11_S5_li
; %bb.0:
	s_load_b128 s[16:19], s[0:1], 0x38
	s_wait_kmcnt 0x0
	s_load_b128 s[8:11], s[18:19], 0x0
	s_clause 0x1
	s_load_b128 s[4:7], s[0:1], 0x8
	s_load_b64 s[18:19], s[0:1], 0x0
	s_wait_kmcnt 0x0
	s_load_b128 s[12:15], s[4:5], 0x0
	v_cmp_eq_f64_e64 s2, s[8:9], 1.0
	v_cmp_eq_f64_e64 s33, s[10:11], 0
	s_and_b32 s2, s2, s33
	s_delay_alu instid0(SALU_CYCLE_1)
	s_and_not1_b32 vcc_lo, exec_lo, s2
	s_mov_b32 s2, -1
	s_cbranch_vccnz .LBB125_3
; %bb.1:
	s_cmp_lg_u32 s19, 0
	s_cbranch_scc0 .LBB125_34
; %bb.2:
	s_wait_kmcnt 0x0
	v_cmp_neq_f64_e64 s2, s[12:13], 0
	v_cmp_neq_f64_e64 s3, s[14:15], 0
	s_or_b32 s2, s2, s3
.LBB125_3:
	s_delay_alu instid0(SALU_CYCLE_1)
	s_and_b32 vcc_lo, exec_lo, s2
	s_cbranch_vccz .LBB125_35
; %bb.4:
	s_load_b32 s27, s[0:1], 0x60
	s_lshr_b32 s28, ttmp7, 16
	s_wait_kmcnt 0x0
	s_cmp_ge_u32 s28, s27
	s_cbranch_scc1 .LBB125_35
; %bb.5:
	v_cmp_neq_f64_e64 s5, s[12:13], 0
	v_cmp_neq_f64_e64 s36, s[14:15], 0
	v_and_b32_e32 v1, 0x3ff, v0
	v_bfe_u32 v2, v0, 10, 10
	s_clause 0x4
	s_load_b32 s38, s[0:1], 0x18
	s_load_b128 s[20:23], s[0:1], 0x20
	s_load_b32 s34, s[0:1], 0x30
	s_load_b96 s[24:26], s[0:1], 0x48
	s_load_b64 s[30:31], s[0:1], 0x58
	v_and_b32_e32 v40, 7, v0
	s_lshl_b32 s0, ttmp9, 5
	v_lshlrev_b32_e32 v41, 4, v1
	v_lshl_add_u32 v0, v2, 4, v1
	v_add_nc_u32_e32 v8, s0, v1
	s_lshl_b32 s1, ttmp7, 5
	v_lshlrev_b32_e32 v3, 4, v40
	v_cmp_neq_f64_e64 s37, s[8:9], 0
	v_and_b32_e32 v1, 31, v0
	v_lshrrev_b32_e32 v43, 5, v0
	v_lshrrev_b32_e32 v0, 3, v0
	s_wait_alu 0xfffe
	s_and_b32 s1, s1, 0x1fffe0
	v_lshl_add_u32 v42, v2, 7, 0x1000
	s_wait_alu 0xfffe
	v_add_nc_u32_e32 v4, s1, v2
	v_or_b32_e32 v2, s0, v1
	v_add_nc_u32_e32 v10, 16, v8
	v_add_nc_u32_e32 v12, s1, v0
	v_lshlrev_b32_e32 v1, 4, v1
	v_lshl_or_b32 v0, v0, 7, v3
	v_cmp_gt_i32_e64 s0, s18, v2
	s_wait_kmcnt 0x0
	v_mad_co_i64_i32 v[2:3], null, s38, v2, 0
	v_cmp_le_i32_e32 vcc_lo, v4, v8
	v_cmp_le_i32_e64 s3, v4, v10
	v_lshl_or_b32 v44, v43, 9, v1
	v_add_nc_u32_e32 v45, 0x1000, v0
	v_mad_co_i64_i32 v[0:1], null, v4, s26, 0
	v_add_nc_u32_e32 v6, 16, v4
	v_mad_co_i64_i32 v[4:5], null, s34, v40, 0
	v_cmp_gt_i32_e64 s2, s18, v8
	s_ashr_i32 s35, s34, 31
	v_lshlrev_b64_e32 v[2:3], 4, v[2:3]
	s_or_b32 s5, s5, s36
	s_cmp_gt_i32 s19, 0
	v_cmp_gt_i32_e64 s4, s18, v10
	v_cmp_gt_i32_e64 s1, s18, v12
	s_cselect_b32 s39, -1, 0
	s_xor_b32 s18, s33, -1
	s_and_b32 s33, vcc_lo, s2
	v_cmp_le_i32_e32 vcc_lo, v6, v8
	v_lshlrev_b32_e32 v13, 4, v43
	v_lshlrev_b64_e32 v[4:5], 4, v[4:5]
	v_lshlrev_b32_e32 v12, 4, v12
	s_and_b32 s36, s3, s4
	v_cmp_le_i32_e64 s3, v6, v10
	v_mad_co_i64_i32 v[6:7], null, v6, s26, 0
	s_and_b32 s26, vcc_lo, s2
	v_add_co_u32 v2, vcc_lo, v2, v13
	s_delay_alu instid0(VALU_DEP_1)
	v_add_co_ci_u32_e64 v3, null, 0, v3, vcc_lo
	v_add_co_u32 v4, vcc_lo, v4, v12
	s_wait_alu 0xfffd
	v_add_co_ci_u32_e64 v5, null, 0, v5, vcc_lo
	v_add_co_u32 v2, vcc_lo, s6, v2
	s_wait_alu 0xfffd
	;; [unrolled: 3-line block ×4, first 2 shown]
	v_add_co_ci_u32_e64 v13, null, 0, v3, vcc_lo
	v_add_co_u32 v14, vcc_lo, v4, 8
	v_lshlrev_b64_e32 v[16:17], 4, v[0:1]
	v_lshlrev_b64_e32 v[18:19], 4, v[6:7]
	v_ashrrev_i32_e32 v9, 31, v8
	v_ashrrev_i32_e32 v11, 31, v10
	s_wait_alu 0xfffd
	v_add_co_ci_u32_e64 v15, null, 0, v5, vcc_lo
	s_mov_b32 s29, 0
	s_wait_alu 0xfffe
	s_or_b32 s18, s37, s18
	s_and_b32 s37, s3, s4
	s_and_b32 s22, s5, s39
	s_lshl_b64 s[2:3], s[20:21], 4
	s_lshl_b64 s[4:5], s[16:17], 4
	;; [unrolled: 1-line block ×3, first 2 shown]
	s_branch .LBB125_7
.LBB125_6:                              ;   in Loop: Header=BB125_7 Depth=1
	s_wait_alu 0xfffe
	s_or_b32 exec_lo, exec_lo, s16
	s_add_co_i32 s28, s28, 0x10000
	s_wait_alu 0xfffe
	s_cmp_lt_u32 s28, s27
	s_cbranch_scc0 .LBB125_35
.LBB125_7:                              ; =>This Loop Header: Depth=1
                                        ;     Child Loop BB125_10 Depth 2
	v_mov_b32_e32 v36, 0
	v_mov_b32_e32 v32, 0
	;; [unrolled: 1-line block ×3, first 2 shown]
	v_dual_mov_b32 v26, 0 :: v_dual_mov_b32 v37, 0
	v_dual_mov_b32 v38, 0 :: v_dual_mov_b32 v33, 0
	;; [unrolled: 1-line block ×5, first 2 shown]
	v_mov_b32_e32 v35, 0
	v_mov_b32_e32 v31, 0
	;; [unrolled: 1-line block ×3, first 2 shown]
	s_wait_alu 0xfffe
	s_and_not1_b32 vcc_lo, exec_lo, s22
	s_wait_alu 0xfffe
	s_cbranch_vccnz .LBB125_14
; %bb.8:                                ;   in Loop: Header=BB125_7 Depth=1
	v_mad_co_u64_u32 v[20:21], null, s2, s28, v[12:13]
	v_mad_co_u64_u32 v[22:23], null, s4, s28, v[14:15]
	v_mov_b32_e32 v24, 0
	v_mov_b32_e32 v26, 0
	;; [unrolled: 1-line block ×4, first 2 shown]
	v_dual_mov_b32 v0, v21 :: v_dual_mov_b32 v25, 0
	v_mov_b32_e32 v1, v23
	v_dual_mov_b32 v27, 0 :: v_dual_mov_b32 v30, 0
	v_dual_mov_b32 v29, 0 :: v_dual_mov_b32 v34, 0
	s_delay_alu instid0(VALU_DEP_3)
	v_mad_co_u64_u32 v[2:3], null, s3, s28, v[0:1]
	v_dual_mov_b32 v33, 0 :: v_dual_mov_b32 v38, 0
	v_dual_mov_b32 v36, 0 :: v_dual_mov_b32 v31, 0
	v_mov_b32_e32 v35, 0
	v_mov_b32_e32 v39, 0
	v_mad_co_u64_u32 v[0:1], null, s5, s28, v[1:2]
	v_mov_b32_e32 v37, 0
	v_mov_b32_e32 v21, v2
	s_mov_b32 s16, 0
	s_delay_alu instid0(VALU_DEP_3)
	v_mov_b32_e32 v23, v0
	s_branch .LBB125_10
.LBB125_9:                              ;   in Loop: Header=BB125_10 Depth=2
	s_wait_alu 0xfffe
	s_or_b32 exec_lo, exec_lo, s17
	ds_store_b128 v45, v[4:7]
	s_wait_dscnt 0x0
	s_barrier_signal -1
	s_barrier_wait -1
	global_inv scope:SCOPE_SE
	ds_load_b128 v[0:3], v42
	ds_load_b128 v[4:7], v41
	ds_load_b128 v[46:49], v41 offset:256
	ds_load_b128 v[50:53], v42 offset:2048
	ds_load_b128 v[54:57], v42 offset:16
	ds_load_b128 v[58:61], v42 offset:2064
	ds_load_b128 v[62:65], v41 offset:512
	ds_load_b128 v[66:69], v41 offset:768
	ds_load_b128 v[70:73], v42 offset:32
	ds_load_b128 v[74:77], v41 offset:1024
	ds_load_b128 v[78:81], v41 offset:1280
	ds_load_b128 v[82:85], v42 offset:2080
	v_add_co_u32 v20, vcc_lo, 0x80, v20
	s_wait_alu 0xfffd
	v_add_co_ci_u32_e64 v21, null, 0, v21, vcc_lo
	v_add_co_u32 v22, vcc_lo, v22, s6
	s_wait_alu 0xfffd
	v_add_co_ci_u32_e64 v23, null, s7, v23, vcc_lo
	s_add_co_i32 s16, s16, 8
	s_wait_alu 0xfffe
	s_cmp_lt_i32 s16, s19
	s_wait_dscnt 0xa
	v_mul_f64_e32 v[86:87], v[2:3], v[6:7]
	v_mul_f64_e32 v[88:89], v[0:1], v[6:7]
	s_wait_dscnt 0x9
	v_mul_f64_e32 v[90:91], v[2:3], v[48:49]
	v_mul_f64_e32 v[92:93], v[0:1], v[48:49]
	;; [unrolled: 3-line block ×3, first 2 shown]
	v_mul_f64_e32 v[96:97], v[52:53], v[48:49]
	v_mul_f64_e32 v[48:49], v[50:51], v[48:49]
	s_wait_dscnt 0x5
	v_mul_f64_e32 v[98:99], v[56:57], v[64:65]
	v_mul_f64_e32 v[100:101], v[54:55], v[64:65]
	s_wait_dscnt 0x4
	v_mul_f64_e32 v[102:103], v[56:57], v[68:69]
	v_mul_f64_e32 v[104:105], v[54:55], v[68:69]
	;; [unrolled: 1-line block ×6, first 2 shown]
	s_wait_dscnt 0x2
	v_mul_f64_e32 v[114:115], v[72:73], v[76:77]
	v_mul_f64_e32 v[116:117], v[70:71], v[76:77]
	s_wait_dscnt 0x1
	v_mul_f64_e32 v[118:119], v[72:73], v[80:81]
	v_mul_f64_e32 v[120:121], v[70:71], v[80:81]
	;; [unrolled: 3-line block ×3, first 2 shown]
	v_mul_f64_e32 v[124:125], v[84:85], v[80:81]
	v_mul_f64_e32 v[80:81], v[82:83], v[80:81]
	v_fma_f64 v[86:87], v[0:1], v[4:5], -v[86:87]
	v_fma_f64 v[88:89], v[2:3], v[4:5], v[88:89]
	v_fma_f64 v[90:91], v[0:1], v[46:47], -v[90:91]
	v_fma_f64 v[92:93], v[2:3], v[46:47], v[92:93]
	;; [unrolled: 2-line block ×8, first 2 shown]
	ds_load_b128 v[0:3], v42 offset:48
	ds_load_b128 v[4:7], v42 offset:2096
	ds_load_b128 v[46:49], v41 offset:1536
	ds_load_b128 v[50:53], v41 offset:1792
	v_fma_f64 v[114:115], v[70:71], v[74:75], -v[114:115]
	v_fma_f64 v[116:117], v[72:73], v[74:75], v[116:117]
	v_fma_f64 v[70:71], v[70:71], v[78:79], -v[118:119]
	v_fma_f64 v[72:73], v[72:73], v[78:79], v[120:121]
	;; [unrolled: 2-line block ×4, first 2 shown]
	s_wait_dscnt 0x1
	v_mul_f64_e32 v[104:105], v[0:1], v[48:49]
	s_wait_dscnt 0x0
	v_mul_f64_e32 v[106:107], v[2:3], v[52:53]
	v_mul_f64_e32 v[108:109], v[0:1], v[52:53]
	v_add_f64_e32 v[64:65], v[36:37], v[86:87]
	v_add_f64_e32 v[66:67], v[88:89], v[38:39]
	;; [unrolled: 1-line block ×8, first 2 shown]
	v_mul_f64_e32 v[96:97], v[2:3], v[48:49]
	v_mul_f64_e32 v[110:111], v[6:7], v[48:49]
	;; [unrolled: 1-line block ×5, first 2 shown]
	ds_load_b128 v[24:27], v42 offset:64
	ds_load_b128 v[28:31], v41 offset:2048
	;; [unrolled: 1-line block ×4, first 2 shown]
	s_wait_dscnt 0x0
	v_mul_f64_e32 v[120:121], v[38:39], v[30:31]
	v_mul_f64_e32 v[122:123], v[38:39], v[34:35]
	v_fma_f64 v[104:105], v[2:3], v[46:47], v[104:105]
	v_fma_f64 v[106:107], v[0:1], v[50:51], -v[106:107]
	v_fma_f64 v[108:109], v[2:3], v[50:51], v[108:109]
	v_add_f64_e32 v[80:81], v[64:65], v[98:99]
	v_add_f64_e32 v[82:83], v[100:101], v[66:67]
	;; [unrolled: 1-line block ×8, first 2 shown]
	v_mul_f64_e32 v[94:95], v[26:27], v[30:31]
	v_mul_f64_e32 v[98:99], v[24:25], v[30:31]
	;; [unrolled: 1-line block ×6, first 2 shown]
	v_fma_f64 v[96:97], v[0:1], v[46:47], -v[96:97]
	v_fma_f64 v[110:111], v[4:5], v[46:47], -v[110:111]
	v_fma_f64 v[124:125], v[6:7], v[46:47], v[48:49]
	v_fma_f64 v[112:113], v[4:5], v[50:51], -v[112:113]
	v_fma_f64 v[50:51], v[6:7], v[50:51], v[126:127]
	ds_load_b128 v[52:55], v42 offset:80
	ds_load_b128 v[56:59], v42 offset:2128
	;; [unrolled: 1-line block ×4, first 2 shown]
	v_fma_f64 v[120:121], v[36:37], v[28:29], -v[120:121]
	v_fma_f64 v[122:123], v[36:37], v[32:33], -v[122:123]
	v_add_f64_e32 v[80:81], v[80:81], v[114:115]
	v_add_f64_e32 v[82:83], v[116:117], v[82:83]
	;; [unrolled: 1-line block ×8, first 2 shown]
	s_wait_dscnt 0x1
	v_mul_f64_e32 v[86:87], v[54:55], v[62:63]
	v_mul_f64_e32 v[88:89], v[52:53], v[62:63]
	s_wait_dscnt 0x0
	v_mul_f64_e32 v[90:91], v[54:55], v[66:67]
	v_mul_f64_e32 v[92:93], v[52:53], v[66:67]
	;; [unrolled: 1-line block ×6, first 2 shown]
	v_fma_f64 v[94:95], v[24:25], v[28:29], -v[94:95]
	v_fma_f64 v[98:99], v[26:27], v[28:29], v[98:99]
	v_fma_f64 v[100:101], v[24:25], v[32:33], -v[100:101]
	v_fma_f64 v[102:103], v[26:27], v[32:33], v[102:103]
	v_fma_f64 v[126:127], v[38:39], v[28:29], v[30:31]
	;; [unrolled: 1-line block ×3, first 2 shown]
	ds_load_b128 v[0:3], v42 offset:96
	ds_load_b128 v[4:7], v41 offset:3072
	;; [unrolled: 1-line block ×8, first 2 shown]
	s_wait_loadcnt_dscnt 0x0
	s_barrier_signal -1
	s_barrier_wait -1
	global_inv scope:SCOPE_SE
	v_add_f64_e32 v[80:81], v[80:81], v[96:97]
	v_add_f64_e32 v[82:83], v[104:105], v[82:83]
	;; [unrolled: 1-line block ×8, first 2 shown]
	v_mul_f64_e32 v[78:79], v[2:3], v[6:7]
	v_mul_f64_e32 v[104:105], v[0:1], v[6:7]
	;; [unrolled: 1-line block ×8, first 2 shown]
	v_fma_f64 v[86:87], v[52:53], v[60:61], -v[86:87]
	v_fma_f64 v[88:89], v[54:55], v[60:61], v[88:89]
	v_fma_f64 v[52:53], v[52:53], v[64:65], -v[90:91]
	v_fma_f64 v[54:55], v[54:55], v[64:65], v[92:93]
	;; [unrolled: 2-line block ×4, first 2 shown]
	v_mul_f64_e32 v[92:93], v[26:27], v[38:39]
	v_add_f64_e32 v[62:63], v[80:81], v[94:95]
	v_add_f64_e32 v[64:65], v[98:99], v[82:83]
	;; [unrolled: 1-line block ×8, first 2 shown]
	v_mul_f64_e32 v[82:83], v[26:27], v[34:35]
	v_mul_f64_e32 v[84:85], v[24:25], v[34:35]
	;; [unrolled: 1-line block ×7, first 2 shown]
	v_fma_f64 v[78:79], v[0:1], v[4:5], -v[78:79]
	v_fma_f64 v[100:101], v[2:3], v[4:5], v[104:105]
	v_fma_f64 v[0:1], v[0:1], v[46:47], -v[106:107]
	v_fma_f64 v[2:3], v[2:3], v[46:47], v[108:109]
	;; [unrolled: 2-line block ×4, first 2 shown]
	v_add_f64_e32 v[48:49], v[62:63], v[86:87]
	v_add_f64_e32 v[62:63], v[88:89], v[64:65]
	;; [unrolled: 1-line block ×8, first 2 shown]
	v_fma_f64 v[58:59], v[24:25], v[32:33], -v[82:83]
	v_fma_f64 v[66:67], v[26:27], v[32:33], v[84:85]
	v_fma_f64 v[24:25], v[24:25], v[36:37], -v[92:93]
	v_fma_f64 v[26:27], v[26:27], v[36:37], v[94:95]
	;; [unrolled: 2-line block ×4, first 2 shown]
	v_add_f64_e32 v[28:29], v[48:49], v[78:79]
	v_add_f64_e32 v[30:31], v[100:101], v[62:63]
	;; [unrolled: 1-line block ×16, first 2 shown]
	s_cbranch_scc0 .LBB125_14
.LBB125_10:                             ;   Parent Loop BB125_7 Depth=1
                                        ; =>  This Inner Loop Header: Depth=2
	s_wait_alu 0xfffe
	v_add_nc_u32_e32 v0, s16, v43
	v_mov_b32_e32 v2, 0
	v_mov_b32_e32 v3, 0
	s_delay_alu instid0(VALU_DEP_3) | instskip(SKIP_3) | instid1(SALU_CYCLE_1)
	v_cmp_gt_i32_e32 vcc_lo, s19, v0
	v_mov_b32_e32 v0, 0
	v_mov_b32_e32 v1, 0
	s_and_b32 s20, s0, vcc_lo
	s_and_saveexec_b32 s17, s20
	s_cbranch_execz .LBB125_12
; %bb.11:                               ;   in Loop: Header=BB125_10 Depth=2
	global_load_b128 v[0:3], v[20:21], off offset:-8
	s_wait_loadcnt 0x0
	v_xor_b32_e32 v3, 0x80000000, v3
.LBB125_12:                             ;   in Loop: Header=BB125_10 Depth=2
	s_wait_alu 0xfffe
	s_or_b32 exec_lo, exec_lo, s17
	v_add_nc_u32_e32 v4, s16, v40
	v_mov_b32_e32 v6, 0
	v_mov_b32_e32 v7, 0
	ds_store_b128 v44, v[0:3]
	v_cmp_gt_i32_e32 vcc_lo, s19, v4
	v_mov_b32_e32 v4, 0
	v_mov_b32_e32 v5, 0
	s_and_b32 s20, vcc_lo, s1
	s_delay_alu instid0(SALU_CYCLE_1)
	s_and_saveexec_b32 s17, s20
	s_cbranch_execz .LBB125_9
; %bb.13:                               ;   in Loop: Header=BB125_10 Depth=2
	global_load_b128 v[4:7], v[22:23], off offset:-8
	s_wait_loadcnt 0x0
	v_xor_b32_e32 v7, 0x80000000, v7
	s_branch .LBB125_9
.LBB125_14:                             ;   in Loop: Header=BB125_7 Depth=1
	s_mul_u64 s[16:17], s[30:31], s[28:29]
	s_wait_alu 0xfffe
	s_lshl_b64 s[16:17], s[16:17], 4
	s_wait_alu 0xfffe
	s_add_nc_u64 s[16:17], s[24:25], s[16:17]
	s_wait_alu 0xfffe
	v_add_co_u32 v4, vcc_lo, s16, v16
	s_wait_alu 0xfffd
	v_add_co_ci_u32_e64 v5, null, s17, v17, vcc_lo
	s_and_saveexec_b32 s20, s33
	s_cbranch_execz .LBB125_19
; %bb.15:                               ;   in Loop: Header=BB125_7 Depth=1
	v_mul_f64_e32 v[0:1], s[14:15], v[38:39]
	v_mul_f64_e32 v[2:3], s[12:13], v[38:39]
	s_and_b32 vcc_lo, exec_lo, s18
	s_mov_b32 s21, -1
	s_delay_alu instid0(VALU_DEP_2) | instskip(NEXT) | instid1(VALU_DEP_2)
	v_fma_f64 v[0:1], s[12:13], v[36:37], -v[0:1]
	v_fma_f64 v[2:3], s[14:15], v[36:37], v[2:3]
	s_wait_alu 0xfffe
	s_cbranch_vccz .LBB125_17
; %bb.16:                               ;   in Loop: Header=BB125_7 Depth=1
	v_lshlrev_b64_e32 v[6:7], 4, v[8:9]
	s_mov_b32 s21, 0
	s_delay_alu instid0(VALU_DEP_1) | instskip(SKIP_1) | instid1(VALU_DEP_2)
	v_add_co_u32 v6, vcc_lo, v4, v6
	s_wait_alu 0xfffd
	v_add_co_ci_u32_e64 v7, null, v5, v7, vcc_lo
	global_load_b128 v[20:23], v[6:7], off
	s_wait_loadcnt 0x0
	v_mul_f64_e32 v[36:37], s[10:11], v[22:23]
	v_mul_f64_e32 v[22:23], s[8:9], v[22:23]
	s_delay_alu instid0(VALU_DEP_2) | instskip(NEXT) | instid1(VALU_DEP_2)
	v_fma_f64 v[36:37], s[8:9], v[20:21], -v[36:37]
	v_fma_f64 v[22:23], s[10:11], v[20:21], v[22:23]
	s_delay_alu instid0(VALU_DEP_2) | instskip(NEXT) | instid1(VALU_DEP_2)
	v_add_f64_e32 v[20:21], v[0:1], v[36:37]
	v_add_f64_e32 v[22:23], v[2:3], v[22:23]
	global_store_b128 v[6:7], v[20:23], off
.LBB125_17:                             ;   in Loop: Header=BB125_7 Depth=1
	s_and_not1_b32 vcc_lo, exec_lo, s21
	s_wait_alu 0xfffe
	s_cbranch_vccnz .LBB125_19
; %bb.18:                               ;   in Loop: Header=BB125_7 Depth=1
	v_lshlrev_b64_e32 v[6:7], 4, v[8:9]
	s_delay_alu instid0(VALU_DEP_1) | instskip(SKIP_1) | instid1(VALU_DEP_2)
	v_add_co_u32 v6, vcc_lo, v4, v6
	s_wait_alu 0xfffd
	v_add_co_ci_u32_e64 v7, null, v5, v7, vcc_lo
	global_store_b128 v[6:7], v[0:3], off
.LBB125_19:                             ;   in Loop: Header=BB125_7 Depth=1
	s_or_b32 exec_lo, exec_lo, s20
	s_and_saveexec_b32 s20, s36
	s_cbranch_execz .LBB125_24
; %bb.20:                               ;   in Loop: Header=BB125_7 Depth=1
	v_mul_f64_e32 v[0:1], s[14:15], v[34:35]
	v_mul_f64_e32 v[2:3], s[12:13], v[34:35]
	s_and_not1_b32 vcc_lo, exec_lo, s18
	s_mov_b32 s21, -1
	s_delay_alu instid0(VALU_DEP_2) | instskip(NEXT) | instid1(VALU_DEP_2)
	v_fma_f64 v[0:1], s[12:13], v[32:33], -v[0:1]
	v_fma_f64 v[2:3], s[14:15], v[32:33], v[2:3]
	s_wait_alu 0xfffe
	s_cbranch_vccnz .LBB125_22
; %bb.21:                               ;   in Loop: Header=BB125_7 Depth=1
	v_lshlrev_b64_e32 v[6:7], 4, v[10:11]
	s_mov_b32 s21, 0
	s_delay_alu instid0(VALU_DEP_1) | instskip(SKIP_1) | instid1(VALU_DEP_2)
	v_add_co_u32 v6, vcc_lo, v4, v6
	s_wait_alu 0xfffd
	v_add_co_ci_u32_e64 v7, null, v5, v7, vcc_lo
	global_load_b128 v[20:23], v[6:7], off
	s_wait_loadcnt 0x0
	v_mul_f64_e32 v[32:33], s[10:11], v[22:23]
	v_mul_f64_e32 v[22:23], s[8:9], v[22:23]
	s_delay_alu instid0(VALU_DEP_2) | instskip(NEXT) | instid1(VALU_DEP_2)
	v_fma_f64 v[32:33], s[8:9], v[20:21], -v[32:33]
	v_fma_f64 v[22:23], s[10:11], v[20:21], v[22:23]
	s_delay_alu instid0(VALU_DEP_2) | instskip(NEXT) | instid1(VALU_DEP_2)
	v_add_f64_e32 v[20:21], v[0:1], v[32:33]
	v_add_f64_e32 v[22:23], v[2:3], v[22:23]
	global_store_b128 v[6:7], v[20:23], off
.LBB125_22:                             ;   in Loop: Header=BB125_7 Depth=1
	s_and_not1_b32 vcc_lo, exec_lo, s21
	s_wait_alu 0xfffe
	s_cbranch_vccnz .LBB125_24
; %bb.23:                               ;   in Loop: Header=BB125_7 Depth=1
	v_lshlrev_b64_e32 v[6:7], 4, v[10:11]
	s_delay_alu instid0(VALU_DEP_1) | instskip(SKIP_1) | instid1(VALU_DEP_2)
	v_add_co_u32 v4, vcc_lo, v4, v6
	s_wait_alu 0xfffd
	v_add_co_ci_u32_e64 v5, null, v5, v7, vcc_lo
	global_store_b128 v[4:5], v[0:3], off
.LBB125_24:                             ;   in Loop: Header=BB125_7 Depth=1
	s_or_b32 exec_lo, exec_lo, s20
	v_add_co_u32 v6, vcc_lo, s16, v18
	s_wait_alu 0xfffd
	v_add_co_ci_u32_e64 v7, null, s17, v19, vcc_lo
	s_and_saveexec_b32 s16, s26
	s_cbranch_execz .LBB125_29
; %bb.25:                               ;   in Loop: Header=BB125_7 Depth=1
	v_mul_f64_e32 v[0:1], s[14:15], v[30:31]
	v_mul_f64_e32 v[2:3], s[12:13], v[30:31]
	v_lshlrev_b64_e32 v[4:5], 4, v[8:9]
	s_and_not1_b32 vcc_lo, exec_lo, s18
	s_mov_b32 s17, -1
	s_delay_alu instid0(VALU_DEP_3) | instskip(NEXT) | instid1(VALU_DEP_3)
	v_fma_f64 v[0:1], s[12:13], v[28:29], -v[0:1]
	v_fma_f64 v[2:3], s[14:15], v[28:29], v[2:3]
	s_wait_alu 0xfffe
	s_cbranch_vccnz .LBB125_27
; %bb.26:                               ;   in Loop: Header=BB125_7 Depth=1
	v_add_co_u32 v28, vcc_lo, v6, v4
	s_wait_alu 0xfffd
	v_add_co_ci_u32_e64 v29, null, v7, v5, vcc_lo
	s_mov_b32 s17, 0
	global_load_b128 v[20:23], v[28:29], off
	s_wait_loadcnt 0x0
	v_mul_f64_e32 v[30:31], s[10:11], v[22:23]
	v_mul_f64_e32 v[22:23], s[8:9], v[22:23]
	s_delay_alu instid0(VALU_DEP_2) | instskip(NEXT) | instid1(VALU_DEP_2)
	v_fma_f64 v[30:31], s[8:9], v[20:21], -v[30:31]
	v_fma_f64 v[22:23], s[10:11], v[20:21], v[22:23]
	s_delay_alu instid0(VALU_DEP_2) | instskip(NEXT) | instid1(VALU_DEP_2)
	v_add_f64_e32 v[20:21], v[0:1], v[30:31]
	v_add_f64_e32 v[22:23], v[2:3], v[22:23]
	global_store_b128 v[28:29], v[20:23], off
.LBB125_27:                             ;   in Loop: Header=BB125_7 Depth=1
	s_wait_alu 0xfffe
	s_and_not1_b32 vcc_lo, exec_lo, s17
	s_wait_alu 0xfffe
	s_cbranch_vccnz .LBB125_29
; %bb.28:                               ;   in Loop: Header=BB125_7 Depth=1
	v_add_co_u32 v4, vcc_lo, v6, v4
	s_wait_alu 0xfffd
	v_add_co_ci_u32_e64 v5, null, v7, v5, vcc_lo
	global_store_b128 v[4:5], v[0:3], off
.LBB125_29:                             ;   in Loop: Header=BB125_7 Depth=1
	s_wait_alu 0xfffe
	s_or_b32 exec_lo, exec_lo, s16
	s_and_saveexec_b32 s16, s37
	s_cbranch_execz .LBB125_6
; %bb.30:                               ;   in Loop: Header=BB125_7 Depth=1
	v_mul_f64_e32 v[0:1], s[14:15], v[24:25]
	v_mul_f64_e32 v[2:3], s[12:13], v[24:25]
	v_lshlrev_b64_e32 v[4:5], 4, v[10:11]
	s_and_not1_b32 vcc_lo, exec_lo, s18
	s_mov_b32 s17, -1
	s_delay_alu instid0(VALU_DEP_3) | instskip(NEXT) | instid1(VALU_DEP_3)
	v_fma_f64 v[0:1], s[12:13], v[26:27], -v[0:1]
	v_fma_f64 v[2:3], s[14:15], v[26:27], v[2:3]
	s_wait_alu 0xfffe
	s_cbranch_vccnz .LBB125_32
; %bb.31:                               ;   in Loop: Header=BB125_7 Depth=1
	v_add_co_u32 v24, vcc_lo, v6, v4
	s_wait_alu 0xfffd
	v_add_co_ci_u32_e64 v25, null, v7, v5, vcc_lo
	s_mov_b32 s17, 0
	global_load_b128 v[20:23], v[24:25], off
	s_wait_loadcnt 0x0
	v_mul_f64_e32 v[26:27], s[10:11], v[22:23]
	v_mul_f64_e32 v[22:23], s[8:9], v[22:23]
	s_delay_alu instid0(VALU_DEP_2) | instskip(NEXT) | instid1(VALU_DEP_2)
	v_fma_f64 v[26:27], s[8:9], v[20:21], -v[26:27]
	v_fma_f64 v[22:23], s[10:11], v[20:21], v[22:23]
	s_delay_alu instid0(VALU_DEP_2) | instskip(NEXT) | instid1(VALU_DEP_2)
	v_add_f64_e32 v[20:21], v[0:1], v[26:27]
	v_add_f64_e32 v[22:23], v[2:3], v[22:23]
	global_store_b128 v[24:25], v[20:23], off
.LBB125_32:                             ;   in Loop: Header=BB125_7 Depth=1
	s_wait_alu 0xfffe
	s_and_not1_b32 vcc_lo, exec_lo, s17
	s_wait_alu 0xfffe
	s_cbranch_vccnz .LBB125_6
; %bb.33:                               ;   in Loop: Header=BB125_7 Depth=1
	v_add_co_u32 v4, vcc_lo, v6, v4
	s_wait_alu 0xfffd
	v_add_co_ci_u32_e64 v5, null, v7, v5, vcc_lo
	global_store_b128 v[4:5], v[0:3], off
	s_branch .LBB125_6
.LBB125_34:
.LBB125_35:
	s_nop 0
	s_sendmsg sendmsg(MSG_DEALLOC_VGPRS)
	s_endpgm
	.section	.rodata,"a",@progbits
	.p2align	6, 0x0
	.amdhsa_kernel _ZL29rocblas_internal_gemmt_kernelIiLi16ELi32ELi8ELc67ELc67ELc76ELb1ELb1E19rocblas_complex_numIdEPKS1_S3_PS1_EviT_T9_T10_S5_lS7_S5_lS6_T11_S5_li
		.amdhsa_group_segment_fixed_size 8192
		.amdhsa_private_segment_fixed_size 0
		.amdhsa_kernarg_size 100
		.amdhsa_user_sgpr_count 2
		.amdhsa_user_sgpr_dispatch_ptr 0
		.amdhsa_user_sgpr_queue_ptr 0
		.amdhsa_user_sgpr_kernarg_segment_ptr 1
		.amdhsa_user_sgpr_dispatch_id 0
		.amdhsa_user_sgpr_private_segment_size 0
		.amdhsa_wavefront_size32 1
		.amdhsa_uses_dynamic_stack 0
		.amdhsa_enable_private_segment 0
		.amdhsa_system_sgpr_workgroup_id_x 1
		.amdhsa_system_sgpr_workgroup_id_y 1
		.amdhsa_system_sgpr_workgroup_id_z 1
		.amdhsa_system_sgpr_workgroup_info 0
		.amdhsa_system_vgpr_workitem_id 1
		.amdhsa_next_free_vgpr 130
		.amdhsa_next_free_sgpr 40
		.amdhsa_reserve_vcc 1
		.amdhsa_float_round_mode_32 0
		.amdhsa_float_round_mode_16_64 0
		.amdhsa_float_denorm_mode_32 3
		.amdhsa_float_denorm_mode_16_64 3
		.amdhsa_fp16_overflow 0
		.amdhsa_workgroup_processor_mode 1
		.amdhsa_memory_ordered 1
		.amdhsa_forward_progress 1
		.amdhsa_inst_pref_size 27
		.amdhsa_round_robin_scheduling 0
		.amdhsa_exception_fp_ieee_invalid_op 0
		.amdhsa_exception_fp_denorm_src 0
		.amdhsa_exception_fp_ieee_div_zero 0
		.amdhsa_exception_fp_ieee_overflow 0
		.amdhsa_exception_fp_ieee_underflow 0
		.amdhsa_exception_fp_ieee_inexact 0
		.amdhsa_exception_int_div_zero 0
	.end_amdhsa_kernel
	.section	.text._ZL29rocblas_internal_gemmt_kernelIiLi16ELi32ELi8ELc67ELc67ELc76ELb1ELb1E19rocblas_complex_numIdEPKS1_S3_PS1_EviT_T9_T10_S5_lS7_S5_lS6_T11_S5_li,"axG",@progbits,_ZL29rocblas_internal_gemmt_kernelIiLi16ELi32ELi8ELc67ELc67ELc76ELb1ELb1E19rocblas_complex_numIdEPKS1_S3_PS1_EviT_T9_T10_S5_lS7_S5_lS6_T11_S5_li,comdat
.Lfunc_end125:
	.size	_ZL29rocblas_internal_gemmt_kernelIiLi16ELi32ELi8ELc67ELc67ELc76ELb1ELb1E19rocblas_complex_numIdEPKS1_S3_PS1_EviT_T9_T10_S5_lS7_S5_lS6_T11_S5_li, .Lfunc_end125-_ZL29rocblas_internal_gemmt_kernelIiLi16ELi32ELi8ELc67ELc67ELc76ELb1ELb1E19rocblas_complex_numIdEPKS1_S3_PS1_EviT_T9_T10_S5_lS7_S5_lS6_T11_S5_li
                                        ; -- End function
	.set _ZL29rocblas_internal_gemmt_kernelIiLi16ELi32ELi8ELc67ELc67ELc76ELb1ELb1E19rocblas_complex_numIdEPKS1_S3_PS1_EviT_T9_T10_S5_lS7_S5_lS6_T11_S5_li.num_vgpr, 130
	.set _ZL29rocblas_internal_gemmt_kernelIiLi16ELi32ELi8ELc67ELc67ELc76ELb1ELb1E19rocblas_complex_numIdEPKS1_S3_PS1_EviT_T9_T10_S5_lS7_S5_lS6_T11_S5_li.num_agpr, 0
	.set _ZL29rocblas_internal_gemmt_kernelIiLi16ELi32ELi8ELc67ELc67ELc76ELb1ELb1E19rocblas_complex_numIdEPKS1_S3_PS1_EviT_T9_T10_S5_lS7_S5_lS6_T11_S5_li.numbered_sgpr, 40
	.set _ZL29rocblas_internal_gemmt_kernelIiLi16ELi32ELi8ELc67ELc67ELc76ELb1ELb1E19rocblas_complex_numIdEPKS1_S3_PS1_EviT_T9_T10_S5_lS7_S5_lS6_T11_S5_li.num_named_barrier, 0
	.set _ZL29rocblas_internal_gemmt_kernelIiLi16ELi32ELi8ELc67ELc67ELc76ELb1ELb1E19rocblas_complex_numIdEPKS1_S3_PS1_EviT_T9_T10_S5_lS7_S5_lS6_T11_S5_li.private_seg_size, 0
	.set _ZL29rocblas_internal_gemmt_kernelIiLi16ELi32ELi8ELc67ELc67ELc76ELb1ELb1E19rocblas_complex_numIdEPKS1_S3_PS1_EviT_T9_T10_S5_lS7_S5_lS6_T11_S5_li.uses_vcc, 1
	.set _ZL29rocblas_internal_gemmt_kernelIiLi16ELi32ELi8ELc67ELc67ELc76ELb1ELb1E19rocblas_complex_numIdEPKS1_S3_PS1_EviT_T9_T10_S5_lS7_S5_lS6_T11_S5_li.uses_flat_scratch, 0
	.set _ZL29rocblas_internal_gemmt_kernelIiLi16ELi32ELi8ELc67ELc67ELc76ELb1ELb1E19rocblas_complex_numIdEPKS1_S3_PS1_EviT_T9_T10_S5_lS7_S5_lS6_T11_S5_li.has_dyn_sized_stack, 0
	.set _ZL29rocblas_internal_gemmt_kernelIiLi16ELi32ELi8ELc67ELc67ELc76ELb1ELb1E19rocblas_complex_numIdEPKS1_S3_PS1_EviT_T9_T10_S5_lS7_S5_lS6_T11_S5_li.has_recursion, 0
	.set _ZL29rocblas_internal_gemmt_kernelIiLi16ELi32ELi8ELc67ELc67ELc76ELb1ELb1E19rocblas_complex_numIdEPKS1_S3_PS1_EviT_T9_T10_S5_lS7_S5_lS6_T11_S5_li.has_indirect_call, 0
	.section	.AMDGPU.csdata,"",@progbits
; Kernel info:
; codeLenInByte = 3412
; TotalNumSgprs: 42
; NumVgprs: 130
; ScratchSize: 0
; MemoryBound: 1
; FloatMode: 240
; IeeeMode: 1
; LDSByteSize: 8192 bytes/workgroup (compile time only)
; SGPRBlocks: 0
; VGPRBlocks: 16
; NumSGPRsForWavesPerEU: 42
; NumVGPRsForWavesPerEU: 130
; Occupancy: 10
; WaveLimiterHint : 0
; COMPUTE_PGM_RSRC2:SCRATCH_EN: 0
; COMPUTE_PGM_RSRC2:USER_SGPR: 2
; COMPUTE_PGM_RSRC2:TRAP_HANDLER: 0
; COMPUTE_PGM_RSRC2:TGID_X_EN: 1
; COMPUTE_PGM_RSRC2:TGID_Y_EN: 1
; COMPUTE_PGM_RSRC2:TGID_Z_EN: 1
; COMPUTE_PGM_RSRC2:TIDIG_COMP_CNT: 1
	.section	.text._ZL29rocblas_internal_gemmt_kernelIiLi16ELi32ELi8ELc78ELc78ELc85ELb0ELb0E19rocblas_complex_numIdES1_PKS1_PS1_EviT_T9_T10_S5_lS7_S5_lS6_T11_S5_li,"axG",@progbits,_ZL29rocblas_internal_gemmt_kernelIiLi16ELi32ELi8ELc78ELc78ELc85ELb0ELb0E19rocblas_complex_numIdES1_PKS1_PS1_EviT_T9_T10_S5_lS7_S5_lS6_T11_S5_li,comdat
	.globl	_ZL29rocblas_internal_gemmt_kernelIiLi16ELi32ELi8ELc78ELc78ELc85ELb0ELb0E19rocblas_complex_numIdES1_PKS1_PS1_EviT_T9_T10_S5_lS7_S5_lS6_T11_S5_li ; -- Begin function _ZL29rocblas_internal_gemmt_kernelIiLi16ELi32ELi8ELc78ELc78ELc85ELb0ELb0E19rocblas_complex_numIdES1_PKS1_PS1_EviT_T9_T10_S5_lS7_S5_lS6_T11_S5_li
	.p2align	8
	.type	_ZL29rocblas_internal_gemmt_kernelIiLi16ELi32ELi8ELc78ELc78ELc85ELb0ELb0E19rocblas_complex_numIdES1_PKS1_PS1_EviT_T9_T10_S5_lS7_S5_lS6_T11_S5_li,@function
_ZL29rocblas_internal_gemmt_kernelIiLi16ELi32ELi8ELc78ELc78ELc85ELb0ELb0E19rocblas_complex_numIdES1_PKS1_PS1_EviT_T9_T10_S5_lS7_S5_lS6_T11_S5_li: ; @_ZL29rocblas_internal_gemmt_kernelIiLi16ELi32ELi8ELc78ELc78ELc85ELb0ELb0E19rocblas_complex_numIdES1_PKS1_PS1_EviT_T9_T10_S5_lS7_S5_lS6_T11_S5_li
; %bb.0:
	s_clause 0x2
	s_load_b256 s[4:11], s[0:1], 0x40
	s_load_b64 s[24:25], s[0:1], 0x0
	s_load_b128 s[12:15], s[0:1], 0x8
	s_wait_kmcnt 0x0
	v_cmp_eq_f64_e64 s2, s[6:7], 1.0
	v_cmp_eq_f64_e64 s3, s[8:9], 0
	s_and_b32 s2, s2, s3
	s_delay_alu instid0(SALU_CYCLE_1)
	s_and_not1_b32 vcc_lo, exec_lo, s2
	s_mov_b32 s2, -1
	s_cbranch_vccnz .LBB126_3
; %bb.1:
	s_cmp_lg_u32 s25, 0
	s_cbranch_scc0 .LBB126_38
; %bb.2:
	v_cmp_neq_f64_e64 s2, s[12:13], 0
	v_cmp_neq_f64_e64 s16, s[14:15], 0
	s_or_b32 s2, s2, s16
.LBB126_3:
	s_delay_alu instid0(SALU_CYCLE_1)
	s_and_b32 vcc_lo, exec_lo, s2
	s_cbranch_vccz .LBB126_39
; %bb.4:
	s_load_b32 s23, s[0:1], 0x70
	s_lshr_b32 s26, ttmp7, 16
	s_wait_kmcnt 0x0
	s_cmp_ge_u32 s26, s23
	s_cbranch_scc1 .LBB126_39
; %bb.5:
	v_cmp_neq_f64_e64 s30, s[12:13], 0
	v_cmp_neq_f64_e64 s31, s[14:15], 0
	;; [unrolled: 1-line block ×3, first 2 shown]
	v_and_b32_e32 v1, 0x3ff, v0
	v_bfe_u32 v2, v0, 10, 10
	s_clause 0x4
	s_load_b96 s[20:22], s[0:1], 0x18
	s_load_b128 s[16:19], s[0:1], 0x28
	s_load_b32 s36, s[0:1], 0x38
	s_load_b32 s37, s[0:1], 0x60
	s_load_b64 s[28:29], s[0:1], 0x68
	v_and_b32_e32 v37, 7, v0
	s_lshl_b32 s0, ttmp7, 5
	s_lshl_b32 s1, ttmp9, 5
	v_lshl_add_u32 v0, v2, 4, v1
	s_and_b32 s2, s0, 0x1fffe0
	v_lshlrev_b32_e32 v38, 4, v1
	v_add_nc_u32_e32 v5, s1, v1
	v_add_nc_u32_e32 v6, s2, v2
	v_and_b32_e32 v1, 31, v0
	v_lshrrev_b32_e32 v40, 5, v0
	v_lshl_add_u32 v39, v2, 7, 0x1000
	v_lshrrev_b32_e32 v2, 3, v0
	v_cmp_gt_i32_e32 vcc_lo, s24, v6
	v_or_b32_e32 v0, s1, v1
	v_lshlrev_b32_e32 v1, 4, v1
	v_cmp_le_i32_e64 s0, v5, v6
	v_add_nc_u32_e32 v7, 16, v5
	s_wait_kmcnt 0x0
	v_mad_co_i64_i32 v[9:10], null, v40, s22, 0
	s_ashr_i32 s35, s22, 31
	v_add_nc_u32_e32 v11, s2, v2
	v_lshl_or_b32 v41, v40, 9, v1
	v_ashrrev_i32_e32 v1, 31, v0
	v_add_nc_u32_e32 v13, 16, v6
	v_cmp_gt_i32_e64 s1, s24, v0
	v_cmp_gt_i32_e64 s2, s24, v11
	v_lshlrev_b64_e32 v[9:10], 4, v[9:10]
	v_lshlrev_b64_e32 v[0:1], 4, v[0:1]
	v_mad_co_i64_i32 v[11:12], null, s36, v11, 0
	s_mov_b32 s34, s22
	v_lshlrev_b32_e32 v4, 4, v37
	v_mad_co_i64_i32 v[15:16], null, v13, s37, 0
	s_or_b32 s38, s30, s31
	s_cmp_gt_i32 s25, 0
	v_lshl_or_b32 v2, v2, 7, v4
	s_cselect_b32 s39, -1, 0
	s_and_b32 s31, vcc_lo, s0
	v_cmp_le_i32_e64 s0, v7, v6
	s_xor_b32 s3, s3, -1
	v_add_nc_u32_e32 v42, 0x1000, v2
	s_wait_alu 0xfffe
	s_or_b32 s30, s33, s3
	v_cmp_le_i32_e64 s3, v7, v13
	s_and_b32 s22, vcc_lo, s0
	v_cmp_gt_i32_e32 vcc_lo, s24, v13
	v_cmp_le_i32_e64 s0, v5, v13
	v_mad_co_i64_i32 v[2:3], null, v6, s37, 0
	v_lshlrev_b64_e32 v[15:16], 4, v[15:16]
	s_and_b32 s3, vcc_lo, s3
	s_delay_alu instid0(VALU_DEP_3) | instskip(SKIP_1) | instid1(VALU_DEP_1)
	s_and_b32 s24, vcc_lo, s0
	v_add_co_u32 v9, vcc_lo, v9, v0
	v_add_co_ci_u32_e64 v10, null, v10, v1, vcc_lo
	v_lshlrev_b64_e32 v[0:1], 4, v[11:12]
	s_delay_alu instid0(VALU_DEP_3) | instskip(SKIP_1) | instid1(VALU_DEP_3)
	v_add_co_u32 v9, vcc_lo, s20, v9
	s_wait_alu 0xfffd
	v_add_co_ci_u32_e64 v10, null, s21, v10, vcc_lo
	v_lshlrev_b64_e32 v[13:14], 4, v[2:3]
	s_delay_alu instid0(VALU_DEP_4) | instskip(SKIP_3) | instid1(VALU_DEP_3)
	v_add_co_u32 v0, vcc_lo, v0, v4
	s_wait_alu 0xfffd
	v_add_co_ci_u32_e64 v1, null, 0, v1, vcc_lo
	v_ashrrev_i32_e32 v6, 31, v5
	v_add_co_u32 v11, vcc_lo, s18, v0
	v_ashrrev_i32_e32 v8, 31, v7
	s_wait_alu 0xfffd
	v_add_co_ci_u32_e64 v12, null, s19, v1, vcc_lo
	v_mov_b32_e32 v0, 0
	s_mov_b32 s27, 0
	s_lshl_b64 s[16:17], s[16:17], 4
	s_lshl_b64 s[20:21], s[34:35], 7
	s_and_b32 s18, s38, s39
	s_lshl_b64 s[4:5], s[4:5], 4
	s_xor_b32 s19, s1, -1
	s_xor_b32 s2, s2, -1
	s_branch .LBB126_7
.LBB126_6:                              ;   in Loop: Header=BB126_7 Depth=1
	s_wait_alu 0xfffe
	s_or_b32 exec_lo, exec_lo, s0
	s_add_co_i32 s26, s26, 0x10000
	s_wait_alu 0xfffe
	s_cmp_lt_u32 s26, s23
	s_cbranch_scc0 .LBB126_39
.LBB126_7:                              ; =>This Loop Header: Depth=1
                                        ;     Child Loop BB126_10 Depth 2
	v_mov_b32_e32 v33, 0
	v_mov_b32_e32 v29, 0
	v_mov_b32_e32 v25, 0
	v_dual_mov_b32 v23, 0 :: v_dual_mov_b32 v34, 0
	v_dual_mov_b32 v35, 0 :: v_dual_mov_b32 v30, 0
	;; [unrolled: 1-line block ×5, first 2 shown]
	v_mov_b32_e32 v32, 0
	v_mov_b32_e32 v28, 0
	;; [unrolled: 1-line block ×3, first 2 shown]
	s_wait_alu 0xfffe
	s_and_not1_b32 vcc_lo, exec_lo, s18
	s_wait_alu 0xfffe
	s_cbranch_vccnz .LBB126_18
; %bb.8:                                ;   in Loop: Header=BB126_7 Depth=1
	v_mad_co_u64_u32 v[17:18], null, s16, s26, v[9:10]
	v_mad_co_u64_u32 v[19:20], null, s4, s26, v[11:12]
	v_mov_b32_e32 v21, 0
	v_mov_b32_e32 v23, 0
	v_mov_b32_e32 v25, 0
	v_mov_b32_e32 v29, 0
	v_dual_mov_b32 v1, v18 :: v_dual_mov_b32 v22, 0
	v_mov_b32_e32 v2, v20
	v_dual_mov_b32 v24, 0 :: v_dual_mov_b32 v27, 0
	v_dual_mov_b32 v26, 0 :: v_dual_mov_b32 v31, 0
	s_delay_alu instid0(VALU_DEP_3)
	v_mad_co_u64_u32 v[3:4], null, s17, s26, v[1:2]
	v_dual_mov_b32 v30, 0 :: v_dual_mov_b32 v35, 0
	v_dual_mov_b32 v33, 0 :: v_dual_mov_b32 v28, 0
	v_mov_b32_e32 v32, 0
	v_mov_b32_e32 v36, 0
	v_mad_co_u64_u32 v[1:2], null, s5, s26, v[2:3]
	v_mov_b32_e32 v34, 0
	v_mov_b32_e32 v18, v3
	s_mov_b32 s0, 0
	s_delay_alu instid0(VALU_DEP_3)
	v_mov_b32_e32 v20, v1
	s_branch .LBB126_10
.LBB126_9:                              ;   in Loop: Header=BB126_10 Depth=2
	s_wait_alu 0xfffe
	s_or_b32 exec_lo, exec_lo, s1
	s_wait_dscnt 0x0
	s_barrier_signal -1
	s_barrier_wait -1
	global_inv scope:SCOPE_SE
	ds_load_b128 v[1:4], v39
	ds_load_b128 v[43:46], v39 offset:16
	ds_load_b128 v[47:50], v39 offset:32
	;; [unrolled: 1-line block ×3, first 2 shown]
	ds_load_b128 v[55:58], v38
	v_add_co_u32 v17, vcc_lo, v17, s20
	s_wait_alu 0xfffd
	v_add_co_ci_u32_e64 v18, null, s21, v18, vcc_lo
	v_add_co_u32 v19, vcc_lo, 0x80, v19
	s_wait_alu 0xfffd
	v_add_co_ci_u32_e64 v20, null, 0, v20, vcc_lo
	s_add_co_i32 s0, s0, 8
	s_wait_alu 0xfffe
	s_cmp_lt_i32 s0, s25
	s_wait_dscnt 0x0
	v_mul_f64_e32 v[59:60], v[3:4], v[57:58]
	v_mul_f64_e32 v[61:62], v[1:2], v[57:58]
	s_delay_alu instid0(VALU_DEP_2) | instskip(NEXT) | instid1(VALU_DEP_2)
	v_fma_f64 v[59:60], v[1:2], v[55:56], -v[59:60]
	v_fma_f64 v[61:62], v[3:4], v[55:56], v[61:62]
	s_delay_alu instid0(VALU_DEP_2) | instskip(NEXT) | instid1(VALU_DEP_2)
	v_add_f64_e32 v[59:60], v[33:34], v[59:60]
	v_add_f64_e32 v[61:62], v[61:62], v[35:36]
	ds_load_b128 v[33:36], v38 offset:256
	s_wait_dscnt 0x0
	v_mul_f64_e32 v[63:64], v[3:4], v[35:36]
	s_delay_alu instid0(VALU_DEP_1) | instskip(SKIP_1) | instid1(VALU_DEP_2)
	v_fma_f64 v[63:64], v[1:2], v[33:34], -v[63:64]
	v_mul_f64_e32 v[1:2], v[1:2], v[35:36]
	v_add_f64_e32 v[29:30], v[29:30], v[63:64]
	s_delay_alu instid0(VALU_DEP_2) | instskip(NEXT) | instid1(VALU_DEP_1)
	v_fma_f64 v[1:2], v[3:4], v[33:34], v[1:2]
	v_add_f64_e32 v[31:32], v[1:2], v[31:32]
	ds_load_b128 v[1:4], v39 offset:2048
	s_wait_dscnt 0x0
	v_mul_f64_e32 v[63:64], v[3:4], v[57:58]
	v_mul_f64_e32 v[57:58], v[1:2], v[57:58]
	s_delay_alu instid0(VALU_DEP_2) | instskip(NEXT) | instid1(VALU_DEP_2)
	v_fma_f64 v[63:64], v[1:2], v[55:56], -v[63:64]
	v_fma_f64 v[55:56], v[3:4], v[55:56], v[57:58]
	s_delay_alu instid0(VALU_DEP_2) | instskip(SKIP_1) | instid1(VALU_DEP_3)
	v_add_f64_e32 v[57:58], v[25:26], v[63:64]
	v_mul_f64_e32 v[25:26], v[3:4], v[35:36]
	v_add_f64_e32 v[55:56], v[55:56], v[27:28]
	s_delay_alu instid0(VALU_DEP_2) | instskip(SKIP_1) | instid1(VALU_DEP_1)
	v_fma_f64 v[25:26], v[1:2], v[33:34], -v[25:26]
	v_mul_f64_e32 v[1:2], v[1:2], v[35:36]
	v_fma_f64 v[1:2], v[3:4], v[33:34], v[1:2]
	s_delay_alu instid0(VALU_DEP_3) | instskip(NEXT) | instid1(VALU_DEP_2)
	v_add_f64_e32 v[33:34], v[23:24], v[25:26]
	v_add_f64_e32 v[35:36], v[1:2], v[21:22]
	ds_load_b128 v[1:4], v38 offset:512
	s_wait_dscnt 0x0
	v_mul_f64_e32 v[21:22], v[45:46], v[3:4]
	v_mul_f64_e32 v[23:24], v[43:44], v[3:4]
	s_delay_alu instid0(VALU_DEP_2) | instskip(NEXT) | instid1(VALU_DEP_2)
	v_fma_f64 v[21:22], v[43:44], v[1:2], -v[21:22]
	v_fma_f64 v[23:24], v[45:46], v[1:2], v[23:24]
	s_delay_alu instid0(VALU_DEP_2) | instskip(NEXT) | instid1(VALU_DEP_2)
	v_add_f64_e32 v[59:60], v[59:60], v[21:22]
	v_add_f64_e32 v[61:62], v[23:24], v[61:62]
	ds_load_b128 v[21:24], v38 offset:768
	s_wait_dscnt 0x0
	v_mul_f64_e32 v[25:26], v[45:46], v[23:24]
	v_mul_f64_e32 v[27:28], v[43:44], v[23:24]
	s_delay_alu instid0(VALU_DEP_2) | instskip(NEXT) | instid1(VALU_DEP_2)
	v_fma_f64 v[25:26], v[43:44], v[21:22], -v[25:26]
	v_fma_f64 v[27:28], v[45:46], v[21:22], v[27:28]
	s_delay_alu instid0(VALU_DEP_2) | instskip(NEXT) | instid1(VALU_DEP_2)
	v_add_f64_e32 v[29:30], v[29:30], v[25:26]
	v_add_f64_e32 v[31:32], v[27:28], v[31:32]
	ds_load_b128 v[25:28], v39 offset:2064
	s_wait_dscnt 0x0
	v_mul_f64_e32 v[43:44], v[27:28], v[3:4]
	v_mul_f64_e32 v[3:4], v[25:26], v[3:4]
	s_delay_alu instid0(VALU_DEP_2) | instskip(NEXT) | instid1(VALU_DEP_2)
	v_fma_f64 v[43:44], v[25:26], v[1:2], -v[43:44]
	v_fma_f64 v[1:2], v[27:28], v[1:2], v[3:4]
	v_mul_f64_e32 v[3:4], v[25:26], v[23:24]
	s_delay_alu instid0(VALU_DEP_3) | instskip(NEXT) | instid1(VALU_DEP_3)
	v_add_f64_e32 v[43:44], v[57:58], v[43:44]
	v_add_f64_e32 v[45:46], v[1:2], v[55:56]
	v_mul_f64_e32 v[1:2], v[27:28], v[23:24]
	s_delay_alu instid0(VALU_DEP_4) | instskip(NEXT) | instid1(VALU_DEP_2)
	v_fma_f64 v[3:4], v[27:28], v[21:22], v[3:4]
	v_fma_f64 v[1:2], v[25:26], v[21:22], -v[1:2]
	s_delay_alu instid0(VALU_DEP_2) | instskip(NEXT) | instid1(VALU_DEP_2)
	v_add_f64_e32 v[35:36], v[3:4], v[35:36]
	v_add_f64_e32 v[33:34], v[33:34], v[1:2]
	ds_load_b128 v[1:4], v38 offset:1024
	s_wait_dscnt 0x0
	v_mul_f64_e32 v[21:22], v[49:50], v[3:4]
	v_mul_f64_e32 v[23:24], v[47:48], v[3:4]
	s_delay_alu instid0(VALU_DEP_2) | instskip(NEXT) | instid1(VALU_DEP_2)
	v_fma_f64 v[21:22], v[47:48], v[1:2], -v[21:22]
	v_fma_f64 v[23:24], v[49:50], v[1:2], v[23:24]
	s_delay_alu instid0(VALU_DEP_2) | instskip(NEXT) | instid1(VALU_DEP_2)
	v_add_f64_e32 v[55:56], v[59:60], v[21:22]
	v_add_f64_e32 v[57:58], v[23:24], v[61:62]
	ds_load_b128 v[21:24], v38 offset:1280
	s_wait_dscnt 0x0
	v_mul_f64_e32 v[25:26], v[49:50], v[23:24]
	v_mul_f64_e32 v[27:28], v[47:48], v[23:24]
	s_delay_alu instid0(VALU_DEP_2) | instskip(NEXT) | instid1(VALU_DEP_2)
	v_fma_f64 v[25:26], v[47:48], v[21:22], -v[25:26]
	v_fma_f64 v[27:28], v[49:50], v[21:22], v[27:28]
	s_delay_alu instid0(VALU_DEP_2) | instskip(NEXT) | instid1(VALU_DEP_2)
	v_add_f64_e32 v[29:30], v[29:30], v[25:26]
	v_add_f64_e32 v[31:32], v[27:28], v[31:32]
	ds_load_b128 v[25:28], v39 offset:2080
	s_wait_dscnt 0x0
	v_mul_f64_e32 v[47:48], v[27:28], v[3:4]
	v_mul_f64_e32 v[3:4], v[25:26], v[3:4]
	s_delay_alu instid0(VALU_DEP_2) | instskip(NEXT) | instid1(VALU_DEP_2)
	v_fma_f64 v[47:48], v[25:26], v[1:2], -v[47:48]
	v_fma_f64 v[1:2], v[27:28], v[1:2], v[3:4]
	v_mul_f64_e32 v[3:4], v[25:26], v[23:24]
	s_delay_alu instid0(VALU_DEP_3) | instskip(NEXT) | instid1(VALU_DEP_3)
	v_add_f64_e32 v[43:44], v[43:44], v[47:48]
	v_add_f64_e32 v[45:46], v[1:2], v[45:46]
	v_mul_f64_e32 v[1:2], v[27:28], v[23:24]
	s_delay_alu instid0(VALU_DEP_4) | instskip(NEXT) | instid1(VALU_DEP_2)
	v_fma_f64 v[3:4], v[27:28], v[21:22], v[3:4]
	v_fma_f64 v[1:2], v[25:26], v[21:22], -v[1:2]
	s_delay_alu instid0(VALU_DEP_2) | instskip(NEXT) | instid1(VALU_DEP_2)
	;; [unrolled: 38-line block ×3, first 2 shown]
	v_add_f64_e32 v[35:36], v[3:4], v[35:36]
	v_add_f64_e32 v[33:34], v[33:34], v[1:2]
	ds_load_b128 v[1:4], v39 offset:64
	ds_load_b128 v[21:24], v38 offset:2048
	s_wait_dscnt 0x0
	v_mul_f64_e32 v[25:26], v[3:4], v[23:24]
	v_mul_f64_e32 v[27:28], v[1:2], v[23:24]
	s_delay_alu instid0(VALU_DEP_2) | instskip(NEXT) | instid1(VALU_DEP_2)
	v_fma_f64 v[25:26], v[1:2], v[21:22], -v[25:26]
	v_fma_f64 v[27:28], v[3:4], v[21:22], v[27:28]
	s_delay_alu instid0(VALU_DEP_2) | instskip(NEXT) | instid1(VALU_DEP_2)
	v_add_f64_e32 v[47:48], v[47:48], v[25:26]
	v_add_f64_e32 v[49:50], v[27:28], v[49:50]
	ds_load_b128 v[25:28], v38 offset:2304
	s_wait_dscnt 0x0
	v_mul_f64_e32 v[51:52], v[3:4], v[27:28]
	s_delay_alu instid0(VALU_DEP_1) | instskip(SKIP_1) | instid1(VALU_DEP_2)
	v_fma_f64 v[51:52], v[1:2], v[25:26], -v[51:52]
	v_mul_f64_e32 v[1:2], v[1:2], v[27:28]
	v_add_f64_e32 v[29:30], v[29:30], v[51:52]
	s_delay_alu instid0(VALU_DEP_2) | instskip(NEXT) | instid1(VALU_DEP_1)
	v_fma_f64 v[1:2], v[3:4], v[25:26], v[1:2]
	v_add_f64_e32 v[31:32], v[1:2], v[31:32]
	ds_load_b128 v[1:4], v39 offset:2112
	s_wait_dscnt 0x0
	v_mul_f64_e32 v[51:52], v[3:4], v[23:24]
	v_mul_f64_e32 v[23:24], v[1:2], v[23:24]
	s_delay_alu instid0(VALU_DEP_2) | instskip(NEXT) | instid1(VALU_DEP_2)
	v_fma_f64 v[51:52], v[1:2], v[21:22], -v[51:52]
	v_fma_f64 v[21:22], v[3:4], v[21:22], v[23:24]
	s_delay_alu instid0(VALU_DEP_2) | instskip(NEXT) | instid1(VALU_DEP_2)
	v_add_f64_e32 v[43:44], v[43:44], v[51:52]
	v_add_f64_e32 v[45:46], v[21:22], v[45:46]
	v_mul_f64_e32 v[21:22], v[3:4], v[27:28]
	s_delay_alu instid0(VALU_DEP_1) | instskip(SKIP_1) | instid1(VALU_DEP_2)
	v_fma_f64 v[21:22], v[1:2], v[25:26], -v[21:22]
	v_mul_f64_e32 v[1:2], v[1:2], v[27:28]
	v_add_f64_e32 v[33:34], v[33:34], v[21:22]
	s_delay_alu instid0(VALU_DEP_2) | instskip(NEXT) | instid1(VALU_DEP_1)
	v_fma_f64 v[1:2], v[3:4], v[25:26], v[1:2]
	v_add_f64_e32 v[35:36], v[1:2], v[35:36]
	ds_load_b128 v[1:4], v39 offset:80
	ds_load_b128 v[21:24], v38 offset:2560
	s_wait_dscnt 0x0
	v_mul_f64_e32 v[25:26], v[3:4], v[23:24]
	v_mul_f64_e32 v[27:28], v[1:2], v[23:24]
	s_delay_alu instid0(VALU_DEP_2) | instskip(NEXT) | instid1(VALU_DEP_2)
	v_fma_f64 v[25:26], v[1:2], v[21:22], -v[25:26]
	v_fma_f64 v[27:28], v[3:4], v[21:22], v[27:28]
	s_delay_alu instid0(VALU_DEP_2) | instskip(NEXT) | instid1(VALU_DEP_2)
	v_add_f64_e32 v[47:48], v[47:48], v[25:26]
	v_add_f64_e32 v[49:50], v[27:28], v[49:50]
	ds_load_b128 v[25:28], v38 offset:2816
	s_wait_dscnt 0x0
	v_mul_f64_e32 v[51:52], v[3:4], v[27:28]
	s_delay_alu instid0(VALU_DEP_1) | instskip(SKIP_1) | instid1(VALU_DEP_2)
	v_fma_f64 v[51:52], v[1:2], v[25:26], -v[51:52]
	v_mul_f64_e32 v[1:2], v[1:2], v[27:28]
	v_add_f64_e32 v[29:30], v[29:30], v[51:52]
	s_delay_alu instid0(VALU_DEP_2) | instskip(NEXT) | instid1(VALU_DEP_1)
	v_fma_f64 v[1:2], v[3:4], v[25:26], v[1:2]
	v_add_f64_e32 v[31:32], v[1:2], v[31:32]
	ds_load_b128 v[1:4], v39 offset:2128
	s_wait_dscnt 0x0
	v_mul_f64_e32 v[51:52], v[3:4], v[23:24]
	v_mul_f64_e32 v[23:24], v[1:2], v[23:24]
	s_delay_alu instid0(VALU_DEP_2) | instskip(NEXT) | instid1(VALU_DEP_2)
	v_fma_f64 v[51:52], v[1:2], v[21:22], -v[51:52]
	v_fma_f64 v[21:22], v[3:4], v[21:22], v[23:24]
	s_delay_alu instid0(VALU_DEP_2) | instskip(NEXT) | instid1(VALU_DEP_2)
	v_add_f64_e32 v[43:44], v[43:44], v[51:52]
	v_add_f64_e32 v[45:46], v[21:22], v[45:46]
	v_mul_f64_e32 v[21:22], v[3:4], v[27:28]
	s_delay_alu instid0(VALU_DEP_1) | instskip(SKIP_1) | instid1(VALU_DEP_2)
	v_fma_f64 v[21:22], v[1:2], v[25:26], -v[21:22]
	v_mul_f64_e32 v[1:2], v[1:2], v[27:28]
	v_add_f64_e32 v[33:34], v[33:34], v[21:22]
	s_delay_alu instid0(VALU_DEP_2) | instskip(NEXT) | instid1(VALU_DEP_1)
	v_fma_f64 v[1:2], v[3:4], v[25:26], v[1:2]
	;; [unrolled: 39-line block ×3, first 2 shown]
	v_add_f64_e32 v[57:58], v[1:2], v[35:36]
	ds_load_b128 v[1:4], v39 offset:112
	ds_load_b128 v[21:24], v38 offset:3584
	;; [unrolled: 1-line block ×3, first 2 shown]
	s_wait_dscnt 0x1
	v_mul_f64_e32 v[25:26], v[3:4], v[23:24]
	v_mul_f64_e32 v[27:28], v[1:2], v[23:24]
	s_delay_alu instid0(VALU_DEP_2) | instskip(NEXT) | instid1(VALU_DEP_2)
	v_fma_f64 v[25:26], v[1:2], v[21:22], -v[25:26]
	v_fma_f64 v[27:28], v[3:4], v[21:22], v[27:28]
	s_delay_alu instid0(VALU_DEP_2) | instskip(SKIP_2) | instid1(VALU_DEP_3)
	v_add_f64_e32 v[33:34], v[47:48], v[25:26]
	s_wait_dscnt 0x0
	v_mul_f64_e32 v[25:26], v[3:4], v[45:46]
	v_add_f64_e32 v[35:36], v[27:28], v[49:50]
	s_delay_alu instid0(VALU_DEP_2) | instskip(SKIP_1) | instid1(VALU_DEP_2)
	v_fma_f64 v[25:26], v[1:2], v[43:44], -v[25:26]
	v_mul_f64_e32 v[1:2], v[1:2], v[45:46]
	v_add_f64_e32 v[29:30], v[29:30], v[25:26]
	s_delay_alu instid0(VALU_DEP_2) | instskip(NEXT) | instid1(VALU_DEP_1)
	v_fma_f64 v[1:2], v[3:4], v[43:44], v[1:2]
	v_add_f64_e32 v[31:32], v[1:2], v[31:32]
	ds_load_b128 v[1:4], v39 offset:2160
	s_wait_loadcnt_dscnt 0x0
	s_barrier_signal -1
	s_barrier_wait -1
	global_inv scope:SCOPE_SE
	v_mul_f64_e32 v[25:26], v[3:4], v[23:24]
	v_mul_f64_e32 v[23:24], v[1:2], v[23:24]
	s_delay_alu instid0(VALU_DEP_2) | instskip(NEXT) | instid1(VALU_DEP_2)
	v_fma_f64 v[25:26], v[1:2], v[21:22], -v[25:26]
	v_fma_f64 v[21:22], v[3:4], v[21:22], v[23:24]
	s_delay_alu instid0(VALU_DEP_2) | instskip(NEXT) | instid1(VALU_DEP_2)
	v_add_f64_e32 v[25:26], v[51:52], v[25:26]
	v_add_f64_e32 v[27:28], v[21:22], v[53:54]
	v_mul_f64_e32 v[21:22], v[3:4], v[45:46]
	s_delay_alu instid0(VALU_DEP_1) | instskip(SKIP_1) | instid1(VALU_DEP_2)
	v_fma_f64 v[21:22], v[1:2], v[43:44], -v[21:22]
	v_mul_f64_e32 v[1:2], v[1:2], v[45:46]
	v_add_f64_e32 v[23:24], v[55:56], v[21:22]
	s_delay_alu instid0(VALU_DEP_2) | instskip(NEXT) | instid1(VALU_DEP_1)
	v_fma_f64 v[1:2], v[3:4], v[43:44], v[1:2]
	v_add_f64_e32 v[21:22], v[1:2], v[57:58]
	s_cbranch_scc0 .LBB126_18
.LBB126_10:                             ;   Parent Loop BB126_7 Depth=1
                                        ; =>  This Inner Loop Header: Depth=2
	s_wait_alu 0xfffe
	v_add_nc_u32_e32 v1, s0, v40
	s_delay_alu instid0(VALU_DEP_1) | instskip(SKIP_3) | instid1(SALU_CYCLE_1)
	v_cmp_le_i32_e32 vcc_lo, s25, v1
	s_or_b32 s1, s19, vcc_lo
	s_wait_alu 0xfffe
	s_and_saveexec_b32 s33, s1
	s_xor_b32 s1, exec_lo, s33
; %bb.11:                               ;   in Loop: Header=BB126_10 Depth=2
	v_dual_mov_b32 v1, v0 :: v_dual_mov_b32 v2, v0
	v_mov_b32_e32 v3, v0
	ds_store_b128 v41, v[0:3]
; %bb.12:                               ;   in Loop: Header=BB126_10 Depth=2
	s_wait_alu 0xfffe
	s_and_not1_saveexec_b32 s1, s1
	s_cbranch_execz .LBB126_14
; %bb.13:                               ;   in Loop: Header=BB126_10 Depth=2
	global_load_b128 v[1:4], v[17:18], off
	s_wait_loadcnt 0x0
	ds_store_2addr_b64 v41, v[1:2], v[3:4] offset1:1
.LBB126_14:                             ;   in Loop: Header=BB126_10 Depth=2
	s_wait_alu 0xfffe
	s_or_b32 exec_lo, exec_lo, s1
	v_add_nc_u32_e32 v1, s0, v37
	s_delay_alu instid0(VALU_DEP_1) | instskip(SKIP_3) | instid1(SALU_CYCLE_1)
	v_cmp_le_i32_e32 vcc_lo, s25, v1
	s_or_b32 s1, vcc_lo, s2
	s_wait_alu 0xfffe
	s_and_saveexec_b32 s33, s1
	s_xor_b32 s1, exec_lo, s33
; %bb.15:                               ;   in Loop: Header=BB126_10 Depth=2
	v_dual_mov_b32 v1, v0 :: v_dual_mov_b32 v2, v0
	v_mov_b32_e32 v3, v0
	ds_store_b128 v42, v[0:3]
; %bb.16:                               ;   in Loop: Header=BB126_10 Depth=2
	s_wait_alu 0xfffe
	s_and_not1_saveexec_b32 s1, s1
	s_cbranch_execz .LBB126_9
; %bb.17:                               ;   in Loop: Header=BB126_10 Depth=2
	global_load_b128 v[1:4], v[19:20], off
	s_wait_loadcnt 0x0
	ds_store_2addr_b64 v42, v[1:2], v[3:4] offset1:1
	s_branch .LBB126_9
.LBB126_18:                             ;   in Loop: Header=BB126_7 Depth=1
	s_mul_u64 s[0:1], s[28:29], s[26:27]
	s_wait_alu 0xfffe
	s_lshl_b64 s[0:1], s[0:1], 4
	s_wait_alu 0xfffe
	s_add_nc_u64 s[0:1], s[10:11], s[0:1]
	s_wait_alu 0xfffe
	v_add_co_u32 v17, vcc_lo, s0, v13
	s_wait_alu 0xfffd
	v_add_co_ci_u32_e64 v18, null, s1, v14, vcc_lo
	s_and_saveexec_b32 s33, s31
	s_cbranch_execz .LBB126_23
; %bb.19:                               ;   in Loop: Header=BB126_7 Depth=1
	v_mul_f64_e32 v[1:2], s[14:15], v[35:36]
	v_mul_f64_e32 v[3:4], s[12:13], v[35:36]
	s_and_b32 vcc_lo, exec_lo, s30
	s_mov_b32 s34, -1
	s_delay_alu instid0(VALU_DEP_2) | instskip(NEXT) | instid1(VALU_DEP_2)
	v_fma_f64 v[1:2], s[12:13], v[33:34], -v[1:2]
	v_fma_f64 v[3:4], s[14:15], v[33:34], v[3:4]
	s_wait_alu 0xfffe
	s_cbranch_vccz .LBB126_21
; %bb.20:                               ;   in Loop: Header=BB126_7 Depth=1
	v_lshlrev_b64_e32 v[19:20], 4, v[5:6]
	s_mov_b32 s34, 0
	s_delay_alu instid0(VALU_DEP_1) | instskip(SKIP_1) | instid1(VALU_DEP_2)
	v_add_co_u32 v19, vcc_lo, v17, v19
	s_wait_alu 0xfffd
	v_add_co_ci_u32_e64 v20, null, v18, v20, vcc_lo
	global_load_b128 v[33:36], v[19:20], off
	s_wait_loadcnt 0x0
	v_mul_f64_e32 v[43:44], s[8:9], v[35:36]
	v_mul_f64_e32 v[35:36], s[6:7], v[35:36]
	s_delay_alu instid0(VALU_DEP_2) | instskip(NEXT) | instid1(VALU_DEP_2)
	v_fma_f64 v[43:44], s[6:7], v[33:34], -v[43:44]
	v_fma_f64 v[35:36], s[8:9], v[33:34], v[35:36]
	s_delay_alu instid0(VALU_DEP_2) | instskip(NEXT) | instid1(VALU_DEP_2)
	v_add_f64_e32 v[33:34], v[1:2], v[43:44]
	v_add_f64_e32 v[35:36], v[3:4], v[35:36]
	global_store_b128 v[19:20], v[33:36], off
.LBB126_21:                             ;   in Loop: Header=BB126_7 Depth=1
	s_and_not1_b32 vcc_lo, exec_lo, s34
	s_wait_alu 0xfffe
	s_cbranch_vccnz .LBB126_23
; %bb.22:                               ;   in Loop: Header=BB126_7 Depth=1
	v_lshlrev_b64_e32 v[19:20], 4, v[5:6]
	s_delay_alu instid0(VALU_DEP_1) | instskip(SKIP_1) | instid1(VALU_DEP_2)
	v_add_co_u32 v19, vcc_lo, v17, v19
	s_wait_alu 0xfffd
	v_add_co_ci_u32_e64 v20, null, v18, v20, vcc_lo
	global_store_b128 v[19:20], v[1:4], off
.LBB126_23:                             ;   in Loop: Header=BB126_7 Depth=1
	s_or_b32 exec_lo, exec_lo, s33
	s_and_saveexec_b32 s33, s22
	s_cbranch_execz .LBB126_28
; %bb.24:                               ;   in Loop: Header=BB126_7 Depth=1
	v_mul_f64_e32 v[1:2], s[14:15], v[31:32]
	v_mul_f64_e32 v[3:4], s[12:13], v[31:32]
	s_and_not1_b32 vcc_lo, exec_lo, s30
	s_mov_b32 s34, -1
	s_delay_alu instid0(VALU_DEP_2) | instskip(NEXT) | instid1(VALU_DEP_2)
	v_fma_f64 v[1:2], s[12:13], v[29:30], -v[1:2]
	v_fma_f64 v[3:4], s[14:15], v[29:30], v[3:4]
	s_wait_alu 0xfffe
	s_cbranch_vccnz .LBB126_26
; %bb.25:                               ;   in Loop: Header=BB126_7 Depth=1
	v_lshlrev_b64_e32 v[19:20], 4, v[7:8]
	s_mov_b32 s34, 0
	s_delay_alu instid0(VALU_DEP_1) | instskip(SKIP_1) | instid1(VALU_DEP_2)
	v_add_co_u32 v19, vcc_lo, v17, v19
	s_wait_alu 0xfffd
	v_add_co_ci_u32_e64 v20, null, v18, v20, vcc_lo
	global_load_b128 v[29:32], v[19:20], off
	s_wait_loadcnt 0x0
	v_mul_f64_e32 v[33:34], s[8:9], v[31:32]
	v_mul_f64_e32 v[31:32], s[6:7], v[31:32]
	s_delay_alu instid0(VALU_DEP_2) | instskip(NEXT) | instid1(VALU_DEP_2)
	v_fma_f64 v[33:34], s[6:7], v[29:30], -v[33:34]
	v_fma_f64 v[31:32], s[8:9], v[29:30], v[31:32]
	s_delay_alu instid0(VALU_DEP_2) | instskip(NEXT) | instid1(VALU_DEP_2)
	v_add_f64_e32 v[29:30], v[1:2], v[33:34]
	v_add_f64_e32 v[31:32], v[3:4], v[31:32]
	global_store_b128 v[19:20], v[29:32], off
.LBB126_26:                             ;   in Loop: Header=BB126_7 Depth=1
	s_and_not1_b32 vcc_lo, exec_lo, s34
	s_wait_alu 0xfffe
	s_cbranch_vccnz .LBB126_28
; %bb.27:                               ;   in Loop: Header=BB126_7 Depth=1
	v_lshlrev_b64_e32 v[19:20], 4, v[7:8]
	s_delay_alu instid0(VALU_DEP_1) | instskip(SKIP_1) | instid1(VALU_DEP_2)
	v_add_co_u32 v17, vcc_lo, v17, v19
	s_wait_alu 0xfffd
	v_add_co_ci_u32_e64 v18, null, v18, v20, vcc_lo
	global_store_b128 v[17:18], v[1:4], off
.LBB126_28:                             ;   in Loop: Header=BB126_7 Depth=1
	s_or_b32 exec_lo, exec_lo, s33
	v_add_co_u32 v19, vcc_lo, s0, v15
	s_wait_alu 0xfffd
	v_add_co_ci_u32_e64 v20, null, s1, v16, vcc_lo
	s_and_saveexec_b32 s0, s24
	s_cbranch_execz .LBB126_33
; %bb.29:                               ;   in Loop: Header=BB126_7 Depth=1
	v_mul_f64_e32 v[1:2], s[14:15], v[27:28]
	v_mul_f64_e32 v[3:4], s[12:13], v[27:28]
	v_lshlrev_b64_e32 v[17:18], 4, v[5:6]
	s_and_not1_b32 vcc_lo, exec_lo, s30
	s_mov_b32 s1, -1
	s_delay_alu instid0(VALU_DEP_3) | instskip(NEXT) | instid1(VALU_DEP_3)
	v_fma_f64 v[1:2], s[12:13], v[25:26], -v[1:2]
	v_fma_f64 v[3:4], s[14:15], v[25:26], v[3:4]
	s_wait_alu 0xfffe
	s_cbranch_vccnz .LBB126_31
; %bb.30:                               ;   in Loop: Header=BB126_7 Depth=1
	v_add_co_u32 v29, vcc_lo, v19, v17
	s_wait_alu 0xfffd
	v_add_co_ci_u32_e64 v30, null, v20, v18, vcc_lo
	s_mov_b32 s1, 0
	global_load_b128 v[25:28], v[29:30], off
	s_wait_loadcnt 0x0
	v_mul_f64_e32 v[31:32], s[8:9], v[27:28]
	v_mul_f64_e32 v[27:28], s[6:7], v[27:28]
	s_delay_alu instid0(VALU_DEP_2) | instskip(NEXT) | instid1(VALU_DEP_2)
	v_fma_f64 v[31:32], s[6:7], v[25:26], -v[31:32]
	v_fma_f64 v[27:28], s[8:9], v[25:26], v[27:28]
	s_delay_alu instid0(VALU_DEP_2) | instskip(NEXT) | instid1(VALU_DEP_2)
	v_add_f64_e32 v[25:26], v[1:2], v[31:32]
	v_add_f64_e32 v[27:28], v[3:4], v[27:28]
	global_store_b128 v[29:30], v[25:28], off
.LBB126_31:                             ;   in Loop: Header=BB126_7 Depth=1
	s_wait_alu 0xfffe
	s_and_not1_b32 vcc_lo, exec_lo, s1
	s_wait_alu 0xfffe
	s_cbranch_vccnz .LBB126_33
; %bb.32:                               ;   in Loop: Header=BB126_7 Depth=1
	v_add_co_u32 v17, vcc_lo, v19, v17
	s_wait_alu 0xfffd
	v_add_co_ci_u32_e64 v18, null, v20, v18, vcc_lo
	global_store_b128 v[17:18], v[1:4], off
.LBB126_33:                             ;   in Loop: Header=BB126_7 Depth=1
	s_wait_alu 0xfffe
	s_or_b32 exec_lo, exec_lo, s0
	s_and_saveexec_b32 s0, s3
	s_cbranch_execz .LBB126_6
; %bb.34:                               ;   in Loop: Header=BB126_7 Depth=1
	v_mul_f64_e32 v[1:2], s[14:15], v[21:22]
	v_mul_f64_e32 v[3:4], s[12:13], v[21:22]
	v_lshlrev_b64_e32 v[17:18], 4, v[7:8]
	s_and_not1_b32 vcc_lo, exec_lo, s30
	s_mov_b32 s1, -1
	s_delay_alu instid0(VALU_DEP_3) | instskip(NEXT) | instid1(VALU_DEP_3)
	v_fma_f64 v[1:2], s[12:13], v[23:24], -v[1:2]
	v_fma_f64 v[3:4], s[14:15], v[23:24], v[3:4]
	s_wait_alu 0xfffe
	s_cbranch_vccnz .LBB126_36
; %bb.35:                               ;   in Loop: Header=BB126_7 Depth=1
	v_add_co_u32 v25, vcc_lo, v19, v17
	s_wait_alu 0xfffd
	v_add_co_ci_u32_e64 v26, null, v20, v18, vcc_lo
	s_mov_b32 s1, 0
	global_load_b128 v[21:24], v[25:26], off
	s_wait_loadcnt 0x0
	v_mul_f64_e32 v[27:28], s[8:9], v[23:24]
	v_mul_f64_e32 v[23:24], s[6:7], v[23:24]
	s_delay_alu instid0(VALU_DEP_2) | instskip(NEXT) | instid1(VALU_DEP_2)
	v_fma_f64 v[27:28], s[6:7], v[21:22], -v[27:28]
	v_fma_f64 v[23:24], s[8:9], v[21:22], v[23:24]
	s_delay_alu instid0(VALU_DEP_2) | instskip(NEXT) | instid1(VALU_DEP_2)
	v_add_f64_e32 v[21:22], v[1:2], v[27:28]
	v_add_f64_e32 v[23:24], v[3:4], v[23:24]
	global_store_b128 v[25:26], v[21:24], off
.LBB126_36:                             ;   in Loop: Header=BB126_7 Depth=1
	s_wait_alu 0xfffe
	s_and_not1_b32 vcc_lo, exec_lo, s1
	s_wait_alu 0xfffe
	s_cbranch_vccnz .LBB126_6
; %bb.37:                               ;   in Loop: Header=BB126_7 Depth=1
	v_add_co_u32 v17, vcc_lo, v19, v17
	s_wait_alu 0xfffd
	v_add_co_ci_u32_e64 v18, null, v20, v18, vcc_lo
	global_store_b128 v[17:18], v[1:4], off
	s_branch .LBB126_6
.LBB126_38:
.LBB126_39:
	s_endpgm
	.section	.rodata,"a",@progbits
	.p2align	6, 0x0
	.amdhsa_kernel _ZL29rocblas_internal_gemmt_kernelIiLi16ELi32ELi8ELc78ELc78ELc85ELb0ELb0E19rocblas_complex_numIdES1_PKS1_PS1_EviT_T9_T10_S5_lS7_S5_lS6_T11_S5_li
		.amdhsa_group_segment_fixed_size 8192
		.amdhsa_private_segment_fixed_size 0
		.amdhsa_kernarg_size 116
		.amdhsa_user_sgpr_count 2
		.amdhsa_user_sgpr_dispatch_ptr 0
		.amdhsa_user_sgpr_queue_ptr 0
		.amdhsa_user_sgpr_kernarg_segment_ptr 1
		.amdhsa_user_sgpr_dispatch_id 0
		.amdhsa_user_sgpr_private_segment_size 0
		.amdhsa_wavefront_size32 1
		.amdhsa_uses_dynamic_stack 0
		.amdhsa_enable_private_segment 0
		.amdhsa_system_sgpr_workgroup_id_x 1
		.amdhsa_system_sgpr_workgroup_id_y 1
		.amdhsa_system_sgpr_workgroup_id_z 1
		.amdhsa_system_sgpr_workgroup_info 0
		.amdhsa_system_vgpr_workitem_id 1
		.amdhsa_next_free_vgpr 65
		.amdhsa_next_free_sgpr 40
		.amdhsa_reserve_vcc 1
		.amdhsa_float_round_mode_32 0
		.amdhsa_float_round_mode_16_64 0
		.amdhsa_float_denorm_mode_32 3
		.amdhsa_float_denorm_mode_16_64 3
		.amdhsa_fp16_overflow 0
		.amdhsa_workgroup_processor_mode 1
		.amdhsa_memory_ordered 1
		.amdhsa_forward_progress 1
		.amdhsa_inst_pref_size 29
		.amdhsa_round_robin_scheduling 0
		.amdhsa_exception_fp_ieee_invalid_op 0
		.amdhsa_exception_fp_denorm_src 0
		.amdhsa_exception_fp_ieee_div_zero 0
		.amdhsa_exception_fp_ieee_overflow 0
		.amdhsa_exception_fp_ieee_underflow 0
		.amdhsa_exception_fp_ieee_inexact 0
		.amdhsa_exception_int_div_zero 0
	.end_amdhsa_kernel
	.section	.text._ZL29rocblas_internal_gemmt_kernelIiLi16ELi32ELi8ELc78ELc78ELc85ELb0ELb0E19rocblas_complex_numIdES1_PKS1_PS1_EviT_T9_T10_S5_lS7_S5_lS6_T11_S5_li,"axG",@progbits,_ZL29rocblas_internal_gemmt_kernelIiLi16ELi32ELi8ELc78ELc78ELc85ELb0ELb0E19rocblas_complex_numIdES1_PKS1_PS1_EviT_T9_T10_S5_lS7_S5_lS6_T11_S5_li,comdat
.Lfunc_end126:
	.size	_ZL29rocblas_internal_gemmt_kernelIiLi16ELi32ELi8ELc78ELc78ELc85ELb0ELb0E19rocblas_complex_numIdES1_PKS1_PS1_EviT_T9_T10_S5_lS7_S5_lS6_T11_S5_li, .Lfunc_end126-_ZL29rocblas_internal_gemmt_kernelIiLi16ELi32ELi8ELc78ELc78ELc85ELb0ELb0E19rocblas_complex_numIdES1_PKS1_PS1_EviT_T9_T10_S5_lS7_S5_lS6_T11_S5_li
                                        ; -- End function
	.set _ZL29rocblas_internal_gemmt_kernelIiLi16ELi32ELi8ELc78ELc78ELc85ELb0ELb0E19rocblas_complex_numIdES1_PKS1_PS1_EviT_T9_T10_S5_lS7_S5_lS6_T11_S5_li.num_vgpr, 65
	.set _ZL29rocblas_internal_gemmt_kernelIiLi16ELi32ELi8ELc78ELc78ELc85ELb0ELb0E19rocblas_complex_numIdES1_PKS1_PS1_EviT_T9_T10_S5_lS7_S5_lS6_T11_S5_li.num_agpr, 0
	.set _ZL29rocblas_internal_gemmt_kernelIiLi16ELi32ELi8ELc78ELc78ELc85ELb0ELb0E19rocblas_complex_numIdES1_PKS1_PS1_EviT_T9_T10_S5_lS7_S5_lS6_T11_S5_li.numbered_sgpr, 40
	.set _ZL29rocblas_internal_gemmt_kernelIiLi16ELi32ELi8ELc78ELc78ELc85ELb0ELb0E19rocblas_complex_numIdES1_PKS1_PS1_EviT_T9_T10_S5_lS7_S5_lS6_T11_S5_li.num_named_barrier, 0
	.set _ZL29rocblas_internal_gemmt_kernelIiLi16ELi32ELi8ELc78ELc78ELc85ELb0ELb0E19rocblas_complex_numIdES1_PKS1_PS1_EviT_T9_T10_S5_lS7_S5_lS6_T11_S5_li.private_seg_size, 0
	.set _ZL29rocblas_internal_gemmt_kernelIiLi16ELi32ELi8ELc78ELc78ELc85ELb0ELb0E19rocblas_complex_numIdES1_PKS1_PS1_EviT_T9_T10_S5_lS7_S5_lS6_T11_S5_li.uses_vcc, 1
	.set _ZL29rocblas_internal_gemmt_kernelIiLi16ELi32ELi8ELc78ELc78ELc85ELb0ELb0E19rocblas_complex_numIdES1_PKS1_PS1_EviT_T9_T10_S5_lS7_S5_lS6_T11_S5_li.uses_flat_scratch, 0
	.set _ZL29rocblas_internal_gemmt_kernelIiLi16ELi32ELi8ELc78ELc78ELc85ELb0ELb0E19rocblas_complex_numIdES1_PKS1_PS1_EviT_T9_T10_S5_lS7_S5_lS6_T11_S5_li.has_dyn_sized_stack, 0
	.set _ZL29rocblas_internal_gemmt_kernelIiLi16ELi32ELi8ELc78ELc78ELc85ELb0ELb0E19rocblas_complex_numIdES1_PKS1_PS1_EviT_T9_T10_S5_lS7_S5_lS6_T11_S5_li.has_recursion, 0
	.set _ZL29rocblas_internal_gemmt_kernelIiLi16ELi32ELi8ELc78ELc78ELc85ELb0ELb0E19rocblas_complex_numIdES1_PKS1_PS1_EviT_T9_T10_S5_lS7_S5_lS6_T11_S5_li.has_indirect_call, 0
	.section	.AMDGPU.csdata,"",@progbits
; Kernel info:
; codeLenInByte = 3676
; TotalNumSgprs: 42
; NumVgprs: 65
; ScratchSize: 0
; MemoryBound: 0
; FloatMode: 240
; IeeeMode: 1
; LDSByteSize: 8192 bytes/workgroup (compile time only)
; SGPRBlocks: 0
; VGPRBlocks: 8
; NumSGPRsForWavesPerEU: 42
; NumVGPRsForWavesPerEU: 65
; Occupancy: 16
; WaveLimiterHint : 0
; COMPUTE_PGM_RSRC2:SCRATCH_EN: 0
; COMPUTE_PGM_RSRC2:USER_SGPR: 2
; COMPUTE_PGM_RSRC2:TRAP_HANDLER: 0
; COMPUTE_PGM_RSRC2:TGID_X_EN: 1
; COMPUTE_PGM_RSRC2:TGID_Y_EN: 1
; COMPUTE_PGM_RSRC2:TGID_Z_EN: 1
; COMPUTE_PGM_RSRC2:TIDIG_COMP_CNT: 1
	.section	.text._ZL29rocblas_internal_gemmt_kernelIiLi16ELi32ELi8ELc78ELc84ELc85ELb0ELb0E19rocblas_complex_numIdES1_PKS1_PS1_EviT_T9_T10_S5_lS7_S5_lS6_T11_S5_li,"axG",@progbits,_ZL29rocblas_internal_gemmt_kernelIiLi16ELi32ELi8ELc78ELc84ELc85ELb0ELb0E19rocblas_complex_numIdES1_PKS1_PS1_EviT_T9_T10_S5_lS7_S5_lS6_T11_S5_li,comdat
	.globl	_ZL29rocblas_internal_gemmt_kernelIiLi16ELi32ELi8ELc78ELc84ELc85ELb0ELb0E19rocblas_complex_numIdES1_PKS1_PS1_EviT_T9_T10_S5_lS7_S5_lS6_T11_S5_li ; -- Begin function _ZL29rocblas_internal_gemmt_kernelIiLi16ELi32ELi8ELc78ELc84ELc85ELb0ELb0E19rocblas_complex_numIdES1_PKS1_PS1_EviT_T9_T10_S5_lS7_S5_lS6_T11_S5_li
	.p2align	8
	.type	_ZL29rocblas_internal_gemmt_kernelIiLi16ELi32ELi8ELc78ELc84ELc85ELb0ELb0E19rocblas_complex_numIdES1_PKS1_PS1_EviT_T9_T10_S5_lS7_S5_lS6_T11_S5_li,@function
_ZL29rocblas_internal_gemmt_kernelIiLi16ELi32ELi8ELc78ELc84ELc85ELb0ELb0E19rocblas_complex_numIdES1_PKS1_PS1_EviT_T9_T10_S5_lS7_S5_lS6_T11_S5_li: ; @_ZL29rocblas_internal_gemmt_kernelIiLi16ELi32ELi8ELc78ELc84ELc85ELb0ELb0E19rocblas_complex_numIdES1_PKS1_PS1_EviT_T9_T10_S5_lS7_S5_lS6_T11_S5_li
; %bb.0:
	s_clause 0x2
	s_load_b256 s[4:11], s[0:1], 0x40
	s_load_b64 s[24:25], s[0:1], 0x0
	s_load_b128 s[12:15], s[0:1], 0x8
	s_wait_kmcnt 0x0
	v_cmp_eq_f64_e64 s2, s[6:7], 1.0
	v_cmp_eq_f64_e64 s3, s[8:9], 0
	s_and_b32 s2, s2, s3
	s_delay_alu instid0(SALU_CYCLE_1)
	s_and_not1_b32 vcc_lo, exec_lo, s2
	s_mov_b32 s2, -1
	s_cbranch_vccnz .LBB127_3
; %bb.1:
	s_cmp_lg_u32 s25, 0
	s_cbranch_scc0 .LBB127_38
; %bb.2:
	v_cmp_neq_f64_e64 s2, s[12:13], 0
	v_cmp_neq_f64_e64 s16, s[14:15], 0
	s_or_b32 s2, s2, s16
.LBB127_3:
	s_delay_alu instid0(SALU_CYCLE_1)
	s_and_b32 vcc_lo, exec_lo, s2
	s_cbranch_vccz .LBB127_39
; %bb.4:
	s_load_b32 s23, s[0:1], 0x70
	s_lshr_b32 s26, ttmp7, 16
	s_wait_kmcnt 0x0
	s_cmp_ge_u32 s26, s23
	s_cbranch_scc1 .LBB127_39
; %bb.5:
	v_cmp_neq_f64_e64 s2, s[12:13], 0
	v_cmp_neq_f64_e64 s33, s[14:15], 0
	;; [unrolled: 1-line block ×3, first 2 shown]
	s_clause 0x4
	s_load_b96 s[20:22], s[0:1], 0x18
	s_load_b128 s[16:19], s[0:1], 0x28
	s_load_b32 s30, s[0:1], 0x38
	s_load_b32 s35, s[0:1], 0x60
	s_load_b64 s[28:29], s[0:1], 0x68
	v_and_b32_e32 v1, 0x3ff, v0
	v_bfe_u32 v2, v0, 10, 10
	v_and_b32_e32 v37, 7, v0
	s_lshl_b32 s0, ttmp7, 5
	s_lshl_b32 s1, ttmp9, 5
	s_and_b32 s31, s0, 0x1fffe0
	v_lshl_add_u32 v0, v2, 4, v1
	v_lshlrev_b32_e32 v38, 4, v1
	v_add_nc_u32_e32 v5, s1, v1
	v_lshlrev_b32_e32 v3, 4, v37
	v_lshl_add_u32 v39, v2, 7, 0x1000
	v_and_b32_e32 v1, 31, v0
	v_add_nc_u32_e32 v4, s31, v2
	v_lshrrev_b32_e32 v2, 3, v0
	v_lshrrev_b32_e32 v40, 5, v0
	v_add_nc_u32_e32 v7, 16, v5
	v_or_b32_e32 v0, s1, v1
	v_lshlrev_b32_e32 v1, 4, v1
	v_cmp_gt_i32_e32 vcc_lo, s24, v4
	v_cmp_le_i32_e64 s0, v5, v4
	v_add_nc_u32_e32 v13, s31, v2
	v_lshl_or_b32 v2, v2, 7, v3
	s_wait_kmcnt 0x0
	s_ashr_i32 s37, s22, 31
	s_ashr_i32 s31, s30, 31
	v_mad_co_i64_i32 v[9:10], null, v40, s22, 0
	v_lshl_or_b32 v41, v40, 9, v1
	v_ashrrev_i32_e32 v1, 31, v0
	v_add_nc_u32_e32 v42, 0x1000, v2
	v_mad_co_i64_i32 v[2:3], null, v4, s35, 0
	v_cmp_gt_i32_e64 s1, s24, v0
	v_lshlrev_b64_e32 v[9:10], 4, v[9:10]
	v_lshlrev_b64_e32 v[0:1], 4, v[0:1]
	v_mad_co_i64_i32 v[11:12], null, s30, v37, 0
	s_or_b32 s38, s2, s33
	s_cmp_gt_i32 s25, 0
	s_mov_b32 s36, s22
	s_cselect_b32 s39, -1, 0
	s_xor_b32 s3, s3, -1
	v_cmp_gt_i32_e64 s2, s24, v13
	s_or_b32 s33, s34, s3
	s_and_b32 s34, vcc_lo, s0
	v_cmp_le_i32_e64 s0, v7, v4
	v_add_nc_u32_e32 v4, 16, v4
	v_ashrrev_i32_e32 v6, 31, v5
	v_ashrrev_i32_e32 v8, 31, v7
	s_mov_b32 s27, 0
	s_and_b32 s22, vcc_lo, s0
	v_cmp_gt_i32_e32 vcc_lo, s24, v4
	v_cmp_le_i32_e64 s0, v5, v4
	v_cmp_le_i32_e64 s3, v7, v4
	v_mad_co_i64_i32 v[15:16], null, v4, s35, 0
	s_lshl_b64 s[16:17], s[16:17], 4
	s_and_b32 s24, vcc_lo, s0
	s_and_b32 s3, vcc_lo, s3
	v_add_co_u32 v4, vcc_lo, v9, v0
	s_delay_alu instid0(VALU_DEP_1) | instskip(SKIP_2) | instid1(VALU_DEP_4)
	v_add_co_ci_u32_e64 v10, null, v10, v1, vcc_lo
	v_lshlrev_b64_e32 v[0:1], 4, v[11:12]
	v_lshlrev_b32_e32 v11, 4, v13
	v_add_co_u32 v9, vcc_lo, s20, v4
	s_wait_alu 0xfffd
	v_add_co_ci_u32_e64 v10, null, s21, v10, vcc_lo
	s_delay_alu instid0(VALU_DEP_3) | instskip(SKIP_3) | instid1(VALU_DEP_3)
	v_add_co_u32 v0, vcc_lo, v0, v11
	s_wait_alu 0xfffd
	v_add_co_ci_u32_e64 v1, null, 0, v1, vcc_lo
	v_lshlrev_b64_e32 v[13:14], 4, v[2:3]
	v_add_co_u32 v11, vcc_lo, s18, v0
	v_lshlrev_b64_e32 v[15:16], 4, v[15:16]
	s_wait_alu 0xfffd
	v_add_co_ci_u32_e64 v12, null, s19, v1, vcc_lo
	v_mov_b32_e32 v0, 0
	s_lshl_b64 s[20:21], s[36:37], 7
	s_lshl_b64 s[4:5], s[4:5], 4
	s_and_b32 s35, s38, s39
	s_wait_alu 0xfffe
	s_lshl_b64 s[18:19], s[30:31], 7
	s_xor_b32 s30, s1, -1
	s_xor_b32 s2, s2, -1
	s_branch .LBB127_7
.LBB127_6:                              ;   in Loop: Header=BB127_7 Depth=1
	s_wait_alu 0xfffe
	s_or_b32 exec_lo, exec_lo, s0
	s_add_co_i32 s26, s26, 0x10000
	s_wait_alu 0xfffe
	s_cmp_lt_u32 s26, s23
	s_cbranch_scc0 .LBB127_39
.LBB127_7:                              ; =>This Loop Header: Depth=1
                                        ;     Child Loop BB127_10 Depth 2
	v_mov_b32_e32 v33, 0
	v_mov_b32_e32 v29, 0
	;; [unrolled: 1-line block ×3, first 2 shown]
	v_dual_mov_b32 v23, 0 :: v_dual_mov_b32 v34, 0
	v_dual_mov_b32 v35, 0 :: v_dual_mov_b32 v30, 0
	;; [unrolled: 1-line block ×5, first 2 shown]
	v_mov_b32_e32 v32, 0
	v_mov_b32_e32 v28, 0
	;; [unrolled: 1-line block ×3, first 2 shown]
	s_and_not1_b32 vcc_lo, exec_lo, s35
	s_wait_alu 0xfffe
	s_cbranch_vccnz .LBB127_18
; %bb.8:                                ;   in Loop: Header=BB127_7 Depth=1
	v_mad_co_u64_u32 v[17:18], null, s16, s26, v[9:10]
	v_mad_co_u64_u32 v[19:20], null, s4, s26, v[11:12]
	v_mov_b32_e32 v21, 0
	v_mov_b32_e32 v23, 0
	;; [unrolled: 1-line block ×4, first 2 shown]
	v_dual_mov_b32 v1, v18 :: v_dual_mov_b32 v22, 0
	v_mov_b32_e32 v2, v20
	v_dual_mov_b32 v24, 0 :: v_dual_mov_b32 v27, 0
	v_dual_mov_b32 v26, 0 :: v_dual_mov_b32 v31, 0
	s_delay_alu instid0(VALU_DEP_3)
	v_mad_co_u64_u32 v[3:4], null, s17, s26, v[1:2]
	v_dual_mov_b32 v30, 0 :: v_dual_mov_b32 v35, 0
	v_dual_mov_b32 v33, 0 :: v_dual_mov_b32 v28, 0
	v_mov_b32_e32 v32, 0
	v_mov_b32_e32 v36, 0
	v_mad_co_u64_u32 v[1:2], null, s5, s26, v[2:3]
	v_mov_b32_e32 v34, 0
	v_mov_b32_e32 v18, v3
	s_mov_b32 s0, 0
	s_delay_alu instid0(VALU_DEP_3)
	v_mov_b32_e32 v20, v1
	s_branch .LBB127_10
.LBB127_9:                              ;   in Loop: Header=BB127_10 Depth=2
	s_wait_alu 0xfffe
	s_or_b32 exec_lo, exec_lo, s1
	s_wait_dscnt 0x0
	s_barrier_signal -1
	s_barrier_wait -1
	global_inv scope:SCOPE_SE
	ds_load_b128 v[1:4], v39
	ds_load_b128 v[43:46], v39 offset:16
	ds_load_b128 v[47:50], v39 offset:32
	;; [unrolled: 1-line block ×3, first 2 shown]
	ds_load_b128 v[55:58], v38
	v_add_co_u32 v17, vcc_lo, v17, s20
	s_wait_alu 0xfffd
	v_add_co_ci_u32_e64 v18, null, s21, v18, vcc_lo
	v_add_co_u32 v19, vcc_lo, v19, s18
	s_wait_alu 0xfffd
	v_add_co_ci_u32_e64 v20, null, s19, v20, vcc_lo
	s_add_co_i32 s0, s0, 8
	s_wait_alu 0xfffe
	s_cmp_lt_i32 s0, s25
	s_wait_dscnt 0x0
	v_mul_f64_e32 v[59:60], v[3:4], v[57:58]
	v_mul_f64_e32 v[61:62], v[1:2], v[57:58]
	s_delay_alu instid0(VALU_DEP_2) | instskip(NEXT) | instid1(VALU_DEP_2)
	v_fma_f64 v[59:60], v[1:2], v[55:56], -v[59:60]
	v_fma_f64 v[61:62], v[3:4], v[55:56], v[61:62]
	s_delay_alu instid0(VALU_DEP_2) | instskip(NEXT) | instid1(VALU_DEP_2)
	v_add_f64_e32 v[59:60], v[33:34], v[59:60]
	v_add_f64_e32 v[61:62], v[61:62], v[35:36]
	ds_load_b128 v[33:36], v38 offset:256
	s_wait_dscnt 0x0
	v_mul_f64_e32 v[63:64], v[3:4], v[35:36]
	s_delay_alu instid0(VALU_DEP_1) | instskip(SKIP_1) | instid1(VALU_DEP_2)
	v_fma_f64 v[63:64], v[1:2], v[33:34], -v[63:64]
	v_mul_f64_e32 v[1:2], v[1:2], v[35:36]
	v_add_f64_e32 v[29:30], v[29:30], v[63:64]
	s_delay_alu instid0(VALU_DEP_2) | instskip(NEXT) | instid1(VALU_DEP_1)
	v_fma_f64 v[1:2], v[3:4], v[33:34], v[1:2]
	v_add_f64_e32 v[31:32], v[1:2], v[31:32]
	ds_load_b128 v[1:4], v39 offset:2048
	s_wait_dscnt 0x0
	v_mul_f64_e32 v[63:64], v[3:4], v[57:58]
	v_mul_f64_e32 v[57:58], v[1:2], v[57:58]
	s_delay_alu instid0(VALU_DEP_2) | instskip(NEXT) | instid1(VALU_DEP_2)
	v_fma_f64 v[63:64], v[1:2], v[55:56], -v[63:64]
	v_fma_f64 v[55:56], v[3:4], v[55:56], v[57:58]
	s_delay_alu instid0(VALU_DEP_2) | instskip(SKIP_1) | instid1(VALU_DEP_3)
	v_add_f64_e32 v[57:58], v[25:26], v[63:64]
	v_mul_f64_e32 v[25:26], v[3:4], v[35:36]
	v_add_f64_e32 v[55:56], v[55:56], v[27:28]
	s_delay_alu instid0(VALU_DEP_2) | instskip(SKIP_1) | instid1(VALU_DEP_1)
	v_fma_f64 v[25:26], v[1:2], v[33:34], -v[25:26]
	v_mul_f64_e32 v[1:2], v[1:2], v[35:36]
	v_fma_f64 v[1:2], v[3:4], v[33:34], v[1:2]
	s_delay_alu instid0(VALU_DEP_3) | instskip(NEXT) | instid1(VALU_DEP_2)
	v_add_f64_e32 v[33:34], v[23:24], v[25:26]
	v_add_f64_e32 v[35:36], v[1:2], v[21:22]
	ds_load_b128 v[1:4], v38 offset:512
	s_wait_dscnt 0x0
	v_mul_f64_e32 v[21:22], v[45:46], v[3:4]
	v_mul_f64_e32 v[23:24], v[43:44], v[3:4]
	s_delay_alu instid0(VALU_DEP_2) | instskip(NEXT) | instid1(VALU_DEP_2)
	v_fma_f64 v[21:22], v[43:44], v[1:2], -v[21:22]
	v_fma_f64 v[23:24], v[45:46], v[1:2], v[23:24]
	s_delay_alu instid0(VALU_DEP_2) | instskip(NEXT) | instid1(VALU_DEP_2)
	v_add_f64_e32 v[59:60], v[59:60], v[21:22]
	v_add_f64_e32 v[61:62], v[23:24], v[61:62]
	ds_load_b128 v[21:24], v38 offset:768
	s_wait_dscnt 0x0
	v_mul_f64_e32 v[25:26], v[45:46], v[23:24]
	v_mul_f64_e32 v[27:28], v[43:44], v[23:24]
	s_delay_alu instid0(VALU_DEP_2) | instskip(NEXT) | instid1(VALU_DEP_2)
	v_fma_f64 v[25:26], v[43:44], v[21:22], -v[25:26]
	v_fma_f64 v[27:28], v[45:46], v[21:22], v[27:28]
	s_delay_alu instid0(VALU_DEP_2) | instskip(NEXT) | instid1(VALU_DEP_2)
	v_add_f64_e32 v[29:30], v[29:30], v[25:26]
	v_add_f64_e32 v[31:32], v[27:28], v[31:32]
	ds_load_b128 v[25:28], v39 offset:2064
	s_wait_dscnt 0x0
	v_mul_f64_e32 v[43:44], v[27:28], v[3:4]
	v_mul_f64_e32 v[3:4], v[25:26], v[3:4]
	s_delay_alu instid0(VALU_DEP_2) | instskip(NEXT) | instid1(VALU_DEP_2)
	v_fma_f64 v[43:44], v[25:26], v[1:2], -v[43:44]
	v_fma_f64 v[1:2], v[27:28], v[1:2], v[3:4]
	v_mul_f64_e32 v[3:4], v[25:26], v[23:24]
	s_delay_alu instid0(VALU_DEP_3) | instskip(NEXT) | instid1(VALU_DEP_3)
	v_add_f64_e32 v[43:44], v[57:58], v[43:44]
	v_add_f64_e32 v[45:46], v[1:2], v[55:56]
	v_mul_f64_e32 v[1:2], v[27:28], v[23:24]
	s_delay_alu instid0(VALU_DEP_4) | instskip(NEXT) | instid1(VALU_DEP_2)
	v_fma_f64 v[3:4], v[27:28], v[21:22], v[3:4]
	v_fma_f64 v[1:2], v[25:26], v[21:22], -v[1:2]
	s_delay_alu instid0(VALU_DEP_2) | instskip(NEXT) | instid1(VALU_DEP_2)
	v_add_f64_e32 v[35:36], v[3:4], v[35:36]
	v_add_f64_e32 v[33:34], v[33:34], v[1:2]
	ds_load_b128 v[1:4], v38 offset:1024
	s_wait_dscnt 0x0
	v_mul_f64_e32 v[21:22], v[49:50], v[3:4]
	v_mul_f64_e32 v[23:24], v[47:48], v[3:4]
	s_delay_alu instid0(VALU_DEP_2) | instskip(NEXT) | instid1(VALU_DEP_2)
	v_fma_f64 v[21:22], v[47:48], v[1:2], -v[21:22]
	v_fma_f64 v[23:24], v[49:50], v[1:2], v[23:24]
	s_delay_alu instid0(VALU_DEP_2) | instskip(NEXT) | instid1(VALU_DEP_2)
	v_add_f64_e32 v[55:56], v[59:60], v[21:22]
	v_add_f64_e32 v[57:58], v[23:24], v[61:62]
	ds_load_b128 v[21:24], v38 offset:1280
	s_wait_dscnt 0x0
	v_mul_f64_e32 v[25:26], v[49:50], v[23:24]
	v_mul_f64_e32 v[27:28], v[47:48], v[23:24]
	s_delay_alu instid0(VALU_DEP_2) | instskip(NEXT) | instid1(VALU_DEP_2)
	v_fma_f64 v[25:26], v[47:48], v[21:22], -v[25:26]
	v_fma_f64 v[27:28], v[49:50], v[21:22], v[27:28]
	s_delay_alu instid0(VALU_DEP_2) | instskip(NEXT) | instid1(VALU_DEP_2)
	v_add_f64_e32 v[29:30], v[29:30], v[25:26]
	v_add_f64_e32 v[31:32], v[27:28], v[31:32]
	ds_load_b128 v[25:28], v39 offset:2080
	s_wait_dscnt 0x0
	v_mul_f64_e32 v[47:48], v[27:28], v[3:4]
	v_mul_f64_e32 v[3:4], v[25:26], v[3:4]
	s_delay_alu instid0(VALU_DEP_2) | instskip(NEXT) | instid1(VALU_DEP_2)
	v_fma_f64 v[47:48], v[25:26], v[1:2], -v[47:48]
	v_fma_f64 v[1:2], v[27:28], v[1:2], v[3:4]
	v_mul_f64_e32 v[3:4], v[25:26], v[23:24]
	s_delay_alu instid0(VALU_DEP_3) | instskip(NEXT) | instid1(VALU_DEP_3)
	v_add_f64_e32 v[43:44], v[43:44], v[47:48]
	v_add_f64_e32 v[45:46], v[1:2], v[45:46]
	v_mul_f64_e32 v[1:2], v[27:28], v[23:24]
	s_delay_alu instid0(VALU_DEP_4) | instskip(NEXT) | instid1(VALU_DEP_2)
	v_fma_f64 v[3:4], v[27:28], v[21:22], v[3:4]
	v_fma_f64 v[1:2], v[25:26], v[21:22], -v[1:2]
	s_delay_alu instid0(VALU_DEP_2) | instskip(NEXT) | instid1(VALU_DEP_2)
	;; [unrolled: 38-line block ×3, first 2 shown]
	v_add_f64_e32 v[35:36], v[3:4], v[35:36]
	v_add_f64_e32 v[33:34], v[33:34], v[1:2]
	ds_load_b128 v[1:4], v39 offset:64
	ds_load_b128 v[21:24], v38 offset:2048
	s_wait_dscnt 0x0
	v_mul_f64_e32 v[25:26], v[3:4], v[23:24]
	v_mul_f64_e32 v[27:28], v[1:2], v[23:24]
	s_delay_alu instid0(VALU_DEP_2) | instskip(NEXT) | instid1(VALU_DEP_2)
	v_fma_f64 v[25:26], v[1:2], v[21:22], -v[25:26]
	v_fma_f64 v[27:28], v[3:4], v[21:22], v[27:28]
	s_delay_alu instid0(VALU_DEP_2) | instskip(NEXT) | instid1(VALU_DEP_2)
	v_add_f64_e32 v[47:48], v[47:48], v[25:26]
	v_add_f64_e32 v[49:50], v[27:28], v[49:50]
	ds_load_b128 v[25:28], v38 offset:2304
	s_wait_dscnt 0x0
	v_mul_f64_e32 v[51:52], v[3:4], v[27:28]
	s_delay_alu instid0(VALU_DEP_1) | instskip(SKIP_1) | instid1(VALU_DEP_2)
	v_fma_f64 v[51:52], v[1:2], v[25:26], -v[51:52]
	v_mul_f64_e32 v[1:2], v[1:2], v[27:28]
	v_add_f64_e32 v[29:30], v[29:30], v[51:52]
	s_delay_alu instid0(VALU_DEP_2) | instskip(NEXT) | instid1(VALU_DEP_1)
	v_fma_f64 v[1:2], v[3:4], v[25:26], v[1:2]
	v_add_f64_e32 v[31:32], v[1:2], v[31:32]
	ds_load_b128 v[1:4], v39 offset:2112
	s_wait_dscnt 0x0
	v_mul_f64_e32 v[51:52], v[3:4], v[23:24]
	v_mul_f64_e32 v[23:24], v[1:2], v[23:24]
	s_delay_alu instid0(VALU_DEP_2) | instskip(NEXT) | instid1(VALU_DEP_2)
	v_fma_f64 v[51:52], v[1:2], v[21:22], -v[51:52]
	v_fma_f64 v[21:22], v[3:4], v[21:22], v[23:24]
	s_delay_alu instid0(VALU_DEP_2) | instskip(NEXT) | instid1(VALU_DEP_2)
	v_add_f64_e32 v[43:44], v[43:44], v[51:52]
	v_add_f64_e32 v[45:46], v[21:22], v[45:46]
	v_mul_f64_e32 v[21:22], v[3:4], v[27:28]
	s_delay_alu instid0(VALU_DEP_1) | instskip(SKIP_1) | instid1(VALU_DEP_2)
	v_fma_f64 v[21:22], v[1:2], v[25:26], -v[21:22]
	v_mul_f64_e32 v[1:2], v[1:2], v[27:28]
	v_add_f64_e32 v[33:34], v[33:34], v[21:22]
	s_delay_alu instid0(VALU_DEP_2) | instskip(NEXT) | instid1(VALU_DEP_1)
	v_fma_f64 v[1:2], v[3:4], v[25:26], v[1:2]
	v_add_f64_e32 v[35:36], v[1:2], v[35:36]
	ds_load_b128 v[1:4], v39 offset:80
	ds_load_b128 v[21:24], v38 offset:2560
	s_wait_dscnt 0x0
	v_mul_f64_e32 v[25:26], v[3:4], v[23:24]
	v_mul_f64_e32 v[27:28], v[1:2], v[23:24]
	s_delay_alu instid0(VALU_DEP_2) | instskip(NEXT) | instid1(VALU_DEP_2)
	v_fma_f64 v[25:26], v[1:2], v[21:22], -v[25:26]
	v_fma_f64 v[27:28], v[3:4], v[21:22], v[27:28]
	s_delay_alu instid0(VALU_DEP_2) | instskip(NEXT) | instid1(VALU_DEP_2)
	v_add_f64_e32 v[47:48], v[47:48], v[25:26]
	v_add_f64_e32 v[49:50], v[27:28], v[49:50]
	ds_load_b128 v[25:28], v38 offset:2816
	s_wait_dscnt 0x0
	v_mul_f64_e32 v[51:52], v[3:4], v[27:28]
	s_delay_alu instid0(VALU_DEP_1) | instskip(SKIP_1) | instid1(VALU_DEP_2)
	v_fma_f64 v[51:52], v[1:2], v[25:26], -v[51:52]
	v_mul_f64_e32 v[1:2], v[1:2], v[27:28]
	v_add_f64_e32 v[29:30], v[29:30], v[51:52]
	s_delay_alu instid0(VALU_DEP_2) | instskip(NEXT) | instid1(VALU_DEP_1)
	v_fma_f64 v[1:2], v[3:4], v[25:26], v[1:2]
	v_add_f64_e32 v[31:32], v[1:2], v[31:32]
	ds_load_b128 v[1:4], v39 offset:2128
	s_wait_dscnt 0x0
	v_mul_f64_e32 v[51:52], v[3:4], v[23:24]
	v_mul_f64_e32 v[23:24], v[1:2], v[23:24]
	s_delay_alu instid0(VALU_DEP_2) | instskip(NEXT) | instid1(VALU_DEP_2)
	v_fma_f64 v[51:52], v[1:2], v[21:22], -v[51:52]
	v_fma_f64 v[21:22], v[3:4], v[21:22], v[23:24]
	s_delay_alu instid0(VALU_DEP_2) | instskip(NEXT) | instid1(VALU_DEP_2)
	v_add_f64_e32 v[43:44], v[43:44], v[51:52]
	v_add_f64_e32 v[45:46], v[21:22], v[45:46]
	v_mul_f64_e32 v[21:22], v[3:4], v[27:28]
	s_delay_alu instid0(VALU_DEP_1) | instskip(SKIP_1) | instid1(VALU_DEP_2)
	v_fma_f64 v[21:22], v[1:2], v[25:26], -v[21:22]
	v_mul_f64_e32 v[1:2], v[1:2], v[27:28]
	v_add_f64_e32 v[33:34], v[33:34], v[21:22]
	s_delay_alu instid0(VALU_DEP_2) | instskip(NEXT) | instid1(VALU_DEP_1)
	v_fma_f64 v[1:2], v[3:4], v[25:26], v[1:2]
	;; [unrolled: 39-line block ×3, first 2 shown]
	v_add_f64_e32 v[57:58], v[1:2], v[35:36]
	ds_load_b128 v[1:4], v39 offset:112
	ds_load_b128 v[21:24], v38 offset:3584
	;; [unrolled: 1-line block ×3, first 2 shown]
	s_wait_dscnt 0x1
	v_mul_f64_e32 v[25:26], v[3:4], v[23:24]
	v_mul_f64_e32 v[27:28], v[1:2], v[23:24]
	s_delay_alu instid0(VALU_DEP_2) | instskip(NEXT) | instid1(VALU_DEP_2)
	v_fma_f64 v[25:26], v[1:2], v[21:22], -v[25:26]
	v_fma_f64 v[27:28], v[3:4], v[21:22], v[27:28]
	s_delay_alu instid0(VALU_DEP_2) | instskip(SKIP_2) | instid1(VALU_DEP_3)
	v_add_f64_e32 v[33:34], v[47:48], v[25:26]
	s_wait_dscnt 0x0
	v_mul_f64_e32 v[25:26], v[3:4], v[45:46]
	v_add_f64_e32 v[35:36], v[27:28], v[49:50]
	s_delay_alu instid0(VALU_DEP_2) | instskip(SKIP_1) | instid1(VALU_DEP_2)
	v_fma_f64 v[25:26], v[1:2], v[43:44], -v[25:26]
	v_mul_f64_e32 v[1:2], v[1:2], v[45:46]
	v_add_f64_e32 v[29:30], v[29:30], v[25:26]
	s_delay_alu instid0(VALU_DEP_2) | instskip(NEXT) | instid1(VALU_DEP_1)
	v_fma_f64 v[1:2], v[3:4], v[43:44], v[1:2]
	v_add_f64_e32 v[31:32], v[1:2], v[31:32]
	ds_load_b128 v[1:4], v39 offset:2160
	s_wait_loadcnt_dscnt 0x0
	s_barrier_signal -1
	s_barrier_wait -1
	global_inv scope:SCOPE_SE
	v_mul_f64_e32 v[25:26], v[3:4], v[23:24]
	v_mul_f64_e32 v[23:24], v[1:2], v[23:24]
	s_delay_alu instid0(VALU_DEP_2) | instskip(NEXT) | instid1(VALU_DEP_2)
	v_fma_f64 v[25:26], v[1:2], v[21:22], -v[25:26]
	v_fma_f64 v[21:22], v[3:4], v[21:22], v[23:24]
	s_delay_alu instid0(VALU_DEP_2) | instskip(NEXT) | instid1(VALU_DEP_2)
	v_add_f64_e32 v[25:26], v[51:52], v[25:26]
	v_add_f64_e32 v[27:28], v[21:22], v[53:54]
	v_mul_f64_e32 v[21:22], v[3:4], v[45:46]
	s_delay_alu instid0(VALU_DEP_1) | instskip(SKIP_1) | instid1(VALU_DEP_2)
	v_fma_f64 v[21:22], v[1:2], v[43:44], -v[21:22]
	v_mul_f64_e32 v[1:2], v[1:2], v[45:46]
	v_add_f64_e32 v[23:24], v[55:56], v[21:22]
	s_delay_alu instid0(VALU_DEP_2) | instskip(NEXT) | instid1(VALU_DEP_1)
	v_fma_f64 v[1:2], v[3:4], v[43:44], v[1:2]
	v_add_f64_e32 v[21:22], v[1:2], v[57:58]
	s_cbranch_scc0 .LBB127_18
.LBB127_10:                             ;   Parent Loop BB127_7 Depth=1
                                        ; =>  This Inner Loop Header: Depth=2
	s_wait_alu 0xfffe
	v_add_nc_u32_e32 v1, s0, v40
	s_delay_alu instid0(VALU_DEP_1)
	v_cmp_le_i32_e32 vcc_lo, s25, v1
	s_or_b32 s1, s30, vcc_lo
	s_wait_alu 0xfffe
	s_and_saveexec_b32 s31, s1
	s_wait_alu 0xfffe
	s_xor_b32 s1, exec_lo, s31
; %bb.11:                               ;   in Loop: Header=BB127_10 Depth=2
	v_dual_mov_b32 v1, v0 :: v_dual_mov_b32 v2, v0
	v_mov_b32_e32 v3, v0
	ds_store_b128 v41, v[0:3]
; %bb.12:                               ;   in Loop: Header=BB127_10 Depth=2
	s_wait_alu 0xfffe
	s_and_not1_saveexec_b32 s1, s1
	s_cbranch_execz .LBB127_14
; %bb.13:                               ;   in Loop: Header=BB127_10 Depth=2
	global_load_b128 v[1:4], v[17:18], off
	s_wait_loadcnt 0x0
	ds_store_2addr_b64 v41, v[1:2], v[3:4] offset1:1
.LBB127_14:                             ;   in Loop: Header=BB127_10 Depth=2
	s_wait_alu 0xfffe
	s_or_b32 exec_lo, exec_lo, s1
	v_add_nc_u32_e32 v1, s0, v37
	s_delay_alu instid0(VALU_DEP_1)
	v_cmp_le_i32_e32 vcc_lo, s25, v1
	s_or_b32 s1, vcc_lo, s2
	s_wait_alu 0xfffe
	s_and_saveexec_b32 s31, s1
	s_wait_alu 0xfffe
	s_xor_b32 s1, exec_lo, s31
; %bb.15:                               ;   in Loop: Header=BB127_10 Depth=2
	v_dual_mov_b32 v1, v0 :: v_dual_mov_b32 v2, v0
	v_mov_b32_e32 v3, v0
	ds_store_b128 v42, v[0:3]
; %bb.16:                               ;   in Loop: Header=BB127_10 Depth=2
	s_wait_alu 0xfffe
	s_and_not1_saveexec_b32 s1, s1
	s_cbranch_execz .LBB127_9
; %bb.17:                               ;   in Loop: Header=BB127_10 Depth=2
	global_load_b128 v[1:4], v[19:20], off
	s_wait_loadcnt 0x0
	ds_store_2addr_b64 v42, v[1:2], v[3:4] offset1:1
	s_branch .LBB127_9
.LBB127_18:                             ;   in Loop: Header=BB127_7 Depth=1
	s_mul_u64 s[0:1], s[28:29], s[26:27]
	s_wait_alu 0xfffe
	s_lshl_b64 s[0:1], s[0:1], 4
	s_wait_alu 0xfffe
	s_add_nc_u64 s[0:1], s[10:11], s[0:1]
	s_wait_alu 0xfffe
	v_add_co_u32 v17, vcc_lo, s0, v13
	s_wait_alu 0xfffd
	v_add_co_ci_u32_e64 v18, null, s1, v14, vcc_lo
	s_and_saveexec_b32 s31, s34
	s_cbranch_execz .LBB127_23
; %bb.19:                               ;   in Loop: Header=BB127_7 Depth=1
	v_mul_f64_e32 v[1:2], s[14:15], v[35:36]
	v_mul_f64_e32 v[3:4], s[12:13], v[35:36]
	s_and_b32 vcc_lo, exec_lo, s33
	s_mov_b32 s36, -1
	s_delay_alu instid0(VALU_DEP_2) | instskip(NEXT) | instid1(VALU_DEP_2)
	v_fma_f64 v[1:2], s[12:13], v[33:34], -v[1:2]
	v_fma_f64 v[3:4], s[14:15], v[33:34], v[3:4]
	s_wait_alu 0xfffe
	s_cbranch_vccz .LBB127_21
; %bb.20:                               ;   in Loop: Header=BB127_7 Depth=1
	v_lshlrev_b64_e32 v[19:20], 4, v[5:6]
	s_mov_b32 s36, 0
	s_delay_alu instid0(VALU_DEP_1) | instskip(SKIP_1) | instid1(VALU_DEP_2)
	v_add_co_u32 v19, vcc_lo, v17, v19
	s_wait_alu 0xfffd
	v_add_co_ci_u32_e64 v20, null, v18, v20, vcc_lo
	global_load_b128 v[33:36], v[19:20], off
	s_wait_loadcnt 0x0
	v_mul_f64_e32 v[43:44], s[8:9], v[35:36]
	v_mul_f64_e32 v[35:36], s[6:7], v[35:36]
	s_delay_alu instid0(VALU_DEP_2) | instskip(NEXT) | instid1(VALU_DEP_2)
	v_fma_f64 v[43:44], s[6:7], v[33:34], -v[43:44]
	v_fma_f64 v[35:36], s[8:9], v[33:34], v[35:36]
	s_delay_alu instid0(VALU_DEP_2) | instskip(NEXT) | instid1(VALU_DEP_2)
	v_add_f64_e32 v[33:34], v[1:2], v[43:44]
	v_add_f64_e32 v[35:36], v[3:4], v[35:36]
	global_store_b128 v[19:20], v[33:36], off
.LBB127_21:                             ;   in Loop: Header=BB127_7 Depth=1
	s_and_not1_b32 vcc_lo, exec_lo, s36
	s_wait_alu 0xfffe
	s_cbranch_vccnz .LBB127_23
; %bb.22:                               ;   in Loop: Header=BB127_7 Depth=1
	v_lshlrev_b64_e32 v[19:20], 4, v[5:6]
	s_delay_alu instid0(VALU_DEP_1) | instskip(SKIP_1) | instid1(VALU_DEP_2)
	v_add_co_u32 v19, vcc_lo, v17, v19
	s_wait_alu 0xfffd
	v_add_co_ci_u32_e64 v20, null, v18, v20, vcc_lo
	global_store_b128 v[19:20], v[1:4], off
.LBB127_23:                             ;   in Loop: Header=BB127_7 Depth=1
	s_wait_alu 0xfffe
	s_or_b32 exec_lo, exec_lo, s31
	s_and_saveexec_b32 s31, s22
	s_cbranch_execz .LBB127_28
; %bb.24:                               ;   in Loop: Header=BB127_7 Depth=1
	v_mul_f64_e32 v[1:2], s[14:15], v[31:32]
	v_mul_f64_e32 v[3:4], s[12:13], v[31:32]
	s_and_not1_b32 vcc_lo, exec_lo, s33
	s_mov_b32 s36, -1
	s_delay_alu instid0(VALU_DEP_2) | instskip(NEXT) | instid1(VALU_DEP_2)
	v_fma_f64 v[1:2], s[12:13], v[29:30], -v[1:2]
	v_fma_f64 v[3:4], s[14:15], v[29:30], v[3:4]
	s_wait_alu 0xfffe
	s_cbranch_vccnz .LBB127_26
; %bb.25:                               ;   in Loop: Header=BB127_7 Depth=1
	v_lshlrev_b64_e32 v[19:20], 4, v[7:8]
	s_mov_b32 s36, 0
	s_delay_alu instid0(VALU_DEP_1) | instskip(SKIP_1) | instid1(VALU_DEP_2)
	v_add_co_u32 v19, vcc_lo, v17, v19
	s_wait_alu 0xfffd
	v_add_co_ci_u32_e64 v20, null, v18, v20, vcc_lo
	global_load_b128 v[29:32], v[19:20], off
	s_wait_loadcnt 0x0
	v_mul_f64_e32 v[33:34], s[8:9], v[31:32]
	v_mul_f64_e32 v[31:32], s[6:7], v[31:32]
	s_delay_alu instid0(VALU_DEP_2) | instskip(NEXT) | instid1(VALU_DEP_2)
	v_fma_f64 v[33:34], s[6:7], v[29:30], -v[33:34]
	v_fma_f64 v[31:32], s[8:9], v[29:30], v[31:32]
	s_delay_alu instid0(VALU_DEP_2) | instskip(NEXT) | instid1(VALU_DEP_2)
	v_add_f64_e32 v[29:30], v[1:2], v[33:34]
	v_add_f64_e32 v[31:32], v[3:4], v[31:32]
	global_store_b128 v[19:20], v[29:32], off
.LBB127_26:                             ;   in Loop: Header=BB127_7 Depth=1
	s_and_not1_b32 vcc_lo, exec_lo, s36
	s_wait_alu 0xfffe
	s_cbranch_vccnz .LBB127_28
; %bb.27:                               ;   in Loop: Header=BB127_7 Depth=1
	v_lshlrev_b64_e32 v[19:20], 4, v[7:8]
	s_delay_alu instid0(VALU_DEP_1) | instskip(SKIP_1) | instid1(VALU_DEP_2)
	v_add_co_u32 v17, vcc_lo, v17, v19
	s_wait_alu 0xfffd
	v_add_co_ci_u32_e64 v18, null, v18, v20, vcc_lo
	global_store_b128 v[17:18], v[1:4], off
.LBB127_28:                             ;   in Loop: Header=BB127_7 Depth=1
	s_wait_alu 0xfffe
	s_or_b32 exec_lo, exec_lo, s31
	v_add_co_u32 v19, vcc_lo, s0, v15
	s_wait_alu 0xfffd
	v_add_co_ci_u32_e64 v20, null, s1, v16, vcc_lo
	s_and_saveexec_b32 s0, s24
	s_cbranch_execz .LBB127_33
; %bb.29:                               ;   in Loop: Header=BB127_7 Depth=1
	v_mul_f64_e32 v[1:2], s[14:15], v[27:28]
	v_mul_f64_e32 v[3:4], s[12:13], v[27:28]
	v_lshlrev_b64_e32 v[17:18], 4, v[5:6]
	s_and_not1_b32 vcc_lo, exec_lo, s33
	s_mov_b32 s1, -1
	s_delay_alu instid0(VALU_DEP_3) | instskip(NEXT) | instid1(VALU_DEP_3)
	v_fma_f64 v[1:2], s[12:13], v[25:26], -v[1:2]
	v_fma_f64 v[3:4], s[14:15], v[25:26], v[3:4]
	s_wait_alu 0xfffe
	s_cbranch_vccnz .LBB127_31
; %bb.30:                               ;   in Loop: Header=BB127_7 Depth=1
	v_add_co_u32 v29, vcc_lo, v19, v17
	s_wait_alu 0xfffd
	v_add_co_ci_u32_e64 v30, null, v20, v18, vcc_lo
	s_mov_b32 s1, 0
	global_load_b128 v[25:28], v[29:30], off
	s_wait_loadcnt 0x0
	v_mul_f64_e32 v[31:32], s[8:9], v[27:28]
	v_mul_f64_e32 v[27:28], s[6:7], v[27:28]
	s_delay_alu instid0(VALU_DEP_2) | instskip(NEXT) | instid1(VALU_DEP_2)
	v_fma_f64 v[31:32], s[6:7], v[25:26], -v[31:32]
	v_fma_f64 v[27:28], s[8:9], v[25:26], v[27:28]
	s_delay_alu instid0(VALU_DEP_2) | instskip(NEXT) | instid1(VALU_DEP_2)
	v_add_f64_e32 v[25:26], v[1:2], v[31:32]
	v_add_f64_e32 v[27:28], v[3:4], v[27:28]
	global_store_b128 v[29:30], v[25:28], off
.LBB127_31:                             ;   in Loop: Header=BB127_7 Depth=1
	s_wait_alu 0xfffe
	s_and_not1_b32 vcc_lo, exec_lo, s1
	s_wait_alu 0xfffe
	s_cbranch_vccnz .LBB127_33
; %bb.32:                               ;   in Loop: Header=BB127_7 Depth=1
	v_add_co_u32 v17, vcc_lo, v19, v17
	s_wait_alu 0xfffd
	v_add_co_ci_u32_e64 v18, null, v20, v18, vcc_lo
	global_store_b128 v[17:18], v[1:4], off
.LBB127_33:                             ;   in Loop: Header=BB127_7 Depth=1
	s_wait_alu 0xfffe
	s_or_b32 exec_lo, exec_lo, s0
	s_and_saveexec_b32 s0, s3
	s_cbranch_execz .LBB127_6
; %bb.34:                               ;   in Loop: Header=BB127_7 Depth=1
	v_mul_f64_e32 v[1:2], s[14:15], v[21:22]
	v_mul_f64_e32 v[3:4], s[12:13], v[21:22]
	v_lshlrev_b64_e32 v[17:18], 4, v[7:8]
	s_and_not1_b32 vcc_lo, exec_lo, s33
	s_mov_b32 s1, -1
	s_delay_alu instid0(VALU_DEP_3) | instskip(NEXT) | instid1(VALU_DEP_3)
	v_fma_f64 v[1:2], s[12:13], v[23:24], -v[1:2]
	v_fma_f64 v[3:4], s[14:15], v[23:24], v[3:4]
	s_wait_alu 0xfffe
	s_cbranch_vccnz .LBB127_36
; %bb.35:                               ;   in Loop: Header=BB127_7 Depth=1
	v_add_co_u32 v25, vcc_lo, v19, v17
	s_wait_alu 0xfffd
	v_add_co_ci_u32_e64 v26, null, v20, v18, vcc_lo
	s_mov_b32 s1, 0
	global_load_b128 v[21:24], v[25:26], off
	s_wait_loadcnt 0x0
	v_mul_f64_e32 v[27:28], s[8:9], v[23:24]
	v_mul_f64_e32 v[23:24], s[6:7], v[23:24]
	s_delay_alu instid0(VALU_DEP_2) | instskip(NEXT) | instid1(VALU_DEP_2)
	v_fma_f64 v[27:28], s[6:7], v[21:22], -v[27:28]
	v_fma_f64 v[23:24], s[8:9], v[21:22], v[23:24]
	s_delay_alu instid0(VALU_DEP_2) | instskip(NEXT) | instid1(VALU_DEP_2)
	v_add_f64_e32 v[21:22], v[1:2], v[27:28]
	v_add_f64_e32 v[23:24], v[3:4], v[23:24]
	global_store_b128 v[25:26], v[21:24], off
.LBB127_36:                             ;   in Loop: Header=BB127_7 Depth=1
	s_wait_alu 0xfffe
	s_and_not1_b32 vcc_lo, exec_lo, s1
	s_wait_alu 0xfffe
	s_cbranch_vccnz .LBB127_6
; %bb.37:                               ;   in Loop: Header=BB127_7 Depth=1
	v_add_co_u32 v17, vcc_lo, v19, v17
	s_wait_alu 0xfffd
	v_add_co_ci_u32_e64 v18, null, v20, v18, vcc_lo
	global_store_b128 v[17:18], v[1:4], off
	s_branch .LBB127_6
.LBB127_38:
.LBB127_39:
	s_endpgm
	.section	.rodata,"a",@progbits
	.p2align	6, 0x0
	.amdhsa_kernel _ZL29rocblas_internal_gemmt_kernelIiLi16ELi32ELi8ELc78ELc84ELc85ELb0ELb0E19rocblas_complex_numIdES1_PKS1_PS1_EviT_T9_T10_S5_lS7_S5_lS6_T11_S5_li
		.amdhsa_group_segment_fixed_size 8192
		.amdhsa_private_segment_fixed_size 0
		.amdhsa_kernarg_size 116
		.amdhsa_user_sgpr_count 2
		.amdhsa_user_sgpr_dispatch_ptr 0
		.amdhsa_user_sgpr_queue_ptr 0
		.amdhsa_user_sgpr_kernarg_segment_ptr 1
		.amdhsa_user_sgpr_dispatch_id 0
		.amdhsa_user_sgpr_private_segment_size 0
		.amdhsa_wavefront_size32 1
		.amdhsa_uses_dynamic_stack 0
		.amdhsa_enable_private_segment 0
		.amdhsa_system_sgpr_workgroup_id_x 1
		.amdhsa_system_sgpr_workgroup_id_y 1
		.amdhsa_system_sgpr_workgroup_id_z 1
		.amdhsa_system_sgpr_workgroup_info 0
		.amdhsa_system_vgpr_workitem_id 1
		.amdhsa_next_free_vgpr 65
		.amdhsa_next_free_sgpr 40
		.amdhsa_reserve_vcc 1
		.amdhsa_float_round_mode_32 0
		.amdhsa_float_round_mode_16_64 0
		.amdhsa_float_denorm_mode_32 3
		.amdhsa_float_denorm_mode_16_64 3
		.amdhsa_fp16_overflow 0
		.amdhsa_workgroup_processor_mode 1
		.amdhsa_memory_ordered 1
		.amdhsa_forward_progress 1
		.amdhsa_inst_pref_size 29
		.amdhsa_round_robin_scheduling 0
		.amdhsa_exception_fp_ieee_invalid_op 0
		.amdhsa_exception_fp_denorm_src 0
		.amdhsa_exception_fp_ieee_div_zero 0
		.amdhsa_exception_fp_ieee_overflow 0
		.amdhsa_exception_fp_ieee_underflow 0
		.amdhsa_exception_fp_ieee_inexact 0
		.amdhsa_exception_int_div_zero 0
	.end_amdhsa_kernel
	.section	.text._ZL29rocblas_internal_gemmt_kernelIiLi16ELi32ELi8ELc78ELc84ELc85ELb0ELb0E19rocblas_complex_numIdES1_PKS1_PS1_EviT_T9_T10_S5_lS7_S5_lS6_T11_S5_li,"axG",@progbits,_ZL29rocblas_internal_gemmt_kernelIiLi16ELi32ELi8ELc78ELc84ELc85ELb0ELb0E19rocblas_complex_numIdES1_PKS1_PS1_EviT_T9_T10_S5_lS7_S5_lS6_T11_S5_li,comdat
.Lfunc_end127:
	.size	_ZL29rocblas_internal_gemmt_kernelIiLi16ELi32ELi8ELc78ELc84ELc85ELb0ELb0E19rocblas_complex_numIdES1_PKS1_PS1_EviT_T9_T10_S5_lS7_S5_lS6_T11_S5_li, .Lfunc_end127-_ZL29rocblas_internal_gemmt_kernelIiLi16ELi32ELi8ELc78ELc84ELc85ELb0ELb0E19rocblas_complex_numIdES1_PKS1_PS1_EviT_T9_T10_S5_lS7_S5_lS6_T11_S5_li
                                        ; -- End function
	.set _ZL29rocblas_internal_gemmt_kernelIiLi16ELi32ELi8ELc78ELc84ELc85ELb0ELb0E19rocblas_complex_numIdES1_PKS1_PS1_EviT_T9_T10_S5_lS7_S5_lS6_T11_S5_li.num_vgpr, 65
	.set _ZL29rocblas_internal_gemmt_kernelIiLi16ELi32ELi8ELc78ELc84ELc85ELb0ELb0E19rocblas_complex_numIdES1_PKS1_PS1_EviT_T9_T10_S5_lS7_S5_lS6_T11_S5_li.num_agpr, 0
	.set _ZL29rocblas_internal_gemmt_kernelIiLi16ELi32ELi8ELc78ELc84ELc85ELb0ELb0E19rocblas_complex_numIdES1_PKS1_PS1_EviT_T9_T10_S5_lS7_S5_lS6_T11_S5_li.numbered_sgpr, 40
	.set _ZL29rocblas_internal_gemmt_kernelIiLi16ELi32ELi8ELc78ELc84ELc85ELb0ELb0E19rocblas_complex_numIdES1_PKS1_PS1_EviT_T9_T10_S5_lS7_S5_lS6_T11_S5_li.num_named_barrier, 0
	.set _ZL29rocblas_internal_gemmt_kernelIiLi16ELi32ELi8ELc78ELc84ELc85ELb0ELb0E19rocblas_complex_numIdES1_PKS1_PS1_EviT_T9_T10_S5_lS7_S5_lS6_T11_S5_li.private_seg_size, 0
	.set _ZL29rocblas_internal_gemmt_kernelIiLi16ELi32ELi8ELc78ELc84ELc85ELb0ELb0E19rocblas_complex_numIdES1_PKS1_PS1_EviT_T9_T10_S5_lS7_S5_lS6_T11_S5_li.uses_vcc, 1
	.set _ZL29rocblas_internal_gemmt_kernelIiLi16ELi32ELi8ELc78ELc84ELc85ELb0ELb0E19rocblas_complex_numIdES1_PKS1_PS1_EviT_T9_T10_S5_lS7_S5_lS6_T11_S5_li.uses_flat_scratch, 0
	.set _ZL29rocblas_internal_gemmt_kernelIiLi16ELi32ELi8ELc78ELc84ELc85ELb0ELb0E19rocblas_complex_numIdES1_PKS1_PS1_EviT_T9_T10_S5_lS7_S5_lS6_T11_S5_li.has_dyn_sized_stack, 0
	.set _ZL29rocblas_internal_gemmt_kernelIiLi16ELi32ELi8ELc78ELc84ELc85ELb0ELb0E19rocblas_complex_numIdES1_PKS1_PS1_EviT_T9_T10_S5_lS7_S5_lS6_T11_S5_li.has_recursion, 0
	.set _ZL29rocblas_internal_gemmt_kernelIiLi16ELi32ELi8ELc78ELc84ELc85ELb0ELb0E19rocblas_complex_numIdES1_PKS1_PS1_EviT_T9_T10_S5_lS7_S5_lS6_T11_S5_li.has_indirect_call, 0
	.section	.AMDGPU.csdata,"",@progbits
; Kernel info:
; codeLenInByte = 3692
; TotalNumSgprs: 42
; NumVgprs: 65
; ScratchSize: 0
; MemoryBound: 0
; FloatMode: 240
; IeeeMode: 1
; LDSByteSize: 8192 bytes/workgroup (compile time only)
; SGPRBlocks: 0
; VGPRBlocks: 8
; NumSGPRsForWavesPerEU: 42
; NumVGPRsForWavesPerEU: 65
; Occupancy: 16
; WaveLimiterHint : 0
; COMPUTE_PGM_RSRC2:SCRATCH_EN: 0
; COMPUTE_PGM_RSRC2:USER_SGPR: 2
; COMPUTE_PGM_RSRC2:TRAP_HANDLER: 0
; COMPUTE_PGM_RSRC2:TGID_X_EN: 1
; COMPUTE_PGM_RSRC2:TGID_Y_EN: 1
; COMPUTE_PGM_RSRC2:TGID_Z_EN: 1
; COMPUTE_PGM_RSRC2:TIDIG_COMP_CNT: 1
	.section	.text._ZL29rocblas_internal_gemmt_kernelIiLi16ELi32ELi8ELc78ELc67ELc85ELb0ELb1E19rocblas_complex_numIdES1_PKS1_PS1_EviT_T9_T10_S5_lS7_S5_lS6_T11_S5_li,"axG",@progbits,_ZL29rocblas_internal_gemmt_kernelIiLi16ELi32ELi8ELc78ELc67ELc85ELb0ELb1E19rocblas_complex_numIdES1_PKS1_PS1_EviT_T9_T10_S5_lS7_S5_lS6_T11_S5_li,comdat
	.globl	_ZL29rocblas_internal_gemmt_kernelIiLi16ELi32ELi8ELc78ELc67ELc85ELb0ELb1E19rocblas_complex_numIdES1_PKS1_PS1_EviT_T9_T10_S5_lS7_S5_lS6_T11_S5_li ; -- Begin function _ZL29rocblas_internal_gemmt_kernelIiLi16ELi32ELi8ELc78ELc67ELc85ELb0ELb1E19rocblas_complex_numIdES1_PKS1_PS1_EviT_T9_T10_S5_lS7_S5_lS6_T11_S5_li
	.p2align	8
	.type	_ZL29rocblas_internal_gemmt_kernelIiLi16ELi32ELi8ELc78ELc67ELc85ELb0ELb1E19rocblas_complex_numIdES1_PKS1_PS1_EviT_T9_T10_S5_lS7_S5_lS6_T11_S5_li,@function
_ZL29rocblas_internal_gemmt_kernelIiLi16ELi32ELi8ELc78ELc67ELc85ELb0ELb1E19rocblas_complex_numIdES1_PKS1_PS1_EviT_T9_T10_S5_lS7_S5_lS6_T11_S5_li: ; @_ZL29rocblas_internal_gemmt_kernelIiLi16ELi32ELi8ELc78ELc67ELc85ELb0ELb1E19rocblas_complex_numIdES1_PKS1_PS1_EviT_T9_T10_S5_lS7_S5_lS6_T11_S5_li
; %bb.0:
	s_clause 0x2
	s_load_b256 s[4:11], s[0:1], 0x40
	s_load_b64 s[24:25], s[0:1], 0x0
	s_load_b128 s[12:15], s[0:1], 0x8
	s_wait_kmcnt 0x0
	v_cmp_eq_f64_e64 s2, s[6:7], 1.0
	v_cmp_eq_f64_e64 s3, s[8:9], 0
	s_and_b32 s2, s2, s3
	s_delay_alu instid0(SALU_CYCLE_1)
	s_and_not1_b32 vcc_lo, exec_lo, s2
	s_mov_b32 s2, -1
	s_cbranch_vccnz .LBB128_3
; %bb.1:
	s_cmp_lg_u32 s25, 0
	s_cbranch_scc0 .LBB128_36
; %bb.2:
	v_cmp_neq_f64_e64 s2, s[12:13], 0
	v_cmp_neq_f64_e64 s16, s[14:15], 0
	s_or_b32 s2, s2, s16
.LBB128_3:
	s_delay_alu instid0(SALU_CYCLE_1)
	s_and_b32 vcc_lo, exec_lo, s2
	s_cbranch_vccz .LBB128_37
; %bb.4:
	s_load_b32 s23, s[0:1], 0x70
	s_lshr_b32 s26, ttmp7, 16
	s_wait_kmcnt 0x0
	s_cmp_ge_u32 s26, s23
	s_cbranch_scc1 .LBB128_37
; %bb.5:
	v_cmp_neq_f64_e64 s33, s[12:13], 0
	v_cmp_neq_f64_e64 s34, s[14:15], 0
	;; [unrolled: 1-line block ×3, first 2 shown]
	v_and_b32_e32 v1, 0x3ff, v0
	v_bfe_u32 v2, v0, 10, 10
	s_clause 0x4
	s_load_b96 s[20:22], s[0:1], 0x18
	s_load_b128 s[16:19], s[0:1], 0x28
	s_load_b32 s30, s[0:1], 0x38
	s_load_b32 s38, s[0:1], 0x60
	s_load_b64 s[28:29], s[0:1], 0x68
	v_and_b32_e32 v37, 7, v0
	s_lshl_b32 s1, ttmp7, 5
	s_lshl_b32 s0, ttmp9, 5
	v_lshl_add_u32 v0, v2, 4, v1
	s_and_b32 s2, s1, 0x1fffe0
	v_lshlrev_b32_e32 v38, 4, v1
	v_add_nc_u32_e32 v5, s0, v1
	v_lshlrev_b32_e32 v3, 4, v37
	v_and_b32_e32 v1, 31, v0
	v_lshl_add_u32 v39, v2, 7, 0x1000
	v_add_nc_u32_e32 v4, s2, v2
	v_lshrrev_b32_e32 v2, 3, v0
	v_lshrrev_b32_e32 v40, 5, v0
	v_or_b32_e32 v0, s0, v1
	v_lshlrev_b32_e32 v1, 4, v1
	v_cmp_gt_i32_e32 vcc_lo, s24, v4
	v_cmp_le_i32_e64 s1, v5, v4
	v_add_nc_u32_e32 v7, 16, v5
	v_add_nc_u32_e32 v13, s2, v2
	v_lshl_or_b32 v2, v2, 7, v3
	s_wait_kmcnt 0x0
	v_mad_co_i64_i32 v[9:10], null, v40, s22, 0
	s_ashr_i32 s37, s22, 31
	s_ashr_i32 s31, s30, 31
	v_lshl_or_b32 v41, v40, 9, v1
	v_ashrrev_i32_e32 v1, 31, v0
	v_add_nc_u32_e32 v42, 0x1000, v2
	v_mad_co_i64_i32 v[2:3], null, v4, s38, 0
	v_cmp_gt_i32_e64 s2, s24, v0
	v_lshlrev_b64_e32 v[9:10], 4, v[9:10]
	v_lshlrev_b64_e32 v[0:1], 4, v[0:1]
	v_mad_co_i64_i32 v[11:12], null, s30, v37, 0
	s_or_b32 s39, s33, s34
	s_cmp_gt_i32 s25, 0
	s_mov_b32 s36, s22
	s_cselect_b32 s40, -1, 0
	s_and_b32 s34, vcc_lo, s1
	v_cmp_le_i32_e64 s1, v7, v4
	v_add_nc_u32_e32 v4, 16, v4
	s_xor_b32 s3, s3, -1
	v_cmp_gt_i32_e64 s0, s24, v13
	s_wait_alu 0xfffe
	s_or_b32 s33, s35, s3
	s_and_b32 s22, vcc_lo, s1
	v_cmp_gt_i32_e32 vcc_lo, s24, v4
	v_cmp_le_i32_e64 s1, v5, v4
	v_cmp_le_i32_e64 s3, v7, v4
	v_mad_co_i64_i32 v[15:16], null, v4, s38, 0
	v_ashrrev_i32_e32 v6, 31, v5
	s_delay_alu instid0(VALU_DEP_4) | instskip(NEXT) | instid1(VALU_DEP_3)
	s_and_b32 s1, vcc_lo, s1
	s_and_b32 s24, vcc_lo, s3
	v_add_co_u32 v4, vcc_lo, v9, v0
	s_delay_alu instid0(VALU_DEP_1) | instskip(SKIP_2) | instid1(VALU_DEP_4)
	v_add_co_ci_u32_e64 v10, null, v10, v1, vcc_lo
	v_lshlrev_b64_e32 v[0:1], 4, v[11:12]
	v_lshlrev_b32_e32 v11, 4, v13
	v_add_co_u32 v9, vcc_lo, s20, v4
	s_wait_alu 0xfffd
	v_add_co_ci_u32_e64 v10, null, s21, v10, vcc_lo
	s_delay_alu instid0(VALU_DEP_3) | instskip(SKIP_3) | instid1(VALU_DEP_3)
	v_add_co_u32 v0, vcc_lo, v0, v11
	s_wait_alu 0xfffd
	v_add_co_ci_u32_e64 v1, null, 0, v1, vcc_lo
	v_lshlrev_b64_e32 v[13:14], 4, v[2:3]
	v_add_co_u32 v0, vcc_lo, s18, v0
	s_wait_alu 0xfffd
	s_delay_alu instid0(VALU_DEP_3) | instskip(SKIP_1) | instid1(VALU_DEP_3)
	v_add_co_ci_u32_e64 v1, null, s19, v1, vcc_lo
	v_lshlrev_b64_e32 v[15:16], 4, v[15:16]
	v_add_co_u32 v11, vcc_lo, v0, 8
	v_ashrrev_i32_e32 v8, 31, v7
	s_wait_alu 0xfffd
	v_add_co_ci_u32_e64 v12, null, 0, v1, vcc_lo
	v_mov_b32_e32 v0, 0
	s_mov_b32 s27, 0
	s_lshl_b64 s[16:17], s[16:17], 4
	s_lshl_b64 s[18:19], s[36:37], 7
	s_and_b32 s35, s39, s40
	s_lshl_b64 s[4:5], s[4:5], 4
	s_lshl_b64 s[20:21], s[30:31], 7
	s_xor_b32 s30, s2, -1
	s_branch .LBB128_7
.LBB128_6:                              ;   in Loop: Header=BB128_7 Depth=1
	s_wait_alu 0xfffe
	s_or_b32 exec_lo, exec_lo, s2
	s_add_co_i32 s26, s26, 0x10000
	s_wait_alu 0xfffe
	s_cmp_lt_u32 s26, s23
	s_cbranch_scc0 .LBB128_37
.LBB128_7:                              ; =>This Loop Header: Depth=1
                                        ;     Child Loop BB128_10 Depth 2
	v_mov_b32_e32 v33, 0
	v_mov_b32_e32 v29, 0
	;; [unrolled: 1-line block ×3, first 2 shown]
	v_dual_mov_b32 v23, 0 :: v_dual_mov_b32 v34, 0
	v_dual_mov_b32 v35, 0 :: v_dual_mov_b32 v30, 0
	;; [unrolled: 1-line block ×5, first 2 shown]
	v_mov_b32_e32 v32, 0
	v_mov_b32_e32 v28, 0
	;; [unrolled: 1-line block ×3, first 2 shown]
	s_and_not1_b32 vcc_lo, exec_lo, s35
	s_wait_alu 0xfffe
	s_cbranch_vccnz .LBB128_16
; %bb.8:                                ;   in Loop: Header=BB128_7 Depth=1
	v_mad_co_u64_u32 v[17:18], null, s16, s26, v[9:10]
	v_mad_co_u64_u32 v[19:20], null, s4, s26, v[11:12]
	v_mov_b32_e32 v21, 0
	v_mov_b32_e32 v23, 0
	;; [unrolled: 1-line block ×4, first 2 shown]
	v_dual_mov_b32 v1, v18 :: v_dual_mov_b32 v22, 0
	v_mov_b32_e32 v2, v20
	v_dual_mov_b32 v24, 0 :: v_dual_mov_b32 v27, 0
	v_dual_mov_b32 v26, 0 :: v_dual_mov_b32 v31, 0
	s_delay_alu instid0(VALU_DEP_3)
	v_mad_co_u64_u32 v[3:4], null, s17, s26, v[1:2]
	v_dual_mov_b32 v30, 0 :: v_dual_mov_b32 v35, 0
	v_dual_mov_b32 v33, 0 :: v_dual_mov_b32 v28, 0
	v_mov_b32_e32 v32, 0
	v_mov_b32_e32 v36, 0
	v_mad_co_u64_u32 v[1:2], null, s5, s26, v[2:3]
	v_mov_b32_e32 v34, 0
	v_mov_b32_e32 v18, v3
	s_mov_b32 s2, 0
	s_delay_alu instid0(VALU_DEP_3)
	v_mov_b32_e32 v20, v1
	s_branch .LBB128_10
.LBB128_9:                              ;   in Loop: Header=BB128_10 Depth=2
	s_wait_alu 0xfffe
	s_or_b32 exec_lo, exec_lo, s3
	ds_store_b128 v42, v[1:4]
	s_wait_dscnt 0x0
	s_barrier_signal -1
	s_barrier_wait -1
	global_inv scope:SCOPE_SE
	ds_load_b128 v[1:4], v39
	ds_load_b128 v[43:46], v38
	ds_load_b128 v[47:50], v38 offset:256
	ds_load_b128 v[51:54], v39 offset:2048
	;; [unrolled: 1-line block ×10, first 2 shown]
	v_add_co_u32 v17, vcc_lo, v17, s18
	s_wait_alu 0xfffd
	v_add_co_ci_u32_e64 v18, null, s19, v18, vcc_lo
	v_add_co_u32 v19, vcc_lo, v19, s20
	s_wait_alu 0xfffd
	v_add_co_ci_u32_e64 v20, null, s21, v20, vcc_lo
	s_add_co_i32 s2, s2, 8
	s_wait_alu 0xfffe
	s_cmp_lt_i32 s2, s25
	s_wait_dscnt 0xa
	v_mul_f64_e32 v[87:88], v[3:4], v[45:46]
	v_mul_f64_e32 v[89:90], v[1:2], v[45:46]
	s_wait_dscnt 0x9
	v_mul_f64_e32 v[91:92], v[3:4], v[49:50]
	v_mul_f64_e32 v[93:94], v[1:2], v[49:50]
	;; [unrolled: 3-line block ×3, first 2 shown]
	v_mul_f64_e32 v[97:98], v[53:54], v[49:50]
	v_mul_f64_e32 v[49:50], v[51:52], v[49:50]
	s_wait_dscnt 0x5
	v_mul_f64_e32 v[99:100], v[57:58], v[65:66]
	v_mul_f64_e32 v[101:102], v[55:56], v[65:66]
	s_wait_dscnt 0x4
	v_mul_f64_e32 v[103:104], v[57:58], v[69:70]
	v_mul_f64_e32 v[105:106], v[55:56], v[69:70]
	;; [unrolled: 1-line block ×6, first 2 shown]
	s_wait_dscnt 0x2
	v_mul_f64_e32 v[115:116], v[73:74], v[77:78]
	v_mul_f64_e32 v[117:118], v[71:72], v[77:78]
	s_wait_dscnt 0x1
	v_mul_f64_e32 v[119:120], v[73:74], v[81:82]
	v_mul_f64_e32 v[121:122], v[71:72], v[81:82]
	;; [unrolled: 3-line block ×3, first 2 shown]
	v_mul_f64_e32 v[125:126], v[85:86], v[81:82]
	v_mul_f64_e32 v[81:82], v[83:84], v[81:82]
	v_fma_f64 v[87:88], v[1:2], v[43:44], -v[87:88]
	v_fma_f64 v[89:90], v[3:4], v[43:44], v[89:90]
	v_fma_f64 v[91:92], v[1:2], v[47:48], -v[91:92]
	v_fma_f64 v[93:94], v[3:4], v[47:48], v[93:94]
	;; [unrolled: 2-line block ×8, first 2 shown]
	ds_load_b128 v[1:4], v39 offset:48
	ds_load_b128 v[43:46], v39 offset:2096
	;; [unrolled: 1-line block ×4, first 2 shown]
	v_fma_f64 v[115:116], v[71:72], v[75:76], -v[115:116]
	v_fma_f64 v[117:118], v[73:74], v[75:76], v[117:118]
	v_fma_f64 v[71:72], v[71:72], v[79:80], -v[119:120]
	v_fma_f64 v[73:74], v[73:74], v[79:80], v[121:122]
	;; [unrolled: 2-line block ×4, first 2 shown]
	s_wait_dscnt 0x1
	v_mul_f64_e32 v[105:106], v[1:2], v[49:50]
	s_wait_dscnt 0x0
	v_mul_f64_e32 v[107:108], v[3:4], v[53:54]
	v_mul_f64_e32 v[109:110], v[1:2], v[53:54]
	v_add_f64_e32 v[65:66], v[33:34], v[87:88]
	v_add_f64_e32 v[67:68], v[89:90], v[35:36]
	;; [unrolled: 1-line block ×8, first 2 shown]
	v_mul_f64_e32 v[97:98], v[3:4], v[49:50]
	v_mul_f64_e32 v[111:112], v[45:46], v[49:50]
	;; [unrolled: 1-line block ×5, first 2 shown]
	ds_load_b128 v[21:24], v39 offset:64
	ds_load_b128 v[25:28], v38 offset:2048
	;; [unrolled: 1-line block ×4, first 2 shown]
	s_wait_dscnt 0x0
	v_mul_f64_e32 v[121:122], v[35:36], v[27:28]
	v_mul_f64_e32 v[123:124], v[35:36], v[31:32]
	v_fma_f64 v[105:106], v[3:4], v[47:48], v[105:106]
	v_fma_f64 v[107:108], v[1:2], v[51:52], -v[107:108]
	v_fma_f64 v[109:110], v[3:4], v[51:52], v[109:110]
	v_add_f64_e32 v[81:82], v[65:66], v[99:100]
	v_add_f64_e32 v[83:84], v[101:102], v[67:68]
	;; [unrolled: 1-line block ×8, first 2 shown]
	v_mul_f64_e32 v[95:96], v[23:24], v[27:28]
	v_mul_f64_e32 v[99:100], v[21:22], v[27:28]
	v_mul_f64_e32 v[101:102], v[23:24], v[31:32]
	v_mul_f64_e32 v[103:104], v[21:22], v[31:32]
	v_mul_f64_e32 v[27:28], v[33:34], v[27:28]
	v_mul_f64_e32 v[31:32], v[33:34], v[31:32]
	v_fma_f64 v[97:98], v[1:2], v[47:48], -v[97:98]
	v_fma_f64 v[111:112], v[43:44], v[47:48], -v[111:112]
	v_fma_f64 v[125:126], v[45:46], v[47:48], v[49:50]
	v_fma_f64 v[113:114], v[43:44], v[51:52], -v[113:114]
	v_fma_f64 v[51:52], v[45:46], v[51:52], v[127:128]
	ds_load_b128 v[53:56], v39 offset:80
	ds_load_b128 v[57:60], v39 offset:2128
	ds_load_b128 v[61:64], v38 offset:2560
	ds_load_b128 v[65:68], v38 offset:2816
	v_fma_f64 v[121:122], v[33:34], v[25:26], -v[121:122]
	v_fma_f64 v[123:124], v[33:34], v[29:30], -v[123:124]
	v_add_f64_e32 v[81:82], v[81:82], v[115:116]
	v_add_f64_e32 v[83:84], v[117:118], v[83:84]
	;; [unrolled: 1-line block ×8, first 2 shown]
	s_wait_dscnt 0x1
	v_mul_f64_e32 v[87:88], v[55:56], v[63:64]
	v_mul_f64_e32 v[89:90], v[53:54], v[63:64]
	s_wait_dscnt 0x0
	v_mul_f64_e32 v[91:92], v[55:56], v[67:68]
	v_mul_f64_e32 v[93:94], v[53:54], v[67:68]
	;; [unrolled: 1-line block ×6, first 2 shown]
	v_fma_f64 v[95:96], v[21:22], v[25:26], -v[95:96]
	v_fma_f64 v[99:100], v[23:24], v[25:26], v[99:100]
	v_fma_f64 v[101:102], v[21:22], v[29:30], -v[101:102]
	v_fma_f64 v[103:104], v[23:24], v[29:30], v[103:104]
	v_fma_f64 v[127:128], v[35:36], v[25:26], v[27:28]
	v_fma_f64 v[129:130], v[35:36], v[29:30], v[31:32]
	ds_load_b128 v[1:4], v39 offset:96
	ds_load_b128 v[43:46], v38 offset:3072
	;; [unrolled: 1-line block ×8, first 2 shown]
	s_wait_loadcnt_dscnt 0x0
	s_barrier_signal -1
	s_barrier_wait -1
	global_inv scope:SCOPE_SE
	v_add_f64_e32 v[81:82], v[81:82], v[97:98]
	v_add_f64_e32 v[83:84], v[105:106], v[83:84]
	;; [unrolled: 1-line block ×8, first 2 shown]
	v_mul_f64_e32 v[79:80], v[3:4], v[45:46]
	v_mul_f64_e32 v[105:106], v[1:2], v[45:46]
	;; [unrolled: 1-line block ×8, first 2 shown]
	v_fma_f64 v[87:88], v[53:54], v[61:62], -v[87:88]
	v_fma_f64 v[89:90], v[55:56], v[61:62], v[89:90]
	v_fma_f64 v[53:54], v[53:54], v[65:66], -v[91:92]
	v_fma_f64 v[55:56], v[55:56], v[65:66], v[93:94]
	;; [unrolled: 2-line block ×4, first 2 shown]
	v_mul_f64_e32 v[93:94], v[23:24], v[35:36]
	v_add_f64_e32 v[63:64], v[81:82], v[95:96]
	v_add_f64_e32 v[65:66], v[99:100], v[83:84]
	v_add_f64_e32 v[67:68], v[97:98], v[101:102]
	v_add_f64_e32 v[73:74], v[103:104], v[73:74]
	v_add_f64_e32 v[81:82], v[85:86], v[121:122]
	v_add_f64_e32 v[75:76], v[127:128], v[75:76]
	v_add_f64_e32 v[77:78], v[77:78], v[123:124]
	v_add_f64_e32 v[51:52], v[129:130], v[51:52]
	v_mul_f64_e32 v[83:84], v[23:24], v[31:32]
	v_mul_f64_e32 v[85:86], v[21:22], v[31:32]
	;; [unrolled: 1-line block ×7, first 2 shown]
	v_fma_f64 v[79:80], v[1:2], v[43:44], -v[79:80]
	v_fma_f64 v[101:102], v[3:4], v[43:44], v[105:106]
	v_fma_f64 v[1:2], v[1:2], v[47:48], -v[107:108]
	v_fma_f64 v[3:4], v[3:4], v[47:48], v[109:110]
	;; [unrolled: 2-line block ×4, first 2 shown]
	v_add_f64_e32 v[49:50], v[63:64], v[87:88]
	v_add_f64_e32 v[63:64], v[89:90], v[65:66]
	;; [unrolled: 1-line block ×8, first 2 shown]
	v_fma_f64 v[59:60], v[21:22], v[29:30], -v[83:84]
	v_fma_f64 v[67:68], v[23:24], v[29:30], v[85:86]
	v_fma_f64 v[21:22], v[21:22], v[33:34], -v[93:94]
	v_fma_f64 v[23:24], v[23:24], v[33:34], v[95:96]
	;; [unrolled: 2-line block ×4, first 2 shown]
	v_add_f64_e32 v[25:26], v[49:50], v[79:80]
	v_add_f64_e32 v[27:28], v[101:102], v[63:64]
	;; [unrolled: 1-line block ×16, first 2 shown]
	s_cbranch_scc0 .LBB128_16
.LBB128_10:                             ;   Parent Loop BB128_7 Depth=1
                                        ; =>  This Inner Loop Header: Depth=2
	s_wait_alu 0xfffe
	v_add_nc_u32_e32 v1, s2, v40
	s_delay_alu instid0(VALU_DEP_1)
	v_cmp_le_i32_e32 vcc_lo, s25, v1
	s_or_b32 s3, s30, vcc_lo
	s_wait_alu 0xfffe
	s_and_saveexec_b32 s31, s3
	s_wait_alu 0xfffe
	s_xor_b32 s3, exec_lo, s31
; %bb.11:                               ;   in Loop: Header=BB128_10 Depth=2
	v_dual_mov_b32 v1, v0 :: v_dual_mov_b32 v2, v0
	v_mov_b32_e32 v3, v0
	ds_store_b128 v41, v[0:3]
; %bb.12:                               ;   in Loop: Header=BB128_10 Depth=2
	s_wait_alu 0xfffe
	s_and_not1_saveexec_b32 s3, s3
	s_cbranch_execz .LBB128_14
; %bb.13:                               ;   in Loop: Header=BB128_10 Depth=2
	global_load_b128 v[1:4], v[17:18], off
	s_wait_loadcnt 0x0
	ds_store_2addr_b64 v41, v[1:2], v[3:4] offset1:1
.LBB128_14:                             ;   in Loop: Header=BB128_10 Depth=2
	s_wait_alu 0xfffe
	s_or_b32 exec_lo, exec_lo, s3
	v_add_nc_u32_e32 v1, s2, v37
	v_mov_b32_e32 v3, 0
	v_mov_b32_e32 v4, 0
	s_delay_alu instid0(VALU_DEP_3)
	v_cmp_gt_i32_e32 vcc_lo, s25, v1
	v_mov_b32_e32 v1, 0
	v_mov_b32_e32 v2, 0
	s_and_b32 s31, vcc_lo, s0
	s_wait_alu 0xfffe
	s_and_saveexec_b32 s3, s31
	s_cbranch_execz .LBB128_9
; %bb.15:                               ;   in Loop: Header=BB128_10 Depth=2
	global_load_b128 v[1:4], v[19:20], off offset:-8
	s_wait_loadcnt 0x0
	v_xor_b32_e32 v4, 0x80000000, v4
	s_branch .LBB128_9
.LBB128_16:                             ;   in Loop: Header=BB128_7 Depth=1
	s_mul_u64 s[2:3], s[28:29], s[26:27]
	s_wait_alu 0xfffe
	s_lshl_b64 s[2:3], s[2:3], 4
	s_wait_alu 0xfffe
	s_add_nc_u64 s[2:3], s[10:11], s[2:3]
	s_wait_alu 0xfffe
	v_add_co_u32 v17, vcc_lo, s2, v13
	s_wait_alu 0xfffd
	v_add_co_ci_u32_e64 v18, null, s3, v14, vcc_lo
	s_and_saveexec_b32 s31, s34
	s_cbranch_execz .LBB128_21
; %bb.17:                               ;   in Loop: Header=BB128_7 Depth=1
	v_mul_f64_e32 v[1:2], s[14:15], v[35:36]
	v_mul_f64_e32 v[3:4], s[12:13], v[35:36]
	s_and_b32 vcc_lo, exec_lo, s33
	s_mov_b32 s36, -1
	s_delay_alu instid0(VALU_DEP_2) | instskip(NEXT) | instid1(VALU_DEP_2)
	v_fma_f64 v[1:2], s[12:13], v[33:34], -v[1:2]
	v_fma_f64 v[3:4], s[14:15], v[33:34], v[3:4]
	s_wait_alu 0xfffe
	s_cbranch_vccz .LBB128_19
; %bb.18:                               ;   in Loop: Header=BB128_7 Depth=1
	v_lshlrev_b64_e32 v[19:20], 4, v[5:6]
	s_mov_b32 s36, 0
	s_delay_alu instid0(VALU_DEP_1) | instskip(SKIP_1) | instid1(VALU_DEP_2)
	v_add_co_u32 v19, vcc_lo, v17, v19
	s_wait_alu 0xfffd
	v_add_co_ci_u32_e64 v20, null, v18, v20, vcc_lo
	global_load_b128 v[33:36], v[19:20], off
	s_wait_loadcnt 0x0
	v_mul_f64_e32 v[43:44], s[8:9], v[35:36]
	v_mul_f64_e32 v[35:36], s[6:7], v[35:36]
	s_delay_alu instid0(VALU_DEP_2) | instskip(NEXT) | instid1(VALU_DEP_2)
	v_fma_f64 v[43:44], s[6:7], v[33:34], -v[43:44]
	v_fma_f64 v[35:36], s[8:9], v[33:34], v[35:36]
	s_delay_alu instid0(VALU_DEP_2) | instskip(NEXT) | instid1(VALU_DEP_2)
	v_add_f64_e32 v[33:34], v[1:2], v[43:44]
	v_add_f64_e32 v[35:36], v[3:4], v[35:36]
	global_store_b128 v[19:20], v[33:36], off
.LBB128_19:                             ;   in Loop: Header=BB128_7 Depth=1
	s_and_not1_b32 vcc_lo, exec_lo, s36
	s_wait_alu 0xfffe
	s_cbranch_vccnz .LBB128_21
; %bb.20:                               ;   in Loop: Header=BB128_7 Depth=1
	v_lshlrev_b64_e32 v[19:20], 4, v[5:6]
	s_delay_alu instid0(VALU_DEP_1) | instskip(SKIP_1) | instid1(VALU_DEP_2)
	v_add_co_u32 v19, vcc_lo, v17, v19
	s_wait_alu 0xfffd
	v_add_co_ci_u32_e64 v20, null, v18, v20, vcc_lo
	global_store_b128 v[19:20], v[1:4], off
.LBB128_21:                             ;   in Loop: Header=BB128_7 Depth=1
	s_wait_alu 0xfffe
	s_or_b32 exec_lo, exec_lo, s31
	s_and_saveexec_b32 s31, s22
	s_cbranch_execz .LBB128_26
; %bb.22:                               ;   in Loop: Header=BB128_7 Depth=1
	v_mul_f64_e32 v[1:2], s[14:15], v[31:32]
	v_mul_f64_e32 v[3:4], s[12:13], v[31:32]
	s_and_not1_b32 vcc_lo, exec_lo, s33
	s_mov_b32 s36, -1
	s_delay_alu instid0(VALU_DEP_2) | instskip(NEXT) | instid1(VALU_DEP_2)
	v_fma_f64 v[1:2], s[12:13], v[29:30], -v[1:2]
	v_fma_f64 v[3:4], s[14:15], v[29:30], v[3:4]
	s_wait_alu 0xfffe
	s_cbranch_vccnz .LBB128_24
; %bb.23:                               ;   in Loop: Header=BB128_7 Depth=1
	v_lshlrev_b64_e32 v[19:20], 4, v[7:8]
	s_mov_b32 s36, 0
	s_delay_alu instid0(VALU_DEP_1) | instskip(SKIP_1) | instid1(VALU_DEP_2)
	v_add_co_u32 v19, vcc_lo, v17, v19
	s_wait_alu 0xfffd
	v_add_co_ci_u32_e64 v20, null, v18, v20, vcc_lo
	global_load_b128 v[29:32], v[19:20], off
	s_wait_loadcnt 0x0
	v_mul_f64_e32 v[33:34], s[8:9], v[31:32]
	v_mul_f64_e32 v[31:32], s[6:7], v[31:32]
	s_delay_alu instid0(VALU_DEP_2) | instskip(NEXT) | instid1(VALU_DEP_2)
	v_fma_f64 v[33:34], s[6:7], v[29:30], -v[33:34]
	v_fma_f64 v[31:32], s[8:9], v[29:30], v[31:32]
	s_delay_alu instid0(VALU_DEP_2) | instskip(NEXT) | instid1(VALU_DEP_2)
	v_add_f64_e32 v[29:30], v[1:2], v[33:34]
	v_add_f64_e32 v[31:32], v[3:4], v[31:32]
	global_store_b128 v[19:20], v[29:32], off
.LBB128_24:                             ;   in Loop: Header=BB128_7 Depth=1
	s_and_not1_b32 vcc_lo, exec_lo, s36
	s_wait_alu 0xfffe
	s_cbranch_vccnz .LBB128_26
; %bb.25:                               ;   in Loop: Header=BB128_7 Depth=1
	v_lshlrev_b64_e32 v[19:20], 4, v[7:8]
	s_delay_alu instid0(VALU_DEP_1) | instskip(SKIP_1) | instid1(VALU_DEP_2)
	v_add_co_u32 v17, vcc_lo, v17, v19
	s_wait_alu 0xfffd
	v_add_co_ci_u32_e64 v18, null, v18, v20, vcc_lo
	global_store_b128 v[17:18], v[1:4], off
.LBB128_26:                             ;   in Loop: Header=BB128_7 Depth=1
	s_wait_alu 0xfffe
	s_or_b32 exec_lo, exec_lo, s31
	v_add_co_u32 v19, vcc_lo, s2, v15
	s_wait_alu 0xfffd
	v_add_co_ci_u32_e64 v20, null, s3, v16, vcc_lo
	s_and_saveexec_b32 s2, s1
	s_cbranch_execz .LBB128_31
; %bb.27:                               ;   in Loop: Header=BB128_7 Depth=1
	v_mul_f64_e32 v[1:2], s[14:15], v[27:28]
	v_mul_f64_e32 v[3:4], s[12:13], v[27:28]
	v_lshlrev_b64_e32 v[17:18], 4, v[5:6]
	s_and_not1_b32 vcc_lo, exec_lo, s33
	s_mov_b32 s3, -1
	s_delay_alu instid0(VALU_DEP_3) | instskip(NEXT) | instid1(VALU_DEP_3)
	v_fma_f64 v[1:2], s[12:13], v[25:26], -v[1:2]
	v_fma_f64 v[3:4], s[14:15], v[25:26], v[3:4]
	s_wait_alu 0xfffe
	s_cbranch_vccnz .LBB128_29
; %bb.28:                               ;   in Loop: Header=BB128_7 Depth=1
	v_add_co_u32 v29, vcc_lo, v19, v17
	s_wait_alu 0xfffd
	v_add_co_ci_u32_e64 v30, null, v20, v18, vcc_lo
	s_mov_b32 s3, 0
	global_load_b128 v[25:28], v[29:30], off
	s_wait_loadcnt 0x0
	v_mul_f64_e32 v[31:32], s[8:9], v[27:28]
	v_mul_f64_e32 v[27:28], s[6:7], v[27:28]
	s_delay_alu instid0(VALU_DEP_2) | instskip(NEXT) | instid1(VALU_DEP_2)
	v_fma_f64 v[31:32], s[6:7], v[25:26], -v[31:32]
	v_fma_f64 v[27:28], s[8:9], v[25:26], v[27:28]
	s_delay_alu instid0(VALU_DEP_2) | instskip(NEXT) | instid1(VALU_DEP_2)
	v_add_f64_e32 v[25:26], v[1:2], v[31:32]
	v_add_f64_e32 v[27:28], v[3:4], v[27:28]
	global_store_b128 v[29:30], v[25:28], off
.LBB128_29:                             ;   in Loop: Header=BB128_7 Depth=1
	s_wait_alu 0xfffe
	s_and_not1_b32 vcc_lo, exec_lo, s3
	s_wait_alu 0xfffe
	s_cbranch_vccnz .LBB128_31
; %bb.30:                               ;   in Loop: Header=BB128_7 Depth=1
	v_add_co_u32 v17, vcc_lo, v19, v17
	s_wait_alu 0xfffd
	v_add_co_ci_u32_e64 v18, null, v20, v18, vcc_lo
	global_store_b128 v[17:18], v[1:4], off
.LBB128_31:                             ;   in Loop: Header=BB128_7 Depth=1
	s_wait_alu 0xfffe
	s_or_b32 exec_lo, exec_lo, s2
	s_and_saveexec_b32 s2, s24
	s_cbranch_execz .LBB128_6
; %bb.32:                               ;   in Loop: Header=BB128_7 Depth=1
	v_mul_f64_e32 v[1:2], s[14:15], v[21:22]
	v_mul_f64_e32 v[3:4], s[12:13], v[21:22]
	v_lshlrev_b64_e32 v[17:18], 4, v[7:8]
	s_and_not1_b32 vcc_lo, exec_lo, s33
	s_mov_b32 s3, -1
	s_delay_alu instid0(VALU_DEP_3) | instskip(NEXT) | instid1(VALU_DEP_3)
	v_fma_f64 v[1:2], s[12:13], v[23:24], -v[1:2]
	v_fma_f64 v[3:4], s[14:15], v[23:24], v[3:4]
	s_wait_alu 0xfffe
	s_cbranch_vccnz .LBB128_34
; %bb.33:                               ;   in Loop: Header=BB128_7 Depth=1
	v_add_co_u32 v25, vcc_lo, v19, v17
	s_wait_alu 0xfffd
	v_add_co_ci_u32_e64 v26, null, v20, v18, vcc_lo
	s_mov_b32 s3, 0
	global_load_b128 v[21:24], v[25:26], off
	s_wait_loadcnt 0x0
	v_mul_f64_e32 v[27:28], s[8:9], v[23:24]
	v_mul_f64_e32 v[23:24], s[6:7], v[23:24]
	s_delay_alu instid0(VALU_DEP_2) | instskip(NEXT) | instid1(VALU_DEP_2)
	v_fma_f64 v[27:28], s[6:7], v[21:22], -v[27:28]
	v_fma_f64 v[23:24], s[8:9], v[21:22], v[23:24]
	s_delay_alu instid0(VALU_DEP_2) | instskip(NEXT) | instid1(VALU_DEP_2)
	v_add_f64_e32 v[21:22], v[1:2], v[27:28]
	v_add_f64_e32 v[23:24], v[3:4], v[23:24]
	global_store_b128 v[25:26], v[21:24], off
.LBB128_34:                             ;   in Loop: Header=BB128_7 Depth=1
	s_wait_alu 0xfffe
	s_and_not1_b32 vcc_lo, exec_lo, s3
	s_wait_alu 0xfffe
	s_cbranch_vccnz .LBB128_6
; %bb.35:                               ;   in Loop: Header=BB128_7 Depth=1
	v_add_co_u32 v17, vcc_lo, v19, v17
	s_wait_alu 0xfffd
	v_add_co_ci_u32_e64 v18, null, v20, v18, vcc_lo
	global_store_b128 v[17:18], v[1:4], off
	s_branch .LBB128_6
.LBB128_36:
.LBB128_37:
	s_nop 0
	s_sendmsg sendmsg(MSG_DEALLOC_VGPRS)
	s_endpgm
	.section	.rodata,"a",@progbits
	.p2align	6, 0x0
	.amdhsa_kernel _ZL29rocblas_internal_gemmt_kernelIiLi16ELi32ELi8ELc78ELc67ELc85ELb0ELb1E19rocblas_complex_numIdES1_PKS1_PS1_EviT_T9_T10_S5_lS7_S5_lS6_T11_S5_li
		.amdhsa_group_segment_fixed_size 8192
		.amdhsa_private_segment_fixed_size 0
		.amdhsa_kernarg_size 116
		.amdhsa_user_sgpr_count 2
		.amdhsa_user_sgpr_dispatch_ptr 0
		.amdhsa_user_sgpr_queue_ptr 0
		.amdhsa_user_sgpr_kernarg_segment_ptr 1
		.amdhsa_user_sgpr_dispatch_id 0
		.amdhsa_user_sgpr_private_segment_size 0
		.amdhsa_wavefront_size32 1
		.amdhsa_uses_dynamic_stack 0
		.amdhsa_enable_private_segment 0
		.amdhsa_system_sgpr_workgroup_id_x 1
		.amdhsa_system_sgpr_workgroup_id_y 1
		.amdhsa_system_sgpr_workgroup_id_z 1
		.amdhsa_system_sgpr_workgroup_info 0
		.amdhsa_system_vgpr_workitem_id 1
		.amdhsa_next_free_vgpr 131
		.amdhsa_next_free_sgpr 41
		.amdhsa_reserve_vcc 1
		.amdhsa_float_round_mode_32 0
		.amdhsa_float_round_mode_16_64 0
		.amdhsa_float_denorm_mode_32 3
		.amdhsa_float_denorm_mode_16_64 3
		.amdhsa_fp16_overflow 0
		.amdhsa_workgroup_processor_mode 1
		.amdhsa_memory_ordered 1
		.amdhsa_forward_progress 1
		.amdhsa_inst_pref_size 27
		.amdhsa_round_robin_scheduling 0
		.amdhsa_exception_fp_ieee_invalid_op 0
		.amdhsa_exception_fp_denorm_src 0
		.amdhsa_exception_fp_ieee_div_zero 0
		.amdhsa_exception_fp_ieee_overflow 0
		.amdhsa_exception_fp_ieee_underflow 0
		.amdhsa_exception_fp_ieee_inexact 0
		.amdhsa_exception_int_div_zero 0
	.end_amdhsa_kernel
	.section	.text._ZL29rocblas_internal_gemmt_kernelIiLi16ELi32ELi8ELc78ELc67ELc85ELb0ELb1E19rocblas_complex_numIdES1_PKS1_PS1_EviT_T9_T10_S5_lS7_S5_lS6_T11_S5_li,"axG",@progbits,_ZL29rocblas_internal_gemmt_kernelIiLi16ELi32ELi8ELc78ELc67ELc85ELb0ELb1E19rocblas_complex_numIdES1_PKS1_PS1_EviT_T9_T10_S5_lS7_S5_lS6_T11_S5_li,comdat
.Lfunc_end128:
	.size	_ZL29rocblas_internal_gemmt_kernelIiLi16ELi32ELi8ELc78ELc67ELc85ELb0ELb1E19rocblas_complex_numIdES1_PKS1_PS1_EviT_T9_T10_S5_lS7_S5_lS6_T11_S5_li, .Lfunc_end128-_ZL29rocblas_internal_gemmt_kernelIiLi16ELi32ELi8ELc78ELc67ELc85ELb0ELb1E19rocblas_complex_numIdES1_PKS1_PS1_EviT_T9_T10_S5_lS7_S5_lS6_T11_S5_li
                                        ; -- End function
	.set _ZL29rocblas_internal_gemmt_kernelIiLi16ELi32ELi8ELc78ELc67ELc85ELb0ELb1E19rocblas_complex_numIdES1_PKS1_PS1_EviT_T9_T10_S5_lS7_S5_lS6_T11_S5_li.num_vgpr, 131
	.set _ZL29rocblas_internal_gemmt_kernelIiLi16ELi32ELi8ELc78ELc67ELc85ELb0ELb1E19rocblas_complex_numIdES1_PKS1_PS1_EviT_T9_T10_S5_lS7_S5_lS6_T11_S5_li.num_agpr, 0
	.set _ZL29rocblas_internal_gemmt_kernelIiLi16ELi32ELi8ELc78ELc67ELc85ELb0ELb1E19rocblas_complex_numIdES1_PKS1_PS1_EviT_T9_T10_S5_lS7_S5_lS6_T11_S5_li.numbered_sgpr, 41
	.set _ZL29rocblas_internal_gemmt_kernelIiLi16ELi32ELi8ELc78ELc67ELc85ELb0ELb1E19rocblas_complex_numIdES1_PKS1_PS1_EviT_T9_T10_S5_lS7_S5_lS6_T11_S5_li.num_named_barrier, 0
	.set _ZL29rocblas_internal_gemmt_kernelIiLi16ELi32ELi8ELc78ELc67ELc85ELb0ELb1E19rocblas_complex_numIdES1_PKS1_PS1_EviT_T9_T10_S5_lS7_S5_lS6_T11_S5_li.private_seg_size, 0
	.set _ZL29rocblas_internal_gemmt_kernelIiLi16ELi32ELi8ELc78ELc67ELc85ELb0ELb1E19rocblas_complex_numIdES1_PKS1_PS1_EviT_T9_T10_S5_lS7_S5_lS6_T11_S5_li.uses_vcc, 1
	.set _ZL29rocblas_internal_gemmt_kernelIiLi16ELi32ELi8ELc78ELc67ELc85ELb0ELb1E19rocblas_complex_numIdES1_PKS1_PS1_EviT_T9_T10_S5_lS7_S5_lS6_T11_S5_li.uses_flat_scratch, 0
	.set _ZL29rocblas_internal_gemmt_kernelIiLi16ELi32ELi8ELc78ELc67ELc85ELb0ELb1E19rocblas_complex_numIdES1_PKS1_PS1_EviT_T9_T10_S5_lS7_S5_lS6_T11_S5_li.has_dyn_sized_stack, 0
	.set _ZL29rocblas_internal_gemmt_kernelIiLi16ELi32ELi8ELc78ELc67ELc85ELb0ELb1E19rocblas_complex_numIdES1_PKS1_PS1_EviT_T9_T10_S5_lS7_S5_lS6_T11_S5_li.has_recursion, 0
	.set _ZL29rocblas_internal_gemmt_kernelIiLi16ELi32ELi8ELc78ELc67ELc85ELb0ELb1E19rocblas_complex_numIdES1_PKS1_PS1_EviT_T9_T10_S5_lS7_S5_lS6_T11_S5_li.has_indirect_call, 0
	.section	.AMDGPU.csdata,"",@progbits
; Kernel info:
; codeLenInByte = 3416
; TotalNumSgprs: 43
; NumVgprs: 131
; ScratchSize: 0
; MemoryBound: 1
; FloatMode: 240
; IeeeMode: 1
; LDSByteSize: 8192 bytes/workgroup (compile time only)
; SGPRBlocks: 0
; VGPRBlocks: 16
; NumSGPRsForWavesPerEU: 43
; NumVGPRsForWavesPerEU: 131
; Occupancy: 10
; WaveLimiterHint : 0
; COMPUTE_PGM_RSRC2:SCRATCH_EN: 0
; COMPUTE_PGM_RSRC2:USER_SGPR: 2
; COMPUTE_PGM_RSRC2:TRAP_HANDLER: 0
; COMPUTE_PGM_RSRC2:TGID_X_EN: 1
; COMPUTE_PGM_RSRC2:TGID_Y_EN: 1
; COMPUTE_PGM_RSRC2:TGID_Z_EN: 1
; COMPUTE_PGM_RSRC2:TIDIG_COMP_CNT: 1
	.section	.text._ZL29rocblas_internal_gemmt_kernelIiLi16ELi32ELi8ELc84ELc78ELc85ELb0ELb0E19rocblas_complex_numIdES1_PKS1_PS1_EviT_T9_T10_S5_lS7_S5_lS6_T11_S5_li,"axG",@progbits,_ZL29rocblas_internal_gemmt_kernelIiLi16ELi32ELi8ELc84ELc78ELc85ELb0ELb0E19rocblas_complex_numIdES1_PKS1_PS1_EviT_T9_T10_S5_lS7_S5_lS6_T11_S5_li,comdat
	.globl	_ZL29rocblas_internal_gemmt_kernelIiLi16ELi32ELi8ELc84ELc78ELc85ELb0ELb0E19rocblas_complex_numIdES1_PKS1_PS1_EviT_T9_T10_S5_lS7_S5_lS6_T11_S5_li ; -- Begin function _ZL29rocblas_internal_gemmt_kernelIiLi16ELi32ELi8ELc84ELc78ELc85ELb0ELb0E19rocblas_complex_numIdES1_PKS1_PS1_EviT_T9_T10_S5_lS7_S5_lS6_T11_S5_li
	.p2align	8
	.type	_ZL29rocblas_internal_gemmt_kernelIiLi16ELi32ELi8ELc84ELc78ELc85ELb0ELb0E19rocblas_complex_numIdES1_PKS1_PS1_EviT_T9_T10_S5_lS7_S5_lS6_T11_S5_li,@function
_ZL29rocblas_internal_gemmt_kernelIiLi16ELi32ELi8ELc84ELc78ELc85ELb0ELb0E19rocblas_complex_numIdES1_PKS1_PS1_EviT_T9_T10_S5_lS7_S5_lS6_T11_S5_li: ; @_ZL29rocblas_internal_gemmt_kernelIiLi16ELi32ELi8ELc84ELc78ELc85ELb0ELb0E19rocblas_complex_numIdES1_PKS1_PS1_EviT_T9_T10_S5_lS7_S5_lS6_T11_S5_li
; %bb.0:
	s_clause 0x2
	s_load_b256 s[4:11], s[0:1], 0x40
	s_load_b64 s[24:25], s[0:1], 0x0
	s_load_b128 s[12:15], s[0:1], 0x8
	s_wait_kmcnt 0x0
	v_cmp_eq_f64_e64 s2, s[6:7], 1.0
	v_cmp_eq_f64_e64 s30, s[8:9], 0
	s_and_b32 s2, s2, s30
	s_delay_alu instid0(SALU_CYCLE_1)
	s_and_not1_b32 vcc_lo, exec_lo, s2
	s_mov_b32 s2, -1
	s_cbranch_vccnz .LBB129_3
; %bb.1:
	s_cmp_lg_u32 s25, 0
	s_cbranch_scc0 .LBB129_38
; %bb.2:
	v_cmp_neq_f64_e64 s2, s[12:13], 0
	v_cmp_neq_f64_e64 s3, s[14:15], 0
	s_or_b32 s2, s2, s3
.LBB129_3:
	s_delay_alu instid0(SALU_CYCLE_1)
	s_and_b32 vcc_lo, exec_lo, s2
	s_cbranch_vccz .LBB129_39
; %bb.4:
	s_load_b32 s23, s[0:1], 0x70
	s_lshr_b32 s26, ttmp7, 16
	s_wait_kmcnt 0x0
	s_cmp_ge_u32 s26, s23
	s_cbranch_scc1 .LBB129_39
; %bb.5:
	v_cmp_neq_f64_e64 s31, s[12:13], 0
	v_cmp_neq_f64_e64 s33, s[14:15], 0
	v_and_b32_e32 v1, 0x3ff, v0
	v_bfe_u32 v2, v0, 10, 10
	s_clause 0x4
	s_load_b96 s[20:22], s[0:1], 0x18
	s_load_b128 s[16:19], s[0:1], 0x28
	s_load_b32 s35, s[0:1], 0x38
	s_load_b32 s36, s[0:1], 0x60
	s_load_b64 s[28:29], s[0:1], 0x68
	v_and_b32_e32 v37, 7, v0
	s_lshl_b32 s1, ttmp9, 5
	v_lshlrev_b32_e32 v38, 4, v1
	v_lshl_add_u32 v0, v2, 4, v1
	v_add_nc_u32_e32 v5, s1, v1
	v_lshlrev_b32_e32 v4, 4, v37
	s_lshl_b32 s0, ttmp7, 5
	v_cmp_neq_f64_e64 s34, s[6:7], 0
	v_lshrrev_b32_e32 v40, 5, v0
	v_lshrrev_b32_e32 v1, 3, v0
	v_and_b32_e32 v0, 31, v0
	s_wait_alu 0xfffe
	s_and_b32 s2, s0, 0x1fffe0
	v_lshl_add_u32 v39, v2, 7, 0x1000
	v_add_nc_u32_e32 v2, s2, v2
	v_add_nc_u32_e32 v7, 16, v5
	v_or_b32_e32 v3, s1, v0
	v_lshlrev_b32_e32 v0, 4, v0
	v_add_nc_u32_e32 v9, s2, v1
	v_lshl_or_b32 v1, v1, 7, v4
	v_cmp_gt_i32_e32 vcc_lo, s24, v2
	v_cmp_le_i32_e64 s0, v5, v2
	v_add_nc_u32_e32 v11, 16, v2
	v_cmp_le_i32_e64 s1, v7, v2
	v_cmp_gt_i32_e64 s2, s24, v3
	v_lshl_or_b32 v41, v40, 9, v0
	v_add_nc_u32_e32 v42, 0x1000, v1
	s_wait_kmcnt 0x0
	v_mad_co_i64_i32 v[0:1], null, v2, s36, 0
	v_mad_co_i64_i32 v[2:3], null, s22, v3, 0
	v_cmp_gt_i32_e64 s3, s24, v9
	v_mad_co_i64_i32 v[9:10], null, s35, v9, 0
	v_lshlrev_b32_e32 v12, 4, v40
	s_or_b32 s37, s31, s33
	s_cmp_gt_i32 s25, 0
	s_delay_alu instid0(VALU_DEP_4)
	v_lshlrev_b64_e32 v[2:3], 4, v[2:3]
	s_cselect_b32 s38, -1, 0
	s_and_b32 s22, vcc_lo, s0
	s_and_b32 s31, vcc_lo, s1
	v_cmp_gt_i32_e32 vcc_lo, s24, v11
	v_cmp_le_i32_e64 s0, v5, v11
	v_cmp_le_i32_e64 s1, v7, v11
	v_mad_co_i64_i32 v[15:16], null, v11, s36, 0
	v_lshlrev_b64_e32 v[13:14], 4, v[0:1]
	s_delay_alu instid0(VALU_DEP_4) | instskip(NEXT) | instid1(VALU_DEP_3)
	s_and_b32 s24, vcc_lo, s0
	s_and_b32 s33, vcc_lo, s1
	v_add_co_u32 v11, vcc_lo, v2, v12
	s_delay_alu instid0(VALU_DEP_1) | instskip(SKIP_1) | instid1(VALU_DEP_3)
	v_add_co_ci_u32_e64 v12, null, 0, v3, vcc_lo
	v_lshlrev_b64_e32 v[2:3], 4, v[9:10]
	v_add_co_u32 v9, vcc_lo, s20, v11
	s_wait_alu 0xfffd
	s_delay_alu instid0(VALU_DEP_3) | instskip(SKIP_1) | instid1(VALU_DEP_4)
	v_add_co_ci_u32_e64 v10, null, s21, v12, vcc_lo
	v_lshlrev_b64_e32 v[15:16], 4, v[15:16]
	v_add_co_u32 v2, vcc_lo, v2, v4
	s_wait_alu 0xfffd
	v_add_co_ci_u32_e64 v3, null, 0, v3, vcc_lo
	v_ashrrev_i32_e32 v6, 31, v5
	s_delay_alu instid0(VALU_DEP_3)
	v_add_co_u32 v11, vcc_lo, s18, v2
	v_ashrrev_i32_e32 v8, 31, v7
	s_wait_alu 0xfffd
	v_add_co_ci_u32_e64 v12, null, s19, v3, vcc_lo
	v_mov_b32_e32 v0, 0
	s_xor_b32 s30, s30, -1
	s_mov_b32 s27, 0
	s_or_b32 s30, s34, s30
	s_lshl_b64 s[0:1], s[16:17], 4
	s_wait_alu 0xfffe
	s_and_b32 s16, s37, s38
	s_lshl_b64 s[4:5], s[4:5], 4
	s_xor_b32 s17, s2, -1
	s_xor_b32 s18, s3, -1
	s_branch .LBB129_7
.LBB129_6:                              ;   in Loop: Header=BB129_7 Depth=1
	s_wait_alu 0xfffe
	s_or_b32 exec_lo, exec_lo, s2
	s_add_co_i32 s26, s26, 0x10000
	s_wait_alu 0xfffe
	s_cmp_lt_u32 s26, s23
	s_cbranch_scc0 .LBB129_39
.LBB129_7:                              ; =>This Loop Header: Depth=1
                                        ;     Child Loop BB129_10 Depth 2
	v_mov_b32_e32 v33, 0
	v_mov_b32_e32 v29, 0
	;; [unrolled: 1-line block ×3, first 2 shown]
	v_dual_mov_b32 v23, 0 :: v_dual_mov_b32 v34, 0
	v_dual_mov_b32 v35, 0 :: v_dual_mov_b32 v30, 0
	;; [unrolled: 1-line block ×5, first 2 shown]
	v_mov_b32_e32 v32, 0
	v_mov_b32_e32 v28, 0
	;; [unrolled: 1-line block ×3, first 2 shown]
	s_and_not1_b32 vcc_lo, exec_lo, s16
	s_wait_alu 0xfffe
	s_cbranch_vccnz .LBB129_18
; %bb.8:                                ;   in Loop: Header=BB129_7 Depth=1
	v_mad_co_u64_u32 v[17:18], null, s0, s26, v[9:10]
	v_mad_co_u64_u32 v[19:20], null, s4, s26, v[11:12]
	v_mov_b32_e32 v21, 0
	v_mov_b32_e32 v23, 0
	;; [unrolled: 1-line block ×4, first 2 shown]
	v_dual_mov_b32 v1, v18 :: v_dual_mov_b32 v22, 0
	v_mov_b32_e32 v2, v20
	v_dual_mov_b32 v24, 0 :: v_dual_mov_b32 v27, 0
	v_dual_mov_b32 v26, 0 :: v_dual_mov_b32 v31, 0
	s_delay_alu instid0(VALU_DEP_3)
	v_mad_co_u64_u32 v[3:4], null, s1, s26, v[1:2]
	v_dual_mov_b32 v30, 0 :: v_dual_mov_b32 v35, 0
	v_dual_mov_b32 v33, 0 :: v_dual_mov_b32 v28, 0
	v_mov_b32_e32 v32, 0
	v_mov_b32_e32 v36, 0
	v_mad_co_u64_u32 v[1:2], null, s5, s26, v[2:3]
	v_mov_b32_e32 v34, 0
	v_mov_b32_e32 v18, v3
	s_mov_b32 s2, 0
	s_delay_alu instid0(VALU_DEP_3)
	v_mov_b32_e32 v20, v1
	s_branch .LBB129_10
.LBB129_9:                              ;   in Loop: Header=BB129_10 Depth=2
	s_wait_alu 0xfffe
	s_or_b32 exec_lo, exec_lo, s3
	s_wait_dscnt 0x0
	s_barrier_signal -1
	s_barrier_wait -1
	global_inv scope:SCOPE_SE
	ds_load_b128 v[1:4], v39
	ds_load_b128 v[43:46], v39 offset:16
	ds_load_b128 v[47:50], v39 offset:32
	;; [unrolled: 1-line block ×3, first 2 shown]
	ds_load_b128 v[55:58], v38
	v_add_co_u32 v17, vcc_lo, 0x80, v17
	s_wait_alu 0xfffd
	v_add_co_ci_u32_e64 v18, null, 0, v18, vcc_lo
	v_add_co_u32 v19, vcc_lo, 0x80, v19
	s_wait_alu 0xfffd
	v_add_co_ci_u32_e64 v20, null, 0, v20, vcc_lo
	s_add_co_i32 s2, s2, 8
	s_wait_alu 0xfffe
	s_cmp_lt_i32 s2, s25
	s_wait_dscnt 0x0
	v_mul_f64_e32 v[59:60], v[3:4], v[57:58]
	v_mul_f64_e32 v[61:62], v[1:2], v[57:58]
	s_delay_alu instid0(VALU_DEP_2) | instskip(NEXT) | instid1(VALU_DEP_2)
	v_fma_f64 v[59:60], v[1:2], v[55:56], -v[59:60]
	v_fma_f64 v[61:62], v[3:4], v[55:56], v[61:62]
	s_delay_alu instid0(VALU_DEP_2) | instskip(NEXT) | instid1(VALU_DEP_2)
	v_add_f64_e32 v[59:60], v[33:34], v[59:60]
	v_add_f64_e32 v[61:62], v[61:62], v[35:36]
	ds_load_b128 v[33:36], v38 offset:256
	s_wait_dscnt 0x0
	v_mul_f64_e32 v[63:64], v[3:4], v[35:36]
	s_delay_alu instid0(VALU_DEP_1) | instskip(SKIP_1) | instid1(VALU_DEP_2)
	v_fma_f64 v[63:64], v[1:2], v[33:34], -v[63:64]
	v_mul_f64_e32 v[1:2], v[1:2], v[35:36]
	v_add_f64_e32 v[29:30], v[29:30], v[63:64]
	s_delay_alu instid0(VALU_DEP_2) | instskip(NEXT) | instid1(VALU_DEP_1)
	v_fma_f64 v[1:2], v[3:4], v[33:34], v[1:2]
	v_add_f64_e32 v[31:32], v[1:2], v[31:32]
	ds_load_b128 v[1:4], v39 offset:2048
	s_wait_dscnt 0x0
	v_mul_f64_e32 v[63:64], v[3:4], v[57:58]
	v_mul_f64_e32 v[57:58], v[1:2], v[57:58]
	s_delay_alu instid0(VALU_DEP_2) | instskip(NEXT) | instid1(VALU_DEP_2)
	v_fma_f64 v[63:64], v[1:2], v[55:56], -v[63:64]
	v_fma_f64 v[55:56], v[3:4], v[55:56], v[57:58]
	s_delay_alu instid0(VALU_DEP_2) | instskip(SKIP_1) | instid1(VALU_DEP_3)
	v_add_f64_e32 v[57:58], v[25:26], v[63:64]
	v_mul_f64_e32 v[25:26], v[3:4], v[35:36]
	v_add_f64_e32 v[55:56], v[55:56], v[27:28]
	s_delay_alu instid0(VALU_DEP_2) | instskip(SKIP_1) | instid1(VALU_DEP_1)
	v_fma_f64 v[25:26], v[1:2], v[33:34], -v[25:26]
	v_mul_f64_e32 v[1:2], v[1:2], v[35:36]
	v_fma_f64 v[1:2], v[3:4], v[33:34], v[1:2]
	s_delay_alu instid0(VALU_DEP_3) | instskip(NEXT) | instid1(VALU_DEP_2)
	v_add_f64_e32 v[33:34], v[23:24], v[25:26]
	v_add_f64_e32 v[35:36], v[1:2], v[21:22]
	ds_load_b128 v[1:4], v38 offset:512
	s_wait_dscnt 0x0
	v_mul_f64_e32 v[21:22], v[45:46], v[3:4]
	v_mul_f64_e32 v[23:24], v[43:44], v[3:4]
	s_delay_alu instid0(VALU_DEP_2) | instskip(NEXT) | instid1(VALU_DEP_2)
	v_fma_f64 v[21:22], v[43:44], v[1:2], -v[21:22]
	v_fma_f64 v[23:24], v[45:46], v[1:2], v[23:24]
	s_delay_alu instid0(VALU_DEP_2) | instskip(NEXT) | instid1(VALU_DEP_2)
	v_add_f64_e32 v[59:60], v[59:60], v[21:22]
	v_add_f64_e32 v[61:62], v[23:24], v[61:62]
	ds_load_b128 v[21:24], v38 offset:768
	s_wait_dscnt 0x0
	v_mul_f64_e32 v[25:26], v[45:46], v[23:24]
	v_mul_f64_e32 v[27:28], v[43:44], v[23:24]
	s_delay_alu instid0(VALU_DEP_2) | instskip(NEXT) | instid1(VALU_DEP_2)
	v_fma_f64 v[25:26], v[43:44], v[21:22], -v[25:26]
	v_fma_f64 v[27:28], v[45:46], v[21:22], v[27:28]
	s_delay_alu instid0(VALU_DEP_2) | instskip(NEXT) | instid1(VALU_DEP_2)
	v_add_f64_e32 v[29:30], v[29:30], v[25:26]
	v_add_f64_e32 v[31:32], v[27:28], v[31:32]
	ds_load_b128 v[25:28], v39 offset:2064
	s_wait_dscnt 0x0
	v_mul_f64_e32 v[43:44], v[27:28], v[3:4]
	v_mul_f64_e32 v[3:4], v[25:26], v[3:4]
	s_delay_alu instid0(VALU_DEP_2) | instskip(NEXT) | instid1(VALU_DEP_2)
	v_fma_f64 v[43:44], v[25:26], v[1:2], -v[43:44]
	v_fma_f64 v[1:2], v[27:28], v[1:2], v[3:4]
	v_mul_f64_e32 v[3:4], v[25:26], v[23:24]
	s_delay_alu instid0(VALU_DEP_3) | instskip(NEXT) | instid1(VALU_DEP_3)
	v_add_f64_e32 v[43:44], v[57:58], v[43:44]
	v_add_f64_e32 v[45:46], v[1:2], v[55:56]
	v_mul_f64_e32 v[1:2], v[27:28], v[23:24]
	s_delay_alu instid0(VALU_DEP_4) | instskip(NEXT) | instid1(VALU_DEP_2)
	v_fma_f64 v[3:4], v[27:28], v[21:22], v[3:4]
	v_fma_f64 v[1:2], v[25:26], v[21:22], -v[1:2]
	s_delay_alu instid0(VALU_DEP_2) | instskip(NEXT) | instid1(VALU_DEP_2)
	v_add_f64_e32 v[35:36], v[3:4], v[35:36]
	v_add_f64_e32 v[33:34], v[33:34], v[1:2]
	ds_load_b128 v[1:4], v38 offset:1024
	s_wait_dscnt 0x0
	v_mul_f64_e32 v[21:22], v[49:50], v[3:4]
	v_mul_f64_e32 v[23:24], v[47:48], v[3:4]
	s_delay_alu instid0(VALU_DEP_2) | instskip(NEXT) | instid1(VALU_DEP_2)
	v_fma_f64 v[21:22], v[47:48], v[1:2], -v[21:22]
	v_fma_f64 v[23:24], v[49:50], v[1:2], v[23:24]
	s_delay_alu instid0(VALU_DEP_2) | instskip(NEXT) | instid1(VALU_DEP_2)
	v_add_f64_e32 v[55:56], v[59:60], v[21:22]
	v_add_f64_e32 v[57:58], v[23:24], v[61:62]
	ds_load_b128 v[21:24], v38 offset:1280
	s_wait_dscnt 0x0
	v_mul_f64_e32 v[25:26], v[49:50], v[23:24]
	v_mul_f64_e32 v[27:28], v[47:48], v[23:24]
	s_delay_alu instid0(VALU_DEP_2) | instskip(NEXT) | instid1(VALU_DEP_2)
	v_fma_f64 v[25:26], v[47:48], v[21:22], -v[25:26]
	v_fma_f64 v[27:28], v[49:50], v[21:22], v[27:28]
	s_delay_alu instid0(VALU_DEP_2) | instskip(NEXT) | instid1(VALU_DEP_2)
	v_add_f64_e32 v[29:30], v[29:30], v[25:26]
	v_add_f64_e32 v[31:32], v[27:28], v[31:32]
	ds_load_b128 v[25:28], v39 offset:2080
	s_wait_dscnt 0x0
	v_mul_f64_e32 v[47:48], v[27:28], v[3:4]
	v_mul_f64_e32 v[3:4], v[25:26], v[3:4]
	s_delay_alu instid0(VALU_DEP_2) | instskip(NEXT) | instid1(VALU_DEP_2)
	v_fma_f64 v[47:48], v[25:26], v[1:2], -v[47:48]
	v_fma_f64 v[1:2], v[27:28], v[1:2], v[3:4]
	v_mul_f64_e32 v[3:4], v[25:26], v[23:24]
	s_delay_alu instid0(VALU_DEP_3) | instskip(NEXT) | instid1(VALU_DEP_3)
	v_add_f64_e32 v[43:44], v[43:44], v[47:48]
	v_add_f64_e32 v[45:46], v[1:2], v[45:46]
	v_mul_f64_e32 v[1:2], v[27:28], v[23:24]
	s_delay_alu instid0(VALU_DEP_4) | instskip(NEXT) | instid1(VALU_DEP_2)
	v_fma_f64 v[3:4], v[27:28], v[21:22], v[3:4]
	v_fma_f64 v[1:2], v[25:26], v[21:22], -v[1:2]
	s_delay_alu instid0(VALU_DEP_2) | instskip(NEXT) | instid1(VALU_DEP_2)
	;; [unrolled: 38-line block ×3, first 2 shown]
	v_add_f64_e32 v[35:36], v[3:4], v[35:36]
	v_add_f64_e32 v[33:34], v[33:34], v[1:2]
	ds_load_b128 v[1:4], v39 offset:64
	ds_load_b128 v[21:24], v38 offset:2048
	s_wait_dscnt 0x0
	v_mul_f64_e32 v[25:26], v[3:4], v[23:24]
	v_mul_f64_e32 v[27:28], v[1:2], v[23:24]
	s_delay_alu instid0(VALU_DEP_2) | instskip(NEXT) | instid1(VALU_DEP_2)
	v_fma_f64 v[25:26], v[1:2], v[21:22], -v[25:26]
	v_fma_f64 v[27:28], v[3:4], v[21:22], v[27:28]
	s_delay_alu instid0(VALU_DEP_2) | instskip(NEXT) | instid1(VALU_DEP_2)
	v_add_f64_e32 v[47:48], v[47:48], v[25:26]
	v_add_f64_e32 v[49:50], v[27:28], v[49:50]
	ds_load_b128 v[25:28], v38 offset:2304
	s_wait_dscnt 0x0
	v_mul_f64_e32 v[51:52], v[3:4], v[27:28]
	s_delay_alu instid0(VALU_DEP_1) | instskip(SKIP_1) | instid1(VALU_DEP_2)
	v_fma_f64 v[51:52], v[1:2], v[25:26], -v[51:52]
	v_mul_f64_e32 v[1:2], v[1:2], v[27:28]
	v_add_f64_e32 v[29:30], v[29:30], v[51:52]
	s_delay_alu instid0(VALU_DEP_2) | instskip(NEXT) | instid1(VALU_DEP_1)
	v_fma_f64 v[1:2], v[3:4], v[25:26], v[1:2]
	v_add_f64_e32 v[31:32], v[1:2], v[31:32]
	ds_load_b128 v[1:4], v39 offset:2112
	s_wait_dscnt 0x0
	v_mul_f64_e32 v[51:52], v[3:4], v[23:24]
	v_mul_f64_e32 v[23:24], v[1:2], v[23:24]
	s_delay_alu instid0(VALU_DEP_2) | instskip(NEXT) | instid1(VALU_DEP_2)
	v_fma_f64 v[51:52], v[1:2], v[21:22], -v[51:52]
	v_fma_f64 v[21:22], v[3:4], v[21:22], v[23:24]
	s_delay_alu instid0(VALU_DEP_2) | instskip(NEXT) | instid1(VALU_DEP_2)
	v_add_f64_e32 v[43:44], v[43:44], v[51:52]
	v_add_f64_e32 v[45:46], v[21:22], v[45:46]
	v_mul_f64_e32 v[21:22], v[3:4], v[27:28]
	s_delay_alu instid0(VALU_DEP_1) | instskip(SKIP_1) | instid1(VALU_DEP_2)
	v_fma_f64 v[21:22], v[1:2], v[25:26], -v[21:22]
	v_mul_f64_e32 v[1:2], v[1:2], v[27:28]
	v_add_f64_e32 v[33:34], v[33:34], v[21:22]
	s_delay_alu instid0(VALU_DEP_2) | instskip(NEXT) | instid1(VALU_DEP_1)
	v_fma_f64 v[1:2], v[3:4], v[25:26], v[1:2]
	v_add_f64_e32 v[35:36], v[1:2], v[35:36]
	ds_load_b128 v[1:4], v39 offset:80
	ds_load_b128 v[21:24], v38 offset:2560
	s_wait_dscnt 0x0
	v_mul_f64_e32 v[25:26], v[3:4], v[23:24]
	v_mul_f64_e32 v[27:28], v[1:2], v[23:24]
	s_delay_alu instid0(VALU_DEP_2) | instskip(NEXT) | instid1(VALU_DEP_2)
	v_fma_f64 v[25:26], v[1:2], v[21:22], -v[25:26]
	v_fma_f64 v[27:28], v[3:4], v[21:22], v[27:28]
	s_delay_alu instid0(VALU_DEP_2) | instskip(NEXT) | instid1(VALU_DEP_2)
	v_add_f64_e32 v[47:48], v[47:48], v[25:26]
	v_add_f64_e32 v[49:50], v[27:28], v[49:50]
	ds_load_b128 v[25:28], v38 offset:2816
	s_wait_dscnt 0x0
	v_mul_f64_e32 v[51:52], v[3:4], v[27:28]
	s_delay_alu instid0(VALU_DEP_1) | instskip(SKIP_1) | instid1(VALU_DEP_2)
	v_fma_f64 v[51:52], v[1:2], v[25:26], -v[51:52]
	v_mul_f64_e32 v[1:2], v[1:2], v[27:28]
	v_add_f64_e32 v[29:30], v[29:30], v[51:52]
	s_delay_alu instid0(VALU_DEP_2) | instskip(NEXT) | instid1(VALU_DEP_1)
	v_fma_f64 v[1:2], v[3:4], v[25:26], v[1:2]
	v_add_f64_e32 v[31:32], v[1:2], v[31:32]
	ds_load_b128 v[1:4], v39 offset:2128
	s_wait_dscnt 0x0
	v_mul_f64_e32 v[51:52], v[3:4], v[23:24]
	v_mul_f64_e32 v[23:24], v[1:2], v[23:24]
	s_delay_alu instid0(VALU_DEP_2) | instskip(NEXT) | instid1(VALU_DEP_2)
	v_fma_f64 v[51:52], v[1:2], v[21:22], -v[51:52]
	v_fma_f64 v[21:22], v[3:4], v[21:22], v[23:24]
	s_delay_alu instid0(VALU_DEP_2) | instskip(NEXT) | instid1(VALU_DEP_2)
	v_add_f64_e32 v[43:44], v[43:44], v[51:52]
	v_add_f64_e32 v[45:46], v[21:22], v[45:46]
	v_mul_f64_e32 v[21:22], v[3:4], v[27:28]
	s_delay_alu instid0(VALU_DEP_1) | instskip(SKIP_1) | instid1(VALU_DEP_2)
	v_fma_f64 v[21:22], v[1:2], v[25:26], -v[21:22]
	v_mul_f64_e32 v[1:2], v[1:2], v[27:28]
	v_add_f64_e32 v[33:34], v[33:34], v[21:22]
	s_delay_alu instid0(VALU_DEP_2) | instskip(NEXT) | instid1(VALU_DEP_1)
	v_fma_f64 v[1:2], v[3:4], v[25:26], v[1:2]
	;; [unrolled: 39-line block ×3, first 2 shown]
	v_add_f64_e32 v[57:58], v[1:2], v[35:36]
	ds_load_b128 v[1:4], v39 offset:112
	ds_load_b128 v[21:24], v38 offset:3584
	;; [unrolled: 1-line block ×3, first 2 shown]
	s_wait_dscnt 0x1
	v_mul_f64_e32 v[25:26], v[3:4], v[23:24]
	v_mul_f64_e32 v[27:28], v[1:2], v[23:24]
	s_delay_alu instid0(VALU_DEP_2) | instskip(NEXT) | instid1(VALU_DEP_2)
	v_fma_f64 v[25:26], v[1:2], v[21:22], -v[25:26]
	v_fma_f64 v[27:28], v[3:4], v[21:22], v[27:28]
	s_delay_alu instid0(VALU_DEP_2) | instskip(SKIP_2) | instid1(VALU_DEP_3)
	v_add_f64_e32 v[33:34], v[47:48], v[25:26]
	s_wait_dscnt 0x0
	v_mul_f64_e32 v[25:26], v[3:4], v[45:46]
	v_add_f64_e32 v[35:36], v[27:28], v[49:50]
	s_delay_alu instid0(VALU_DEP_2) | instskip(SKIP_1) | instid1(VALU_DEP_2)
	v_fma_f64 v[25:26], v[1:2], v[43:44], -v[25:26]
	v_mul_f64_e32 v[1:2], v[1:2], v[45:46]
	v_add_f64_e32 v[29:30], v[29:30], v[25:26]
	s_delay_alu instid0(VALU_DEP_2) | instskip(NEXT) | instid1(VALU_DEP_1)
	v_fma_f64 v[1:2], v[3:4], v[43:44], v[1:2]
	v_add_f64_e32 v[31:32], v[1:2], v[31:32]
	ds_load_b128 v[1:4], v39 offset:2160
	s_wait_loadcnt_dscnt 0x0
	s_barrier_signal -1
	s_barrier_wait -1
	global_inv scope:SCOPE_SE
	v_mul_f64_e32 v[25:26], v[3:4], v[23:24]
	v_mul_f64_e32 v[23:24], v[1:2], v[23:24]
	s_delay_alu instid0(VALU_DEP_2) | instskip(NEXT) | instid1(VALU_DEP_2)
	v_fma_f64 v[25:26], v[1:2], v[21:22], -v[25:26]
	v_fma_f64 v[21:22], v[3:4], v[21:22], v[23:24]
	s_delay_alu instid0(VALU_DEP_2) | instskip(NEXT) | instid1(VALU_DEP_2)
	v_add_f64_e32 v[25:26], v[51:52], v[25:26]
	v_add_f64_e32 v[27:28], v[21:22], v[53:54]
	v_mul_f64_e32 v[21:22], v[3:4], v[45:46]
	s_delay_alu instid0(VALU_DEP_1) | instskip(SKIP_1) | instid1(VALU_DEP_2)
	v_fma_f64 v[21:22], v[1:2], v[43:44], -v[21:22]
	v_mul_f64_e32 v[1:2], v[1:2], v[45:46]
	v_add_f64_e32 v[23:24], v[55:56], v[21:22]
	s_delay_alu instid0(VALU_DEP_2) | instskip(NEXT) | instid1(VALU_DEP_1)
	v_fma_f64 v[1:2], v[3:4], v[43:44], v[1:2]
	v_add_f64_e32 v[21:22], v[1:2], v[57:58]
	s_cbranch_scc0 .LBB129_18
.LBB129_10:                             ;   Parent Loop BB129_7 Depth=1
                                        ; =>  This Inner Loop Header: Depth=2
	s_wait_alu 0xfffe
	v_add_nc_u32_e32 v1, s2, v40
	s_delay_alu instid0(VALU_DEP_1)
	v_cmp_le_i32_e32 vcc_lo, s25, v1
	s_or_b32 s3, s17, vcc_lo
	s_wait_alu 0xfffe
	s_and_saveexec_b32 s19, s3
	s_wait_alu 0xfffe
	s_xor_b32 s3, exec_lo, s19
; %bb.11:                               ;   in Loop: Header=BB129_10 Depth=2
	v_dual_mov_b32 v1, v0 :: v_dual_mov_b32 v2, v0
	v_mov_b32_e32 v3, v0
	ds_store_b128 v41, v[0:3]
; %bb.12:                               ;   in Loop: Header=BB129_10 Depth=2
	s_wait_alu 0xfffe
	s_and_not1_saveexec_b32 s3, s3
	s_cbranch_execz .LBB129_14
; %bb.13:                               ;   in Loop: Header=BB129_10 Depth=2
	global_load_b128 v[1:4], v[17:18], off
	s_wait_loadcnt 0x0
	ds_store_2addr_b64 v41, v[1:2], v[3:4] offset1:1
.LBB129_14:                             ;   in Loop: Header=BB129_10 Depth=2
	s_wait_alu 0xfffe
	s_or_b32 exec_lo, exec_lo, s3
	v_add_nc_u32_e32 v1, s2, v37
	s_delay_alu instid0(VALU_DEP_1)
	v_cmp_le_i32_e32 vcc_lo, s25, v1
	s_or_b32 s3, vcc_lo, s18
	s_wait_alu 0xfffe
	s_and_saveexec_b32 s19, s3
	s_wait_alu 0xfffe
	s_xor_b32 s3, exec_lo, s19
; %bb.15:                               ;   in Loop: Header=BB129_10 Depth=2
	v_dual_mov_b32 v1, v0 :: v_dual_mov_b32 v2, v0
	v_mov_b32_e32 v3, v0
	ds_store_b128 v42, v[0:3]
; %bb.16:                               ;   in Loop: Header=BB129_10 Depth=2
	s_wait_alu 0xfffe
	s_and_not1_saveexec_b32 s3, s3
	s_cbranch_execz .LBB129_9
; %bb.17:                               ;   in Loop: Header=BB129_10 Depth=2
	global_load_b128 v[1:4], v[19:20], off
	s_wait_loadcnt 0x0
	ds_store_2addr_b64 v42, v[1:2], v[3:4] offset1:1
	s_branch .LBB129_9
.LBB129_18:                             ;   in Loop: Header=BB129_7 Depth=1
	s_mul_u64 s[2:3], s[28:29], s[26:27]
	s_wait_alu 0xfffe
	s_lshl_b64 s[2:3], s[2:3], 4
	s_wait_alu 0xfffe
	s_add_nc_u64 s[2:3], s[10:11], s[2:3]
	s_wait_alu 0xfffe
	v_add_co_u32 v17, vcc_lo, s2, v13
	s_wait_alu 0xfffd
	v_add_co_ci_u32_e64 v18, null, s3, v14, vcc_lo
	s_and_saveexec_b32 s19, s22
	s_cbranch_execz .LBB129_23
; %bb.19:                               ;   in Loop: Header=BB129_7 Depth=1
	v_mul_f64_e32 v[1:2], s[14:15], v[35:36]
	v_mul_f64_e32 v[3:4], s[12:13], v[35:36]
	s_and_b32 vcc_lo, exec_lo, s30
	s_mov_b32 s20, -1
	s_delay_alu instid0(VALU_DEP_2) | instskip(NEXT) | instid1(VALU_DEP_2)
	v_fma_f64 v[1:2], s[12:13], v[33:34], -v[1:2]
	v_fma_f64 v[3:4], s[14:15], v[33:34], v[3:4]
	s_wait_alu 0xfffe
	s_cbranch_vccz .LBB129_21
; %bb.20:                               ;   in Loop: Header=BB129_7 Depth=1
	v_lshlrev_b64_e32 v[19:20], 4, v[5:6]
	s_mov_b32 s20, 0
	s_delay_alu instid0(VALU_DEP_1) | instskip(SKIP_1) | instid1(VALU_DEP_2)
	v_add_co_u32 v19, vcc_lo, v17, v19
	s_wait_alu 0xfffd
	v_add_co_ci_u32_e64 v20, null, v18, v20, vcc_lo
	global_load_b128 v[33:36], v[19:20], off
	s_wait_loadcnt 0x0
	v_mul_f64_e32 v[43:44], s[8:9], v[35:36]
	v_mul_f64_e32 v[35:36], s[6:7], v[35:36]
	s_delay_alu instid0(VALU_DEP_2) | instskip(NEXT) | instid1(VALU_DEP_2)
	v_fma_f64 v[43:44], s[6:7], v[33:34], -v[43:44]
	v_fma_f64 v[35:36], s[8:9], v[33:34], v[35:36]
	s_delay_alu instid0(VALU_DEP_2) | instskip(NEXT) | instid1(VALU_DEP_2)
	v_add_f64_e32 v[33:34], v[1:2], v[43:44]
	v_add_f64_e32 v[35:36], v[3:4], v[35:36]
	global_store_b128 v[19:20], v[33:36], off
.LBB129_21:                             ;   in Loop: Header=BB129_7 Depth=1
	s_wait_alu 0xfffe
	s_and_not1_b32 vcc_lo, exec_lo, s20
	s_wait_alu 0xfffe
	s_cbranch_vccnz .LBB129_23
; %bb.22:                               ;   in Loop: Header=BB129_7 Depth=1
	v_lshlrev_b64_e32 v[19:20], 4, v[5:6]
	s_delay_alu instid0(VALU_DEP_1) | instskip(SKIP_1) | instid1(VALU_DEP_2)
	v_add_co_u32 v19, vcc_lo, v17, v19
	s_wait_alu 0xfffd
	v_add_co_ci_u32_e64 v20, null, v18, v20, vcc_lo
	global_store_b128 v[19:20], v[1:4], off
.LBB129_23:                             ;   in Loop: Header=BB129_7 Depth=1
	s_wait_alu 0xfffe
	s_or_b32 exec_lo, exec_lo, s19
	s_and_saveexec_b32 s19, s31
	s_cbranch_execz .LBB129_28
; %bb.24:                               ;   in Loop: Header=BB129_7 Depth=1
	v_mul_f64_e32 v[1:2], s[14:15], v[31:32]
	v_mul_f64_e32 v[3:4], s[12:13], v[31:32]
	s_and_not1_b32 vcc_lo, exec_lo, s30
	s_mov_b32 s20, -1
	s_delay_alu instid0(VALU_DEP_2) | instskip(NEXT) | instid1(VALU_DEP_2)
	v_fma_f64 v[1:2], s[12:13], v[29:30], -v[1:2]
	v_fma_f64 v[3:4], s[14:15], v[29:30], v[3:4]
	s_wait_alu 0xfffe
	s_cbranch_vccnz .LBB129_26
; %bb.25:                               ;   in Loop: Header=BB129_7 Depth=1
	v_lshlrev_b64_e32 v[19:20], 4, v[7:8]
	s_mov_b32 s20, 0
	s_delay_alu instid0(VALU_DEP_1) | instskip(SKIP_1) | instid1(VALU_DEP_2)
	v_add_co_u32 v19, vcc_lo, v17, v19
	s_wait_alu 0xfffd
	v_add_co_ci_u32_e64 v20, null, v18, v20, vcc_lo
	global_load_b128 v[29:32], v[19:20], off
	s_wait_loadcnt 0x0
	v_mul_f64_e32 v[33:34], s[8:9], v[31:32]
	v_mul_f64_e32 v[31:32], s[6:7], v[31:32]
	s_delay_alu instid0(VALU_DEP_2) | instskip(NEXT) | instid1(VALU_DEP_2)
	v_fma_f64 v[33:34], s[6:7], v[29:30], -v[33:34]
	v_fma_f64 v[31:32], s[8:9], v[29:30], v[31:32]
	s_delay_alu instid0(VALU_DEP_2) | instskip(NEXT) | instid1(VALU_DEP_2)
	v_add_f64_e32 v[29:30], v[1:2], v[33:34]
	v_add_f64_e32 v[31:32], v[3:4], v[31:32]
	global_store_b128 v[19:20], v[29:32], off
.LBB129_26:                             ;   in Loop: Header=BB129_7 Depth=1
	s_wait_alu 0xfffe
	s_and_not1_b32 vcc_lo, exec_lo, s20
	s_wait_alu 0xfffe
	s_cbranch_vccnz .LBB129_28
; %bb.27:                               ;   in Loop: Header=BB129_7 Depth=1
	v_lshlrev_b64_e32 v[19:20], 4, v[7:8]
	s_delay_alu instid0(VALU_DEP_1) | instskip(SKIP_1) | instid1(VALU_DEP_2)
	v_add_co_u32 v17, vcc_lo, v17, v19
	s_wait_alu 0xfffd
	v_add_co_ci_u32_e64 v18, null, v18, v20, vcc_lo
	global_store_b128 v[17:18], v[1:4], off
.LBB129_28:                             ;   in Loop: Header=BB129_7 Depth=1
	s_wait_alu 0xfffe
	s_or_b32 exec_lo, exec_lo, s19
	v_add_co_u32 v19, vcc_lo, s2, v15
	s_wait_alu 0xfffd
	v_add_co_ci_u32_e64 v20, null, s3, v16, vcc_lo
	s_and_saveexec_b32 s2, s24
	s_cbranch_execz .LBB129_33
; %bb.29:                               ;   in Loop: Header=BB129_7 Depth=1
	v_mul_f64_e32 v[1:2], s[14:15], v[27:28]
	v_mul_f64_e32 v[3:4], s[12:13], v[27:28]
	v_lshlrev_b64_e32 v[17:18], 4, v[5:6]
	s_and_not1_b32 vcc_lo, exec_lo, s30
	s_mov_b32 s3, -1
	s_delay_alu instid0(VALU_DEP_3) | instskip(NEXT) | instid1(VALU_DEP_3)
	v_fma_f64 v[1:2], s[12:13], v[25:26], -v[1:2]
	v_fma_f64 v[3:4], s[14:15], v[25:26], v[3:4]
	s_wait_alu 0xfffe
	s_cbranch_vccnz .LBB129_31
; %bb.30:                               ;   in Loop: Header=BB129_7 Depth=1
	v_add_co_u32 v29, vcc_lo, v19, v17
	s_wait_alu 0xfffd
	v_add_co_ci_u32_e64 v30, null, v20, v18, vcc_lo
	s_mov_b32 s3, 0
	global_load_b128 v[25:28], v[29:30], off
	s_wait_loadcnt 0x0
	v_mul_f64_e32 v[31:32], s[8:9], v[27:28]
	v_mul_f64_e32 v[27:28], s[6:7], v[27:28]
	s_delay_alu instid0(VALU_DEP_2) | instskip(NEXT) | instid1(VALU_DEP_2)
	v_fma_f64 v[31:32], s[6:7], v[25:26], -v[31:32]
	v_fma_f64 v[27:28], s[8:9], v[25:26], v[27:28]
	s_delay_alu instid0(VALU_DEP_2) | instskip(NEXT) | instid1(VALU_DEP_2)
	v_add_f64_e32 v[25:26], v[1:2], v[31:32]
	v_add_f64_e32 v[27:28], v[3:4], v[27:28]
	global_store_b128 v[29:30], v[25:28], off
.LBB129_31:                             ;   in Loop: Header=BB129_7 Depth=1
	s_wait_alu 0xfffe
	s_and_not1_b32 vcc_lo, exec_lo, s3
	s_wait_alu 0xfffe
	s_cbranch_vccnz .LBB129_33
; %bb.32:                               ;   in Loop: Header=BB129_7 Depth=1
	v_add_co_u32 v17, vcc_lo, v19, v17
	s_wait_alu 0xfffd
	v_add_co_ci_u32_e64 v18, null, v20, v18, vcc_lo
	global_store_b128 v[17:18], v[1:4], off
.LBB129_33:                             ;   in Loop: Header=BB129_7 Depth=1
	s_wait_alu 0xfffe
	s_or_b32 exec_lo, exec_lo, s2
	s_and_saveexec_b32 s2, s33
	s_cbranch_execz .LBB129_6
; %bb.34:                               ;   in Loop: Header=BB129_7 Depth=1
	v_mul_f64_e32 v[1:2], s[14:15], v[21:22]
	v_mul_f64_e32 v[3:4], s[12:13], v[21:22]
	v_lshlrev_b64_e32 v[17:18], 4, v[7:8]
	s_and_not1_b32 vcc_lo, exec_lo, s30
	s_mov_b32 s3, -1
	s_delay_alu instid0(VALU_DEP_3) | instskip(NEXT) | instid1(VALU_DEP_3)
	v_fma_f64 v[1:2], s[12:13], v[23:24], -v[1:2]
	v_fma_f64 v[3:4], s[14:15], v[23:24], v[3:4]
	s_wait_alu 0xfffe
	s_cbranch_vccnz .LBB129_36
; %bb.35:                               ;   in Loop: Header=BB129_7 Depth=1
	v_add_co_u32 v25, vcc_lo, v19, v17
	s_wait_alu 0xfffd
	v_add_co_ci_u32_e64 v26, null, v20, v18, vcc_lo
	s_mov_b32 s3, 0
	global_load_b128 v[21:24], v[25:26], off
	s_wait_loadcnt 0x0
	v_mul_f64_e32 v[27:28], s[8:9], v[23:24]
	v_mul_f64_e32 v[23:24], s[6:7], v[23:24]
	s_delay_alu instid0(VALU_DEP_2) | instskip(NEXT) | instid1(VALU_DEP_2)
	v_fma_f64 v[27:28], s[6:7], v[21:22], -v[27:28]
	v_fma_f64 v[23:24], s[8:9], v[21:22], v[23:24]
	s_delay_alu instid0(VALU_DEP_2) | instskip(NEXT) | instid1(VALU_DEP_2)
	v_add_f64_e32 v[21:22], v[1:2], v[27:28]
	v_add_f64_e32 v[23:24], v[3:4], v[23:24]
	global_store_b128 v[25:26], v[21:24], off
.LBB129_36:                             ;   in Loop: Header=BB129_7 Depth=1
	s_wait_alu 0xfffe
	s_and_not1_b32 vcc_lo, exec_lo, s3
	s_wait_alu 0xfffe
	s_cbranch_vccnz .LBB129_6
; %bb.37:                               ;   in Loop: Header=BB129_7 Depth=1
	v_add_co_u32 v17, vcc_lo, v19, v17
	s_wait_alu 0xfffd
	v_add_co_ci_u32_e64 v18, null, v20, v18, vcc_lo
	global_store_b128 v[17:18], v[1:4], off
	s_branch .LBB129_6
.LBB129_38:
.LBB129_39:
	s_endpgm
	.section	.rodata,"a",@progbits
	.p2align	6, 0x0
	.amdhsa_kernel _ZL29rocblas_internal_gemmt_kernelIiLi16ELi32ELi8ELc84ELc78ELc85ELb0ELb0E19rocblas_complex_numIdES1_PKS1_PS1_EviT_T9_T10_S5_lS7_S5_lS6_T11_S5_li
		.amdhsa_group_segment_fixed_size 8192
		.amdhsa_private_segment_fixed_size 0
		.amdhsa_kernarg_size 116
		.amdhsa_user_sgpr_count 2
		.amdhsa_user_sgpr_dispatch_ptr 0
		.amdhsa_user_sgpr_queue_ptr 0
		.amdhsa_user_sgpr_kernarg_segment_ptr 1
		.amdhsa_user_sgpr_dispatch_id 0
		.amdhsa_user_sgpr_private_segment_size 0
		.amdhsa_wavefront_size32 1
		.amdhsa_uses_dynamic_stack 0
		.amdhsa_enable_private_segment 0
		.amdhsa_system_sgpr_workgroup_id_x 1
		.amdhsa_system_sgpr_workgroup_id_y 1
		.amdhsa_system_sgpr_workgroup_id_z 1
		.amdhsa_system_sgpr_workgroup_info 0
		.amdhsa_system_vgpr_workitem_id 1
		.amdhsa_next_free_vgpr 65
		.amdhsa_next_free_sgpr 39
		.amdhsa_reserve_vcc 1
		.amdhsa_float_round_mode_32 0
		.amdhsa_float_round_mode_16_64 0
		.amdhsa_float_denorm_mode_32 3
		.amdhsa_float_denorm_mode_16_64 3
		.amdhsa_fp16_overflow 0
		.amdhsa_workgroup_processor_mode 1
		.amdhsa_memory_ordered 1
		.amdhsa_forward_progress 1
		.amdhsa_inst_pref_size 29
		.amdhsa_round_robin_scheduling 0
		.amdhsa_exception_fp_ieee_invalid_op 0
		.amdhsa_exception_fp_denorm_src 0
		.amdhsa_exception_fp_ieee_div_zero 0
		.amdhsa_exception_fp_ieee_overflow 0
		.amdhsa_exception_fp_ieee_underflow 0
		.amdhsa_exception_fp_ieee_inexact 0
		.amdhsa_exception_int_div_zero 0
	.end_amdhsa_kernel
	.section	.text._ZL29rocblas_internal_gemmt_kernelIiLi16ELi32ELi8ELc84ELc78ELc85ELb0ELb0E19rocblas_complex_numIdES1_PKS1_PS1_EviT_T9_T10_S5_lS7_S5_lS6_T11_S5_li,"axG",@progbits,_ZL29rocblas_internal_gemmt_kernelIiLi16ELi32ELi8ELc84ELc78ELc85ELb0ELb0E19rocblas_complex_numIdES1_PKS1_PS1_EviT_T9_T10_S5_lS7_S5_lS6_T11_S5_li,comdat
.Lfunc_end129:
	.size	_ZL29rocblas_internal_gemmt_kernelIiLi16ELi32ELi8ELc84ELc78ELc85ELb0ELb0E19rocblas_complex_numIdES1_PKS1_PS1_EviT_T9_T10_S5_lS7_S5_lS6_T11_S5_li, .Lfunc_end129-_ZL29rocblas_internal_gemmt_kernelIiLi16ELi32ELi8ELc84ELc78ELc85ELb0ELb0E19rocblas_complex_numIdES1_PKS1_PS1_EviT_T9_T10_S5_lS7_S5_lS6_T11_S5_li
                                        ; -- End function
	.set _ZL29rocblas_internal_gemmt_kernelIiLi16ELi32ELi8ELc84ELc78ELc85ELb0ELb0E19rocblas_complex_numIdES1_PKS1_PS1_EviT_T9_T10_S5_lS7_S5_lS6_T11_S5_li.num_vgpr, 65
	.set _ZL29rocblas_internal_gemmt_kernelIiLi16ELi32ELi8ELc84ELc78ELc85ELb0ELb0E19rocblas_complex_numIdES1_PKS1_PS1_EviT_T9_T10_S5_lS7_S5_lS6_T11_S5_li.num_agpr, 0
	.set _ZL29rocblas_internal_gemmt_kernelIiLi16ELi32ELi8ELc84ELc78ELc85ELb0ELb0E19rocblas_complex_numIdES1_PKS1_PS1_EviT_T9_T10_S5_lS7_S5_lS6_T11_S5_li.numbered_sgpr, 39
	.set _ZL29rocblas_internal_gemmt_kernelIiLi16ELi32ELi8ELc84ELc78ELc85ELb0ELb0E19rocblas_complex_numIdES1_PKS1_PS1_EviT_T9_T10_S5_lS7_S5_lS6_T11_S5_li.num_named_barrier, 0
	.set _ZL29rocblas_internal_gemmt_kernelIiLi16ELi32ELi8ELc84ELc78ELc85ELb0ELb0E19rocblas_complex_numIdES1_PKS1_PS1_EviT_T9_T10_S5_lS7_S5_lS6_T11_S5_li.private_seg_size, 0
	.set _ZL29rocblas_internal_gemmt_kernelIiLi16ELi32ELi8ELc84ELc78ELc85ELb0ELb0E19rocblas_complex_numIdES1_PKS1_PS1_EviT_T9_T10_S5_lS7_S5_lS6_T11_S5_li.uses_vcc, 1
	.set _ZL29rocblas_internal_gemmt_kernelIiLi16ELi32ELi8ELc84ELc78ELc85ELb0ELb0E19rocblas_complex_numIdES1_PKS1_PS1_EviT_T9_T10_S5_lS7_S5_lS6_T11_S5_li.uses_flat_scratch, 0
	.set _ZL29rocblas_internal_gemmt_kernelIiLi16ELi32ELi8ELc84ELc78ELc85ELb0ELb0E19rocblas_complex_numIdES1_PKS1_PS1_EviT_T9_T10_S5_lS7_S5_lS6_T11_S5_li.has_dyn_sized_stack, 0
	.set _ZL29rocblas_internal_gemmt_kernelIiLi16ELi32ELi8ELc84ELc78ELc85ELb0ELb0E19rocblas_complex_numIdES1_PKS1_PS1_EviT_T9_T10_S5_lS7_S5_lS6_T11_S5_li.has_recursion, 0
	.set _ZL29rocblas_internal_gemmt_kernelIiLi16ELi32ELi8ELc84ELc78ELc85ELb0ELb0E19rocblas_complex_numIdES1_PKS1_PS1_EviT_T9_T10_S5_lS7_S5_lS6_T11_S5_li.has_indirect_call, 0
	.section	.AMDGPU.csdata,"",@progbits
; Kernel info:
; codeLenInByte = 3696
; TotalNumSgprs: 41
; NumVgprs: 65
; ScratchSize: 0
; MemoryBound: 0
; FloatMode: 240
; IeeeMode: 1
; LDSByteSize: 8192 bytes/workgroup (compile time only)
; SGPRBlocks: 0
; VGPRBlocks: 8
; NumSGPRsForWavesPerEU: 41
; NumVGPRsForWavesPerEU: 65
; Occupancy: 16
; WaveLimiterHint : 0
; COMPUTE_PGM_RSRC2:SCRATCH_EN: 0
; COMPUTE_PGM_RSRC2:USER_SGPR: 2
; COMPUTE_PGM_RSRC2:TRAP_HANDLER: 0
; COMPUTE_PGM_RSRC2:TGID_X_EN: 1
; COMPUTE_PGM_RSRC2:TGID_Y_EN: 1
; COMPUTE_PGM_RSRC2:TGID_Z_EN: 1
; COMPUTE_PGM_RSRC2:TIDIG_COMP_CNT: 1
	.section	.text._ZL29rocblas_internal_gemmt_kernelIiLi16ELi32ELi8ELc84ELc84ELc85ELb0ELb0E19rocblas_complex_numIdES1_PKS1_PS1_EviT_T9_T10_S5_lS7_S5_lS6_T11_S5_li,"axG",@progbits,_ZL29rocblas_internal_gemmt_kernelIiLi16ELi32ELi8ELc84ELc84ELc85ELb0ELb0E19rocblas_complex_numIdES1_PKS1_PS1_EviT_T9_T10_S5_lS7_S5_lS6_T11_S5_li,comdat
	.globl	_ZL29rocblas_internal_gemmt_kernelIiLi16ELi32ELi8ELc84ELc84ELc85ELb0ELb0E19rocblas_complex_numIdES1_PKS1_PS1_EviT_T9_T10_S5_lS7_S5_lS6_T11_S5_li ; -- Begin function _ZL29rocblas_internal_gemmt_kernelIiLi16ELi32ELi8ELc84ELc84ELc85ELb0ELb0E19rocblas_complex_numIdES1_PKS1_PS1_EviT_T9_T10_S5_lS7_S5_lS6_T11_S5_li
	.p2align	8
	.type	_ZL29rocblas_internal_gemmt_kernelIiLi16ELi32ELi8ELc84ELc84ELc85ELb0ELb0E19rocblas_complex_numIdES1_PKS1_PS1_EviT_T9_T10_S5_lS7_S5_lS6_T11_S5_li,@function
_ZL29rocblas_internal_gemmt_kernelIiLi16ELi32ELi8ELc84ELc84ELc85ELb0ELb0E19rocblas_complex_numIdES1_PKS1_PS1_EviT_T9_T10_S5_lS7_S5_lS6_T11_S5_li: ; @_ZL29rocblas_internal_gemmt_kernelIiLi16ELi32ELi8ELc84ELc84ELc85ELb0ELb0E19rocblas_complex_numIdES1_PKS1_PS1_EviT_T9_T10_S5_lS7_S5_lS6_T11_S5_li
; %bb.0:
	s_clause 0x2
	s_load_b256 s[4:11], s[0:1], 0x40
	s_load_b64 s[24:25], s[0:1], 0x0
	s_load_b128 s[12:15], s[0:1], 0x8
	s_wait_kmcnt 0x0
	v_cmp_eq_f64_e64 s2, s[6:7], 1.0
	v_cmp_eq_f64_e64 s33, s[8:9], 0
	s_and_b32 s2, s2, s33
	s_delay_alu instid0(SALU_CYCLE_1)
	s_and_not1_b32 vcc_lo, exec_lo, s2
	s_mov_b32 s2, -1
	s_cbranch_vccnz .LBB130_3
; %bb.1:
	s_cmp_lg_u32 s25, 0
	s_cbranch_scc0 .LBB130_38
; %bb.2:
	v_cmp_neq_f64_e64 s2, s[12:13], 0
	v_cmp_neq_f64_e64 s3, s[14:15], 0
	s_or_b32 s2, s2, s3
.LBB130_3:
	s_delay_alu instid0(SALU_CYCLE_1)
	s_and_b32 vcc_lo, exec_lo, s2
	s_cbranch_vccz .LBB130_39
; %bb.4:
	s_load_b32 s23, s[0:1], 0x70
	s_lshr_b32 s26, ttmp7, 16
	s_wait_kmcnt 0x0
	s_cmp_ge_u32 s26, s23
	s_cbranch_scc1 .LBB130_39
; %bb.5:
	v_cmp_neq_f64_e64 s34, s[12:13], 0
	v_cmp_neq_f64_e64 s35, s[14:15], 0
	v_and_b32_e32 v1, 0x3ff, v0
	v_bfe_u32 v2, v0, 10, 10
	s_clause 0x4
	s_load_b96 s[20:22], s[0:1], 0x18
	s_load_b128 s[16:19], s[0:1], 0x28
	s_load_b32 s30, s[0:1], 0x38
	s_load_b32 s37, s[0:1], 0x60
	s_load_b64 s[28:29], s[0:1], 0x68
	v_and_b32_e32 v37, 7, v0
	s_lshl_b32 s1, ttmp9, 5
	v_lshlrev_b32_e32 v38, 4, v1
	v_lshl_add_u32 v0, v2, 4, v1
	v_add_nc_u32_e32 v5, s1, v1
	v_lshlrev_b32_e32 v3, 4, v37
	s_lshl_b32 s0, ttmp7, 5
	v_cmp_neq_f64_e64 s36, s[6:7], 0
	v_lshrrev_b32_e32 v40, 5, v0
	v_and_b32_e32 v1, 31, v0
	v_lshrrev_b32_e32 v0, 3, v0
	s_wait_alu 0xfffe
	s_and_b32 s2, s0, 0x1fffe0
	v_lshl_add_u32 v39, v2, 7, 0x1000
	v_add_nc_u32_e32 v2, s2, v2
	v_add_nc_u32_e32 v7, 16, v5
	v_or_b32_e32 v4, s1, v1
	v_add_nc_u32_e32 v11, s2, v0
	v_lshlrev_b32_e32 v1, 4, v1
	v_lshl_or_b32 v0, v0, 7, v3
	v_cmp_gt_i32_e32 vcc_lo, s24, v2
	v_cmp_le_i32_e64 s0, v5, v2
	v_cmp_le_i32_e64 s1, v7, v2
	v_lshl_or_b32 v41, v40, 9, v1
	v_add_nc_u32_e32 v42, 0x1000, v0
	s_wait_kmcnt 0x0
	v_mad_co_i64_i32 v[0:1], null, v2, s37, 0
	v_add_nc_u32_e32 v12, 16, v2
	v_mad_co_i64_i32 v[2:3], null, s22, v4, 0
	s_ashr_i32 s31, s30, 31
	v_mad_co_i64_i32 v[9:10], null, s30, v37, 0
	v_cmp_gt_i32_e64 s2, s24, v4
	v_lshlrev_b32_e32 v4, 4, v40
	s_or_b32 s38, s34, s35
	s_cmp_gt_i32 s25, 0
	v_lshlrev_b64_e32 v[2:3], 4, v[2:3]
	s_cselect_b32 s39, -1, 0
	s_and_b32 s22, vcc_lo, s0
	s_and_b32 s34, vcc_lo, s1
	v_cmp_gt_i32_e32 vcc_lo, s24, v12
	v_cmp_le_i32_e64 s0, v5, v12
	v_cmp_le_i32_e64 s1, v7, v12
	v_cmp_gt_i32_e64 s3, s24, v11
	v_mad_co_i64_i32 v[15:16], null, v12, s37, 0
	s_and_b32 s24, vcc_lo, s0
	s_and_b32 s35, vcc_lo, s1
	v_add_co_u32 v4, vcc_lo, v2, v4
	s_delay_alu instid0(VALU_DEP_1) | instskip(SKIP_2) | instid1(VALU_DEP_4)
	v_add_co_ci_u32_e64 v12, null, 0, v3, vcc_lo
	v_lshlrev_b64_e32 v[2:3], 4, v[9:10]
	v_lshlrev_b32_e32 v11, 4, v11
	v_add_co_u32 v9, vcc_lo, s20, v4
	s_wait_alu 0xfffd
	v_add_co_ci_u32_e64 v10, null, s21, v12, vcc_lo
	s_delay_alu instid0(VALU_DEP_3) | instskip(SKIP_3) | instid1(VALU_DEP_3)
	v_add_co_u32 v2, vcc_lo, v2, v11
	s_wait_alu 0xfffd
	v_add_co_ci_u32_e64 v3, null, 0, v3, vcc_lo
	v_lshlrev_b64_e32 v[13:14], 4, v[0:1]
	v_add_co_u32 v11, vcc_lo, s18, v2
	v_lshlrev_b64_e32 v[15:16], 4, v[15:16]
	v_ashrrev_i32_e32 v6, 31, v5
	v_ashrrev_i32_e32 v8, 31, v7
	s_wait_alu 0xfffd
	v_add_co_ci_u32_e64 v12, null, s19, v3, vcc_lo
	v_mov_b32_e32 v0, 0
	s_xor_b32 s33, s33, -1
	s_mov_b32 s27, 0
	s_or_b32 s33, s36, s33
	s_lshl_b64 s[0:1], s[16:17], 4
	s_lshl_b64 s[4:5], s[4:5], 4
	s_and_b32 s18, s38, s39
	s_lshl_b64 s[16:17], s[30:31], 7
	s_xor_b32 s19, s2, -1
	s_xor_b32 s20, s3, -1
	s_branch .LBB130_7
.LBB130_6:                              ;   in Loop: Header=BB130_7 Depth=1
	s_wait_alu 0xfffe
	s_or_b32 exec_lo, exec_lo, s2
	s_add_co_i32 s26, s26, 0x10000
	s_wait_alu 0xfffe
	s_cmp_lt_u32 s26, s23
	s_cbranch_scc0 .LBB130_39
.LBB130_7:                              ; =>This Loop Header: Depth=1
                                        ;     Child Loop BB130_10 Depth 2
	v_mov_b32_e32 v33, 0
	v_mov_b32_e32 v29, 0
	;; [unrolled: 1-line block ×3, first 2 shown]
	v_dual_mov_b32 v23, 0 :: v_dual_mov_b32 v34, 0
	v_dual_mov_b32 v35, 0 :: v_dual_mov_b32 v30, 0
	v_dual_mov_b32 v31, 0 :: v_dual_mov_b32 v26, 0
	v_dual_mov_b32 v27, 0 :: v_dual_mov_b32 v24, 0
	v_dual_mov_b32 v21, 0 :: v_dual_mov_b32 v36, 0
	v_mov_b32_e32 v32, 0
	v_mov_b32_e32 v28, 0
	;; [unrolled: 1-line block ×3, first 2 shown]
	s_wait_alu 0xfffe
	s_and_not1_b32 vcc_lo, exec_lo, s18
	s_wait_alu 0xfffe
	s_cbranch_vccnz .LBB130_18
; %bb.8:                                ;   in Loop: Header=BB130_7 Depth=1
	v_mad_co_u64_u32 v[17:18], null, s0, s26, v[9:10]
	v_mad_co_u64_u32 v[19:20], null, s4, s26, v[11:12]
	v_mov_b32_e32 v21, 0
	v_mov_b32_e32 v23, 0
	;; [unrolled: 1-line block ×4, first 2 shown]
	v_dual_mov_b32 v1, v18 :: v_dual_mov_b32 v22, 0
	v_mov_b32_e32 v2, v20
	v_dual_mov_b32 v24, 0 :: v_dual_mov_b32 v27, 0
	v_dual_mov_b32 v26, 0 :: v_dual_mov_b32 v31, 0
	s_delay_alu instid0(VALU_DEP_3)
	v_mad_co_u64_u32 v[3:4], null, s1, s26, v[1:2]
	v_dual_mov_b32 v30, 0 :: v_dual_mov_b32 v35, 0
	v_dual_mov_b32 v33, 0 :: v_dual_mov_b32 v28, 0
	v_mov_b32_e32 v32, 0
	v_mov_b32_e32 v36, 0
	v_mad_co_u64_u32 v[1:2], null, s5, s26, v[2:3]
	v_mov_b32_e32 v34, 0
	v_mov_b32_e32 v18, v3
	s_mov_b32 s2, 0
	s_delay_alu instid0(VALU_DEP_3)
	v_mov_b32_e32 v20, v1
	s_branch .LBB130_10
.LBB130_9:                              ;   in Loop: Header=BB130_10 Depth=2
	s_wait_alu 0xfffe
	s_or_b32 exec_lo, exec_lo, s3
	s_wait_dscnt 0x0
	s_barrier_signal -1
	s_barrier_wait -1
	global_inv scope:SCOPE_SE
	ds_load_b128 v[1:4], v39
	ds_load_b128 v[43:46], v39 offset:16
	ds_load_b128 v[47:50], v39 offset:32
	;; [unrolled: 1-line block ×3, first 2 shown]
	ds_load_b128 v[55:58], v38
	v_add_co_u32 v17, vcc_lo, 0x80, v17
	s_wait_alu 0xfffd
	v_add_co_ci_u32_e64 v18, null, 0, v18, vcc_lo
	v_add_co_u32 v19, vcc_lo, v19, s16
	s_wait_alu 0xfffd
	v_add_co_ci_u32_e64 v20, null, s17, v20, vcc_lo
	s_add_co_i32 s2, s2, 8
	s_wait_alu 0xfffe
	s_cmp_lt_i32 s2, s25
	s_wait_dscnt 0x0
	v_mul_f64_e32 v[59:60], v[3:4], v[57:58]
	v_mul_f64_e32 v[61:62], v[1:2], v[57:58]
	s_delay_alu instid0(VALU_DEP_2) | instskip(NEXT) | instid1(VALU_DEP_2)
	v_fma_f64 v[59:60], v[1:2], v[55:56], -v[59:60]
	v_fma_f64 v[61:62], v[3:4], v[55:56], v[61:62]
	s_delay_alu instid0(VALU_DEP_2) | instskip(NEXT) | instid1(VALU_DEP_2)
	v_add_f64_e32 v[59:60], v[33:34], v[59:60]
	v_add_f64_e32 v[61:62], v[61:62], v[35:36]
	ds_load_b128 v[33:36], v38 offset:256
	s_wait_dscnt 0x0
	v_mul_f64_e32 v[63:64], v[3:4], v[35:36]
	s_delay_alu instid0(VALU_DEP_1) | instskip(SKIP_1) | instid1(VALU_DEP_2)
	v_fma_f64 v[63:64], v[1:2], v[33:34], -v[63:64]
	v_mul_f64_e32 v[1:2], v[1:2], v[35:36]
	v_add_f64_e32 v[29:30], v[29:30], v[63:64]
	s_delay_alu instid0(VALU_DEP_2) | instskip(NEXT) | instid1(VALU_DEP_1)
	v_fma_f64 v[1:2], v[3:4], v[33:34], v[1:2]
	v_add_f64_e32 v[31:32], v[1:2], v[31:32]
	ds_load_b128 v[1:4], v39 offset:2048
	s_wait_dscnt 0x0
	v_mul_f64_e32 v[63:64], v[3:4], v[57:58]
	v_mul_f64_e32 v[57:58], v[1:2], v[57:58]
	s_delay_alu instid0(VALU_DEP_2) | instskip(NEXT) | instid1(VALU_DEP_2)
	v_fma_f64 v[63:64], v[1:2], v[55:56], -v[63:64]
	v_fma_f64 v[55:56], v[3:4], v[55:56], v[57:58]
	s_delay_alu instid0(VALU_DEP_2) | instskip(SKIP_1) | instid1(VALU_DEP_3)
	v_add_f64_e32 v[57:58], v[25:26], v[63:64]
	v_mul_f64_e32 v[25:26], v[3:4], v[35:36]
	v_add_f64_e32 v[55:56], v[55:56], v[27:28]
	s_delay_alu instid0(VALU_DEP_2) | instskip(SKIP_1) | instid1(VALU_DEP_1)
	v_fma_f64 v[25:26], v[1:2], v[33:34], -v[25:26]
	v_mul_f64_e32 v[1:2], v[1:2], v[35:36]
	v_fma_f64 v[1:2], v[3:4], v[33:34], v[1:2]
	s_delay_alu instid0(VALU_DEP_3) | instskip(NEXT) | instid1(VALU_DEP_2)
	v_add_f64_e32 v[33:34], v[23:24], v[25:26]
	v_add_f64_e32 v[35:36], v[1:2], v[21:22]
	ds_load_b128 v[1:4], v38 offset:512
	s_wait_dscnt 0x0
	v_mul_f64_e32 v[21:22], v[45:46], v[3:4]
	v_mul_f64_e32 v[23:24], v[43:44], v[3:4]
	s_delay_alu instid0(VALU_DEP_2) | instskip(NEXT) | instid1(VALU_DEP_2)
	v_fma_f64 v[21:22], v[43:44], v[1:2], -v[21:22]
	v_fma_f64 v[23:24], v[45:46], v[1:2], v[23:24]
	s_delay_alu instid0(VALU_DEP_2) | instskip(NEXT) | instid1(VALU_DEP_2)
	v_add_f64_e32 v[59:60], v[59:60], v[21:22]
	v_add_f64_e32 v[61:62], v[23:24], v[61:62]
	ds_load_b128 v[21:24], v38 offset:768
	s_wait_dscnt 0x0
	v_mul_f64_e32 v[25:26], v[45:46], v[23:24]
	v_mul_f64_e32 v[27:28], v[43:44], v[23:24]
	s_delay_alu instid0(VALU_DEP_2) | instskip(NEXT) | instid1(VALU_DEP_2)
	v_fma_f64 v[25:26], v[43:44], v[21:22], -v[25:26]
	v_fma_f64 v[27:28], v[45:46], v[21:22], v[27:28]
	s_delay_alu instid0(VALU_DEP_2) | instskip(NEXT) | instid1(VALU_DEP_2)
	v_add_f64_e32 v[29:30], v[29:30], v[25:26]
	v_add_f64_e32 v[31:32], v[27:28], v[31:32]
	ds_load_b128 v[25:28], v39 offset:2064
	s_wait_dscnt 0x0
	v_mul_f64_e32 v[43:44], v[27:28], v[3:4]
	v_mul_f64_e32 v[3:4], v[25:26], v[3:4]
	s_delay_alu instid0(VALU_DEP_2) | instskip(NEXT) | instid1(VALU_DEP_2)
	v_fma_f64 v[43:44], v[25:26], v[1:2], -v[43:44]
	v_fma_f64 v[1:2], v[27:28], v[1:2], v[3:4]
	v_mul_f64_e32 v[3:4], v[25:26], v[23:24]
	s_delay_alu instid0(VALU_DEP_3) | instskip(NEXT) | instid1(VALU_DEP_3)
	v_add_f64_e32 v[43:44], v[57:58], v[43:44]
	v_add_f64_e32 v[45:46], v[1:2], v[55:56]
	v_mul_f64_e32 v[1:2], v[27:28], v[23:24]
	s_delay_alu instid0(VALU_DEP_4) | instskip(NEXT) | instid1(VALU_DEP_2)
	v_fma_f64 v[3:4], v[27:28], v[21:22], v[3:4]
	v_fma_f64 v[1:2], v[25:26], v[21:22], -v[1:2]
	s_delay_alu instid0(VALU_DEP_2) | instskip(NEXT) | instid1(VALU_DEP_2)
	v_add_f64_e32 v[35:36], v[3:4], v[35:36]
	v_add_f64_e32 v[33:34], v[33:34], v[1:2]
	ds_load_b128 v[1:4], v38 offset:1024
	s_wait_dscnt 0x0
	v_mul_f64_e32 v[21:22], v[49:50], v[3:4]
	v_mul_f64_e32 v[23:24], v[47:48], v[3:4]
	s_delay_alu instid0(VALU_DEP_2) | instskip(NEXT) | instid1(VALU_DEP_2)
	v_fma_f64 v[21:22], v[47:48], v[1:2], -v[21:22]
	v_fma_f64 v[23:24], v[49:50], v[1:2], v[23:24]
	s_delay_alu instid0(VALU_DEP_2) | instskip(NEXT) | instid1(VALU_DEP_2)
	v_add_f64_e32 v[55:56], v[59:60], v[21:22]
	v_add_f64_e32 v[57:58], v[23:24], v[61:62]
	ds_load_b128 v[21:24], v38 offset:1280
	s_wait_dscnt 0x0
	v_mul_f64_e32 v[25:26], v[49:50], v[23:24]
	v_mul_f64_e32 v[27:28], v[47:48], v[23:24]
	s_delay_alu instid0(VALU_DEP_2) | instskip(NEXT) | instid1(VALU_DEP_2)
	v_fma_f64 v[25:26], v[47:48], v[21:22], -v[25:26]
	v_fma_f64 v[27:28], v[49:50], v[21:22], v[27:28]
	s_delay_alu instid0(VALU_DEP_2) | instskip(NEXT) | instid1(VALU_DEP_2)
	v_add_f64_e32 v[29:30], v[29:30], v[25:26]
	v_add_f64_e32 v[31:32], v[27:28], v[31:32]
	ds_load_b128 v[25:28], v39 offset:2080
	s_wait_dscnt 0x0
	v_mul_f64_e32 v[47:48], v[27:28], v[3:4]
	v_mul_f64_e32 v[3:4], v[25:26], v[3:4]
	s_delay_alu instid0(VALU_DEP_2) | instskip(NEXT) | instid1(VALU_DEP_2)
	v_fma_f64 v[47:48], v[25:26], v[1:2], -v[47:48]
	v_fma_f64 v[1:2], v[27:28], v[1:2], v[3:4]
	v_mul_f64_e32 v[3:4], v[25:26], v[23:24]
	s_delay_alu instid0(VALU_DEP_3) | instskip(NEXT) | instid1(VALU_DEP_3)
	v_add_f64_e32 v[43:44], v[43:44], v[47:48]
	v_add_f64_e32 v[45:46], v[1:2], v[45:46]
	v_mul_f64_e32 v[1:2], v[27:28], v[23:24]
	s_delay_alu instid0(VALU_DEP_4) | instskip(NEXT) | instid1(VALU_DEP_2)
	v_fma_f64 v[3:4], v[27:28], v[21:22], v[3:4]
	v_fma_f64 v[1:2], v[25:26], v[21:22], -v[1:2]
	s_delay_alu instid0(VALU_DEP_2) | instskip(NEXT) | instid1(VALU_DEP_2)
	;; [unrolled: 38-line block ×3, first 2 shown]
	v_add_f64_e32 v[35:36], v[3:4], v[35:36]
	v_add_f64_e32 v[33:34], v[33:34], v[1:2]
	ds_load_b128 v[1:4], v39 offset:64
	ds_load_b128 v[21:24], v38 offset:2048
	s_wait_dscnt 0x0
	v_mul_f64_e32 v[25:26], v[3:4], v[23:24]
	v_mul_f64_e32 v[27:28], v[1:2], v[23:24]
	s_delay_alu instid0(VALU_DEP_2) | instskip(NEXT) | instid1(VALU_DEP_2)
	v_fma_f64 v[25:26], v[1:2], v[21:22], -v[25:26]
	v_fma_f64 v[27:28], v[3:4], v[21:22], v[27:28]
	s_delay_alu instid0(VALU_DEP_2) | instskip(NEXT) | instid1(VALU_DEP_2)
	v_add_f64_e32 v[47:48], v[47:48], v[25:26]
	v_add_f64_e32 v[49:50], v[27:28], v[49:50]
	ds_load_b128 v[25:28], v38 offset:2304
	s_wait_dscnt 0x0
	v_mul_f64_e32 v[51:52], v[3:4], v[27:28]
	s_delay_alu instid0(VALU_DEP_1) | instskip(SKIP_1) | instid1(VALU_DEP_2)
	v_fma_f64 v[51:52], v[1:2], v[25:26], -v[51:52]
	v_mul_f64_e32 v[1:2], v[1:2], v[27:28]
	v_add_f64_e32 v[29:30], v[29:30], v[51:52]
	s_delay_alu instid0(VALU_DEP_2) | instskip(NEXT) | instid1(VALU_DEP_1)
	v_fma_f64 v[1:2], v[3:4], v[25:26], v[1:2]
	v_add_f64_e32 v[31:32], v[1:2], v[31:32]
	ds_load_b128 v[1:4], v39 offset:2112
	s_wait_dscnt 0x0
	v_mul_f64_e32 v[51:52], v[3:4], v[23:24]
	v_mul_f64_e32 v[23:24], v[1:2], v[23:24]
	s_delay_alu instid0(VALU_DEP_2) | instskip(NEXT) | instid1(VALU_DEP_2)
	v_fma_f64 v[51:52], v[1:2], v[21:22], -v[51:52]
	v_fma_f64 v[21:22], v[3:4], v[21:22], v[23:24]
	s_delay_alu instid0(VALU_DEP_2) | instskip(NEXT) | instid1(VALU_DEP_2)
	v_add_f64_e32 v[43:44], v[43:44], v[51:52]
	v_add_f64_e32 v[45:46], v[21:22], v[45:46]
	v_mul_f64_e32 v[21:22], v[3:4], v[27:28]
	s_delay_alu instid0(VALU_DEP_1) | instskip(SKIP_1) | instid1(VALU_DEP_2)
	v_fma_f64 v[21:22], v[1:2], v[25:26], -v[21:22]
	v_mul_f64_e32 v[1:2], v[1:2], v[27:28]
	v_add_f64_e32 v[33:34], v[33:34], v[21:22]
	s_delay_alu instid0(VALU_DEP_2) | instskip(NEXT) | instid1(VALU_DEP_1)
	v_fma_f64 v[1:2], v[3:4], v[25:26], v[1:2]
	v_add_f64_e32 v[35:36], v[1:2], v[35:36]
	ds_load_b128 v[1:4], v39 offset:80
	ds_load_b128 v[21:24], v38 offset:2560
	s_wait_dscnt 0x0
	v_mul_f64_e32 v[25:26], v[3:4], v[23:24]
	v_mul_f64_e32 v[27:28], v[1:2], v[23:24]
	s_delay_alu instid0(VALU_DEP_2) | instskip(NEXT) | instid1(VALU_DEP_2)
	v_fma_f64 v[25:26], v[1:2], v[21:22], -v[25:26]
	v_fma_f64 v[27:28], v[3:4], v[21:22], v[27:28]
	s_delay_alu instid0(VALU_DEP_2) | instskip(NEXT) | instid1(VALU_DEP_2)
	v_add_f64_e32 v[47:48], v[47:48], v[25:26]
	v_add_f64_e32 v[49:50], v[27:28], v[49:50]
	ds_load_b128 v[25:28], v38 offset:2816
	s_wait_dscnt 0x0
	v_mul_f64_e32 v[51:52], v[3:4], v[27:28]
	s_delay_alu instid0(VALU_DEP_1) | instskip(SKIP_1) | instid1(VALU_DEP_2)
	v_fma_f64 v[51:52], v[1:2], v[25:26], -v[51:52]
	v_mul_f64_e32 v[1:2], v[1:2], v[27:28]
	v_add_f64_e32 v[29:30], v[29:30], v[51:52]
	s_delay_alu instid0(VALU_DEP_2) | instskip(NEXT) | instid1(VALU_DEP_1)
	v_fma_f64 v[1:2], v[3:4], v[25:26], v[1:2]
	v_add_f64_e32 v[31:32], v[1:2], v[31:32]
	ds_load_b128 v[1:4], v39 offset:2128
	s_wait_dscnt 0x0
	v_mul_f64_e32 v[51:52], v[3:4], v[23:24]
	v_mul_f64_e32 v[23:24], v[1:2], v[23:24]
	s_delay_alu instid0(VALU_DEP_2) | instskip(NEXT) | instid1(VALU_DEP_2)
	v_fma_f64 v[51:52], v[1:2], v[21:22], -v[51:52]
	v_fma_f64 v[21:22], v[3:4], v[21:22], v[23:24]
	s_delay_alu instid0(VALU_DEP_2) | instskip(NEXT) | instid1(VALU_DEP_2)
	v_add_f64_e32 v[43:44], v[43:44], v[51:52]
	v_add_f64_e32 v[45:46], v[21:22], v[45:46]
	v_mul_f64_e32 v[21:22], v[3:4], v[27:28]
	s_delay_alu instid0(VALU_DEP_1) | instskip(SKIP_1) | instid1(VALU_DEP_2)
	v_fma_f64 v[21:22], v[1:2], v[25:26], -v[21:22]
	v_mul_f64_e32 v[1:2], v[1:2], v[27:28]
	v_add_f64_e32 v[33:34], v[33:34], v[21:22]
	s_delay_alu instid0(VALU_DEP_2) | instskip(NEXT) | instid1(VALU_DEP_1)
	v_fma_f64 v[1:2], v[3:4], v[25:26], v[1:2]
	v_add_f64_e32 v[35:36], v[1:2], v[35:36]
	ds_load_b128 v[1:4], v39 offset:96
	ds_load_b128 v[21:24], v38 offset:3072
	s_wait_dscnt 0x0
	v_mul_f64_e32 v[25:26], v[3:4], v[23:24]
	v_mul_f64_e32 v[27:28], v[1:2], v[23:24]
	s_delay_alu instid0(VALU_DEP_2) | instskip(NEXT) | instid1(VALU_DEP_2)
	v_fma_f64 v[25:26], v[1:2], v[21:22], -v[25:26]
	v_fma_f64 v[27:28], v[3:4], v[21:22], v[27:28]
	s_delay_alu instid0(VALU_DEP_2) | instskip(NEXT) | instid1(VALU_DEP_2)
	v_add_f64_e32 v[47:48], v[47:48], v[25:26]
	v_add_f64_e32 v[49:50], v[27:28], v[49:50]
	ds_load_b128 v[25:28], v38 offset:3328
	s_wait_dscnt 0x0
	v_mul_f64_e32 v[51:52], v[3:4], v[27:28]
	s_delay_alu instid0(VALU_DEP_1) | instskip(SKIP_1) | instid1(VALU_DEP_2)
	v_fma_f64 v[51:52], v[1:2], v[25:26], -v[51:52]
	v_mul_f64_e32 v[1:2], v[1:2], v[27:28]
	v_add_f64_e32 v[29:30], v[29:30], v[51:52]
	s_delay_alu instid0(VALU_DEP_2) | instskip(NEXT) | instid1(VALU_DEP_1)
	v_fma_f64 v[1:2], v[3:4], v[25:26], v[1:2]
	v_add_f64_e32 v[31:32], v[1:2], v[31:32]
	ds_load_b128 v[1:4], v39 offset:2144
	s_wait_dscnt 0x0
	v_mul_f64_e32 v[51:52], v[3:4], v[23:24]
	v_mul_f64_e32 v[23:24], v[1:2], v[23:24]
	s_delay_alu instid0(VALU_DEP_2) | instskip(NEXT) | instid1(VALU_DEP_2)
	v_fma_f64 v[51:52], v[1:2], v[21:22], -v[51:52]
	v_fma_f64 v[21:22], v[3:4], v[21:22], v[23:24]
	s_delay_alu instid0(VALU_DEP_2) | instskip(NEXT) | instid1(VALU_DEP_2)
	v_add_f64_e32 v[51:52], v[43:44], v[51:52]
	v_add_f64_e32 v[53:54], v[21:22], v[45:46]
	v_mul_f64_e32 v[21:22], v[3:4], v[27:28]
	s_delay_alu instid0(VALU_DEP_1) | instskip(SKIP_1) | instid1(VALU_DEP_2)
	v_fma_f64 v[21:22], v[1:2], v[25:26], -v[21:22]
	v_mul_f64_e32 v[1:2], v[1:2], v[27:28]
	v_add_f64_e32 v[55:56], v[33:34], v[21:22]
	s_delay_alu instid0(VALU_DEP_2) | instskip(NEXT) | instid1(VALU_DEP_1)
	v_fma_f64 v[1:2], v[3:4], v[25:26], v[1:2]
	v_add_f64_e32 v[57:58], v[1:2], v[35:36]
	ds_load_b128 v[1:4], v39 offset:112
	ds_load_b128 v[21:24], v38 offset:3584
	;; [unrolled: 1-line block ×3, first 2 shown]
	s_wait_dscnt 0x1
	v_mul_f64_e32 v[25:26], v[3:4], v[23:24]
	v_mul_f64_e32 v[27:28], v[1:2], v[23:24]
	s_delay_alu instid0(VALU_DEP_2) | instskip(NEXT) | instid1(VALU_DEP_2)
	v_fma_f64 v[25:26], v[1:2], v[21:22], -v[25:26]
	v_fma_f64 v[27:28], v[3:4], v[21:22], v[27:28]
	s_delay_alu instid0(VALU_DEP_2) | instskip(SKIP_2) | instid1(VALU_DEP_3)
	v_add_f64_e32 v[33:34], v[47:48], v[25:26]
	s_wait_dscnt 0x0
	v_mul_f64_e32 v[25:26], v[3:4], v[45:46]
	v_add_f64_e32 v[35:36], v[27:28], v[49:50]
	s_delay_alu instid0(VALU_DEP_2) | instskip(SKIP_1) | instid1(VALU_DEP_2)
	v_fma_f64 v[25:26], v[1:2], v[43:44], -v[25:26]
	v_mul_f64_e32 v[1:2], v[1:2], v[45:46]
	v_add_f64_e32 v[29:30], v[29:30], v[25:26]
	s_delay_alu instid0(VALU_DEP_2) | instskip(NEXT) | instid1(VALU_DEP_1)
	v_fma_f64 v[1:2], v[3:4], v[43:44], v[1:2]
	v_add_f64_e32 v[31:32], v[1:2], v[31:32]
	ds_load_b128 v[1:4], v39 offset:2160
	s_wait_loadcnt_dscnt 0x0
	s_barrier_signal -1
	s_barrier_wait -1
	global_inv scope:SCOPE_SE
	v_mul_f64_e32 v[25:26], v[3:4], v[23:24]
	v_mul_f64_e32 v[23:24], v[1:2], v[23:24]
	s_delay_alu instid0(VALU_DEP_2) | instskip(NEXT) | instid1(VALU_DEP_2)
	v_fma_f64 v[25:26], v[1:2], v[21:22], -v[25:26]
	v_fma_f64 v[21:22], v[3:4], v[21:22], v[23:24]
	s_delay_alu instid0(VALU_DEP_2) | instskip(NEXT) | instid1(VALU_DEP_2)
	v_add_f64_e32 v[25:26], v[51:52], v[25:26]
	v_add_f64_e32 v[27:28], v[21:22], v[53:54]
	v_mul_f64_e32 v[21:22], v[3:4], v[45:46]
	s_delay_alu instid0(VALU_DEP_1) | instskip(SKIP_1) | instid1(VALU_DEP_2)
	v_fma_f64 v[21:22], v[1:2], v[43:44], -v[21:22]
	v_mul_f64_e32 v[1:2], v[1:2], v[45:46]
	v_add_f64_e32 v[23:24], v[55:56], v[21:22]
	s_delay_alu instid0(VALU_DEP_2) | instskip(NEXT) | instid1(VALU_DEP_1)
	v_fma_f64 v[1:2], v[3:4], v[43:44], v[1:2]
	v_add_f64_e32 v[21:22], v[1:2], v[57:58]
	s_cbranch_scc0 .LBB130_18
.LBB130_10:                             ;   Parent Loop BB130_7 Depth=1
                                        ; =>  This Inner Loop Header: Depth=2
	s_wait_alu 0xfffe
	v_add_nc_u32_e32 v1, s2, v40
	s_delay_alu instid0(VALU_DEP_1)
	v_cmp_le_i32_e32 vcc_lo, s25, v1
	s_or_b32 s3, s19, vcc_lo
	s_wait_alu 0xfffe
	s_and_saveexec_b32 s21, s3
	s_wait_alu 0xfffe
	s_xor_b32 s3, exec_lo, s21
; %bb.11:                               ;   in Loop: Header=BB130_10 Depth=2
	v_dual_mov_b32 v1, v0 :: v_dual_mov_b32 v2, v0
	v_mov_b32_e32 v3, v0
	ds_store_b128 v41, v[0:3]
; %bb.12:                               ;   in Loop: Header=BB130_10 Depth=2
	s_wait_alu 0xfffe
	s_and_not1_saveexec_b32 s3, s3
	s_cbranch_execz .LBB130_14
; %bb.13:                               ;   in Loop: Header=BB130_10 Depth=2
	global_load_b128 v[1:4], v[17:18], off
	s_wait_loadcnt 0x0
	ds_store_2addr_b64 v41, v[1:2], v[3:4] offset1:1
.LBB130_14:                             ;   in Loop: Header=BB130_10 Depth=2
	s_wait_alu 0xfffe
	s_or_b32 exec_lo, exec_lo, s3
	v_add_nc_u32_e32 v1, s2, v37
	s_delay_alu instid0(VALU_DEP_1)
	v_cmp_le_i32_e32 vcc_lo, s25, v1
	s_or_b32 s3, vcc_lo, s20
	s_wait_alu 0xfffe
	s_and_saveexec_b32 s21, s3
	s_wait_alu 0xfffe
	s_xor_b32 s3, exec_lo, s21
; %bb.15:                               ;   in Loop: Header=BB130_10 Depth=2
	v_dual_mov_b32 v1, v0 :: v_dual_mov_b32 v2, v0
	v_mov_b32_e32 v3, v0
	ds_store_b128 v42, v[0:3]
; %bb.16:                               ;   in Loop: Header=BB130_10 Depth=2
	s_wait_alu 0xfffe
	s_and_not1_saveexec_b32 s3, s3
	s_cbranch_execz .LBB130_9
; %bb.17:                               ;   in Loop: Header=BB130_10 Depth=2
	global_load_b128 v[1:4], v[19:20], off
	s_wait_loadcnt 0x0
	ds_store_2addr_b64 v42, v[1:2], v[3:4] offset1:1
	s_branch .LBB130_9
.LBB130_18:                             ;   in Loop: Header=BB130_7 Depth=1
	s_mul_u64 s[2:3], s[28:29], s[26:27]
	s_wait_alu 0xfffe
	s_lshl_b64 s[2:3], s[2:3], 4
	s_wait_alu 0xfffe
	s_add_nc_u64 s[2:3], s[10:11], s[2:3]
	s_wait_alu 0xfffe
	v_add_co_u32 v17, vcc_lo, s2, v13
	s_wait_alu 0xfffd
	v_add_co_ci_u32_e64 v18, null, s3, v14, vcc_lo
	s_and_saveexec_b32 s21, s22
	s_cbranch_execz .LBB130_23
; %bb.19:                               ;   in Loop: Header=BB130_7 Depth=1
	v_mul_f64_e32 v[1:2], s[14:15], v[35:36]
	v_mul_f64_e32 v[3:4], s[12:13], v[35:36]
	s_and_b32 vcc_lo, exec_lo, s33
	s_mov_b32 s30, -1
	s_delay_alu instid0(VALU_DEP_2) | instskip(NEXT) | instid1(VALU_DEP_2)
	v_fma_f64 v[1:2], s[12:13], v[33:34], -v[1:2]
	v_fma_f64 v[3:4], s[14:15], v[33:34], v[3:4]
	s_wait_alu 0xfffe
	s_cbranch_vccz .LBB130_21
; %bb.20:                               ;   in Loop: Header=BB130_7 Depth=1
	v_lshlrev_b64_e32 v[19:20], 4, v[5:6]
	s_mov_b32 s30, 0
	s_delay_alu instid0(VALU_DEP_1) | instskip(SKIP_1) | instid1(VALU_DEP_2)
	v_add_co_u32 v19, vcc_lo, v17, v19
	s_wait_alu 0xfffd
	v_add_co_ci_u32_e64 v20, null, v18, v20, vcc_lo
	global_load_b128 v[33:36], v[19:20], off
	s_wait_loadcnt 0x0
	v_mul_f64_e32 v[43:44], s[8:9], v[35:36]
	v_mul_f64_e32 v[35:36], s[6:7], v[35:36]
	s_delay_alu instid0(VALU_DEP_2) | instskip(NEXT) | instid1(VALU_DEP_2)
	v_fma_f64 v[43:44], s[6:7], v[33:34], -v[43:44]
	v_fma_f64 v[35:36], s[8:9], v[33:34], v[35:36]
	s_delay_alu instid0(VALU_DEP_2) | instskip(NEXT) | instid1(VALU_DEP_2)
	v_add_f64_e32 v[33:34], v[1:2], v[43:44]
	v_add_f64_e32 v[35:36], v[3:4], v[35:36]
	global_store_b128 v[19:20], v[33:36], off
.LBB130_21:                             ;   in Loop: Header=BB130_7 Depth=1
	s_wait_alu 0xfffe
	s_and_not1_b32 vcc_lo, exec_lo, s30
	s_wait_alu 0xfffe
	s_cbranch_vccnz .LBB130_23
; %bb.22:                               ;   in Loop: Header=BB130_7 Depth=1
	v_lshlrev_b64_e32 v[19:20], 4, v[5:6]
	s_delay_alu instid0(VALU_DEP_1) | instskip(SKIP_1) | instid1(VALU_DEP_2)
	v_add_co_u32 v19, vcc_lo, v17, v19
	s_wait_alu 0xfffd
	v_add_co_ci_u32_e64 v20, null, v18, v20, vcc_lo
	global_store_b128 v[19:20], v[1:4], off
.LBB130_23:                             ;   in Loop: Header=BB130_7 Depth=1
	s_wait_alu 0xfffe
	s_or_b32 exec_lo, exec_lo, s21
	s_and_saveexec_b32 s21, s34
	s_cbranch_execz .LBB130_28
; %bb.24:                               ;   in Loop: Header=BB130_7 Depth=1
	v_mul_f64_e32 v[1:2], s[14:15], v[31:32]
	v_mul_f64_e32 v[3:4], s[12:13], v[31:32]
	s_and_not1_b32 vcc_lo, exec_lo, s33
	s_mov_b32 s30, -1
	s_delay_alu instid0(VALU_DEP_2) | instskip(NEXT) | instid1(VALU_DEP_2)
	v_fma_f64 v[1:2], s[12:13], v[29:30], -v[1:2]
	v_fma_f64 v[3:4], s[14:15], v[29:30], v[3:4]
	s_wait_alu 0xfffe
	s_cbranch_vccnz .LBB130_26
; %bb.25:                               ;   in Loop: Header=BB130_7 Depth=1
	v_lshlrev_b64_e32 v[19:20], 4, v[7:8]
	s_mov_b32 s30, 0
	s_delay_alu instid0(VALU_DEP_1) | instskip(SKIP_1) | instid1(VALU_DEP_2)
	v_add_co_u32 v19, vcc_lo, v17, v19
	s_wait_alu 0xfffd
	v_add_co_ci_u32_e64 v20, null, v18, v20, vcc_lo
	global_load_b128 v[29:32], v[19:20], off
	s_wait_loadcnt 0x0
	v_mul_f64_e32 v[33:34], s[8:9], v[31:32]
	v_mul_f64_e32 v[31:32], s[6:7], v[31:32]
	s_delay_alu instid0(VALU_DEP_2) | instskip(NEXT) | instid1(VALU_DEP_2)
	v_fma_f64 v[33:34], s[6:7], v[29:30], -v[33:34]
	v_fma_f64 v[31:32], s[8:9], v[29:30], v[31:32]
	s_delay_alu instid0(VALU_DEP_2) | instskip(NEXT) | instid1(VALU_DEP_2)
	v_add_f64_e32 v[29:30], v[1:2], v[33:34]
	v_add_f64_e32 v[31:32], v[3:4], v[31:32]
	global_store_b128 v[19:20], v[29:32], off
.LBB130_26:                             ;   in Loop: Header=BB130_7 Depth=1
	s_wait_alu 0xfffe
	s_and_not1_b32 vcc_lo, exec_lo, s30
	s_wait_alu 0xfffe
	s_cbranch_vccnz .LBB130_28
; %bb.27:                               ;   in Loop: Header=BB130_7 Depth=1
	v_lshlrev_b64_e32 v[19:20], 4, v[7:8]
	s_delay_alu instid0(VALU_DEP_1) | instskip(SKIP_1) | instid1(VALU_DEP_2)
	v_add_co_u32 v17, vcc_lo, v17, v19
	s_wait_alu 0xfffd
	v_add_co_ci_u32_e64 v18, null, v18, v20, vcc_lo
	global_store_b128 v[17:18], v[1:4], off
.LBB130_28:                             ;   in Loop: Header=BB130_7 Depth=1
	s_wait_alu 0xfffe
	s_or_b32 exec_lo, exec_lo, s21
	v_add_co_u32 v19, vcc_lo, s2, v15
	s_wait_alu 0xfffd
	v_add_co_ci_u32_e64 v20, null, s3, v16, vcc_lo
	s_and_saveexec_b32 s2, s24
	s_cbranch_execz .LBB130_33
; %bb.29:                               ;   in Loop: Header=BB130_7 Depth=1
	v_mul_f64_e32 v[1:2], s[14:15], v[27:28]
	v_mul_f64_e32 v[3:4], s[12:13], v[27:28]
	v_lshlrev_b64_e32 v[17:18], 4, v[5:6]
	s_and_not1_b32 vcc_lo, exec_lo, s33
	s_mov_b32 s3, -1
	s_delay_alu instid0(VALU_DEP_3) | instskip(NEXT) | instid1(VALU_DEP_3)
	v_fma_f64 v[1:2], s[12:13], v[25:26], -v[1:2]
	v_fma_f64 v[3:4], s[14:15], v[25:26], v[3:4]
	s_wait_alu 0xfffe
	s_cbranch_vccnz .LBB130_31
; %bb.30:                               ;   in Loop: Header=BB130_7 Depth=1
	v_add_co_u32 v29, vcc_lo, v19, v17
	s_wait_alu 0xfffd
	v_add_co_ci_u32_e64 v30, null, v20, v18, vcc_lo
	s_mov_b32 s3, 0
	global_load_b128 v[25:28], v[29:30], off
	s_wait_loadcnt 0x0
	v_mul_f64_e32 v[31:32], s[8:9], v[27:28]
	v_mul_f64_e32 v[27:28], s[6:7], v[27:28]
	s_delay_alu instid0(VALU_DEP_2) | instskip(NEXT) | instid1(VALU_DEP_2)
	v_fma_f64 v[31:32], s[6:7], v[25:26], -v[31:32]
	v_fma_f64 v[27:28], s[8:9], v[25:26], v[27:28]
	s_delay_alu instid0(VALU_DEP_2) | instskip(NEXT) | instid1(VALU_DEP_2)
	v_add_f64_e32 v[25:26], v[1:2], v[31:32]
	v_add_f64_e32 v[27:28], v[3:4], v[27:28]
	global_store_b128 v[29:30], v[25:28], off
.LBB130_31:                             ;   in Loop: Header=BB130_7 Depth=1
	s_wait_alu 0xfffe
	s_and_not1_b32 vcc_lo, exec_lo, s3
	s_wait_alu 0xfffe
	s_cbranch_vccnz .LBB130_33
; %bb.32:                               ;   in Loop: Header=BB130_7 Depth=1
	v_add_co_u32 v17, vcc_lo, v19, v17
	s_wait_alu 0xfffd
	v_add_co_ci_u32_e64 v18, null, v20, v18, vcc_lo
	global_store_b128 v[17:18], v[1:4], off
.LBB130_33:                             ;   in Loop: Header=BB130_7 Depth=1
	s_wait_alu 0xfffe
	s_or_b32 exec_lo, exec_lo, s2
	s_and_saveexec_b32 s2, s35
	s_cbranch_execz .LBB130_6
; %bb.34:                               ;   in Loop: Header=BB130_7 Depth=1
	v_mul_f64_e32 v[1:2], s[14:15], v[21:22]
	v_mul_f64_e32 v[3:4], s[12:13], v[21:22]
	v_lshlrev_b64_e32 v[17:18], 4, v[7:8]
	s_and_not1_b32 vcc_lo, exec_lo, s33
	s_mov_b32 s3, -1
	s_delay_alu instid0(VALU_DEP_3) | instskip(NEXT) | instid1(VALU_DEP_3)
	v_fma_f64 v[1:2], s[12:13], v[23:24], -v[1:2]
	v_fma_f64 v[3:4], s[14:15], v[23:24], v[3:4]
	s_wait_alu 0xfffe
	s_cbranch_vccnz .LBB130_36
; %bb.35:                               ;   in Loop: Header=BB130_7 Depth=1
	v_add_co_u32 v25, vcc_lo, v19, v17
	s_wait_alu 0xfffd
	v_add_co_ci_u32_e64 v26, null, v20, v18, vcc_lo
	s_mov_b32 s3, 0
	global_load_b128 v[21:24], v[25:26], off
	s_wait_loadcnt 0x0
	v_mul_f64_e32 v[27:28], s[8:9], v[23:24]
	v_mul_f64_e32 v[23:24], s[6:7], v[23:24]
	s_delay_alu instid0(VALU_DEP_2) | instskip(NEXT) | instid1(VALU_DEP_2)
	v_fma_f64 v[27:28], s[6:7], v[21:22], -v[27:28]
	v_fma_f64 v[23:24], s[8:9], v[21:22], v[23:24]
	s_delay_alu instid0(VALU_DEP_2) | instskip(NEXT) | instid1(VALU_DEP_2)
	v_add_f64_e32 v[21:22], v[1:2], v[27:28]
	v_add_f64_e32 v[23:24], v[3:4], v[23:24]
	global_store_b128 v[25:26], v[21:24], off
.LBB130_36:                             ;   in Loop: Header=BB130_7 Depth=1
	s_wait_alu 0xfffe
	s_and_not1_b32 vcc_lo, exec_lo, s3
	s_wait_alu 0xfffe
	s_cbranch_vccnz .LBB130_6
; %bb.37:                               ;   in Loop: Header=BB130_7 Depth=1
	v_add_co_u32 v17, vcc_lo, v19, v17
	s_wait_alu 0xfffd
	v_add_co_ci_u32_e64 v18, null, v20, v18, vcc_lo
	global_store_b128 v[17:18], v[1:4], off
	s_branch .LBB130_6
.LBB130_38:
.LBB130_39:
	s_endpgm
	.section	.rodata,"a",@progbits
	.p2align	6, 0x0
	.amdhsa_kernel _ZL29rocblas_internal_gemmt_kernelIiLi16ELi32ELi8ELc84ELc84ELc85ELb0ELb0E19rocblas_complex_numIdES1_PKS1_PS1_EviT_T9_T10_S5_lS7_S5_lS6_T11_S5_li
		.amdhsa_group_segment_fixed_size 8192
		.amdhsa_private_segment_fixed_size 0
		.amdhsa_kernarg_size 116
		.amdhsa_user_sgpr_count 2
		.amdhsa_user_sgpr_dispatch_ptr 0
		.amdhsa_user_sgpr_queue_ptr 0
		.amdhsa_user_sgpr_kernarg_segment_ptr 1
		.amdhsa_user_sgpr_dispatch_id 0
		.amdhsa_user_sgpr_private_segment_size 0
		.amdhsa_wavefront_size32 1
		.amdhsa_uses_dynamic_stack 0
		.amdhsa_enable_private_segment 0
		.amdhsa_system_sgpr_workgroup_id_x 1
		.amdhsa_system_sgpr_workgroup_id_y 1
		.amdhsa_system_sgpr_workgroup_id_z 1
		.amdhsa_system_sgpr_workgroup_info 0
		.amdhsa_system_vgpr_workitem_id 1
		.amdhsa_next_free_vgpr 65
		.amdhsa_next_free_sgpr 40
		.amdhsa_reserve_vcc 1
		.amdhsa_float_round_mode_32 0
		.amdhsa_float_round_mode_16_64 0
		.amdhsa_float_denorm_mode_32 3
		.amdhsa_float_denorm_mode_16_64 3
		.amdhsa_fp16_overflow 0
		.amdhsa_workgroup_processor_mode 1
		.amdhsa_memory_ordered 1
		.amdhsa_forward_progress 1
		.amdhsa_inst_pref_size 29
		.amdhsa_round_robin_scheduling 0
		.amdhsa_exception_fp_ieee_invalid_op 0
		.amdhsa_exception_fp_denorm_src 0
		.amdhsa_exception_fp_ieee_div_zero 0
		.amdhsa_exception_fp_ieee_overflow 0
		.amdhsa_exception_fp_ieee_underflow 0
		.amdhsa_exception_fp_ieee_inexact 0
		.amdhsa_exception_int_div_zero 0
	.end_amdhsa_kernel
	.section	.text._ZL29rocblas_internal_gemmt_kernelIiLi16ELi32ELi8ELc84ELc84ELc85ELb0ELb0E19rocblas_complex_numIdES1_PKS1_PS1_EviT_T9_T10_S5_lS7_S5_lS6_T11_S5_li,"axG",@progbits,_ZL29rocblas_internal_gemmt_kernelIiLi16ELi32ELi8ELc84ELc84ELc85ELb0ELb0E19rocblas_complex_numIdES1_PKS1_PS1_EviT_T9_T10_S5_lS7_S5_lS6_T11_S5_li,comdat
.Lfunc_end130:
	.size	_ZL29rocblas_internal_gemmt_kernelIiLi16ELi32ELi8ELc84ELc84ELc85ELb0ELb0E19rocblas_complex_numIdES1_PKS1_PS1_EviT_T9_T10_S5_lS7_S5_lS6_T11_S5_li, .Lfunc_end130-_ZL29rocblas_internal_gemmt_kernelIiLi16ELi32ELi8ELc84ELc84ELc85ELb0ELb0E19rocblas_complex_numIdES1_PKS1_PS1_EviT_T9_T10_S5_lS7_S5_lS6_T11_S5_li
                                        ; -- End function
	.set _ZL29rocblas_internal_gemmt_kernelIiLi16ELi32ELi8ELc84ELc84ELc85ELb0ELb0E19rocblas_complex_numIdES1_PKS1_PS1_EviT_T9_T10_S5_lS7_S5_lS6_T11_S5_li.num_vgpr, 65
	.set _ZL29rocblas_internal_gemmt_kernelIiLi16ELi32ELi8ELc84ELc84ELc85ELb0ELb0E19rocblas_complex_numIdES1_PKS1_PS1_EviT_T9_T10_S5_lS7_S5_lS6_T11_S5_li.num_agpr, 0
	.set _ZL29rocblas_internal_gemmt_kernelIiLi16ELi32ELi8ELc84ELc84ELc85ELb0ELb0E19rocblas_complex_numIdES1_PKS1_PS1_EviT_T9_T10_S5_lS7_S5_lS6_T11_S5_li.numbered_sgpr, 40
	.set _ZL29rocblas_internal_gemmt_kernelIiLi16ELi32ELi8ELc84ELc84ELc85ELb0ELb0E19rocblas_complex_numIdES1_PKS1_PS1_EviT_T9_T10_S5_lS7_S5_lS6_T11_S5_li.num_named_barrier, 0
	.set _ZL29rocblas_internal_gemmt_kernelIiLi16ELi32ELi8ELc84ELc84ELc85ELb0ELb0E19rocblas_complex_numIdES1_PKS1_PS1_EviT_T9_T10_S5_lS7_S5_lS6_T11_S5_li.private_seg_size, 0
	.set _ZL29rocblas_internal_gemmt_kernelIiLi16ELi32ELi8ELc84ELc84ELc85ELb0ELb0E19rocblas_complex_numIdES1_PKS1_PS1_EviT_T9_T10_S5_lS7_S5_lS6_T11_S5_li.uses_vcc, 1
	.set _ZL29rocblas_internal_gemmt_kernelIiLi16ELi32ELi8ELc84ELc84ELc85ELb0ELb0E19rocblas_complex_numIdES1_PKS1_PS1_EviT_T9_T10_S5_lS7_S5_lS6_T11_S5_li.uses_flat_scratch, 0
	.set _ZL29rocblas_internal_gemmt_kernelIiLi16ELi32ELi8ELc84ELc84ELc85ELb0ELb0E19rocblas_complex_numIdES1_PKS1_PS1_EviT_T9_T10_S5_lS7_S5_lS6_T11_S5_li.has_dyn_sized_stack, 0
	.set _ZL29rocblas_internal_gemmt_kernelIiLi16ELi32ELi8ELc84ELc84ELc85ELb0ELb0E19rocblas_complex_numIdES1_PKS1_PS1_EviT_T9_T10_S5_lS7_S5_lS6_T11_S5_li.has_recursion, 0
	.set _ZL29rocblas_internal_gemmt_kernelIiLi16ELi32ELi8ELc84ELc84ELc85ELb0ELb0E19rocblas_complex_numIdES1_PKS1_PS1_EviT_T9_T10_S5_lS7_S5_lS6_T11_S5_li.has_indirect_call, 0
	.section	.AMDGPU.csdata,"",@progbits
; Kernel info:
; codeLenInByte = 3692
; TotalNumSgprs: 42
; NumVgprs: 65
; ScratchSize: 0
; MemoryBound: 0
; FloatMode: 240
; IeeeMode: 1
; LDSByteSize: 8192 bytes/workgroup (compile time only)
; SGPRBlocks: 0
; VGPRBlocks: 8
; NumSGPRsForWavesPerEU: 42
; NumVGPRsForWavesPerEU: 65
; Occupancy: 16
; WaveLimiterHint : 0
; COMPUTE_PGM_RSRC2:SCRATCH_EN: 0
; COMPUTE_PGM_RSRC2:USER_SGPR: 2
; COMPUTE_PGM_RSRC2:TRAP_HANDLER: 0
; COMPUTE_PGM_RSRC2:TGID_X_EN: 1
; COMPUTE_PGM_RSRC2:TGID_Y_EN: 1
; COMPUTE_PGM_RSRC2:TGID_Z_EN: 1
; COMPUTE_PGM_RSRC2:TIDIG_COMP_CNT: 1
	.section	.text._ZL29rocblas_internal_gemmt_kernelIiLi16ELi32ELi8ELc84ELc67ELc85ELb0ELb1E19rocblas_complex_numIdES1_PKS1_PS1_EviT_T9_T10_S5_lS7_S5_lS6_T11_S5_li,"axG",@progbits,_ZL29rocblas_internal_gemmt_kernelIiLi16ELi32ELi8ELc84ELc67ELc85ELb0ELb1E19rocblas_complex_numIdES1_PKS1_PS1_EviT_T9_T10_S5_lS7_S5_lS6_T11_S5_li,comdat
	.globl	_ZL29rocblas_internal_gemmt_kernelIiLi16ELi32ELi8ELc84ELc67ELc85ELb0ELb1E19rocblas_complex_numIdES1_PKS1_PS1_EviT_T9_T10_S5_lS7_S5_lS6_T11_S5_li ; -- Begin function _ZL29rocblas_internal_gemmt_kernelIiLi16ELi32ELi8ELc84ELc67ELc85ELb0ELb1E19rocblas_complex_numIdES1_PKS1_PS1_EviT_T9_T10_S5_lS7_S5_lS6_T11_S5_li
	.p2align	8
	.type	_ZL29rocblas_internal_gemmt_kernelIiLi16ELi32ELi8ELc84ELc67ELc85ELb0ELb1E19rocblas_complex_numIdES1_PKS1_PS1_EviT_T9_T10_S5_lS7_S5_lS6_T11_S5_li,@function
_ZL29rocblas_internal_gemmt_kernelIiLi16ELi32ELi8ELc84ELc67ELc85ELb0ELb1E19rocblas_complex_numIdES1_PKS1_PS1_EviT_T9_T10_S5_lS7_S5_lS6_T11_S5_li: ; @_ZL29rocblas_internal_gemmt_kernelIiLi16ELi32ELi8ELc84ELc67ELc85ELb0ELb1E19rocblas_complex_numIdES1_PKS1_PS1_EviT_T9_T10_S5_lS7_S5_lS6_T11_S5_li
; %bb.0:
	s_clause 0x2
	s_load_b256 s[4:11], s[0:1], 0x40
	s_load_b64 s[24:25], s[0:1], 0x0
	s_load_b128 s[12:15], s[0:1], 0x8
	s_wait_kmcnt 0x0
	v_cmp_eq_f64_e64 s2, s[6:7], 1.0
	v_cmp_eq_f64_e64 s33, s[8:9], 0
	s_and_b32 s2, s2, s33
	s_delay_alu instid0(SALU_CYCLE_1)
	s_and_not1_b32 vcc_lo, exec_lo, s2
	s_mov_b32 s2, -1
	s_cbranch_vccnz .LBB131_3
; %bb.1:
	s_cmp_lg_u32 s25, 0
	s_cbranch_scc0 .LBB131_36
; %bb.2:
	v_cmp_neq_f64_e64 s2, s[12:13], 0
	v_cmp_neq_f64_e64 s3, s[14:15], 0
	s_or_b32 s2, s2, s3
.LBB131_3:
	s_delay_alu instid0(SALU_CYCLE_1)
	s_and_b32 vcc_lo, exec_lo, s2
	s_cbranch_vccz .LBB131_37
; %bb.4:
	s_load_b32 s23, s[0:1], 0x70
	s_lshr_b32 s26, ttmp7, 16
	s_wait_kmcnt 0x0
	s_cmp_ge_u32 s26, s23
	s_cbranch_scc1 .LBB131_37
; %bb.5:
	v_cmp_neq_f64_e64 s34, s[12:13], 0
	v_cmp_neq_f64_e64 s35, s[14:15], 0
	v_and_b32_e32 v1, 0x3ff, v0
	v_bfe_u32 v2, v0, 10, 10
	s_clause 0x4
	s_load_b96 s[20:22], s[0:1], 0x18
	s_load_b128 s[16:19], s[0:1], 0x28
	s_load_b32 s30, s[0:1], 0x38
	s_load_b32 s37, s[0:1], 0x60
	s_load_b64 s[28:29], s[0:1], 0x68
	v_and_b32_e32 v37, 7, v0
	s_lshl_b32 s0, ttmp9, 5
	v_lshlrev_b32_e32 v38, 4, v1
	v_lshl_add_u32 v0, v2, 4, v1
	v_add_nc_u32_e32 v5, s0, v1
	v_lshlrev_b32_e32 v3, 4, v37
	s_lshl_b32 s1, ttmp7, 5
	v_cmp_neq_f64_e64 s36, s[6:7], 0
	v_lshrrev_b32_e32 v40, 5, v0
	v_and_b32_e32 v1, 31, v0
	v_lshrrev_b32_e32 v0, 3, v0
	s_wait_alu 0xfffe
	s_and_b32 s2, s1, 0x1fffe0
	v_lshl_add_u32 v39, v2, 7, 0x1000
	v_add_nc_u32_e32 v2, s2, v2
	v_add_nc_u32_e32 v7, 16, v5
	v_or_b32_e32 v4, s0, v1
	v_add_nc_u32_e32 v11, s2, v0
	v_lshlrev_b32_e32 v1, 4, v1
	v_lshl_or_b32 v0, v0, 7, v3
	v_cmp_gt_i32_e32 vcc_lo, s24, v2
	v_cmp_le_i32_e64 s1, v5, v2
	v_cmp_le_i32_e64 s2, v7, v2
	v_lshl_or_b32 v41, v40, 9, v1
	v_add_nc_u32_e32 v42, 0x1000, v0
	s_wait_kmcnt 0x0
	v_mad_co_i64_i32 v[0:1], null, v2, s37, 0
	v_add_nc_u32_e32 v12, 16, v2
	v_mad_co_i64_i32 v[2:3], null, s22, v4, 0
	v_mad_co_i64_i32 v[9:10], null, s30, v37, 0
	s_ashr_i32 s31, s30, 31
	v_cmp_gt_i32_e64 s3, s24, v4
	v_lshlrev_b32_e32 v4, 4, v40
	s_or_b32 s38, s34, s35
	s_cmp_gt_i32 s25, 0
	v_lshlrev_b64_e32 v[2:3], 4, v[2:3]
	s_cselect_b32 s39, -1, 0
	s_and_b32 s34, vcc_lo, s1
	s_and_b32 s35, vcc_lo, s2
	v_cmp_gt_i32_e32 vcc_lo, s24, v12
	v_cmp_le_i32_e64 s1, v5, v12
	v_cmp_le_i32_e64 s2, v7, v12
	v_lshlrev_b64_e32 v[9:10], 4, v[9:10]
	v_cmp_gt_i32_e64 s0, s24, v11
	v_lshlrev_b32_e32 v11, 4, v11
	s_and_b32 s1, vcc_lo, s1
	s_and_b32 s22, vcc_lo, s2
	v_add_co_u32 v2, vcc_lo, v2, v4
	s_delay_alu instid0(VALU_DEP_1)
	v_add_co_ci_u32_e64 v3, null, 0, v3, vcc_lo
	v_add_co_u32 v4, vcc_lo, v9, v11
	s_wait_alu 0xfffd
	v_add_co_ci_u32_e64 v11, null, 0, v10, vcc_lo
	v_mad_co_i64_i32 v[15:16], null, v12, s37, 0
	v_add_co_u32 v9, vcc_lo, s20, v2
	s_wait_alu 0xfffd
	v_add_co_ci_u32_e64 v10, null, s21, v3, vcc_lo
	v_add_co_u32 v2, vcc_lo, s18, v4
	s_wait_alu 0xfffd
	v_add_co_ci_u32_e64 v3, null, s19, v11, vcc_lo
	v_lshlrev_b64_e32 v[13:14], 4, v[0:1]
	s_delay_alu instid0(VALU_DEP_3)
	v_add_co_u32 v11, vcc_lo, v2, 8
	v_lshlrev_b64_e32 v[15:16], 4, v[15:16]
	v_ashrrev_i32_e32 v6, 31, v5
	v_ashrrev_i32_e32 v8, 31, v7
	s_wait_alu 0xfffd
	v_add_co_ci_u32_e64 v12, null, 0, v3, vcc_lo
	v_mov_b32_e32 v0, 0
	s_xor_b32 s33, s33, -1
	s_mov_b32 s27, 0
	s_or_b32 s33, s36, s33
	s_lshl_b64 s[16:17], s[16:17], 4
	s_and_b32 s20, s38, s39
	s_lshl_b64 s[4:5], s[4:5], 4
	s_wait_alu 0xfffe
	s_lshl_b64 s[18:19], s[30:31], 7
	s_xor_b32 s21, s3, -1
	s_branch .LBB131_7
.LBB131_6:                              ;   in Loop: Header=BB131_7 Depth=1
	s_wait_alu 0xfffe
	s_or_b32 exec_lo, exec_lo, s2
	s_add_co_i32 s26, s26, 0x10000
	s_wait_alu 0xfffe
	s_cmp_lt_u32 s26, s23
	s_cbranch_scc0 .LBB131_37
.LBB131_7:                              ; =>This Loop Header: Depth=1
                                        ;     Child Loop BB131_10 Depth 2
	v_mov_b32_e32 v33, 0
	v_mov_b32_e32 v29, 0
	;; [unrolled: 1-line block ×3, first 2 shown]
	v_dual_mov_b32 v23, 0 :: v_dual_mov_b32 v34, 0
	v_dual_mov_b32 v35, 0 :: v_dual_mov_b32 v30, 0
	;; [unrolled: 1-line block ×5, first 2 shown]
	v_mov_b32_e32 v32, 0
	v_mov_b32_e32 v28, 0
	;; [unrolled: 1-line block ×3, first 2 shown]
	s_and_not1_b32 vcc_lo, exec_lo, s20
	s_wait_alu 0xfffe
	s_cbranch_vccnz .LBB131_16
; %bb.8:                                ;   in Loop: Header=BB131_7 Depth=1
	v_mad_co_u64_u32 v[17:18], null, s16, s26, v[9:10]
	v_mad_co_u64_u32 v[19:20], null, s4, s26, v[11:12]
	v_mov_b32_e32 v21, 0
	v_mov_b32_e32 v23, 0
	;; [unrolled: 1-line block ×4, first 2 shown]
	v_dual_mov_b32 v1, v18 :: v_dual_mov_b32 v22, 0
	v_mov_b32_e32 v2, v20
	v_dual_mov_b32 v24, 0 :: v_dual_mov_b32 v27, 0
	v_dual_mov_b32 v26, 0 :: v_dual_mov_b32 v31, 0
	s_delay_alu instid0(VALU_DEP_3)
	v_mad_co_u64_u32 v[3:4], null, s17, s26, v[1:2]
	v_dual_mov_b32 v30, 0 :: v_dual_mov_b32 v35, 0
	v_dual_mov_b32 v33, 0 :: v_dual_mov_b32 v28, 0
	v_mov_b32_e32 v32, 0
	v_mov_b32_e32 v36, 0
	v_mad_co_u64_u32 v[1:2], null, s5, s26, v[2:3]
	v_mov_b32_e32 v34, 0
	v_mov_b32_e32 v18, v3
	s_mov_b32 s2, 0
	s_delay_alu instid0(VALU_DEP_3)
	v_mov_b32_e32 v20, v1
	s_branch .LBB131_10
.LBB131_9:                              ;   in Loop: Header=BB131_10 Depth=2
	s_wait_alu 0xfffe
	s_or_b32 exec_lo, exec_lo, s3
	ds_store_b128 v42, v[1:4]
	s_wait_dscnt 0x0
	s_barrier_signal -1
	s_barrier_wait -1
	global_inv scope:SCOPE_SE
	ds_load_b128 v[1:4], v39
	ds_load_b128 v[43:46], v38
	ds_load_b128 v[47:50], v38 offset:256
	ds_load_b128 v[51:54], v39 offset:2048
	;; [unrolled: 1-line block ×10, first 2 shown]
	v_add_co_u32 v17, vcc_lo, 0x80, v17
	s_wait_alu 0xfffd
	v_add_co_ci_u32_e64 v18, null, 0, v18, vcc_lo
	v_add_co_u32 v19, vcc_lo, v19, s18
	s_wait_alu 0xfffd
	v_add_co_ci_u32_e64 v20, null, s19, v20, vcc_lo
	s_add_co_i32 s2, s2, 8
	s_wait_alu 0xfffe
	s_cmp_lt_i32 s2, s25
	s_wait_dscnt 0xa
	v_mul_f64_e32 v[87:88], v[3:4], v[45:46]
	v_mul_f64_e32 v[89:90], v[1:2], v[45:46]
	s_wait_dscnt 0x9
	v_mul_f64_e32 v[91:92], v[3:4], v[49:50]
	v_mul_f64_e32 v[93:94], v[1:2], v[49:50]
	;; [unrolled: 3-line block ×3, first 2 shown]
	v_mul_f64_e32 v[97:98], v[53:54], v[49:50]
	v_mul_f64_e32 v[49:50], v[51:52], v[49:50]
	s_wait_dscnt 0x5
	v_mul_f64_e32 v[99:100], v[57:58], v[65:66]
	v_mul_f64_e32 v[101:102], v[55:56], v[65:66]
	s_wait_dscnt 0x4
	v_mul_f64_e32 v[103:104], v[57:58], v[69:70]
	v_mul_f64_e32 v[105:106], v[55:56], v[69:70]
	;; [unrolled: 1-line block ×6, first 2 shown]
	s_wait_dscnt 0x2
	v_mul_f64_e32 v[115:116], v[73:74], v[77:78]
	v_mul_f64_e32 v[117:118], v[71:72], v[77:78]
	s_wait_dscnt 0x1
	v_mul_f64_e32 v[119:120], v[73:74], v[81:82]
	v_mul_f64_e32 v[121:122], v[71:72], v[81:82]
	;; [unrolled: 3-line block ×3, first 2 shown]
	v_mul_f64_e32 v[125:126], v[85:86], v[81:82]
	v_mul_f64_e32 v[81:82], v[83:84], v[81:82]
	v_fma_f64 v[87:88], v[1:2], v[43:44], -v[87:88]
	v_fma_f64 v[89:90], v[3:4], v[43:44], v[89:90]
	v_fma_f64 v[91:92], v[1:2], v[47:48], -v[91:92]
	v_fma_f64 v[93:94], v[3:4], v[47:48], v[93:94]
	v_fma_f64 v[95:96], v[51:52], v[43:44], -v[95:96]
	v_fma_f64 v[111:112], v[53:54], v[43:44], v[45:46]
	v_fma_f64 v[97:98], v[51:52], v[47:48], -v[97:98]
	v_fma_f64 v[113:114], v[53:54], v[47:48], v[49:50]
	v_fma_f64 v[99:100], v[55:56], v[63:64], -v[99:100]
	v_fma_f64 v[101:102], v[57:58], v[63:64], v[101:102]
	v_fma_f64 v[55:56], v[55:56], v[67:68], -v[103:104]
	v_fma_f64 v[57:58], v[57:58], v[67:68], v[105:106]
	v_fma_f64 v[103:104], v[59:60], v[63:64], -v[107:108]
	v_fma_f64 v[63:64], v[61:62], v[63:64], v[65:66]
	v_fma_f64 v[59:60], v[59:60], v[67:68], -v[109:110]
	v_fma_f64 v[61:62], v[61:62], v[67:68], v[69:70]
	ds_load_b128 v[1:4], v39 offset:48
	ds_load_b128 v[43:46], v39 offset:2096
	;; [unrolled: 1-line block ×4, first 2 shown]
	v_fma_f64 v[115:116], v[71:72], v[75:76], -v[115:116]
	v_fma_f64 v[117:118], v[73:74], v[75:76], v[117:118]
	v_fma_f64 v[71:72], v[71:72], v[79:80], -v[119:120]
	v_fma_f64 v[73:74], v[73:74], v[79:80], v[121:122]
	;; [unrolled: 2-line block ×4, first 2 shown]
	s_wait_dscnt 0x1
	v_mul_f64_e32 v[105:106], v[1:2], v[49:50]
	s_wait_dscnt 0x0
	v_mul_f64_e32 v[107:108], v[3:4], v[53:54]
	v_mul_f64_e32 v[109:110], v[1:2], v[53:54]
	v_add_f64_e32 v[65:66], v[33:34], v[87:88]
	v_add_f64_e32 v[67:68], v[89:90], v[35:36]
	;; [unrolled: 1-line block ×8, first 2 shown]
	v_mul_f64_e32 v[97:98], v[3:4], v[49:50]
	v_mul_f64_e32 v[111:112], v[45:46], v[49:50]
	;; [unrolled: 1-line block ×5, first 2 shown]
	ds_load_b128 v[21:24], v39 offset:64
	ds_load_b128 v[25:28], v38 offset:2048
	;; [unrolled: 1-line block ×4, first 2 shown]
	s_wait_dscnt 0x0
	v_mul_f64_e32 v[121:122], v[35:36], v[27:28]
	v_mul_f64_e32 v[123:124], v[35:36], v[31:32]
	v_fma_f64 v[105:106], v[3:4], v[47:48], v[105:106]
	v_fma_f64 v[107:108], v[1:2], v[51:52], -v[107:108]
	v_fma_f64 v[109:110], v[3:4], v[51:52], v[109:110]
	v_add_f64_e32 v[81:82], v[65:66], v[99:100]
	v_add_f64_e32 v[83:84], v[101:102], v[67:68]
	;; [unrolled: 1-line block ×8, first 2 shown]
	v_mul_f64_e32 v[95:96], v[23:24], v[27:28]
	v_mul_f64_e32 v[99:100], v[21:22], v[27:28]
	;; [unrolled: 1-line block ×6, first 2 shown]
	v_fma_f64 v[97:98], v[1:2], v[47:48], -v[97:98]
	v_fma_f64 v[111:112], v[43:44], v[47:48], -v[111:112]
	v_fma_f64 v[125:126], v[45:46], v[47:48], v[49:50]
	v_fma_f64 v[113:114], v[43:44], v[51:52], -v[113:114]
	v_fma_f64 v[51:52], v[45:46], v[51:52], v[127:128]
	ds_load_b128 v[53:56], v39 offset:80
	ds_load_b128 v[57:60], v39 offset:2128
	;; [unrolled: 1-line block ×4, first 2 shown]
	v_fma_f64 v[121:122], v[33:34], v[25:26], -v[121:122]
	v_fma_f64 v[123:124], v[33:34], v[29:30], -v[123:124]
	v_add_f64_e32 v[81:82], v[81:82], v[115:116]
	v_add_f64_e32 v[83:84], v[117:118], v[83:84]
	;; [unrolled: 1-line block ×8, first 2 shown]
	s_wait_dscnt 0x1
	v_mul_f64_e32 v[87:88], v[55:56], v[63:64]
	v_mul_f64_e32 v[89:90], v[53:54], v[63:64]
	s_wait_dscnt 0x0
	v_mul_f64_e32 v[91:92], v[55:56], v[67:68]
	v_mul_f64_e32 v[93:94], v[53:54], v[67:68]
	;; [unrolled: 1-line block ×6, first 2 shown]
	v_fma_f64 v[95:96], v[21:22], v[25:26], -v[95:96]
	v_fma_f64 v[99:100], v[23:24], v[25:26], v[99:100]
	v_fma_f64 v[101:102], v[21:22], v[29:30], -v[101:102]
	v_fma_f64 v[103:104], v[23:24], v[29:30], v[103:104]
	v_fma_f64 v[127:128], v[35:36], v[25:26], v[27:28]
	;; [unrolled: 1-line block ×3, first 2 shown]
	ds_load_b128 v[1:4], v39 offset:96
	ds_load_b128 v[43:46], v38 offset:3072
	;; [unrolled: 1-line block ×8, first 2 shown]
	s_wait_loadcnt_dscnt 0x0
	s_barrier_signal -1
	s_barrier_wait -1
	global_inv scope:SCOPE_SE
	v_add_f64_e32 v[81:82], v[81:82], v[97:98]
	v_add_f64_e32 v[83:84], v[105:106], v[83:84]
	;; [unrolled: 1-line block ×8, first 2 shown]
	v_mul_f64_e32 v[79:80], v[3:4], v[45:46]
	v_mul_f64_e32 v[105:106], v[1:2], v[45:46]
	v_mul_f64_e32 v[107:108], v[3:4], v[49:50]
	v_mul_f64_e32 v[109:110], v[1:2], v[49:50]
	v_mul_f64_e32 v[111:112], v[71:72], v[45:46]
	v_mul_f64_e32 v[45:46], v[69:70], v[45:46]
	v_mul_f64_e32 v[113:114], v[71:72], v[49:50]
	v_mul_f64_e32 v[49:50], v[69:70], v[49:50]
	v_fma_f64 v[87:88], v[53:54], v[61:62], -v[87:88]
	v_fma_f64 v[89:90], v[55:56], v[61:62], v[89:90]
	v_fma_f64 v[53:54], v[53:54], v[65:66], -v[91:92]
	v_fma_f64 v[55:56], v[55:56], v[65:66], v[93:94]
	;; [unrolled: 2-line block ×4, first 2 shown]
	v_mul_f64_e32 v[93:94], v[23:24], v[35:36]
	v_add_f64_e32 v[63:64], v[81:82], v[95:96]
	v_add_f64_e32 v[65:66], v[99:100], v[83:84]
	;; [unrolled: 1-line block ×8, first 2 shown]
	v_mul_f64_e32 v[83:84], v[23:24], v[31:32]
	v_mul_f64_e32 v[85:86], v[21:22], v[31:32]
	;; [unrolled: 1-line block ×7, first 2 shown]
	v_fma_f64 v[79:80], v[1:2], v[43:44], -v[79:80]
	v_fma_f64 v[101:102], v[3:4], v[43:44], v[105:106]
	v_fma_f64 v[1:2], v[1:2], v[47:48], -v[107:108]
	v_fma_f64 v[3:4], v[3:4], v[47:48], v[109:110]
	;; [unrolled: 2-line block ×4, first 2 shown]
	v_add_f64_e32 v[49:50], v[63:64], v[87:88]
	v_add_f64_e32 v[63:64], v[89:90], v[65:66]
	;; [unrolled: 1-line block ×8, first 2 shown]
	v_fma_f64 v[59:60], v[21:22], v[29:30], -v[83:84]
	v_fma_f64 v[67:68], v[23:24], v[29:30], v[85:86]
	v_fma_f64 v[21:22], v[21:22], v[33:34], -v[93:94]
	v_fma_f64 v[23:24], v[23:24], v[33:34], v[95:96]
	v_fma_f64 v[69:70], v[25:26], v[29:30], -v[97:98]
	v_fma_f64 v[71:72], v[27:28], v[29:30], v[31:32]
	v_fma_f64 v[73:74], v[25:26], v[33:34], -v[99:100]
	v_fma_f64 v[75:76], v[27:28], v[33:34], v[35:36]
	v_add_f64_e32 v[25:26], v[49:50], v[79:80]
	v_add_f64_e32 v[27:28], v[101:102], v[63:64]
	;; [unrolled: 1-line block ×16, first 2 shown]
	s_cbranch_scc0 .LBB131_16
.LBB131_10:                             ;   Parent Loop BB131_7 Depth=1
                                        ; =>  This Inner Loop Header: Depth=2
	s_wait_alu 0xfffe
	v_add_nc_u32_e32 v1, s2, v40
	s_delay_alu instid0(VALU_DEP_1)
	v_cmp_le_i32_e32 vcc_lo, s25, v1
	s_or_b32 s3, s21, vcc_lo
	s_wait_alu 0xfffe
	s_and_saveexec_b32 s24, s3
	s_wait_alu 0xfffe
	s_xor_b32 s3, exec_lo, s24
; %bb.11:                               ;   in Loop: Header=BB131_10 Depth=2
	v_dual_mov_b32 v1, v0 :: v_dual_mov_b32 v2, v0
	v_mov_b32_e32 v3, v0
	ds_store_b128 v41, v[0:3]
; %bb.12:                               ;   in Loop: Header=BB131_10 Depth=2
	s_wait_alu 0xfffe
	s_and_not1_saveexec_b32 s3, s3
	s_cbranch_execz .LBB131_14
; %bb.13:                               ;   in Loop: Header=BB131_10 Depth=2
	global_load_b128 v[1:4], v[17:18], off
	s_wait_loadcnt 0x0
	ds_store_2addr_b64 v41, v[1:2], v[3:4] offset1:1
.LBB131_14:                             ;   in Loop: Header=BB131_10 Depth=2
	s_wait_alu 0xfffe
	s_or_b32 exec_lo, exec_lo, s3
	v_add_nc_u32_e32 v1, s2, v37
	v_mov_b32_e32 v3, 0
	v_mov_b32_e32 v4, 0
	s_delay_alu instid0(VALU_DEP_3)
	v_cmp_gt_i32_e32 vcc_lo, s25, v1
	v_mov_b32_e32 v1, 0
	v_mov_b32_e32 v2, 0
	s_and_b32 s24, vcc_lo, s0
	s_wait_alu 0xfffe
	s_and_saveexec_b32 s3, s24
	s_cbranch_execz .LBB131_9
; %bb.15:                               ;   in Loop: Header=BB131_10 Depth=2
	global_load_b128 v[1:4], v[19:20], off offset:-8
	s_wait_loadcnt 0x0
	v_xor_b32_e32 v4, 0x80000000, v4
	s_branch .LBB131_9
.LBB131_16:                             ;   in Loop: Header=BB131_7 Depth=1
	s_mul_u64 s[2:3], s[28:29], s[26:27]
	s_wait_alu 0xfffe
	s_lshl_b64 s[2:3], s[2:3], 4
	s_wait_alu 0xfffe
	s_add_nc_u64 s[2:3], s[10:11], s[2:3]
	s_wait_alu 0xfffe
	v_add_co_u32 v17, vcc_lo, s2, v13
	s_wait_alu 0xfffd
	v_add_co_ci_u32_e64 v18, null, s3, v14, vcc_lo
	s_and_saveexec_b32 s24, s34
	s_cbranch_execz .LBB131_21
; %bb.17:                               ;   in Loop: Header=BB131_7 Depth=1
	v_mul_f64_e32 v[1:2], s[14:15], v[35:36]
	v_mul_f64_e32 v[3:4], s[12:13], v[35:36]
	s_and_b32 vcc_lo, exec_lo, s33
	s_mov_b32 s30, -1
	s_delay_alu instid0(VALU_DEP_2) | instskip(NEXT) | instid1(VALU_DEP_2)
	v_fma_f64 v[1:2], s[12:13], v[33:34], -v[1:2]
	v_fma_f64 v[3:4], s[14:15], v[33:34], v[3:4]
	s_wait_alu 0xfffe
	s_cbranch_vccz .LBB131_19
; %bb.18:                               ;   in Loop: Header=BB131_7 Depth=1
	v_lshlrev_b64_e32 v[19:20], 4, v[5:6]
	s_mov_b32 s30, 0
	s_delay_alu instid0(VALU_DEP_1) | instskip(SKIP_1) | instid1(VALU_DEP_2)
	v_add_co_u32 v19, vcc_lo, v17, v19
	s_wait_alu 0xfffd
	v_add_co_ci_u32_e64 v20, null, v18, v20, vcc_lo
	global_load_b128 v[33:36], v[19:20], off
	s_wait_loadcnt 0x0
	v_mul_f64_e32 v[43:44], s[8:9], v[35:36]
	v_mul_f64_e32 v[35:36], s[6:7], v[35:36]
	s_delay_alu instid0(VALU_DEP_2) | instskip(NEXT) | instid1(VALU_DEP_2)
	v_fma_f64 v[43:44], s[6:7], v[33:34], -v[43:44]
	v_fma_f64 v[35:36], s[8:9], v[33:34], v[35:36]
	s_delay_alu instid0(VALU_DEP_2) | instskip(NEXT) | instid1(VALU_DEP_2)
	v_add_f64_e32 v[33:34], v[1:2], v[43:44]
	v_add_f64_e32 v[35:36], v[3:4], v[35:36]
	global_store_b128 v[19:20], v[33:36], off
.LBB131_19:                             ;   in Loop: Header=BB131_7 Depth=1
	s_wait_alu 0xfffe
	s_and_not1_b32 vcc_lo, exec_lo, s30
	s_wait_alu 0xfffe
	s_cbranch_vccnz .LBB131_21
; %bb.20:                               ;   in Loop: Header=BB131_7 Depth=1
	v_lshlrev_b64_e32 v[19:20], 4, v[5:6]
	s_delay_alu instid0(VALU_DEP_1) | instskip(SKIP_1) | instid1(VALU_DEP_2)
	v_add_co_u32 v19, vcc_lo, v17, v19
	s_wait_alu 0xfffd
	v_add_co_ci_u32_e64 v20, null, v18, v20, vcc_lo
	global_store_b128 v[19:20], v[1:4], off
.LBB131_21:                             ;   in Loop: Header=BB131_7 Depth=1
	s_wait_alu 0xfffe
	s_or_b32 exec_lo, exec_lo, s24
	s_and_saveexec_b32 s24, s35
	s_cbranch_execz .LBB131_26
; %bb.22:                               ;   in Loop: Header=BB131_7 Depth=1
	v_mul_f64_e32 v[1:2], s[14:15], v[31:32]
	v_mul_f64_e32 v[3:4], s[12:13], v[31:32]
	s_and_not1_b32 vcc_lo, exec_lo, s33
	s_mov_b32 s30, -1
	s_delay_alu instid0(VALU_DEP_2) | instskip(NEXT) | instid1(VALU_DEP_2)
	v_fma_f64 v[1:2], s[12:13], v[29:30], -v[1:2]
	v_fma_f64 v[3:4], s[14:15], v[29:30], v[3:4]
	s_wait_alu 0xfffe
	s_cbranch_vccnz .LBB131_24
; %bb.23:                               ;   in Loop: Header=BB131_7 Depth=1
	v_lshlrev_b64_e32 v[19:20], 4, v[7:8]
	s_mov_b32 s30, 0
	s_delay_alu instid0(VALU_DEP_1) | instskip(SKIP_1) | instid1(VALU_DEP_2)
	v_add_co_u32 v19, vcc_lo, v17, v19
	s_wait_alu 0xfffd
	v_add_co_ci_u32_e64 v20, null, v18, v20, vcc_lo
	global_load_b128 v[29:32], v[19:20], off
	s_wait_loadcnt 0x0
	v_mul_f64_e32 v[33:34], s[8:9], v[31:32]
	v_mul_f64_e32 v[31:32], s[6:7], v[31:32]
	s_delay_alu instid0(VALU_DEP_2) | instskip(NEXT) | instid1(VALU_DEP_2)
	v_fma_f64 v[33:34], s[6:7], v[29:30], -v[33:34]
	v_fma_f64 v[31:32], s[8:9], v[29:30], v[31:32]
	s_delay_alu instid0(VALU_DEP_2) | instskip(NEXT) | instid1(VALU_DEP_2)
	v_add_f64_e32 v[29:30], v[1:2], v[33:34]
	v_add_f64_e32 v[31:32], v[3:4], v[31:32]
	global_store_b128 v[19:20], v[29:32], off
.LBB131_24:                             ;   in Loop: Header=BB131_7 Depth=1
	s_wait_alu 0xfffe
	s_and_not1_b32 vcc_lo, exec_lo, s30
	s_wait_alu 0xfffe
	s_cbranch_vccnz .LBB131_26
; %bb.25:                               ;   in Loop: Header=BB131_7 Depth=1
	v_lshlrev_b64_e32 v[19:20], 4, v[7:8]
	s_delay_alu instid0(VALU_DEP_1) | instskip(SKIP_1) | instid1(VALU_DEP_2)
	v_add_co_u32 v17, vcc_lo, v17, v19
	s_wait_alu 0xfffd
	v_add_co_ci_u32_e64 v18, null, v18, v20, vcc_lo
	global_store_b128 v[17:18], v[1:4], off
.LBB131_26:                             ;   in Loop: Header=BB131_7 Depth=1
	s_wait_alu 0xfffe
	s_or_b32 exec_lo, exec_lo, s24
	v_add_co_u32 v19, vcc_lo, s2, v15
	s_wait_alu 0xfffd
	v_add_co_ci_u32_e64 v20, null, s3, v16, vcc_lo
	s_and_saveexec_b32 s2, s1
	s_cbranch_execz .LBB131_31
; %bb.27:                               ;   in Loop: Header=BB131_7 Depth=1
	v_mul_f64_e32 v[1:2], s[14:15], v[27:28]
	v_mul_f64_e32 v[3:4], s[12:13], v[27:28]
	v_lshlrev_b64_e32 v[17:18], 4, v[5:6]
	s_and_not1_b32 vcc_lo, exec_lo, s33
	s_mov_b32 s3, -1
	s_delay_alu instid0(VALU_DEP_3) | instskip(NEXT) | instid1(VALU_DEP_3)
	v_fma_f64 v[1:2], s[12:13], v[25:26], -v[1:2]
	v_fma_f64 v[3:4], s[14:15], v[25:26], v[3:4]
	s_wait_alu 0xfffe
	s_cbranch_vccnz .LBB131_29
; %bb.28:                               ;   in Loop: Header=BB131_7 Depth=1
	v_add_co_u32 v29, vcc_lo, v19, v17
	s_wait_alu 0xfffd
	v_add_co_ci_u32_e64 v30, null, v20, v18, vcc_lo
	s_mov_b32 s3, 0
	global_load_b128 v[25:28], v[29:30], off
	s_wait_loadcnt 0x0
	v_mul_f64_e32 v[31:32], s[8:9], v[27:28]
	v_mul_f64_e32 v[27:28], s[6:7], v[27:28]
	s_delay_alu instid0(VALU_DEP_2) | instskip(NEXT) | instid1(VALU_DEP_2)
	v_fma_f64 v[31:32], s[6:7], v[25:26], -v[31:32]
	v_fma_f64 v[27:28], s[8:9], v[25:26], v[27:28]
	s_delay_alu instid0(VALU_DEP_2) | instskip(NEXT) | instid1(VALU_DEP_2)
	v_add_f64_e32 v[25:26], v[1:2], v[31:32]
	v_add_f64_e32 v[27:28], v[3:4], v[27:28]
	global_store_b128 v[29:30], v[25:28], off
.LBB131_29:                             ;   in Loop: Header=BB131_7 Depth=1
	s_wait_alu 0xfffe
	s_and_not1_b32 vcc_lo, exec_lo, s3
	s_wait_alu 0xfffe
	s_cbranch_vccnz .LBB131_31
; %bb.30:                               ;   in Loop: Header=BB131_7 Depth=1
	v_add_co_u32 v17, vcc_lo, v19, v17
	s_wait_alu 0xfffd
	v_add_co_ci_u32_e64 v18, null, v20, v18, vcc_lo
	global_store_b128 v[17:18], v[1:4], off
.LBB131_31:                             ;   in Loop: Header=BB131_7 Depth=1
	s_wait_alu 0xfffe
	s_or_b32 exec_lo, exec_lo, s2
	s_and_saveexec_b32 s2, s22
	s_cbranch_execz .LBB131_6
; %bb.32:                               ;   in Loop: Header=BB131_7 Depth=1
	v_mul_f64_e32 v[1:2], s[14:15], v[21:22]
	v_mul_f64_e32 v[3:4], s[12:13], v[21:22]
	v_lshlrev_b64_e32 v[17:18], 4, v[7:8]
	s_and_not1_b32 vcc_lo, exec_lo, s33
	s_mov_b32 s3, -1
	s_delay_alu instid0(VALU_DEP_3) | instskip(NEXT) | instid1(VALU_DEP_3)
	v_fma_f64 v[1:2], s[12:13], v[23:24], -v[1:2]
	v_fma_f64 v[3:4], s[14:15], v[23:24], v[3:4]
	s_wait_alu 0xfffe
	s_cbranch_vccnz .LBB131_34
; %bb.33:                               ;   in Loop: Header=BB131_7 Depth=1
	v_add_co_u32 v25, vcc_lo, v19, v17
	s_wait_alu 0xfffd
	v_add_co_ci_u32_e64 v26, null, v20, v18, vcc_lo
	s_mov_b32 s3, 0
	global_load_b128 v[21:24], v[25:26], off
	s_wait_loadcnt 0x0
	v_mul_f64_e32 v[27:28], s[8:9], v[23:24]
	v_mul_f64_e32 v[23:24], s[6:7], v[23:24]
	s_delay_alu instid0(VALU_DEP_2) | instskip(NEXT) | instid1(VALU_DEP_2)
	v_fma_f64 v[27:28], s[6:7], v[21:22], -v[27:28]
	v_fma_f64 v[23:24], s[8:9], v[21:22], v[23:24]
	s_delay_alu instid0(VALU_DEP_2) | instskip(NEXT) | instid1(VALU_DEP_2)
	v_add_f64_e32 v[21:22], v[1:2], v[27:28]
	v_add_f64_e32 v[23:24], v[3:4], v[23:24]
	global_store_b128 v[25:26], v[21:24], off
.LBB131_34:                             ;   in Loop: Header=BB131_7 Depth=1
	s_wait_alu 0xfffe
	s_and_not1_b32 vcc_lo, exec_lo, s3
	s_wait_alu 0xfffe
	s_cbranch_vccnz .LBB131_6
; %bb.35:                               ;   in Loop: Header=BB131_7 Depth=1
	v_add_co_u32 v17, vcc_lo, v19, v17
	s_wait_alu 0xfffd
	v_add_co_ci_u32_e64 v18, null, v20, v18, vcc_lo
	global_store_b128 v[17:18], v[1:4], off
	s_branch .LBB131_6
.LBB131_36:
.LBB131_37:
	s_nop 0
	s_sendmsg sendmsg(MSG_DEALLOC_VGPRS)
	s_endpgm
	.section	.rodata,"a",@progbits
	.p2align	6, 0x0
	.amdhsa_kernel _ZL29rocblas_internal_gemmt_kernelIiLi16ELi32ELi8ELc84ELc67ELc85ELb0ELb1E19rocblas_complex_numIdES1_PKS1_PS1_EviT_T9_T10_S5_lS7_S5_lS6_T11_S5_li
		.amdhsa_group_segment_fixed_size 8192
		.amdhsa_private_segment_fixed_size 0
		.amdhsa_kernarg_size 116
		.amdhsa_user_sgpr_count 2
		.amdhsa_user_sgpr_dispatch_ptr 0
		.amdhsa_user_sgpr_queue_ptr 0
		.amdhsa_user_sgpr_kernarg_segment_ptr 1
		.amdhsa_user_sgpr_dispatch_id 0
		.amdhsa_user_sgpr_private_segment_size 0
		.amdhsa_wavefront_size32 1
		.amdhsa_uses_dynamic_stack 0
		.amdhsa_enable_private_segment 0
		.amdhsa_system_sgpr_workgroup_id_x 1
		.amdhsa_system_sgpr_workgroup_id_y 1
		.amdhsa_system_sgpr_workgroup_id_z 1
		.amdhsa_system_sgpr_workgroup_info 0
		.amdhsa_system_vgpr_workitem_id 1
		.amdhsa_next_free_vgpr 131
		.amdhsa_next_free_sgpr 40
		.amdhsa_reserve_vcc 1
		.amdhsa_float_round_mode_32 0
		.amdhsa_float_round_mode_16_64 0
		.amdhsa_float_denorm_mode_32 3
		.amdhsa_float_denorm_mode_16_64 3
		.amdhsa_fp16_overflow 0
		.amdhsa_workgroup_processor_mode 1
		.amdhsa_memory_ordered 1
		.amdhsa_forward_progress 1
		.amdhsa_inst_pref_size 27
		.amdhsa_round_robin_scheduling 0
		.amdhsa_exception_fp_ieee_invalid_op 0
		.amdhsa_exception_fp_denorm_src 0
		.amdhsa_exception_fp_ieee_div_zero 0
		.amdhsa_exception_fp_ieee_overflow 0
		.amdhsa_exception_fp_ieee_underflow 0
		.amdhsa_exception_fp_ieee_inexact 0
		.amdhsa_exception_int_div_zero 0
	.end_amdhsa_kernel
	.section	.text._ZL29rocblas_internal_gemmt_kernelIiLi16ELi32ELi8ELc84ELc67ELc85ELb0ELb1E19rocblas_complex_numIdES1_PKS1_PS1_EviT_T9_T10_S5_lS7_S5_lS6_T11_S5_li,"axG",@progbits,_ZL29rocblas_internal_gemmt_kernelIiLi16ELi32ELi8ELc84ELc67ELc85ELb0ELb1E19rocblas_complex_numIdES1_PKS1_PS1_EviT_T9_T10_S5_lS7_S5_lS6_T11_S5_li,comdat
.Lfunc_end131:
	.size	_ZL29rocblas_internal_gemmt_kernelIiLi16ELi32ELi8ELc84ELc67ELc85ELb0ELb1E19rocblas_complex_numIdES1_PKS1_PS1_EviT_T9_T10_S5_lS7_S5_lS6_T11_S5_li, .Lfunc_end131-_ZL29rocblas_internal_gemmt_kernelIiLi16ELi32ELi8ELc84ELc67ELc85ELb0ELb1E19rocblas_complex_numIdES1_PKS1_PS1_EviT_T9_T10_S5_lS7_S5_lS6_T11_S5_li
                                        ; -- End function
	.set _ZL29rocblas_internal_gemmt_kernelIiLi16ELi32ELi8ELc84ELc67ELc85ELb0ELb1E19rocblas_complex_numIdES1_PKS1_PS1_EviT_T9_T10_S5_lS7_S5_lS6_T11_S5_li.num_vgpr, 131
	.set _ZL29rocblas_internal_gemmt_kernelIiLi16ELi32ELi8ELc84ELc67ELc85ELb0ELb1E19rocblas_complex_numIdES1_PKS1_PS1_EviT_T9_T10_S5_lS7_S5_lS6_T11_S5_li.num_agpr, 0
	.set _ZL29rocblas_internal_gemmt_kernelIiLi16ELi32ELi8ELc84ELc67ELc85ELb0ELb1E19rocblas_complex_numIdES1_PKS1_PS1_EviT_T9_T10_S5_lS7_S5_lS6_T11_S5_li.numbered_sgpr, 40
	.set _ZL29rocblas_internal_gemmt_kernelIiLi16ELi32ELi8ELc84ELc67ELc85ELb0ELb1E19rocblas_complex_numIdES1_PKS1_PS1_EviT_T9_T10_S5_lS7_S5_lS6_T11_S5_li.num_named_barrier, 0
	.set _ZL29rocblas_internal_gemmt_kernelIiLi16ELi32ELi8ELc84ELc67ELc85ELb0ELb1E19rocblas_complex_numIdES1_PKS1_PS1_EviT_T9_T10_S5_lS7_S5_lS6_T11_S5_li.private_seg_size, 0
	.set _ZL29rocblas_internal_gemmt_kernelIiLi16ELi32ELi8ELc84ELc67ELc85ELb0ELb1E19rocblas_complex_numIdES1_PKS1_PS1_EviT_T9_T10_S5_lS7_S5_lS6_T11_S5_li.uses_vcc, 1
	.set _ZL29rocblas_internal_gemmt_kernelIiLi16ELi32ELi8ELc84ELc67ELc85ELb0ELb1E19rocblas_complex_numIdES1_PKS1_PS1_EviT_T9_T10_S5_lS7_S5_lS6_T11_S5_li.uses_flat_scratch, 0
	.set _ZL29rocblas_internal_gemmt_kernelIiLi16ELi32ELi8ELc84ELc67ELc85ELb0ELb1E19rocblas_complex_numIdES1_PKS1_PS1_EviT_T9_T10_S5_lS7_S5_lS6_T11_S5_li.has_dyn_sized_stack, 0
	.set _ZL29rocblas_internal_gemmt_kernelIiLi16ELi32ELi8ELc84ELc67ELc85ELb0ELb1E19rocblas_complex_numIdES1_PKS1_PS1_EviT_T9_T10_S5_lS7_S5_lS6_T11_S5_li.has_recursion, 0
	.set _ZL29rocblas_internal_gemmt_kernelIiLi16ELi32ELi8ELc84ELc67ELc85ELb0ELb1E19rocblas_complex_numIdES1_PKS1_PS1_EviT_T9_T10_S5_lS7_S5_lS6_T11_S5_li.has_indirect_call, 0
	.section	.AMDGPU.csdata,"",@progbits
; Kernel info:
; codeLenInByte = 3408
; TotalNumSgprs: 42
; NumVgprs: 131
; ScratchSize: 0
; MemoryBound: 1
; FloatMode: 240
; IeeeMode: 1
; LDSByteSize: 8192 bytes/workgroup (compile time only)
; SGPRBlocks: 0
; VGPRBlocks: 16
; NumSGPRsForWavesPerEU: 42
; NumVGPRsForWavesPerEU: 131
; Occupancy: 10
; WaveLimiterHint : 0
; COMPUTE_PGM_RSRC2:SCRATCH_EN: 0
; COMPUTE_PGM_RSRC2:USER_SGPR: 2
; COMPUTE_PGM_RSRC2:TRAP_HANDLER: 0
; COMPUTE_PGM_RSRC2:TGID_X_EN: 1
; COMPUTE_PGM_RSRC2:TGID_Y_EN: 1
; COMPUTE_PGM_RSRC2:TGID_Z_EN: 1
; COMPUTE_PGM_RSRC2:TIDIG_COMP_CNT: 1
	.section	.text._ZL29rocblas_internal_gemmt_kernelIiLi16ELi32ELi8ELc67ELc78ELc85ELb1ELb0E19rocblas_complex_numIdES1_PKS1_PS1_EviT_T9_T10_S5_lS7_S5_lS6_T11_S5_li,"axG",@progbits,_ZL29rocblas_internal_gemmt_kernelIiLi16ELi32ELi8ELc67ELc78ELc85ELb1ELb0E19rocblas_complex_numIdES1_PKS1_PS1_EviT_T9_T10_S5_lS7_S5_lS6_T11_S5_li,comdat
	.globl	_ZL29rocblas_internal_gemmt_kernelIiLi16ELi32ELi8ELc67ELc78ELc85ELb1ELb0E19rocblas_complex_numIdES1_PKS1_PS1_EviT_T9_T10_S5_lS7_S5_lS6_T11_S5_li ; -- Begin function _ZL29rocblas_internal_gemmt_kernelIiLi16ELi32ELi8ELc67ELc78ELc85ELb1ELb0E19rocblas_complex_numIdES1_PKS1_PS1_EviT_T9_T10_S5_lS7_S5_lS6_T11_S5_li
	.p2align	8
	.type	_ZL29rocblas_internal_gemmt_kernelIiLi16ELi32ELi8ELc67ELc78ELc85ELb1ELb0E19rocblas_complex_numIdES1_PKS1_PS1_EviT_T9_T10_S5_lS7_S5_lS6_T11_S5_li,@function
_ZL29rocblas_internal_gemmt_kernelIiLi16ELi32ELi8ELc67ELc78ELc85ELb1ELb0E19rocblas_complex_numIdES1_PKS1_PS1_EviT_T9_T10_S5_lS7_S5_lS6_T11_S5_li: ; @_ZL29rocblas_internal_gemmt_kernelIiLi16ELi32ELi8ELc67ELc78ELc85ELb1ELb0E19rocblas_complex_numIdES1_PKS1_PS1_EviT_T9_T10_S5_lS7_S5_lS6_T11_S5_li
; %bb.0:
	s_clause 0x2
	s_load_b256 s[4:11], s[0:1], 0x40
	s_load_b64 s[24:25], s[0:1], 0x0
	s_load_b128 s[12:15], s[0:1], 0x8
	s_wait_kmcnt 0x0
	v_cmp_eq_f64_e64 s2, s[6:7], 1.0
	v_cmp_eq_f64_e64 s30, s[8:9], 0
	s_and_b32 s2, s2, s30
	s_delay_alu instid0(SALU_CYCLE_1)
	s_and_not1_b32 vcc_lo, exec_lo, s2
	s_mov_b32 s2, -1
	s_cbranch_vccnz .LBB132_3
; %bb.1:
	s_cmp_lg_u32 s25, 0
	s_cbranch_scc0 .LBB132_36
; %bb.2:
	v_cmp_neq_f64_e64 s2, s[12:13], 0
	v_cmp_neq_f64_e64 s3, s[14:15], 0
	s_or_b32 s2, s2, s3
.LBB132_3:
	s_delay_alu instid0(SALU_CYCLE_1)
	s_and_b32 vcc_lo, exec_lo, s2
	s_cbranch_vccz .LBB132_37
; %bb.4:
	s_load_b32 s23, s[0:1], 0x70
	s_lshr_b32 s26, ttmp7, 16
	s_wait_kmcnt 0x0
	s_cmp_ge_u32 s26, s23
	s_cbranch_scc1 .LBB132_37
; %bb.5:
	v_cmp_neq_f64_e64 s31, s[12:13], 0
	v_cmp_neq_f64_e64 s33, s[14:15], 0
	v_and_b32_e32 v1, 0x3ff, v0
	v_bfe_u32 v2, v0, 10, 10
	s_clause 0x4
	s_load_b96 s[20:22], s[0:1], 0x18
	s_load_b128 s[16:19], s[0:1], 0x28
	s_load_b32 s35, s[0:1], 0x38
	s_load_b32 s36, s[0:1], 0x60
	s_load_b64 s[28:29], s[0:1], 0x68
	v_and_b32_e32 v37, 7, v0
	s_lshl_b32 s0, ttmp9, 5
	v_lshlrev_b32_e32 v38, 4, v1
	v_lshl_add_u32 v0, v2, 4, v1
	v_add_nc_u32_e32 v5, s0, v1
	v_lshlrev_b32_e32 v4, 4, v37
	s_lshl_b32 s1, ttmp7, 5
	v_cmp_neq_f64_e64 s34, s[6:7], 0
	v_lshrrev_b32_e32 v40, 5, v0
	v_lshrrev_b32_e32 v1, 3, v0
	v_and_b32_e32 v0, 31, v0
	s_wait_alu 0xfffe
	s_and_b32 s2, s1, 0x1fffe0
	v_lshl_add_u32 v39, v2, 7, 0x1000
	v_add_nc_u32_e32 v2, s2, v2
	v_add_nc_u32_e32 v7, 16, v5
	v_or_b32_e32 v3, s0, v0
	v_lshlrev_b32_e32 v0, 4, v0
	v_add_nc_u32_e32 v9, s2, v1
	v_lshl_or_b32 v1, v1, 7, v4
	v_cmp_gt_i32_e32 vcc_lo, s24, v2
	v_cmp_le_i32_e64 s1, v5, v2
	v_add_nc_u32_e32 v11, 16, v2
	v_cmp_le_i32_e64 s2, v7, v2
	v_cmp_gt_i32_e64 s0, s24, v3
	v_lshl_or_b32 v41, v40, 9, v0
	v_add_nc_u32_e32 v42, 0x1000, v1
	s_wait_kmcnt 0x0
	v_mad_co_i64_i32 v[0:1], null, v2, s36, 0
	v_mad_co_i64_i32 v[2:3], null, s22, v3, 0
	v_cmp_gt_i32_e64 s3, s24, v9
	v_mad_co_i64_i32 v[9:10], null, s35, v9, 0
	v_lshlrev_b32_e32 v12, 4, v40
	s_or_b32 s33, s31, s33
	s_cmp_gt_i32 s25, 0
	s_delay_alu instid0(VALU_DEP_4)
	v_lshlrev_b64_e32 v[2:3], 4, v[2:3]
	s_cselect_b32 s37, -1, 0
	s_and_b32 s22, vcc_lo, s1
	s_and_b32 s31, vcc_lo, s2
	v_cmp_gt_i32_e32 vcc_lo, s24, v11
	v_cmp_le_i32_e64 s1, v5, v11
	v_cmp_le_i32_e64 s2, v7, v11
	v_mad_co_i64_i32 v[15:16], null, v11, s36, 0
	v_lshlrev_b64_e32 v[13:14], 4, v[0:1]
	s_delay_alu instid0(VALU_DEP_4) | instskip(NEXT) | instid1(VALU_DEP_3)
	s_and_b32 s1, vcc_lo, s1
	s_and_b32 s24, vcc_lo, s2
	v_add_co_u32 v11, vcc_lo, v2, v12
	s_delay_alu instid0(VALU_DEP_1) | instskip(SKIP_1) | instid1(VALU_DEP_3)
	v_add_co_ci_u32_e64 v12, null, 0, v3, vcc_lo
	v_lshlrev_b64_e32 v[2:3], 4, v[9:10]
	v_add_co_u32 v9, vcc_lo, s20, v11
	s_wait_alu 0xfffd
	s_delay_alu instid0(VALU_DEP_3) | instskip(SKIP_1) | instid1(VALU_DEP_4)
	v_add_co_ci_u32_e64 v10, null, s21, v12, vcc_lo
	v_lshlrev_b64_e32 v[15:16], 4, v[15:16]
	v_add_co_u32 v2, vcc_lo, v2, v4
	s_wait_alu 0xfffd
	v_add_co_ci_u32_e64 v3, null, 0, v3, vcc_lo
	v_add_co_u32 v9, vcc_lo, v9, 8
	s_wait_alu 0xfffd
	v_add_co_ci_u32_e64 v10, null, 0, v10, vcc_lo
	v_add_co_u32 v11, vcc_lo, s18, v2
	v_ashrrev_i32_e32 v6, 31, v5
	v_ashrrev_i32_e32 v8, 31, v7
	s_wait_alu 0xfffd
	v_add_co_ci_u32_e64 v12, null, s19, v3, vcc_lo
	v_mov_b32_e32 v0, 0
	s_xor_b32 s30, s30, -1
	s_mov_b32 s27, 0
	s_or_b32 s30, s34, s30
	s_wait_alu 0xfffe
	s_and_b32 s18, s33, s37
	s_lshl_b64 s[16:17], s[16:17], 4
	s_lshl_b64 s[4:5], s[4:5], 4
	s_xor_b32 s19, s3, -1
	s_branch .LBB132_7
.LBB132_6:                              ;   in Loop: Header=BB132_7 Depth=1
	s_wait_alu 0xfffe
	s_or_b32 exec_lo, exec_lo, s2
	s_add_co_i32 s26, s26, 0x10000
	s_wait_alu 0xfffe
	s_cmp_lt_u32 s26, s23
	s_cbranch_scc0 .LBB132_37
.LBB132_7:                              ; =>This Loop Header: Depth=1
                                        ;     Child Loop BB132_10 Depth 2
	v_mov_b32_e32 v33, 0
	v_mov_b32_e32 v29, 0
	;; [unrolled: 1-line block ×3, first 2 shown]
	v_dual_mov_b32 v23, 0 :: v_dual_mov_b32 v34, 0
	v_dual_mov_b32 v35, 0 :: v_dual_mov_b32 v30, 0
	v_dual_mov_b32 v31, 0 :: v_dual_mov_b32 v26, 0
	v_dual_mov_b32 v27, 0 :: v_dual_mov_b32 v24, 0
	v_dual_mov_b32 v21, 0 :: v_dual_mov_b32 v36, 0
	v_mov_b32_e32 v32, 0
	v_mov_b32_e32 v28, 0
	v_mov_b32_e32 v22, 0
	s_wait_alu 0xfffe
	s_and_not1_b32 vcc_lo, exec_lo, s18
	s_wait_alu 0xfffe
	s_cbranch_vccnz .LBB132_16
; %bb.8:                                ;   in Loop: Header=BB132_7 Depth=1
	v_mad_co_u64_u32 v[17:18], null, s16, s26, v[9:10]
	v_mad_co_u64_u32 v[19:20], null, s4, s26, v[11:12]
	v_mov_b32_e32 v21, 0
	v_mov_b32_e32 v23, 0
	;; [unrolled: 1-line block ×4, first 2 shown]
	v_dual_mov_b32 v1, v18 :: v_dual_mov_b32 v22, 0
	v_mov_b32_e32 v2, v20
	v_dual_mov_b32 v24, 0 :: v_dual_mov_b32 v27, 0
	v_dual_mov_b32 v26, 0 :: v_dual_mov_b32 v31, 0
	s_delay_alu instid0(VALU_DEP_3)
	v_mad_co_u64_u32 v[3:4], null, s17, s26, v[1:2]
	v_dual_mov_b32 v30, 0 :: v_dual_mov_b32 v35, 0
	v_dual_mov_b32 v33, 0 :: v_dual_mov_b32 v28, 0
	v_mov_b32_e32 v32, 0
	v_mov_b32_e32 v36, 0
	v_mad_co_u64_u32 v[1:2], null, s5, s26, v[2:3]
	v_mov_b32_e32 v34, 0
	v_mov_b32_e32 v18, v3
	s_mov_b32 s2, 0
	s_delay_alu instid0(VALU_DEP_3)
	v_mov_b32_e32 v20, v1
	s_branch .LBB132_10
.LBB132_9:                              ;   in Loop: Header=BB132_10 Depth=2
	s_wait_alu 0xfffe
	s_or_b32 exec_lo, exec_lo, s3
	s_wait_dscnt 0x0
	s_barrier_signal -1
	s_barrier_wait -1
	global_inv scope:SCOPE_SE
	ds_load_b128 v[1:4], v39
	ds_load_b128 v[43:46], v38
	ds_load_b128 v[47:50], v38 offset:256
	ds_load_b128 v[51:54], v39 offset:2048
	;; [unrolled: 1-line block ×10, first 2 shown]
	v_add_co_u32 v17, vcc_lo, 0x80, v17
	s_wait_alu 0xfffd
	v_add_co_ci_u32_e64 v18, null, 0, v18, vcc_lo
	v_add_co_u32 v19, vcc_lo, 0x80, v19
	s_wait_alu 0xfffd
	v_add_co_ci_u32_e64 v20, null, 0, v20, vcc_lo
	s_add_co_i32 s2, s2, 8
	s_wait_alu 0xfffe
	s_cmp_lt_i32 s2, s25
	s_wait_dscnt 0xa
	v_mul_f64_e32 v[87:88], v[3:4], v[45:46]
	v_mul_f64_e32 v[89:90], v[1:2], v[45:46]
	s_wait_dscnt 0x9
	v_mul_f64_e32 v[91:92], v[3:4], v[49:50]
	v_mul_f64_e32 v[93:94], v[1:2], v[49:50]
	;; [unrolled: 3-line block ×3, first 2 shown]
	v_mul_f64_e32 v[97:98], v[53:54], v[49:50]
	v_mul_f64_e32 v[49:50], v[51:52], v[49:50]
	s_wait_dscnt 0x5
	v_mul_f64_e32 v[99:100], v[57:58], v[65:66]
	v_mul_f64_e32 v[101:102], v[55:56], v[65:66]
	s_wait_dscnt 0x4
	v_mul_f64_e32 v[103:104], v[57:58], v[69:70]
	v_mul_f64_e32 v[105:106], v[55:56], v[69:70]
	;; [unrolled: 1-line block ×6, first 2 shown]
	s_wait_dscnt 0x2
	v_mul_f64_e32 v[115:116], v[73:74], v[77:78]
	v_mul_f64_e32 v[117:118], v[71:72], v[77:78]
	s_wait_dscnt 0x1
	v_mul_f64_e32 v[119:120], v[73:74], v[81:82]
	v_mul_f64_e32 v[121:122], v[71:72], v[81:82]
	;; [unrolled: 3-line block ×3, first 2 shown]
	v_mul_f64_e32 v[125:126], v[85:86], v[81:82]
	v_mul_f64_e32 v[81:82], v[83:84], v[81:82]
	v_fma_f64 v[87:88], v[1:2], v[43:44], -v[87:88]
	v_fma_f64 v[89:90], v[3:4], v[43:44], v[89:90]
	v_fma_f64 v[91:92], v[1:2], v[47:48], -v[91:92]
	v_fma_f64 v[93:94], v[3:4], v[47:48], v[93:94]
	v_fma_f64 v[95:96], v[51:52], v[43:44], -v[95:96]
	v_fma_f64 v[111:112], v[53:54], v[43:44], v[45:46]
	v_fma_f64 v[97:98], v[51:52], v[47:48], -v[97:98]
	v_fma_f64 v[113:114], v[53:54], v[47:48], v[49:50]
	v_fma_f64 v[99:100], v[55:56], v[63:64], -v[99:100]
	v_fma_f64 v[101:102], v[57:58], v[63:64], v[101:102]
	v_fma_f64 v[55:56], v[55:56], v[67:68], -v[103:104]
	v_fma_f64 v[57:58], v[57:58], v[67:68], v[105:106]
	v_fma_f64 v[103:104], v[59:60], v[63:64], -v[107:108]
	v_fma_f64 v[63:64], v[61:62], v[63:64], v[65:66]
	v_fma_f64 v[59:60], v[59:60], v[67:68], -v[109:110]
	v_fma_f64 v[61:62], v[61:62], v[67:68], v[69:70]
	ds_load_b128 v[1:4], v39 offset:48
	ds_load_b128 v[43:46], v39 offset:2096
	;; [unrolled: 1-line block ×4, first 2 shown]
	v_fma_f64 v[115:116], v[71:72], v[75:76], -v[115:116]
	v_fma_f64 v[117:118], v[73:74], v[75:76], v[117:118]
	v_fma_f64 v[71:72], v[71:72], v[79:80], -v[119:120]
	v_fma_f64 v[73:74], v[73:74], v[79:80], v[121:122]
	;; [unrolled: 2-line block ×4, first 2 shown]
	s_wait_dscnt 0x1
	v_mul_f64_e32 v[105:106], v[1:2], v[49:50]
	s_wait_dscnt 0x0
	v_mul_f64_e32 v[107:108], v[3:4], v[53:54]
	v_mul_f64_e32 v[109:110], v[1:2], v[53:54]
	v_add_f64_e32 v[65:66], v[33:34], v[87:88]
	v_add_f64_e32 v[67:68], v[89:90], v[35:36]
	;; [unrolled: 1-line block ×8, first 2 shown]
	v_mul_f64_e32 v[97:98], v[3:4], v[49:50]
	v_mul_f64_e32 v[111:112], v[45:46], v[49:50]
	;; [unrolled: 1-line block ×5, first 2 shown]
	ds_load_b128 v[21:24], v39 offset:64
	ds_load_b128 v[25:28], v38 offset:2048
	;; [unrolled: 1-line block ×4, first 2 shown]
	s_wait_dscnt 0x0
	v_mul_f64_e32 v[121:122], v[35:36], v[27:28]
	v_mul_f64_e32 v[123:124], v[35:36], v[31:32]
	v_fma_f64 v[105:106], v[3:4], v[47:48], v[105:106]
	v_fma_f64 v[107:108], v[1:2], v[51:52], -v[107:108]
	v_fma_f64 v[109:110], v[3:4], v[51:52], v[109:110]
	v_add_f64_e32 v[81:82], v[65:66], v[99:100]
	v_add_f64_e32 v[83:84], v[101:102], v[67:68]
	;; [unrolled: 1-line block ×8, first 2 shown]
	v_mul_f64_e32 v[95:96], v[23:24], v[27:28]
	v_mul_f64_e32 v[99:100], v[21:22], v[27:28]
	;; [unrolled: 1-line block ×6, first 2 shown]
	v_fma_f64 v[97:98], v[1:2], v[47:48], -v[97:98]
	v_fma_f64 v[111:112], v[43:44], v[47:48], -v[111:112]
	v_fma_f64 v[125:126], v[45:46], v[47:48], v[49:50]
	v_fma_f64 v[113:114], v[43:44], v[51:52], -v[113:114]
	v_fma_f64 v[51:52], v[45:46], v[51:52], v[127:128]
	ds_load_b128 v[53:56], v39 offset:80
	ds_load_b128 v[57:60], v39 offset:2128
	;; [unrolled: 1-line block ×4, first 2 shown]
	v_fma_f64 v[121:122], v[33:34], v[25:26], -v[121:122]
	v_fma_f64 v[123:124], v[33:34], v[29:30], -v[123:124]
	v_add_f64_e32 v[81:82], v[81:82], v[115:116]
	v_add_f64_e32 v[83:84], v[117:118], v[83:84]
	;; [unrolled: 1-line block ×8, first 2 shown]
	s_wait_dscnt 0x1
	v_mul_f64_e32 v[87:88], v[55:56], v[63:64]
	v_mul_f64_e32 v[89:90], v[53:54], v[63:64]
	s_wait_dscnt 0x0
	v_mul_f64_e32 v[91:92], v[55:56], v[67:68]
	v_mul_f64_e32 v[93:94], v[53:54], v[67:68]
	;; [unrolled: 1-line block ×6, first 2 shown]
	v_fma_f64 v[95:96], v[21:22], v[25:26], -v[95:96]
	v_fma_f64 v[99:100], v[23:24], v[25:26], v[99:100]
	v_fma_f64 v[101:102], v[21:22], v[29:30], -v[101:102]
	v_fma_f64 v[103:104], v[23:24], v[29:30], v[103:104]
	v_fma_f64 v[127:128], v[35:36], v[25:26], v[27:28]
	;; [unrolled: 1-line block ×3, first 2 shown]
	ds_load_b128 v[1:4], v39 offset:96
	ds_load_b128 v[43:46], v38 offset:3072
	;; [unrolled: 1-line block ×8, first 2 shown]
	s_wait_loadcnt_dscnt 0x0
	s_barrier_signal -1
	s_barrier_wait -1
	global_inv scope:SCOPE_SE
	v_add_f64_e32 v[81:82], v[81:82], v[97:98]
	v_add_f64_e32 v[83:84], v[105:106], v[83:84]
	;; [unrolled: 1-line block ×8, first 2 shown]
	v_mul_f64_e32 v[79:80], v[3:4], v[45:46]
	v_mul_f64_e32 v[105:106], v[1:2], v[45:46]
	;; [unrolled: 1-line block ×8, first 2 shown]
	v_fma_f64 v[87:88], v[53:54], v[61:62], -v[87:88]
	v_fma_f64 v[89:90], v[55:56], v[61:62], v[89:90]
	v_fma_f64 v[53:54], v[53:54], v[65:66], -v[91:92]
	v_fma_f64 v[55:56], v[55:56], v[65:66], v[93:94]
	;; [unrolled: 2-line block ×4, first 2 shown]
	v_mul_f64_e32 v[93:94], v[23:24], v[35:36]
	v_add_f64_e32 v[63:64], v[81:82], v[95:96]
	v_add_f64_e32 v[65:66], v[99:100], v[83:84]
	;; [unrolled: 1-line block ×8, first 2 shown]
	v_mul_f64_e32 v[83:84], v[23:24], v[31:32]
	v_mul_f64_e32 v[85:86], v[21:22], v[31:32]
	;; [unrolled: 1-line block ×7, first 2 shown]
	v_fma_f64 v[79:80], v[1:2], v[43:44], -v[79:80]
	v_fma_f64 v[101:102], v[3:4], v[43:44], v[105:106]
	v_fma_f64 v[1:2], v[1:2], v[47:48], -v[107:108]
	v_fma_f64 v[3:4], v[3:4], v[47:48], v[109:110]
	;; [unrolled: 2-line block ×4, first 2 shown]
	v_add_f64_e32 v[49:50], v[63:64], v[87:88]
	v_add_f64_e32 v[63:64], v[89:90], v[65:66]
	;; [unrolled: 1-line block ×8, first 2 shown]
	v_fma_f64 v[59:60], v[21:22], v[29:30], -v[83:84]
	v_fma_f64 v[67:68], v[23:24], v[29:30], v[85:86]
	v_fma_f64 v[21:22], v[21:22], v[33:34], -v[93:94]
	v_fma_f64 v[23:24], v[23:24], v[33:34], v[95:96]
	;; [unrolled: 2-line block ×4, first 2 shown]
	v_add_f64_e32 v[25:26], v[49:50], v[79:80]
	v_add_f64_e32 v[27:28], v[101:102], v[63:64]
	;; [unrolled: 1-line block ×16, first 2 shown]
	s_cbranch_scc0 .LBB132_16
.LBB132_10:                             ;   Parent Loop BB132_7 Depth=1
                                        ; =>  This Inner Loop Header: Depth=2
	s_wait_alu 0xfffe
	v_add_nc_u32_e32 v1, s2, v40
	v_mov_b32_e32 v3, 0
	v_mov_b32_e32 v4, 0
	s_delay_alu instid0(VALU_DEP_3)
	v_cmp_gt_i32_e32 vcc_lo, s25, v1
	v_mov_b32_e32 v1, 0
	v_mov_b32_e32 v2, 0
	s_and_b32 s20, s0, vcc_lo
	s_wait_alu 0xfffe
	s_and_saveexec_b32 s3, s20
	s_cbranch_execz .LBB132_12
; %bb.11:                               ;   in Loop: Header=BB132_10 Depth=2
	global_load_b128 v[1:4], v[17:18], off offset:-8
	s_wait_loadcnt 0x0
	v_xor_b32_e32 v4, 0x80000000, v4
.LBB132_12:                             ;   in Loop: Header=BB132_10 Depth=2
	s_wait_alu 0xfffe
	s_or_b32 exec_lo, exec_lo, s3
	v_add_nc_u32_e32 v43, s2, v37
	ds_store_b128 v41, v[1:4]
	v_cmp_le_i32_e32 vcc_lo, s25, v43
	s_or_b32 s3, vcc_lo, s19
	s_wait_alu 0xfffe
	s_and_saveexec_b32 s20, s3
	s_wait_alu 0xfffe
	s_xor_b32 s3, exec_lo, s20
; %bb.13:                               ;   in Loop: Header=BB132_10 Depth=2
	v_dual_mov_b32 v1, v0 :: v_dual_mov_b32 v2, v0
	v_mov_b32_e32 v3, v0
	ds_store_b128 v42, v[0:3]
; %bb.14:                               ;   in Loop: Header=BB132_10 Depth=2
	s_wait_alu 0xfffe
	s_and_not1_saveexec_b32 s3, s3
	s_cbranch_execz .LBB132_9
; %bb.15:                               ;   in Loop: Header=BB132_10 Depth=2
	global_load_b128 v[1:4], v[19:20], off
	s_wait_loadcnt 0x0
	ds_store_2addr_b64 v42, v[1:2], v[3:4] offset1:1
	s_branch .LBB132_9
.LBB132_16:                             ;   in Loop: Header=BB132_7 Depth=1
	s_mul_u64 s[2:3], s[28:29], s[26:27]
	s_wait_alu 0xfffe
	s_lshl_b64 s[2:3], s[2:3], 4
	s_wait_alu 0xfffe
	s_add_nc_u64 s[2:3], s[10:11], s[2:3]
	s_wait_alu 0xfffe
	v_add_co_u32 v17, vcc_lo, s2, v13
	s_wait_alu 0xfffd
	v_add_co_ci_u32_e64 v18, null, s3, v14, vcc_lo
	s_and_saveexec_b32 s20, s22
	s_cbranch_execz .LBB132_21
; %bb.17:                               ;   in Loop: Header=BB132_7 Depth=1
	v_mul_f64_e32 v[1:2], s[14:15], v[35:36]
	v_mul_f64_e32 v[3:4], s[12:13], v[35:36]
	s_and_b32 vcc_lo, exec_lo, s30
	s_mov_b32 s21, -1
	s_delay_alu instid0(VALU_DEP_2) | instskip(NEXT) | instid1(VALU_DEP_2)
	v_fma_f64 v[1:2], s[12:13], v[33:34], -v[1:2]
	v_fma_f64 v[3:4], s[14:15], v[33:34], v[3:4]
	s_wait_alu 0xfffe
	s_cbranch_vccz .LBB132_19
; %bb.18:                               ;   in Loop: Header=BB132_7 Depth=1
	v_lshlrev_b64_e32 v[19:20], 4, v[5:6]
	s_mov_b32 s21, 0
	s_delay_alu instid0(VALU_DEP_1) | instskip(SKIP_1) | instid1(VALU_DEP_2)
	v_add_co_u32 v19, vcc_lo, v17, v19
	s_wait_alu 0xfffd
	v_add_co_ci_u32_e64 v20, null, v18, v20, vcc_lo
	global_load_b128 v[33:36], v[19:20], off
	s_wait_loadcnt 0x0
	v_mul_f64_e32 v[43:44], s[8:9], v[35:36]
	v_mul_f64_e32 v[35:36], s[6:7], v[35:36]
	s_delay_alu instid0(VALU_DEP_2) | instskip(NEXT) | instid1(VALU_DEP_2)
	v_fma_f64 v[43:44], s[6:7], v[33:34], -v[43:44]
	v_fma_f64 v[35:36], s[8:9], v[33:34], v[35:36]
	s_delay_alu instid0(VALU_DEP_2) | instskip(NEXT) | instid1(VALU_DEP_2)
	v_add_f64_e32 v[33:34], v[1:2], v[43:44]
	v_add_f64_e32 v[35:36], v[3:4], v[35:36]
	global_store_b128 v[19:20], v[33:36], off
.LBB132_19:                             ;   in Loop: Header=BB132_7 Depth=1
	s_wait_alu 0xfffe
	s_and_not1_b32 vcc_lo, exec_lo, s21
	s_wait_alu 0xfffe
	s_cbranch_vccnz .LBB132_21
; %bb.20:                               ;   in Loop: Header=BB132_7 Depth=1
	v_lshlrev_b64_e32 v[19:20], 4, v[5:6]
	s_delay_alu instid0(VALU_DEP_1) | instskip(SKIP_1) | instid1(VALU_DEP_2)
	v_add_co_u32 v19, vcc_lo, v17, v19
	s_wait_alu 0xfffd
	v_add_co_ci_u32_e64 v20, null, v18, v20, vcc_lo
	global_store_b128 v[19:20], v[1:4], off
.LBB132_21:                             ;   in Loop: Header=BB132_7 Depth=1
	s_wait_alu 0xfffe
	s_or_b32 exec_lo, exec_lo, s20
	s_and_saveexec_b32 s20, s31
	s_cbranch_execz .LBB132_26
; %bb.22:                               ;   in Loop: Header=BB132_7 Depth=1
	v_mul_f64_e32 v[1:2], s[14:15], v[31:32]
	v_mul_f64_e32 v[3:4], s[12:13], v[31:32]
	s_and_not1_b32 vcc_lo, exec_lo, s30
	s_mov_b32 s21, -1
	s_delay_alu instid0(VALU_DEP_2) | instskip(NEXT) | instid1(VALU_DEP_2)
	v_fma_f64 v[1:2], s[12:13], v[29:30], -v[1:2]
	v_fma_f64 v[3:4], s[14:15], v[29:30], v[3:4]
	s_wait_alu 0xfffe
	s_cbranch_vccnz .LBB132_24
; %bb.23:                               ;   in Loop: Header=BB132_7 Depth=1
	v_lshlrev_b64_e32 v[19:20], 4, v[7:8]
	s_mov_b32 s21, 0
	s_delay_alu instid0(VALU_DEP_1) | instskip(SKIP_1) | instid1(VALU_DEP_2)
	v_add_co_u32 v19, vcc_lo, v17, v19
	s_wait_alu 0xfffd
	v_add_co_ci_u32_e64 v20, null, v18, v20, vcc_lo
	global_load_b128 v[29:32], v[19:20], off
	s_wait_loadcnt 0x0
	v_mul_f64_e32 v[33:34], s[8:9], v[31:32]
	v_mul_f64_e32 v[31:32], s[6:7], v[31:32]
	s_delay_alu instid0(VALU_DEP_2) | instskip(NEXT) | instid1(VALU_DEP_2)
	v_fma_f64 v[33:34], s[6:7], v[29:30], -v[33:34]
	v_fma_f64 v[31:32], s[8:9], v[29:30], v[31:32]
	s_delay_alu instid0(VALU_DEP_2) | instskip(NEXT) | instid1(VALU_DEP_2)
	v_add_f64_e32 v[29:30], v[1:2], v[33:34]
	v_add_f64_e32 v[31:32], v[3:4], v[31:32]
	global_store_b128 v[19:20], v[29:32], off
.LBB132_24:                             ;   in Loop: Header=BB132_7 Depth=1
	s_wait_alu 0xfffe
	s_and_not1_b32 vcc_lo, exec_lo, s21
	s_wait_alu 0xfffe
	s_cbranch_vccnz .LBB132_26
; %bb.25:                               ;   in Loop: Header=BB132_7 Depth=1
	v_lshlrev_b64_e32 v[19:20], 4, v[7:8]
	s_delay_alu instid0(VALU_DEP_1) | instskip(SKIP_1) | instid1(VALU_DEP_2)
	v_add_co_u32 v17, vcc_lo, v17, v19
	s_wait_alu 0xfffd
	v_add_co_ci_u32_e64 v18, null, v18, v20, vcc_lo
	global_store_b128 v[17:18], v[1:4], off
.LBB132_26:                             ;   in Loop: Header=BB132_7 Depth=1
	s_wait_alu 0xfffe
	s_or_b32 exec_lo, exec_lo, s20
	v_add_co_u32 v19, vcc_lo, s2, v15
	s_wait_alu 0xfffd
	v_add_co_ci_u32_e64 v20, null, s3, v16, vcc_lo
	s_and_saveexec_b32 s2, s1
	s_cbranch_execz .LBB132_31
; %bb.27:                               ;   in Loop: Header=BB132_7 Depth=1
	v_mul_f64_e32 v[1:2], s[14:15], v[27:28]
	v_mul_f64_e32 v[3:4], s[12:13], v[27:28]
	v_lshlrev_b64_e32 v[17:18], 4, v[5:6]
	s_and_not1_b32 vcc_lo, exec_lo, s30
	s_mov_b32 s3, -1
	s_delay_alu instid0(VALU_DEP_3) | instskip(NEXT) | instid1(VALU_DEP_3)
	v_fma_f64 v[1:2], s[12:13], v[25:26], -v[1:2]
	v_fma_f64 v[3:4], s[14:15], v[25:26], v[3:4]
	s_wait_alu 0xfffe
	s_cbranch_vccnz .LBB132_29
; %bb.28:                               ;   in Loop: Header=BB132_7 Depth=1
	v_add_co_u32 v29, vcc_lo, v19, v17
	s_wait_alu 0xfffd
	v_add_co_ci_u32_e64 v30, null, v20, v18, vcc_lo
	s_mov_b32 s3, 0
	global_load_b128 v[25:28], v[29:30], off
	s_wait_loadcnt 0x0
	v_mul_f64_e32 v[31:32], s[8:9], v[27:28]
	v_mul_f64_e32 v[27:28], s[6:7], v[27:28]
	s_delay_alu instid0(VALU_DEP_2) | instskip(NEXT) | instid1(VALU_DEP_2)
	v_fma_f64 v[31:32], s[6:7], v[25:26], -v[31:32]
	v_fma_f64 v[27:28], s[8:9], v[25:26], v[27:28]
	s_delay_alu instid0(VALU_DEP_2) | instskip(NEXT) | instid1(VALU_DEP_2)
	v_add_f64_e32 v[25:26], v[1:2], v[31:32]
	v_add_f64_e32 v[27:28], v[3:4], v[27:28]
	global_store_b128 v[29:30], v[25:28], off
.LBB132_29:                             ;   in Loop: Header=BB132_7 Depth=1
	s_wait_alu 0xfffe
	s_and_not1_b32 vcc_lo, exec_lo, s3
	s_wait_alu 0xfffe
	s_cbranch_vccnz .LBB132_31
; %bb.30:                               ;   in Loop: Header=BB132_7 Depth=1
	v_add_co_u32 v17, vcc_lo, v19, v17
	s_wait_alu 0xfffd
	v_add_co_ci_u32_e64 v18, null, v20, v18, vcc_lo
	global_store_b128 v[17:18], v[1:4], off
.LBB132_31:                             ;   in Loop: Header=BB132_7 Depth=1
	s_wait_alu 0xfffe
	s_or_b32 exec_lo, exec_lo, s2
	s_and_saveexec_b32 s2, s24
	s_cbranch_execz .LBB132_6
; %bb.32:                               ;   in Loop: Header=BB132_7 Depth=1
	v_mul_f64_e32 v[1:2], s[14:15], v[21:22]
	v_mul_f64_e32 v[3:4], s[12:13], v[21:22]
	v_lshlrev_b64_e32 v[17:18], 4, v[7:8]
	s_and_not1_b32 vcc_lo, exec_lo, s30
	s_mov_b32 s3, -1
	s_delay_alu instid0(VALU_DEP_3) | instskip(NEXT) | instid1(VALU_DEP_3)
	v_fma_f64 v[1:2], s[12:13], v[23:24], -v[1:2]
	v_fma_f64 v[3:4], s[14:15], v[23:24], v[3:4]
	s_wait_alu 0xfffe
	s_cbranch_vccnz .LBB132_34
; %bb.33:                               ;   in Loop: Header=BB132_7 Depth=1
	v_add_co_u32 v25, vcc_lo, v19, v17
	s_wait_alu 0xfffd
	v_add_co_ci_u32_e64 v26, null, v20, v18, vcc_lo
	s_mov_b32 s3, 0
	global_load_b128 v[21:24], v[25:26], off
	s_wait_loadcnt 0x0
	v_mul_f64_e32 v[27:28], s[8:9], v[23:24]
	v_mul_f64_e32 v[23:24], s[6:7], v[23:24]
	s_delay_alu instid0(VALU_DEP_2) | instskip(NEXT) | instid1(VALU_DEP_2)
	v_fma_f64 v[27:28], s[6:7], v[21:22], -v[27:28]
	v_fma_f64 v[23:24], s[8:9], v[21:22], v[23:24]
	s_delay_alu instid0(VALU_DEP_2) | instskip(NEXT) | instid1(VALU_DEP_2)
	v_add_f64_e32 v[21:22], v[1:2], v[27:28]
	v_add_f64_e32 v[23:24], v[3:4], v[23:24]
	global_store_b128 v[25:26], v[21:24], off
.LBB132_34:                             ;   in Loop: Header=BB132_7 Depth=1
	s_wait_alu 0xfffe
	s_and_not1_b32 vcc_lo, exec_lo, s3
	s_wait_alu 0xfffe
	s_cbranch_vccnz .LBB132_6
; %bb.35:                               ;   in Loop: Header=BB132_7 Depth=1
	v_add_co_u32 v17, vcc_lo, v19, v17
	s_wait_alu 0xfffd
	v_add_co_ci_u32_e64 v18, null, v20, v18, vcc_lo
	global_store_b128 v[17:18], v[1:4], off
	s_branch .LBB132_6
.LBB132_36:
.LBB132_37:
	s_nop 0
	s_sendmsg sendmsg(MSG_DEALLOC_VGPRS)
	s_endpgm
	.section	.rodata,"a",@progbits
	.p2align	6, 0x0
	.amdhsa_kernel _ZL29rocblas_internal_gemmt_kernelIiLi16ELi32ELi8ELc67ELc78ELc85ELb1ELb0E19rocblas_complex_numIdES1_PKS1_PS1_EviT_T9_T10_S5_lS7_S5_lS6_T11_S5_li
		.amdhsa_group_segment_fixed_size 8192
		.amdhsa_private_segment_fixed_size 0
		.amdhsa_kernarg_size 116
		.amdhsa_user_sgpr_count 2
		.amdhsa_user_sgpr_dispatch_ptr 0
		.amdhsa_user_sgpr_queue_ptr 0
		.amdhsa_user_sgpr_kernarg_segment_ptr 1
		.amdhsa_user_sgpr_dispatch_id 0
		.amdhsa_user_sgpr_private_segment_size 0
		.amdhsa_wavefront_size32 1
		.amdhsa_uses_dynamic_stack 0
		.amdhsa_enable_private_segment 0
		.amdhsa_system_sgpr_workgroup_id_x 1
		.amdhsa_system_sgpr_workgroup_id_y 1
		.amdhsa_system_sgpr_workgroup_id_z 1
		.amdhsa_system_sgpr_workgroup_info 0
		.amdhsa_system_vgpr_workitem_id 1
		.amdhsa_next_free_vgpr 131
		.amdhsa_next_free_sgpr 38
		.amdhsa_reserve_vcc 1
		.amdhsa_float_round_mode_32 0
		.amdhsa_float_round_mode_16_64 0
		.amdhsa_float_denorm_mode_32 3
		.amdhsa_float_denorm_mode_16_64 3
		.amdhsa_fp16_overflow 0
		.amdhsa_workgroup_processor_mode 1
		.amdhsa_memory_ordered 1
		.amdhsa_forward_progress 1
		.amdhsa_inst_pref_size 27
		.amdhsa_round_robin_scheduling 0
		.amdhsa_exception_fp_ieee_invalid_op 0
		.amdhsa_exception_fp_denorm_src 0
		.amdhsa_exception_fp_ieee_div_zero 0
		.amdhsa_exception_fp_ieee_overflow 0
		.amdhsa_exception_fp_ieee_underflow 0
		.amdhsa_exception_fp_ieee_inexact 0
		.amdhsa_exception_int_div_zero 0
	.end_amdhsa_kernel
	.section	.text._ZL29rocblas_internal_gemmt_kernelIiLi16ELi32ELi8ELc67ELc78ELc85ELb1ELb0E19rocblas_complex_numIdES1_PKS1_PS1_EviT_T9_T10_S5_lS7_S5_lS6_T11_S5_li,"axG",@progbits,_ZL29rocblas_internal_gemmt_kernelIiLi16ELi32ELi8ELc67ELc78ELc85ELb1ELb0E19rocblas_complex_numIdES1_PKS1_PS1_EviT_T9_T10_S5_lS7_S5_lS6_T11_S5_li,comdat
.Lfunc_end132:
	.size	_ZL29rocblas_internal_gemmt_kernelIiLi16ELi32ELi8ELc67ELc78ELc85ELb1ELb0E19rocblas_complex_numIdES1_PKS1_PS1_EviT_T9_T10_S5_lS7_S5_lS6_T11_S5_li, .Lfunc_end132-_ZL29rocblas_internal_gemmt_kernelIiLi16ELi32ELi8ELc67ELc78ELc85ELb1ELb0E19rocblas_complex_numIdES1_PKS1_PS1_EviT_T9_T10_S5_lS7_S5_lS6_T11_S5_li
                                        ; -- End function
	.set _ZL29rocblas_internal_gemmt_kernelIiLi16ELi32ELi8ELc67ELc78ELc85ELb1ELb0E19rocblas_complex_numIdES1_PKS1_PS1_EviT_T9_T10_S5_lS7_S5_lS6_T11_S5_li.num_vgpr, 131
	.set _ZL29rocblas_internal_gemmt_kernelIiLi16ELi32ELi8ELc67ELc78ELc85ELb1ELb0E19rocblas_complex_numIdES1_PKS1_PS1_EviT_T9_T10_S5_lS7_S5_lS6_T11_S5_li.num_agpr, 0
	.set _ZL29rocblas_internal_gemmt_kernelIiLi16ELi32ELi8ELc67ELc78ELc85ELb1ELb0E19rocblas_complex_numIdES1_PKS1_PS1_EviT_T9_T10_S5_lS7_S5_lS6_T11_S5_li.numbered_sgpr, 38
	.set _ZL29rocblas_internal_gemmt_kernelIiLi16ELi32ELi8ELc67ELc78ELc85ELb1ELb0E19rocblas_complex_numIdES1_PKS1_PS1_EviT_T9_T10_S5_lS7_S5_lS6_T11_S5_li.num_named_barrier, 0
	.set _ZL29rocblas_internal_gemmt_kernelIiLi16ELi32ELi8ELc67ELc78ELc85ELb1ELb0E19rocblas_complex_numIdES1_PKS1_PS1_EviT_T9_T10_S5_lS7_S5_lS6_T11_S5_li.private_seg_size, 0
	.set _ZL29rocblas_internal_gemmt_kernelIiLi16ELi32ELi8ELc67ELc78ELc85ELb1ELb0E19rocblas_complex_numIdES1_PKS1_PS1_EviT_T9_T10_S5_lS7_S5_lS6_T11_S5_li.uses_vcc, 1
	.set _ZL29rocblas_internal_gemmt_kernelIiLi16ELi32ELi8ELc67ELc78ELc85ELb1ELb0E19rocblas_complex_numIdES1_PKS1_PS1_EviT_T9_T10_S5_lS7_S5_lS6_T11_S5_li.uses_flat_scratch, 0
	.set _ZL29rocblas_internal_gemmt_kernelIiLi16ELi32ELi8ELc67ELc78ELc85ELb1ELb0E19rocblas_complex_numIdES1_PKS1_PS1_EviT_T9_T10_S5_lS7_S5_lS6_T11_S5_li.has_dyn_sized_stack, 0
	.set _ZL29rocblas_internal_gemmt_kernelIiLi16ELi32ELi8ELc67ELc78ELc85ELb1ELb0E19rocblas_complex_numIdES1_PKS1_PS1_EviT_T9_T10_S5_lS7_S5_lS6_T11_S5_li.has_recursion, 0
	.set _ZL29rocblas_internal_gemmt_kernelIiLi16ELi32ELi8ELc67ELc78ELc85ELb1ELb0E19rocblas_complex_numIdES1_PKS1_PS1_EviT_T9_T10_S5_lS7_S5_lS6_T11_S5_li.has_indirect_call, 0
	.section	.AMDGPU.csdata,"",@progbits
; Kernel info:
; codeLenInByte = 3408
; TotalNumSgprs: 40
; NumVgprs: 131
; ScratchSize: 0
; MemoryBound: 1
; FloatMode: 240
; IeeeMode: 1
; LDSByteSize: 8192 bytes/workgroup (compile time only)
; SGPRBlocks: 0
; VGPRBlocks: 16
; NumSGPRsForWavesPerEU: 40
; NumVGPRsForWavesPerEU: 131
; Occupancy: 10
; WaveLimiterHint : 0
; COMPUTE_PGM_RSRC2:SCRATCH_EN: 0
; COMPUTE_PGM_RSRC2:USER_SGPR: 2
; COMPUTE_PGM_RSRC2:TRAP_HANDLER: 0
; COMPUTE_PGM_RSRC2:TGID_X_EN: 1
; COMPUTE_PGM_RSRC2:TGID_Y_EN: 1
; COMPUTE_PGM_RSRC2:TGID_Z_EN: 1
; COMPUTE_PGM_RSRC2:TIDIG_COMP_CNT: 1
	.section	.text._ZL29rocblas_internal_gemmt_kernelIiLi16ELi32ELi8ELc67ELc84ELc85ELb1ELb0E19rocblas_complex_numIdES1_PKS1_PS1_EviT_T9_T10_S5_lS7_S5_lS6_T11_S5_li,"axG",@progbits,_ZL29rocblas_internal_gemmt_kernelIiLi16ELi32ELi8ELc67ELc84ELc85ELb1ELb0E19rocblas_complex_numIdES1_PKS1_PS1_EviT_T9_T10_S5_lS7_S5_lS6_T11_S5_li,comdat
	.globl	_ZL29rocblas_internal_gemmt_kernelIiLi16ELi32ELi8ELc67ELc84ELc85ELb1ELb0E19rocblas_complex_numIdES1_PKS1_PS1_EviT_T9_T10_S5_lS7_S5_lS6_T11_S5_li ; -- Begin function _ZL29rocblas_internal_gemmt_kernelIiLi16ELi32ELi8ELc67ELc84ELc85ELb1ELb0E19rocblas_complex_numIdES1_PKS1_PS1_EviT_T9_T10_S5_lS7_S5_lS6_T11_S5_li
	.p2align	8
	.type	_ZL29rocblas_internal_gemmt_kernelIiLi16ELi32ELi8ELc67ELc84ELc85ELb1ELb0E19rocblas_complex_numIdES1_PKS1_PS1_EviT_T9_T10_S5_lS7_S5_lS6_T11_S5_li,@function
_ZL29rocblas_internal_gemmt_kernelIiLi16ELi32ELi8ELc67ELc84ELc85ELb1ELb0E19rocblas_complex_numIdES1_PKS1_PS1_EviT_T9_T10_S5_lS7_S5_lS6_T11_S5_li: ; @_ZL29rocblas_internal_gemmt_kernelIiLi16ELi32ELi8ELc67ELc84ELc85ELb1ELb0E19rocblas_complex_numIdES1_PKS1_PS1_EviT_T9_T10_S5_lS7_S5_lS6_T11_S5_li
; %bb.0:
	s_clause 0x2
	s_load_b256 s[8:15], s[0:1], 0x40
	s_load_b64 s[4:5], s[0:1], 0x0
	s_load_b128 s[16:19], s[0:1], 0x8
	s_wait_kmcnt 0x0
	v_cmp_eq_f64_e64 s2, s[10:11], 1.0
	v_cmp_eq_f64_e64 s3, s[12:13], 0
	s_and_b32 s2, s2, s3
	s_delay_alu instid0(SALU_CYCLE_1)
	s_and_not1_b32 vcc_lo, exec_lo, s2
	s_mov_b32 s2, -1
	s_cbranch_vccnz .LBB133_3
; %bb.1:
	s_cmp_lg_u32 s5, 0
	s_cbranch_scc0 .LBB133_36
; %bb.2:
	v_cmp_neq_f64_e64 s2, s[16:17], 0
	v_cmp_neq_f64_e64 s6, s[18:19], 0
	s_or_b32 s2, s2, s6
.LBB133_3:
	s_delay_alu instid0(SALU_CYCLE_1)
	s_and_b32 vcc_lo, exec_lo, s2
	s_cbranch_vccz .LBB133_37
; %bb.4:
	s_load_b32 s27, s[0:1], 0x70
	s_lshr_b32 s6, ttmp7, 16
	s_wait_kmcnt 0x0
	s_cmp_ge_u32 s6, s27
	s_cbranch_scc1 .LBB133_37
; %bb.5:
	v_cmp_neq_f64_e64 s33, s[16:17], 0
	v_cmp_neq_f64_e64 s34, s[18:19], 0
	;; [unrolled: 1-line block ×3, first 2 shown]
	s_clause 0x4
	s_load_b96 s[24:26], s[0:1], 0x18
	s_load_b128 s[20:23], s[0:1], 0x28
	s_load_b32 s30, s[0:1], 0x38
	s_load_b32 s36, s[0:1], 0x60
	s_load_b64 s[28:29], s[0:1], 0x68
	v_and_b32_e32 v1, 0x3ff, v0
	v_bfe_u32 v2, v0, 10, 10
	v_and_b32_e32 v37, 7, v0
	s_lshl_b32 s1, ttmp7, 5
	s_lshl_b32 s0, ttmp9, 5
	s_and_b32 s2, s1, 0x1fffe0
	v_lshl_add_u32 v0, v2, 4, v1
	v_lshlrev_b32_e32 v3, 4, v37
	v_lshlrev_b32_e32 v38, 4, v1
	v_lshl_add_u32 v39, v2, 7, 0x1000
	v_add_nc_u32_e32 v2, s2, v2
	v_add_nc_u32_e32 v5, s0, v1
	v_lshrrev_b32_e32 v40, 5, v0
	v_and_b32_e32 v1, 31, v0
	v_lshrrev_b32_e32 v0, 3, v0
	v_cmp_gt_i32_e32 vcc_lo, s4, v2
	v_cmp_le_i32_e64 s1, v5, v2
	v_add_nc_u32_e32 v7, 16, v5
	v_or_b32_e32 v4, s0, v1
	v_lshlrev_b32_e32 v1, 4, v1
	v_add_nc_u32_e32 v11, s2, v0
	v_lshl_or_b32 v0, v0, 7, v3
	s_wait_kmcnt 0x0
	s_ashr_i32 s31, s30, 31
	v_add_nc_u32_e32 v9, 16, v2
	v_lshl_or_b32 v41, v40, 9, v1
	v_cmp_gt_i32_e64 s0, s4, v4
	v_add_nc_u32_e32 v42, 0x1000, v0
	v_mad_co_i64_i32 v[0:1], null, v2, s36, 0
	v_cmp_gt_i32_e64 s2, s4, v11
	v_mad_co_i64_i32 v[15:16], null, v9, s36, 0
	v_lshlrev_b32_e32 v11, 4, v11
	v_ashrrev_i32_e32 v6, 31, v5
	v_ashrrev_i32_e32 v8, 31, v7
	s_or_b32 s37, s33, s34
	s_cmp_gt_i32 s5, 0
	v_lshlrev_b64_e32 v[13:14], 4, v[0:1]
	s_cselect_b32 s38, -1, 0
	s_and_b32 s33, vcc_lo, s1
	v_cmp_le_i32_e64 s1, v7, v2
	v_mad_co_i64_i32 v[2:3], null, s26, v4, 0
	v_lshlrev_b32_e32 v4, 4, v40
	s_xor_b32 s3, s3, -1
	s_delay_alu instid0(VALU_DEP_3)
	s_and_b32 s26, vcc_lo, s1
	s_wait_alu 0xfffe
	s_or_b32 s34, s35, s3
	v_cmp_gt_i32_e64 s3, s4, v9
	v_cmp_le_i32_e64 s4, v5, v9
	v_lshlrev_b64_e32 v[2:3], 4, v[2:3]
	v_cmp_le_i32_e32 vcc_lo, v7, v9
	v_mad_co_i64_i32 v[9:10], null, s30, v37, 0
	v_lshlrev_b64_e32 v[15:16], 4, v[15:16]
	v_mov_b32_e32 v0, 0
	v_add_co_u32 v2, s1, v2, v4
	s_wait_alu 0xf1ff
	v_add_co_ci_u32_e64 v3, null, 0, v3, s1
	s_and_b32 s1, s3, vcc_lo
	v_add_co_u32 v4, vcc_lo, s24, v2
	s_delay_alu instid0(VALU_DEP_1) | instskip(SKIP_1) | instid1(VALU_DEP_3)
	v_add_co_ci_u32_e64 v12, null, s25, v3, vcc_lo
	v_lshlrev_b64_e32 v[2:3], 4, v[9:10]
	v_add_co_u32 v9, vcc_lo, v4, 8
	s_wait_alu 0xfffd
	s_delay_alu instid0(VALU_DEP_3)
	v_add_co_ci_u32_e64 v10, null, 0, v12, vcc_lo
	s_mov_b32 s7, 0
	v_add_co_u32 v2, vcc_lo, v2, v11
	s_wait_alu 0xfffd
	v_add_co_ci_u32_e64 v3, null, 0, v3, vcc_lo
	s_and_b32 s4, s3, s4
	v_add_co_u32 v11, vcc_lo, s22, v2
	s_wait_alu 0xfffd
	v_add_co_ci_u32_e64 v12, null, s23, v3, vcc_lo
	s_lshl_b64 s[20:21], s[20:21], 4
	s_and_b32 s24, s37, s38
	s_lshl_b64 s[8:9], s[8:9], 4
	s_lshl_b64 s[22:23], s[30:31], 7
	s_xor_b32 s25, s2, -1
	s_branch .LBB133_7
.LBB133_6:                              ;   in Loop: Header=BB133_7 Depth=1
	s_wait_alu 0xfffe
	s_or_b32 exec_lo, exec_lo, s2
	s_add_co_i32 s6, s6, 0x10000
	s_wait_alu 0xfffe
	s_cmp_lt_u32 s6, s27
	s_cbranch_scc0 .LBB133_37
.LBB133_7:                              ; =>This Loop Header: Depth=1
                                        ;     Child Loop BB133_10 Depth 2
	v_mov_b32_e32 v33, 0
	v_mov_b32_e32 v29, 0
	;; [unrolled: 1-line block ×3, first 2 shown]
	v_dual_mov_b32 v23, 0 :: v_dual_mov_b32 v34, 0
	v_dual_mov_b32 v35, 0 :: v_dual_mov_b32 v30, 0
	;; [unrolled: 1-line block ×5, first 2 shown]
	v_mov_b32_e32 v32, 0
	v_mov_b32_e32 v28, 0
	;; [unrolled: 1-line block ×3, first 2 shown]
	s_wait_alu 0xfffe
	s_and_not1_b32 vcc_lo, exec_lo, s24
	s_wait_alu 0xfffe
	s_cbranch_vccnz .LBB133_16
; %bb.8:                                ;   in Loop: Header=BB133_7 Depth=1
	v_mad_co_u64_u32 v[17:18], null, s20, s6, v[9:10]
	v_mad_co_u64_u32 v[19:20], null, s8, s6, v[11:12]
	v_mov_b32_e32 v21, 0
	v_mov_b32_e32 v23, 0
	;; [unrolled: 1-line block ×4, first 2 shown]
	v_dual_mov_b32 v1, v18 :: v_dual_mov_b32 v22, 0
	v_mov_b32_e32 v2, v20
	v_dual_mov_b32 v24, 0 :: v_dual_mov_b32 v27, 0
	v_dual_mov_b32 v26, 0 :: v_dual_mov_b32 v31, 0
	s_delay_alu instid0(VALU_DEP_3)
	v_mad_co_u64_u32 v[3:4], null, s21, s6, v[1:2]
	v_dual_mov_b32 v30, 0 :: v_dual_mov_b32 v35, 0
	v_dual_mov_b32 v33, 0 :: v_dual_mov_b32 v28, 0
	v_mov_b32_e32 v32, 0
	v_mov_b32_e32 v36, 0
	v_mad_co_u64_u32 v[1:2], null, s9, s6, v[2:3]
	v_mov_b32_e32 v34, 0
	v_mov_b32_e32 v18, v3
	s_mov_b32 s2, 0
	s_delay_alu instid0(VALU_DEP_3)
	v_mov_b32_e32 v20, v1
	s_branch .LBB133_10
.LBB133_9:                              ;   in Loop: Header=BB133_10 Depth=2
	s_wait_alu 0xfffe
	s_or_b32 exec_lo, exec_lo, s3
	s_wait_dscnt 0x0
	s_barrier_signal -1
	s_barrier_wait -1
	global_inv scope:SCOPE_SE
	ds_load_b128 v[1:4], v39
	ds_load_b128 v[43:46], v38
	ds_load_b128 v[47:50], v38 offset:256
	ds_load_b128 v[51:54], v39 offset:2048
	;; [unrolled: 1-line block ×10, first 2 shown]
	v_add_co_u32 v17, vcc_lo, 0x80, v17
	s_wait_alu 0xfffd
	v_add_co_ci_u32_e64 v18, null, 0, v18, vcc_lo
	v_add_co_u32 v19, vcc_lo, v19, s22
	s_wait_alu 0xfffd
	v_add_co_ci_u32_e64 v20, null, s23, v20, vcc_lo
	s_add_co_i32 s2, s2, 8
	s_wait_alu 0xfffe
	s_cmp_lt_i32 s2, s5
	s_wait_dscnt 0xa
	v_mul_f64_e32 v[87:88], v[3:4], v[45:46]
	v_mul_f64_e32 v[89:90], v[1:2], v[45:46]
	s_wait_dscnt 0x9
	v_mul_f64_e32 v[91:92], v[3:4], v[49:50]
	v_mul_f64_e32 v[93:94], v[1:2], v[49:50]
	;; [unrolled: 3-line block ×3, first 2 shown]
	v_mul_f64_e32 v[97:98], v[53:54], v[49:50]
	v_mul_f64_e32 v[49:50], v[51:52], v[49:50]
	s_wait_dscnt 0x5
	v_mul_f64_e32 v[99:100], v[57:58], v[65:66]
	v_mul_f64_e32 v[101:102], v[55:56], v[65:66]
	s_wait_dscnt 0x4
	v_mul_f64_e32 v[103:104], v[57:58], v[69:70]
	v_mul_f64_e32 v[105:106], v[55:56], v[69:70]
	;; [unrolled: 1-line block ×6, first 2 shown]
	s_wait_dscnt 0x2
	v_mul_f64_e32 v[115:116], v[73:74], v[77:78]
	v_mul_f64_e32 v[117:118], v[71:72], v[77:78]
	s_wait_dscnt 0x1
	v_mul_f64_e32 v[119:120], v[73:74], v[81:82]
	v_mul_f64_e32 v[121:122], v[71:72], v[81:82]
	;; [unrolled: 3-line block ×3, first 2 shown]
	v_mul_f64_e32 v[125:126], v[85:86], v[81:82]
	v_mul_f64_e32 v[81:82], v[83:84], v[81:82]
	v_fma_f64 v[87:88], v[1:2], v[43:44], -v[87:88]
	v_fma_f64 v[89:90], v[3:4], v[43:44], v[89:90]
	v_fma_f64 v[91:92], v[1:2], v[47:48], -v[91:92]
	v_fma_f64 v[93:94], v[3:4], v[47:48], v[93:94]
	;; [unrolled: 2-line block ×8, first 2 shown]
	ds_load_b128 v[1:4], v39 offset:48
	ds_load_b128 v[43:46], v39 offset:2096
	;; [unrolled: 1-line block ×4, first 2 shown]
	v_fma_f64 v[115:116], v[71:72], v[75:76], -v[115:116]
	v_fma_f64 v[117:118], v[73:74], v[75:76], v[117:118]
	v_fma_f64 v[71:72], v[71:72], v[79:80], -v[119:120]
	v_fma_f64 v[73:74], v[73:74], v[79:80], v[121:122]
	;; [unrolled: 2-line block ×4, first 2 shown]
	s_wait_dscnt 0x1
	v_mul_f64_e32 v[105:106], v[1:2], v[49:50]
	s_wait_dscnt 0x0
	v_mul_f64_e32 v[107:108], v[3:4], v[53:54]
	v_mul_f64_e32 v[109:110], v[1:2], v[53:54]
	v_add_f64_e32 v[65:66], v[33:34], v[87:88]
	v_add_f64_e32 v[67:68], v[89:90], v[35:36]
	;; [unrolled: 1-line block ×8, first 2 shown]
	v_mul_f64_e32 v[97:98], v[3:4], v[49:50]
	v_mul_f64_e32 v[111:112], v[45:46], v[49:50]
	v_mul_f64_e32 v[49:50], v[43:44], v[49:50]
	v_mul_f64_e32 v[113:114], v[45:46], v[53:54]
	v_mul_f64_e32 v[127:128], v[43:44], v[53:54]
	ds_load_b128 v[21:24], v39 offset:64
	ds_load_b128 v[25:28], v38 offset:2048
	;; [unrolled: 1-line block ×4, first 2 shown]
	s_wait_dscnt 0x0
	v_mul_f64_e32 v[121:122], v[35:36], v[27:28]
	v_mul_f64_e32 v[123:124], v[35:36], v[31:32]
	v_fma_f64 v[105:106], v[3:4], v[47:48], v[105:106]
	v_fma_f64 v[107:108], v[1:2], v[51:52], -v[107:108]
	v_fma_f64 v[109:110], v[3:4], v[51:52], v[109:110]
	v_add_f64_e32 v[81:82], v[65:66], v[99:100]
	v_add_f64_e32 v[83:84], v[101:102], v[67:68]
	;; [unrolled: 1-line block ×8, first 2 shown]
	v_mul_f64_e32 v[95:96], v[23:24], v[27:28]
	v_mul_f64_e32 v[99:100], v[21:22], v[27:28]
	;; [unrolled: 1-line block ×6, first 2 shown]
	v_fma_f64 v[97:98], v[1:2], v[47:48], -v[97:98]
	v_fma_f64 v[111:112], v[43:44], v[47:48], -v[111:112]
	v_fma_f64 v[125:126], v[45:46], v[47:48], v[49:50]
	v_fma_f64 v[113:114], v[43:44], v[51:52], -v[113:114]
	v_fma_f64 v[51:52], v[45:46], v[51:52], v[127:128]
	ds_load_b128 v[53:56], v39 offset:80
	ds_load_b128 v[57:60], v39 offset:2128
	;; [unrolled: 1-line block ×4, first 2 shown]
	v_fma_f64 v[121:122], v[33:34], v[25:26], -v[121:122]
	v_fma_f64 v[123:124], v[33:34], v[29:30], -v[123:124]
	v_add_f64_e32 v[81:82], v[81:82], v[115:116]
	v_add_f64_e32 v[83:84], v[117:118], v[83:84]
	;; [unrolled: 1-line block ×8, first 2 shown]
	s_wait_dscnt 0x1
	v_mul_f64_e32 v[87:88], v[55:56], v[63:64]
	v_mul_f64_e32 v[89:90], v[53:54], v[63:64]
	s_wait_dscnt 0x0
	v_mul_f64_e32 v[91:92], v[55:56], v[67:68]
	v_mul_f64_e32 v[93:94], v[53:54], v[67:68]
	;; [unrolled: 1-line block ×6, first 2 shown]
	v_fma_f64 v[95:96], v[21:22], v[25:26], -v[95:96]
	v_fma_f64 v[99:100], v[23:24], v[25:26], v[99:100]
	v_fma_f64 v[101:102], v[21:22], v[29:30], -v[101:102]
	v_fma_f64 v[103:104], v[23:24], v[29:30], v[103:104]
	v_fma_f64 v[127:128], v[35:36], v[25:26], v[27:28]
	;; [unrolled: 1-line block ×3, first 2 shown]
	ds_load_b128 v[1:4], v39 offset:96
	ds_load_b128 v[43:46], v38 offset:3072
	;; [unrolled: 1-line block ×8, first 2 shown]
	s_wait_loadcnt_dscnt 0x0
	s_barrier_signal -1
	s_barrier_wait -1
	global_inv scope:SCOPE_SE
	v_add_f64_e32 v[81:82], v[81:82], v[97:98]
	v_add_f64_e32 v[83:84], v[105:106], v[83:84]
	;; [unrolled: 1-line block ×8, first 2 shown]
	v_mul_f64_e32 v[79:80], v[3:4], v[45:46]
	v_mul_f64_e32 v[105:106], v[1:2], v[45:46]
	;; [unrolled: 1-line block ×8, first 2 shown]
	v_fma_f64 v[87:88], v[53:54], v[61:62], -v[87:88]
	v_fma_f64 v[89:90], v[55:56], v[61:62], v[89:90]
	v_fma_f64 v[53:54], v[53:54], v[65:66], -v[91:92]
	v_fma_f64 v[55:56], v[55:56], v[65:66], v[93:94]
	;; [unrolled: 2-line block ×4, first 2 shown]
	v_mul_f64_e32 v[93:94], v[23:24], v[35:36]
	v_add_f64_e32 v[63:64], v[81:82], v[95:96]
	v_add_f64_e32 v[65:66], v[99:100], v[83:84]
	;; [unrolled: 1-line block ×8, first 2 shown]
	v_mul_f64_e32 v[83:84], v[23:24], v[31:32]
	v_mul_f64_e32 v[85:86], v[21:22], v[31:32]
	;; [unrolled: 1-line block ×7, first 2 shown]
	v_fma_f64 v[79:80], v[1:2], v[43:44], -v[79:80]
	v_fma_f64 v[101:102], v[3:4], v[43:44], v[105:106]
	v_fma_f64 v[1:2], v[1:2], v[47:48], -v[107:108]
	v_fma_f64 v[3:4], v[3:4], v[47:48], v[109:110]
	;; [unrolled: 2-line block ×4, first 2 shown]
	v_add_f64_e32 v[49:50], v[63:64], v[87:88]
	v_add_f64_e32 v[63:64], v[89:90], v[65:66]
	;; [unrolled: 1-line block ×8, first 2 shown]
	v_fma_f64 v[59:60], v[21:22], v[29:30], -v[83:84]
	v_fma_f64 v[67:68], v[23:24], v[29:30], v[85:86]
	v_fma_f64 v[21:22], v[21:22], v[33:34], -v[93:94]
	v_fma_f64 v[23:24], v[23:24], v[33:34], v[95:96]
	v_fma_f64 v[69:70], v[25:26], v[29:30], -v[97:98]
	v_fma_f64 v[71:72], v[27:28], v[29:30], v[31:32]
	v_fma_f64 v[73:74], v[25:26], v[33:34], -v[99:100]
	v_fma_f64 v[75:76], v[27:28], v[33:34], v[35:36]
	v_add_f64_e32 v[25:26], v[49:50], v[79:80]
	v_add_f64_e32 v[27:28], v[101:102], v[63:64]
	;; [unrolled: 1-line block ×16, first 2 shown]
	s_cbranch_scc0 .LBB133_16
.LBB133_10:                             ;   Parent Loop BB133_7 Depth=1
                                        ; =>  This Inner Loop Header: Depth=2
	s_wait_alu 0xfffe
	v_add_nc_u32_e32 v1, s2, v40
	v_mov_b32_e32 v3, 0
	v_mov_b32_e32 v4, 0
	s_delay_alu instid0(VALU_DEP_3)
	v_cmp_gt_i32_e32 vcc_lo, s5, v1
	v_mov_b32_e32 v1, 0
	v_mov_b32_e32 v2, 0
	s_and_b32 s30, s0, vcc_lo
	s_wait_alu 0xfffe
	s_and_saveexec_b32 s3, s30
	s_cbranch_execz .LBB133_12
; %bb.11:                               ;   in Loop: Header=BB133_10 Depth=2
	global_load_b128 v[1:4], v[17:18], off offset:-8
	s_wait_loadcnt 0x0
	v_xor_b32_e32 v4, 0x80000000, v4
.LBB133_12:                             ;   in Loop: Header=BB133_10 Depth=2
	s_wait_alu 0xfffe
	s_or_b32 exec_lo, exec_lo, s3
	v_add_nc_u32_e32 v43, s2, v37
	ds_store_b128 v41, v[1:4]
	v_cmp_le_i32_e32 vcc_lo, s5, v43
	s_or_b32 s3, vcc_lo, s25
	s_wait_alu 0xfffe
	s_and_saveexec_b32 s30, s3
	s_wait_alu 0xfffe
	s_xor_b32 s3, exec_lo, s30
; %bb.13:                               ;   in Loop: Header=BB133_10 Depth=2
	v_dual_mov_b32 v1, v0 :: v_dual_mov_b32 v2, v0
	v_mov_b32_e32 v3, v0
	ds_store_b128 v42, v[0:3]
; %bb.14:                               ;   in Loop: Header=BB133_10 Depth=2
	s_wait_alu 0xfffe
	s_and_not1_saveexec_b32 s3, s3
	s_cbranch_execz .LBB133_9
; %bb.15:                               ;   in Loop: Header=BB133_10 Depth=2
	global_load_b128 v[1:4], v[19:20], off
	s_wait_loadcnt 0x0
	ds_store_2addr_b64 v42, v[1:2], v[3:4] offset1:1
	s_branch .LBB133_9
.LBB133_16:                             ;   in Loop: Header=BB133_7 Depth=1
	s_mul_u64 s[2:3], s[28:29], s[6:7]
	s_wait_alu 0xfffe
	s_lshl_b64 s[2:3], s[2:3], 4
	s_wait_alu 0xfffe
	s_add_nc_u64 s[2:3], s[14:15], s[2:3]
	s_wait_alu 0xfffe
	v_add_co_u32 v17, vcc_lo, s2, v13
	s_wait_alu 0xfffd
	v_add_co_ci_u32_e64 v18, null, s3, v14, vcc_lo
	s_and_saveexec_b32 s30, s33
	s_cbranch_execz .LBB133_21
; %bb.17:                               ;   in Loop: Header=BB133_7 Depth=1
	v_mul_f64_e32 v[1:2], s[18:19], v[35:36]
	v_mul_f64_e32 v[3:4], s[16:17], v[35:36]
	s_and_b32 vcc_lo, exec_lo, s34
	s_mov_b32 s31, -1
	s_delay_alu instid0(VALU_DEP_2) | instskip(NEXT) | instid1(VALU_DEP_2)
	v_fma_f64 v[1:2], s[16:17], v[33:34], -v[1:2]
	v_fma_f64 v[3:4], s[18:19], v[33:34], v[3:4]
	s_wait_alu 0xfffe
	s_cbranch_vccz .LBB133_19
; %bb.18:                               ;   in Loop: Header=BB133_7 Depth=1
	v_lshlrev_b64_e32 v[19:20], 4, v[5:6]
	s_mov_b32 s31, 0
	s_delay_alu instid0(VALU_DEP_1) | instskip(SKIP_1) | instid1(VALU_DEP_2)
	v_add_co_u32 v19, vcc_lo, v17, v19
	s_wait_alu 0xfffd
	v_add_co_ci_u32_e64 v20, null, v18, v20, vcc_lo
	global_load_b128 v[33:36], v[19:20], off
	s_wait_loadcnt 0x0
	v_mul_f64_e32 v[43:44], s[12:13], v[35:36]
	v_mul_f64_e32 v[35:36], s[10:11], v[35:36]
	s_delay_alu instid0(VALU_DEP_2) | instskip(NEXT) | instid1(VALU_DEP_2)
	v_fma_f64 v[43:44], s[10:11], v[33:34], -v[43:44]
	v_fma_f64 v[35:36], s[12:13], v[33:34], v[35:36]
	s_delay_alu instid0(VALU_DEP_2) | instskip(NEXT) | instid1(VALU_DEP_2)
	v_add_f64_e32 v[33:34], v[1:2], v[43:44]
	v_add_f64_e32 v[35:36], v[3:4], v[35:36]
	global_store_b128 v[19:20], v[33:36], off
.LBB133_19:                             ;   in Loop: Header=BB133_7 Depth=1
	s_wait_alu 0xfffe
	s_and_not1_b32 vcc_lo, exec_lo, s31
	s_wait_alu 0xfffe
	s_cbranch_vccnz .LBB133_21
; %bb.20:                               ;   in Loop: Header=BB133_7 Depth=1
	v_lshlrev_b64_e32 v[19:20], 4, v[5:6]
	s_delay_alu instid0(VALU_DEP_1) | instskip(SKIP_1) | instid1(VALU_DEP_2)
	v_add_co_u32 v19, vcc_lo, v17, v19
	s_wait_alu 0xfffd
	v_add_co_ci_u32_e64 v20, null, v18, v20, vcc_lo
	global_store_b128 v[19:20], v[1:4], off
.LBB133_21:                             ;   in Loop: Header=BB133_7 Depth=1
	s_wait_alu 0xfffe
	s_or_b32 exec_lo, exec_lo, s30
	s_and_saveexec_b32 s30, s26
	s_cbranch_execz .LBB133_26
; %bb.22:                               ;   in Loop: Header=BB133_7 Depth=1
	v_mul_f64_e32 v[1:2], s[18:19], v[31:32]
	v_mul_f64_e32 v[3:4], s[16:17], v[31:32]
	s_and_not1_b32 vcc_lo, exec_lo, s34
	s_mov_b32 s31, -1
	s_delay_alu instid0(VALU_DEP_2) | instskip(NEXT) | instid1(VALU_DEP_2)
	v_fma_f64 v[1:2], s[16:17], v[29:30], -v[1:2]
	v_fma_f64 v[3:4], s[18:19], v[29:30], v[3:4]
	s_wait_alu 0xfffe
	s_cbranch_vccnz .LBB133_24
; %bb.23:                               ;   in Loop: Header=BB133_7 Depth=1
	v_lshlrev_b64_e32 v[19:20], 4, v[7:8]
	s_mov_b32 s31, 0
	s_delay_alu instid0(VALU_DEP_1) | instskip(SKIP_1) | instid1(VALU_DEP_2)
	v_add_co_u32 v19, vcc_lo, v17, v19
	s_wait_alu 0xfffd
	v_add_co_ci_u32_e64 v20, null, v18, v20, vcc_lo
	global_load_b128 v[29:32], v[19:20], off
	s_wait_loadcnt 0x0
	v_mul_f64_e32 v[33:34], s[12:13], v[31:32]
	v_mul_f64_e32 v[31:32], s[10:11], v[31:32]
	s_delay_alu instid0(VALU_DEP_2) | instskip(NEXT) | instid1(VALU_DEP_2)
	v_fma_f64 v[33:34], s[10:11], v[29:30], -v[33:34]
	v_fma_f64 v[31:32], s[12:13], v[29:30], v[31:32]
	s_delay_alu instid0(VALU_DEP_2) | instskip(NEXT) | instid1(VALU_DEP_2)
	v_add_f64_e32 v[29:30], v[1:2], v[33:34]
	v_add_f64_e32 v[31:32], v[3:4], v[31:32]
	global_store_b128 v[19:20], v[29:32], off
.LBB133_24:                             ;   in Loop: Header=BB133_7 Depth=1
	s_wait_alu 0xfffe
	s_and_not1_b32 vcc_lo, exec_lo, s31
	s_wait_alu 0xfffe
	s_cbranch_vccnz .LBB133_26
; %bb.25:                               ;   in Loop: Header=BB133_7 Depth=1
	v_lshlrev_b64_e32 v[19:20], 4, v[7:8]
	s_delay_alu instid0(VALU_DEP_1) | instskip(SKIP_1) | instid1(VALU_DEP_2)
	v_add_co_u32 v17, vcc_lo, v17, v19
	s_wait_alu 0xfffd
	v_add_co_ci_u32_e64 v18, null, v18, v20, vcc_lo
	global_store_b128 v[17:18], v[1:4], off
.LBB133_26:                             ;   in Loop: Header=BB133_7 Depth=1
	s_wait_alu 0xfffe
	s_or_b32 exec_lo, exec_lo, s30
	v_add_co_u32 v19, vcc_lo, s2, v15
	s_wait_alu 0xfffd
	v_add_co_ci_u32_e64 v20, null, s3, v16, vcc_lo
	s_and_saveexec_b32 s2, s4
	s_cbranch_execz .LBB133_31
; %bb.27:                               ;   in Loop: Header=BB133_7 Depth=1
	v_mul_f64_e32 v[1:2], s[18:19], v[27:28]
	v_mul_f64_e32 v[3:4], s[16:17], v[27:28]
	v_lshlrev_b64_e32 v[17:18], 4, v[5:6]
	s_and_not1_b32 vcc_lo, exec_lo, s34
	s_mov_b32 s3, -1
	s_delay_alu instid0(VALU_DEP_3) | instskip(NEXT) | instid1(VALU_DEP_3)
	v_fma_f64 v[1:2], s[16:17], v[25:26], -v[1:2]
	v_fma_f64 v[3:4], s[18:19], v[25:26], v[3:4]
	s_wait_alu 0xfffe
	s_cbranch_vccnz .LBB133_29
; %bb.28:                               ;   in Loop: Header=BB133_7 Depth=1
	v_add_co_u32 v29, vcc_lo, v19, v17
	s_wait_alu 0xfffd
	v_add_co_ci_u32_e64 v30, null, v20, v18, vcc_lo
	s_mov_b32 s3, 0
	global_load_b128 v[25:28], v[29:30], off
	s_wait_loadcnt 0x0
	v_mul_f64_e32 v[31:32], s[12:13], v[27:28]
	v_mul_f64_e32 v[27:28], s[10:11], v[27:28]
	s_delay_alu instid0(VALU_DEP_2) | instskip(NEXT) | instid1(VALU_DEP_2)
	v_fma_f64 v[31:32], s[10:11], v[25:26], -v[31:32]
	v_fma_f64 v[27:28], s[12:13], v[25:26], v[27:28]
	s_delay_alu instid0(VALU_DEP_2) | instskip(NEXT) | instid1(VALU_DEP_2)
	v_add_f64_e32 v[25:26], v[1:2], v[31:32]
	v_add_f64_e32 v[27:28], v[3:4], v[27:28]
	global_store_b128 v[29:30], v[25:28], off
.LBB133_29:                             ;   in Loop: Header=BB133_7 Depth=1
	s_wait_alu 0xfffe
	s_and_not1_b32 vcc_lo, exec_lo, s3
	s_wait_alu 0xfffe
	s_cbranch_vccnz .LBB133_31
; %bb.30:                               ;   in Loop: Header=BB133_7 Depth=1
	v_add_co_u32 v17, vcc_lo, v19, v17
	s_wait_alu 0xfffd
	v_add_co_ci_u32_e64 v18, null, v20, v18, vcc_lo
	global_store_b128 v[17:18], v[1:4], off
.LBB133_31:                             ;   in Loop: Header=BB133_7 Depth=1
	s_wait_alu 0xfffe
	s_or_b32 exec_lo, exec_lo, s2
	s_and_saveexec_b32 s2, s1
	s_cbranch_execz .LBB133_6
; %bb.32:                               ;   in Loop: Header=BB133_7 Depth=1
	v_mul_f64_e32 v[1:2], s[18:19], v[21:22]
	v_mul_f64_e32 v[3:4], s[16:17], v[21:22]
	v_lshlrev_b64_e32 v[17:18], 4, v[7:8]
	s_and_not1_b32 vcc_lo, exec_lo, s34
	s_mov_b32 s3, -1
	s_delay_alu instid0(VALU_DEP_3) | instskip(NEXT) | instid1(VALU_DEP_3)
	v_fma_f64 v[1:2], s[16:17], v[23:24], -v[1:2]
	v_fma_f64 v[3:4], s[18:19], v[23:24], v[3:4]
	s_wait_alu 0xfffe
	s_cbranch_vccnz .LBB133_34
; %bb.33:                               ;   in Loop: Header=BB133_7 Depth=1
	v_add_co_u32 v25, vcc_lo, v19, v17
	s_wait_alu 0xfffd
	v_add_co_ci_u32_e64 v26, null, v20, v18, vcc_lo
	s_mov_b32 s3, 0
	global_load_b128 v[21:24], v[25:26], off
	s_wait_loadcnt 0x0
	v_mul_f64_e32 v[27:28], s[12:13], v[23:24]
	v_mul_f64_e32 v[23:24], s[10:11], v[23:24]
	s_delay_alu instid0(VALU_DEP_2) | instskip(NEXT) | instid1(VALU_DEP_2)
	v_fma_f64 v[27:28], s[10:11], v[21:22], -v[27:28]
	v_fma_f64 v[23:24], s[12:13], v[21:22], v[23:24]
	s_delay_alu instid0(VALU_DEP_2) | instskip(NEXT) | instid1(VALU_DEP_2)
	v_add_f64_e32 v[21:22], v[1:2], v[27:28]
	v_add_f64_e32 v[23:24], v[3:4], v[23:24]
	global_store_b128 v[25:26], v[21:24], off
.LBB133_34:                             ;   in Loop: Header=BB133_7 Depth=1
	s_wait_alu 0xfffe
	s_and_not1_b32 vcc_lo, exec_lo, s3
	s_wait_alu 0xfffe
	s_cbranch_vccnz .LBB133_6
; %bb.35:                               ;   in Loop: Header=BB133_7 Depth=1
	v_add_co_u32 v17, vcc_lo, v19, v17
	s_wait_alu 0xfffd
	v_add_co_ci_u32_e64 v18, null, v20, v18, vcc_lo
	global_store_b128 v[17:18], v[1:4], off
	s_branch .LBB133_6
.LBB133_36:
.LBB133_37:
	s_nop 0
	s_sendmsg sendmsg(MSG_DEALLOC_VGPRS)
	s_endpgm
	.section	.rodata,"a",@progbits
	.p2align	6, 0x0
	.amdhsa_kernel _ZL29rocblas_internal_gemmt_kernelIiLi16ELi32ELi8ELc67ELc84ELc85ELb1ELb0E19rocblas_complex_numIdES1_PKS1_PS1_EviT_T9_T10_S5_lS7_S5_lS6_T11_S5_li
		.amdhsa_group_segment_fixed_size 8192
		.amdhsa_private_segment_fixed_size 0
		.amdhsa_kernarg_size 116
		.amdhsa_user_sgpr_count 2
		.amdhsa_user_sgpr_dispatch_ptr 0
		.amdhsa_user_sgpr_queue_ptr 0
		.amdhsa_user_sgpr_kernarg_segment_ptr 1
		.amdhsa_user_sgpr_dispatch_id 0
		.amdhsa_user_sgpr_private_segment_size 0
		.amdhsa_wavefront_size32 1
		.amdhsa_uses_dynamic_stack 0
		.amdhsa_enable_private_segment 0
		.amdhsa_system_sgpr_workgroup_id_x 1
		.amdhsa_system_sgpr_workgroup_id_y 1
		.amdhsa_system_sgpr_workgroup_id_z 1
		.amdhsa_system_sgpr_workgroup_info 0
		.amdhsa_system_vgpr_workitem_id 1
		.amdhsa_next_free_vgpr 131
		.amdhsa_next_free_sgpr 39
		.amdhsa_reserve_vcc 1
		.amdhsa_float_round_mode_32 0
		.amdhsa_float_round_mode_16_64 0
		.amdhsa_float_denorm_mode_32 3
		.amdhsa_float_denorm_mode_16_64 3
		.amdhsa_fp16_overflow 0
		.amdhsa_workgroup_processor_mode 1
		.amdhsa_memory_ordered 1
		.amdhsa_forward_progress 1
		.amdhsa_inst_pref_size 27
		.amdhsa_round_robin_scheduling 0
		.amdhsa_exception_fp_ieee_invalid_op 0
		.amdhsa_exception_fp_denorm_src 0
		.amdhsa_exception_fp_ieee_div_zero 0
		.amdhsa_exception_fp_ieee_overflow 0
		.amdhsa_exception_fp_ieee_underflow 0
		.amdhsa_exception_fp_ieee_inexact 0
		.amdhsa_exception_int_div_zero 0
	.end_amdhsa_kernel
	.section	.text._ZL29rocblas_internal_gemmt_kernelIiLi16ELi32ELi8ELc67ELc84ELc85ELb1ELb0E19rocblas_complex_numIdES1_PKS1_PS1_EviT_T9_T10_S5_lS7_S5_lS6_T11_S5_li,"axG",@progbits,_ZL29rocblas_internal_gemmt_kernelIiLi16ELi32ELi8ELc67ELc84ELc85ELb1ELb0E19rocblas_complex_numIdES1_PKS1_PS1_EviT_T9_T10_S5_lS7_S5_lS6_T11_S5_li,comdat
.Lfunc_end133:
	.size	_ZL29rocblas_internal_gemmt_kernelIiLi16ELi32ELi8ELc67ELc84ELc85ELb1ELb0E19rocblas_complex_numIdES1_PKS1_PS1_EviT_T9_T10_S5_lS7_S5_lS6_T11_S5_li, .Lfunc_end133-_ZL29rocblas_internal_gemmt_kernelIiLi16ELi32ELi8ELc67ELc84ELc85ELb1ELb0E19rocblas_complex_numIdES1_PKS1_PS1_EviT_T9_T10_S5_lS7_S5_lS6_T11_S5_li
                                        ; -- End function
	.set _ZL29rocblas_internal_gemmt_kernelIiLi16ELi32ELi8ELc67ELc84ELc85ELb1ELb0E19rocblas_complex_numIdES1_PKS1_PS1_EviT_T9_T10_S5_lS7_S5_lS6_T11_S5_li.num_vgpr, 131
	.set _ZL29rocblas_internal_gemmt_kernelIiLi16ELi32ELi8ELc67ELc84ELc85ELb1ELb0E19rocblas_complex_numIdES1_PKS1_PS1_EviT_T9_T10_S5_lS7_S5_lS6_T11_S5_li.num_agpr, 0
	.set _ZL29rocblas_internal_gemmt_kernelIiLi16ELi32ELi8ELc67ELc84ELc85ELb1ELb0E19rocblas_complex_numIdES1_PKS1_PS1_EviT_T9_T10_S5_lS7_S5_lS6_T11_S5_li.numbered_sgpr, 39
	.set _ZL29rocblas_internal_gemmt_kernelIiLi16ELi32ELi8ELc67ELc84ELc85ELb1ELb0E19rocblas_complex_numIdES1_PKS1_PS1_EviT_T9_T10_S5_lS7_S5_lS6_T11_S5_li.num_named_barrier, 0
	.set _ZL29rocblas_internal_gemmt_kernelIiLi16ELi32ELi8ELc67ELc84ELc85ELb1ELb0E19rocblas_complex_numIdES1_PKS1_PS1_EviT_T9_T10_S5_lS7_S5_lS6_T11_S5_li.private_seg_size, 0
	.set _ZL29rocblas_internal_gemmt_kernelIiLi16ELi32ELi8ELc67ELc84ELc85ELb1ELb0E19rocblas_complex_numIdES1_PKS1_PS1_EviT_T9_T10_S5_lS7_S5_lS6_T11_S5_li.uses_vcc, 1
	.set _ZL29rocblas_internal_gemmt_kernelIiLi16ELi32ELi8ELc67ELc84ELc85ELb1ELb0E19rocblas_complex_numIdES1_PKS1_PS1_EviT_T9_T10_S5_lS7_S5_lS6_T11_S5_li.uses_flat_scratch, 0
	.set _ZL29rocblas_internal_gemmt_kernelIiLi16ELi32ELi8ELc67ELc84ELc85ELb1ELb0E19rocblas_complex_numIdES1_PKS1_PS1_EviT_T9_T10_S5_lS7_S5_lS6_T11_S5_li.has_dyn_sized_stack, 0
	.set _ZL29rocblas_internal_gemmt_kernelIiLi16ELi32ELi8ELc67ELc84ELc85ELb1ELb0E19rocblas_complex_numIdES1_PKS1_PS1_EviT_T9_T10_S5_lS7_S5_lS6_T11_S5_li.has_recursion, 0
	.set _ZL29rocblas_internal_gemmt_kernelIiLi16ELi32ELi8ELc67ELc84ELc85ELb1ELb0E19rocblas_complex_numIdES1_PKS1_PS1_EviT_T9_T10_S5_lS7_S5_lS6_T11_S5_li.has_indirect_call, 0
	.section	.AMDGPU.csdata,"",@progbits
; Kernel info:
; codeLenInByte = 3408
; TotalNumSgprs: 41
; NumVgprs: 131
; ScratchSize: 0
; MemoryBound: 1
; FloatMode: 240
; IeeeMode: 1
; LDSByteSize: 8192 bytes/workgroup (compile time only)
; SGPRBlocks: 0
; VGPRBlocks: 16
; NumSGPRsForWavesPerEU: 41
; NumVGPRsForWavesPerEU: 131
; Occupancy: 10
; WaveLimiterHint : 0
; COMPUTE_PGM_RSRC2:SCRATCH_EN: 0
; COMPUTE_PGM_RSRC2:USER_SGPR: 2
; COMPUTE_PGM_RSRC2:TRAP_HANDLER: 0
; COMPUTE_PGM_RSRC2:TGID_X_EN: 1
; COMPUTE_PGM_RSRC2:TGID_Y_EN: 1
; COMPUTE_PGM_RSRC2:TGID_Z_EN: 1
; COMPUTE_PGM_RSRC2:TIDIG_COMP_CNT: 1
	.section	.text._ZL29rocblas_internal_gemmt_kernelIiLi16ELi32ELi8ELc67ELc67ELc85ELb1ELb1E19rocblas_complex_numIdES1_PKS1_PS1_EviT_T9_T10_S5_lS7_S5_lS6_T11_S5_li,"axG",@progbits,_ZL29rocblas_internal_gemmt_kernelIiLi16ELi32ELi8ELc67ELc67ELc85ELb1ELb1E19rocblas_complex_numIdES1_PKS1_PS1_EviT_T9_T10_S5_lS7_S5_lS6_T11_S5_li,comdat
	.globl	_ZL29rocblas_internal_gemmt_kernelIiLi16ELi32ELi8ELc67ELc67ELc85ELb1ELb1E19rocblas_complex_numIdES1_PKS1_PS1_EviT_T9_T10_S5_lS7_S5_lS6_T11_S5_li ; -- Begin function _ZL29rocblas_internal_gemmt_kernelIiLi16ELi32ELi8ELc67ELc67ELc85ELb1ELb1E19rocblas_complex_numIdES1_PKS1_PS1_EviT_T9_T10_S5_lS7_S5_lS6_T11_S5_li
	.p2align	8
	.type	_ZL29rocblas_internal_gemmt_kernelIiLi16ELi32ELi8ELc67ELc67ELc85ELb1ELb1E19rocblas_complex_numIdES1_PKS1_PS1_EviT_T9_T10_S5_lS7_S5_lS6_T11_S5_li,@function
_ZL29rocblas_internal_gemmt_kernelIiLi16ELi32ELi8ELc67ELc67ELc85ELb1ELb1E19rocblas_complex_numIdES1_PKS1_PS1_EviT_T9_T10_S5_lS7_S5_lS6_T11_S5_li: ; @_ZL29rocblas_internal_gemmt_kernelIiLi16ELi32ELi8ELc67ELc67ELc85ELb1ELb1E19rocblas_complex_numIdES1_PKS1_PS1_EviT_T9_T10_S5_lS7_S5_lS6_T11_S5_li
; %bb.0:
	s_clause 0x2
	s_load_b256 s[4:11], s[0:1], 0x40
	s_load_b64 s[24:25], s[0:1], 0x0
	s_load_b128 s[12:15], s[0:1], 0x8
	s_wait_kmcnt 0x0
	v_cmp_eq_f64_e64 s2, s[6:7], 1.0
	v_cmp_eq_f64_e64 s33, s[8:9], 0
	s_and_b32 s2, s2, s33
	s_delay_alu instid0(SALU_CYCLE_1)
	s_and_not1_b32 vcc_lo, exec_lo, s2
	s_mov_b32 s2, -1
	s_cbranch_vccnz .LBB134_3
; %bb.1:
	s_cmp_lg_u32 s25, 0
	s_cbranch_scc0 .LBB134_34
; %bb.2:
	v_cmp_neq_f64_e64 s2, s[12:13], 0
	v_cmp_neq_f64_e64 s3, s[14:15], 0
	s_or_b32 s2, s2, s3
.LBB134_3:
	s_delay_alu instid0(SALU_CYCLE_1)
	s_and_b32 vcc_lo, exec_lo, s2
	s_cbranch_vccz .LBB134_35
; %bb.4:
	s_load_b32 s23, s[0:1], 0x70
	s_lshr_b32 s26, ttmp7, 16
	s_wait_kmcnt 0x0
	s_cmp_ge_u32 s26, s23
	s_cbranch_scc1 .LBB134_35
; %bb.5:
	v_cmp_neq_f64_e64 s34, s[12:13], 0
	v_cmp_neq_f64_e64 s35, s[14:15], 0
	v_and_b32_e32 v1, 0x3ff, v0
	v_bfe_u32 v2, v0, 10, 10
	s_clause 0x4
	s_load_b96 s[20:22], s[0:1], 0x18
	s_load_b128 s[16:19], s[0:1], 0x28
	s_load_b32 s30, s[0:1], 0x38
	s_load_b32 s37, s[0:1], 0x60
	s_load_b64 s[28:29], s[0:1], 0x68
	v_and_b32_e32 v40, 7, v0
	s_lshl_b32 s0, ttmp9, 5
	v_lshlrev_b32_e32 v41, 4, v1
	v_lshl_add_u32 v0, v2, 4, v1
	v_add_nc_u32_e32 v8, s0, v1
	v_lshlrev_b32_e32 v3, 4, v40
	s_lshl_b32 s1, ttmp7, 5
	v_cmp_neq_f64_e64 s36, s[6:7], 0
	v_lshrrev_b32_e32 v43, 5, v0
	v_and_b32_e32 v1, 31, v0
	v_lshrrev_b32_e32 v0, 3, v0
	s_wait_alu 0xfffe
	s_and_b32 s1, s1, 0x1fffe0
	v_lshl_add_u32 v42, v2, 7, 0x1000
	s_wait_alu 0xfffe
	v_add_nc_u32_e32 v2, s1, v2
	v_add_nc_u32_e32 v10, 16, v8
	v_or_b32_e32 v4, s0, v1
	v_add_nc_u32_e32 v12, s1, v0
	v_lshlrev_b32_e32 v1, 4, v1
	v_lshl_or_b32 v0, v0, 7, v3
	v_cmp_gt_i32_e32 vcc_lo, s24, v2
	v_cmp_le_i32_e64 s2, v8, v2
	v_cmp_le_i32_e64 s3, v10, v2
	v_lshl_or_b32 v44, v43, 9, v1
	v_add_nc_u32_e32 v45, 0x1000, v0
	s_wait_kmcnt 0x0
	v_mad_co_i64_i32 v[0:1], null, v2, s37, 0
	v_add_nc_u32_e32 v6, 16, v2
	v_mad_co_i64_i32 v[2:3], null, s22, v4, 0
	v_cmp_gt_i32_e64 s0, s24, v4
	v_mad_co_i64_i32 v[4:5], null, s30, v40, 0
	s_ashr_i32 s31, s30, 31
	v_lshlrev_b32_e32 v13, 4, v43
	s_or_b32 s38, s34, s35
	s_cmp_gt_i32 s25, 0
	v_lshlrev_b64_e32 v[2:3], 4, v[2:3]
	s_cselect_b32 s39, -1, 0
	s_and_b32 s34, vcc_lo, s2
	s_and_b32 s35, vcc_lo, s3
	v_cmp_gt_i32_e32 vcc_lo, s24, v6
	v_cmp_le_i32_e64 s2, v8, v6
	v_cmp_le_i32_e64 s3, v10, v6
	v_lshlrev_b64_e32 v[4:5], 4, v[4:5]
	v_cmp_gt_i32_e64 s1, s24, v12
	v_lshlrev_b32_e32 v12, 4, v12
	s_and_b32 s22, vcc_lo, s2
	s_and_b32 s24, vcc_lo, s3
	v_add_co_u32 v2, vcc_lo, v2, v13
	s_delay_alu instid0(VALU_DEP_1)
	v_add_co_ci_u32_e64 v3, null, 0, v3, vcc_lo
	v_add_co_u32 v4, vcc_lo, v4, v12
	s_wait_alu 0xfffd
	v_add_co_ci_u32_e64 v5, null, 0, v5, vcc_lo
	v_mad_co_i64_i32 v[6:7], null, v6, s37, 0
	v_add_co_u32 v2, vcc_lo, s20, v2
	s_wait_alu 0xfffd
	v_add_co_ci_u32_e64 v3, null, s21, v3, vcc_lo
	v_add_co_u32 v4, vcc_lo, s18, v4
	s_wait_alu 0xfffd
	v_add_co_ci_u32_e64 v5, null, s19, v5, vcc_lo
	;; [unrolled: 3-line block ×3, first 2 shown]
	v_add_co_u32 v14, vcc_lo, v4, 8
	v_lshlrev_b64_e32 v[16:17], 4, v[0:1]
	v_lshlrev_b64_e32 v[18:19], 4, v[6:7]
	v_ashrrev_i32_e32 v9, 31, v8
	v_ashrrev_i32_e32 v11, 31, v10
	s_wait_alu 0xfffd
	v_add_co_ci_u32_e64 v15, null, 0, v5, vcc_lo
	s_xor_b32 s33, s33, -1
	s_mov_b32 s27, 0
	s_or_b32 s33, s36, s33
	s_and_b32 s20, s38, s39
	s_lshl_b64 s[2:3], s[16:17], 4
	s_lshl_b64 s[4:5], s[4:5], 4
	s_wait_alu 0xfffe
	s_lshl_b64 s[16:17], s[30:31], 7
	s_branch .LBB134_7
.LBB134_6:                              ;   in Loop: Header=BB134_7 Depth=1
	s_wait_alu 0xfffe
	s_or_b32 exec_lo, exec_lo, s18
	s_add_co_i32 s26, s26, 0x10000
	s_wait_alu 0xfffe
	s_cmp_lt_u32 s26, s23
	s_cbranch_scc0 .LBB134_35
.LBB134_7:                              ; =>This Loop Header: Depth=1
                                        ;     Child Loop BB134_10 Depth 2
	v_mov_b32_e32 v36, 0
	v_mov_b32_e32 v32, 0
	;; [unrolled: 1-line block ×3, first 2 shown]
	v_dual_mov_b32 v26, 0 :: v_dual_mov_b32 v37, 0
	v_dual_mov_b32 v38, 0 :: v_dual_mov_b32 v33, 0
	;; [unrolled: 1-line block ×5, first 2 shown]
	v_mov_b32_e32 v35, 0
	v_mov_b32_e32 v31, 0
	;; [unrolled: 1-line block ×3, first 2 shown]
	s_and_not1_b32 vcc_lo, exec_lo, s20
	s_wait_alu 0xfffe
	s_cbranch_vccnz .LBB134_14
; %bb.8:                                ;   in Loop: Header=BB134_7 Depth=1
	v_mad_co_u64_u32 v[20:21], null, s2, s26, v[12:13]
	v_mad_co_u64_u32 v[22:23], null, s4, s26, v[14:15]
	v_mov_b32_e32 v24, 0
	v_mov_b32_e32 v26, 0
	v_mov_b32_e32 v28, 0
	v_mov_b32_e32 v32, 0
	v_dual_mov_b32 v0, v21 :: v_dual_mov_b32 v25, 0
	v_mov_b32_e32 v1, v23
	v_dual_mov_b32 v27, 0 :: v_dual_mov_b32 v30, 0
	v_dual_mov_b32 v29, 0 :: v_dual_mov_b32 v34, 0
	s_delay_alu instid0(VALU_DEP_3)
	v_mad_co_u64_u32 v[2:3], null, s3, s26, v[0:1]
	v_dual_mov_b32 v33, 0 :: v_dual_mov_b32 v38, 0
	v_dual_mov_b32 v36, 0 :: v_dual_mov_b32 v31, 0
	v_mov_b32_e32 v35, 0
	v_mov_b32_e32 v39, 0
	v_mad_co_u64_u32 v[0:1], null, s5, s26, v[1:2]
	v_mov_b32_e32 v37, 0
	v_mov_b32_e32 v21, v2
	s_mov_b32 s18, 0
	s_delay_alu instid0(VALU_DEP_3)
	v_mov_b32_e32 v23, v0
	s_branch .LBB134_10
.LBB134_9:                              ;   in Loop: Header=BB134_10 Depth=2
	s_wait_alu 0xfffe
	s_or_b32 exec_lo, exec_lo, s19
	ds_store_b128 v45, v[4:7]
	s_wait_dscnt 0x0
	s_barrier_signal -1
	s_barrier_wait -1
	global_inv scope:SCOPE_SE
	ds_load_b128 v[0:3], v42
	ds_load_b128 v[4:7], v41
	ds_load_b128 v[46:49], v41 offset:256
	ds_load_b128 v[50:53], v42 offset:2048
	;; [unrolled: 1-line block ×10, first 2 shown]
	v_add_co_u32 v20, vcc_lo, 0x80, v20
	s_wait_alu 0xfffd
	v_add_co_ci_u32_e64 v21, null, 0, v21, vcc_lo
	v_add_co_u32 v22, vcc_lo, v22, s16
	s_wait_alu 0xfffd
	v_add_co_ci_u32_e64 v23, null, s17, v23, vcc_lo
	s_add_co_i32 s18, s18, 8
	s_wait_alu 0xfffe
	s_cmp_lt_i32 s18, s25
	s_wait_dscnt 0xa
	v_mul_f64_e32 v[86:87], v[2:3], v[6:7]
	v_mul_f64_e32 v[88:89], v[0:1], v[6:7]
	s_wait_dscnt 0x9
	v_mul_f64_e32 v[90:91], v[2:3], v[48:49]
	v_mul_f64_e32 v[92:93], v[0:1], v[48:49]
	;; [unrolled: 3-line block ×3, first 2 shown]
	v_mul_f64_e32 v[96:97], v[52:53], v[48:49]
	v_mul_f64_e32 v[48:49], v[50:51], v[48:49]
	s_wait_dscnt 0x5
	v_mul_f64_e32 v[98:99], v[56:57], v[64:65]
	v_mul_f64_e32 v[100:101], v[54:55], v[64:65]
	s_wait_dscnt 0x4
	v_mul_f64_e32 v[102:103], v[56:57], v[68:69]
	v_mul_f64_e32 v[104:105], v[54:55], v[68:69]
	;; [unrolled: 1-line block ×6, first 2 shown]
	s_wait_dscnt 0x2
	v_mul_f64_e32 v[114:115], v[72:73], v[76:77]
	v_mul_f64_e32 v[116:117], v[70:71], v[76:77]
	s_wait_dscnt 0x1
	v_mul_f64_e32 v[118:119], v[72:73], v[80:81]
	v_mul_f64_e32 v[120:121], v[70:71], v[80:81]
	;; [unrolled: 3-line block ×3, first 2 shown]
	v_mul_f64_e32 v[124:125], v[84:85], v[80:81]
	v_mul_f64_e32 v[80:81], v[82:83], v[80:81]
	v_fma_f64 v[86:87], v[0:1], v[4:5], -v[86:87]
	v_fma_f64 v[88:89], v[2:3], v[4:5], v[88:89]
	v_fma_f64 v[90:91], v[0:1], v[46:47], -v[90:91]
	v_fma_f64 v[92:93], v[2:3], v[46:47], v[92:93]
	;; [unrolled: 2-line block ×8, first 2 shown]
	ds_load_b128 v[0:3], v42 offset:48
	ds_load_b128 v[4:7], v42 offset:2096
	;; [unrolled: 1-line block ×4, first 2 shown]
	v_fma_f64 v[114:115], v[70:71], v[74:75], -v[114:115]
	v_fma_f64 v[116:117], v[72:73], v[74:75], v[116:117]
	v_fma_f64 v[70:71], v[70:71], v[78:79], -v[118:119]
	v_fma_f64 v[72:73], v[72:73], v[78:79], v[120:121]
	;; [unrolled: 2-line block ×4, first 2 shown]
	s_wait_dscnt 0x1
	v_mul_f64_e32 v[104:105], v[0:1], v[48:49]
	s_wait_dscnt 0x0
	v_mul_f64_e32 v[106:107], v[2:3], v[52:53]
	v_mul_f64_e32 v[108:109], v[0:1], v[52:53]
	v_add_f64_e32 v[64:65], v[36:37], v[86:87]
	v_add_f64_e32 v[66:67], v[88:89], v[38:39]
	;; [unrolled: 1-line block ×8, first 2 shown]
	v_mul_f64_e32 v[96:97], v[2:3], v[48:49]
	v_mul_f64_e32 v[110:111], v[6:7], v[48:49]
	;; [unrolled: 1-line block ×5, first 2 shown]
	ds_load_b128 v[24:27], v42 offset:64
	ds_load_b128 v[28:31], v41 offset:2048
	;; [unrolled: 1-line block ×4, first 2 shown]
	s_wait_dscnt 0x0
	v_mul_f64_e32 v[120:121], v[38:39], v[30:31]
	v_mul_f64_e32 v[122:123], v[38:39], v[34:35]
	v_fma_f64 v[104:105], v[2:3], v[46:47], v[104:105]
	v_fma_f64 v[106:107], v[0:1], v[50:51], -v[106:107]
	v_fma_f64 v[108:109], v[2:3], v[50:51], v[108:109]
	v_add_f64_e32 v[80:81], v[64:65], v[98:99]
	v_add_f64_e32 v[82:83], v[100:101], v[66:67]
	;; [unrolled: 1-line block ×8, first 2 shown]
	v_mul_f64_e32 v[94:95], v[26:27], v[30:31]
	v_mul_f64_e32 v[98:99], v[24:25], v[30:31]
	;; [unrolled: 1-line block ×6, first 2 shown]
	v_fma_f64 v[96:97], v[0:1], v[46:47], -v[96:97]
	v_fma_f64 v[110:111], v[4:5], v[46:47], -v[110:111]
	v_fma_f64 v[124:125], v[6:7], v[46:47], v[48:49]
	v_fma_f64 v[112:113], v[4:5], v[50:51], -v[112:113]
	v_fma_f64 v[50:51], v[6:7], v[50:51], v[126:127]
	ds_load_b128 v[52:55], v42 offset:80
	ds_load_b128 v[56:59], v42 offset:2128
	;; [unrolled: 1-line block ×4, first 2 shown]
	v_fma_f64 v[120:121], v[36:37], v[28:29], -v[120:121]
	v_fma_f64 v[122:123], v[36:37], v[32:33], -v[122:123]
	v_add_f64_e32 v[80:81], v[80:81], v[114:115]
	v_add_f64_e32 v[82:83], v[116:117], v[82:83]
	;; [unrolled: 1-line block ×8, first 2 shown]
	s_wait_dscnt 0x1
	v_mul_f64_e32 v[86:87], v[54:55], v[62:63]
	v_mul_f64_e32 v[88:89], v[52:53], v[62:63]
	s_wait_dscnt 0x0
	v_mul_f64_e32 v[90:91], v[54:55], v[66:67]
	v_mul_f64_e32 v[92:93], v[52:53], v[66:67]
	;; [unrolled: 1-line block ×6, first 2 shown]
	v_fma_f64 v[94:95], v[24:25], v[28:29], -v[94:95]
	v_fma_f64 v[98:99], v[26:27], v[28:29], v[98:99]
	v_fma_f64 v[100:101], v[24:25], v[32:33], -v[100:101]
	v_fma_f64 v[102:103], v[26:27], v[32:33], v[102:103]
	v_fma_f64 v[126:127], v[38:39], v[28:29], v[30:31]
	;; [unrolled: 1-line block ×3, first 2 shown]
	ds_load_b128 v[0:3], v42 offset:96
	ds_load_b128 v[4:7], v41 offset:3072
	;; [unrolled: 1-line block ×8, first 2 shown]
	s_wait_loadcnt_dscnt 0x0
	s_barrier_signal -1
	s_barrier_wait -1
	global_inv scope:SCOPE_SE
	v_add_f64_e32 v[80:81], v[80:81], v[96:97]
	v_add_f64_e32 v[82:83], v[104:105], v[82:83]
	;; [unrolled: 1-line block ×8, first 2 shown]
	v_mul_f64_e32 v[78:79], v[2:3], v[6:7]
	v_mul_f64_e32 v[104:105], v[0:1], v[6:7]
	;; [unrolled: 1-line block ×8, first 2 shown]
	v_fma_f64 v[86:87], v[52:53], v[60:61], -v[86:87]
	v_fma_f64 v[88:89], v[54:55], v[60:61], v[88:89]
	v_fma_f64 v[52:53], v[52:53], v[64:65], -v[90:91]
	v_fma_f64 v[54:55], v[54:55], v[64:65], v[92:93]
	;; [unrolled: 2-line block ×4, first 2 shown]
	v_mul_f64_e32 v[92:93], v[26:27], v[38:39]
	v_add_f64_e32 v[62:63], v[80:81], v[94:95]
	v_add_f64_e32 v[64:65], v[98:99], v[82:83]
	v_add_f64_e32 v[66:67], v[96:97], v[100:101]
	v_add_f64_e32 v[72:73], v[102:103], v[72:73]
	v_add_f64_e32 v[80:81], v[84:85], v[120:121]
	v_add_f64_e32 v[74:75], v[126:127], v[74:75]
	v_add_f64_e32 v[76:77], v[76:77], v[122:123]
	v_add_f64_e32 v[50:51], v[128:129], v[50:51]
	v_mul_f64_e32 v[82:83], v[26:27], v[34:35]
	v_mul_f64_e32 v[84:85], v[24:25], v[34:35]
	;; [unrolled: 1-line block ×7, first 2 shown]
	v_fma_f64 v[78:79], v[0:1], v[4:5], -v[78:79]
	v_fma_f64 v[100:101], v[2:3], v[4:5], v[104:105]
	v_fma_f64 v[0:1], v[0:1], v[46:47], -v[106:107]
	v_fma_f64 v[2:3], v[2:3], v[46:47], v[108:109]
	;; [unrolled: 2-line block ×4, first 2 shown]
	v_add_f64_e32 v[48:49], v[62:63], v[86:87]
	v_add_f64_e32 v[62:63], v[88:89], v[64:65]
	;; [unrolled: 1-line block ×8, first 2 shown]
	v_fma_f64 v[58:59], v[24:25], v[32:33], -v[82:83]
	v_fma_f64 v[66:67], v[26:27], v[32:33], v[84:85]
	v_fma_f64 v[24:25], v[24:25], v[36:37], -v[92:93]
	v_fma_f64 v[26:27], v[26:27], v[36:37], v[94:95]
	;; [unrolled: 2-line block ×4, first 2 shown]
	v_add_f64_e32 v[28:29], v[48:49], v[78:79]
	v_add_f64_e32 v[30:31], v[100:101], v[62:63]
	;; [unrolled: 1-line block ×16, first 2 shown]
	s_cbranch_scc0 .LBB134_14
.LBB134_10:                             ;   Parent Loop BB134_7 Depth=1
                                        ; =>  This Inner Loop Header: Depth=2
	s_wait_alu 0xfffe
	v_add_nc_u32_e32 v0, s18, v43
	v_mov_b32_e32 v2, 0
	v_mov_b32_e32 v3, 0
	s_delay_alu instid0(VALU_DEP_3)
	v_cmp_gt_i32_e32 vcc_lo, s25, v0
	v_mov_b32_e32 v0, 0
	v_mov_b32_e32 v1, 0
	s_and_b32 s21, s0, vcc_lo
	s_wait_alu 0xfffe
	s_and_saveexec_b32 s19, s21
	s_cbranch_execz .LBB134_12
; %bb.11:                               ;   in Loop: Header=BB134_10 Depth=2
	global_load_b128 v[0:3], v[20:21], off offset:-8
	s_wait_loadcnt 0x0
	v_xor_b32_e32 v3, 0x80000000, v3
.LBB134_12:                             ;   in Loop: Header=BB134_10 Depth=2
	s_wait_alu 0xfffe
	s_or_b32 exec_lo, exec_lo, s19
	v_add_nc_u32_e32 v4, s18, v40
	v_mov_b32_e32 v6, 0
	v_mov_b32_e32 v7, 0
	ds_store_b128 v44, v[0:3]
	v_cmp_gt_i32_e32 vcc_lo, s25, v4
	v_mov_b32_e32 v4, 0
	v_mov_b32_e32 v5, 0
	s_and_b32 s21, vcc_lo, s1
	s_wait_alu 0xfffe
	s_and_saveexec_b32 s19, s21
	s_cbranch_execz .LBB134_9
; %bb.13:                               ;   in Loop: Header=BB134_10 Depth=2
	global_load_b128 v[4:7], v[22:23], off offset:-8
	s_wait_loadcnt 0x0
	v_xor_b32_e32 v7, 0x80000000, v7
	s_branch .LBB134_9
.LBB134_14:                             ;   in Loop: Header=BB134_7 Depth=1
	s_mul_u64 s[18:19], s[28:29], s[26:27]
	s_wait_alu 0xfffe
	s_lshl_b64 s[18:19], s[18:19], 4
	s_wait_alu 0xfffe
	s_add_nc_u64 s[18:19], s[10:11], s[18:19]
	s_wait_alu 0xfffe
	v_add_co_u32 v4, vcc_lo, s18, v16
	s_wait_alu 0xfffd
	v_add_co_ci_u32_e64 v5, null, s19, v17, vcc_lo
	s_and_saveexec_b32 s21, s34
	s_cbranch_execz .LBB134_19
; %bb.15:                               ;   in Loop: Header=BB134_7 Depth=1
	v_mul_f64_e32 v[0:1], s[14:15], v[38:39]
	v_mul_f64_e32 v[2:3], s[12:13], v[38:39]
	s_and_b32 vcc_lo, exec_lo, s33
	s_mov_b32 s30, -1
	s_delay_alu instid0(VALU_DEP_2) | instskip(NEXT) | instid1(VALU_DEP_2)
	v_fma_f64 v[0:1], s[12:13], v[36:37], -v[0:1]
	v_fma_f64 v[2:3], s[14:15], v[36:37], v[2:3]
	s_wait_alu 0xfffe
	s_cbranch_vccz .LBB134_17
; %bb.16:                               ;   in Loop: Header=BB134_7 Depth=1
	v_lshlrev_b64_e32 v[6:7], 4, v[8:9]
	s_mov_b32 s30, 0
	s_delay_alu instid0(VALU_DEP_1) | instskip(SKIP_1) | instid1(VALU_DEP_2)
	v_add_co_u32 v6, vcc_lo, v4, v6
	s_wait_alu 0xfffd
	v_add_co_ci_u32_e64 v7, null, v5, v7, vcc_lo
	global_load_b128 v[20:23], v[6:7], off
	s_wait_loadcnt 0x0
	v_mul_f64_e32 v[36:37], s[8:9], v[22:23]
	v_mul_f64_e32 v[22:23], s[6:7], v[22:23]
	s_delay_alu instid0(VALU_DEP_2) | instskip(NEXT) | instid1(VALU_DEP_2)
	v_fma_f64 v[36:37], s[6:7], v[20:21], -v[36:37]
	v_fma_f64 v[22:23], s[8:9], v[20:21], v[22:23]
	s_delay_alu instid0(VALU_DEP_2) | instskip(NEXT) | instid1(VALU_DEP_2)
	v_add_f64_e32 v[20:21], v[0:1], v[36:37]
	v_add_f64_e32 v[22:23], v[2:3], v[22:23]
	global_store_b128 v[6:7], v[20:23], off
.LBB134_17:                             ;   in Loop: Header=BB134_7 Depth=1
	s_wait_alu 0xfffe
	s_and_not1_b32 vcc_lo, exec_lo, s30
	s_wait_alu 0xfffe
	s_cbranch_vccnz .LBB134_19
; %bb.18:                               ;   in Loop: Header=BB134_7 Depth=1
	v_lshlrev_b64_e32 v[6:7], 4, v[8:9]
	s_delay_alu instid0(VALU_DEP_1) | instskip(SKIP_1) | instid1(VALU_DEP_2)
	v_add_co_u32 v6, vcc_lo, v4, v6
	s_wait_alu 0xfffd
	v_add_co_ci_u32_e64 v7, null, v5, v7, vcc_lo
	global_store_b128 v[6:7], v[0:3], off
.LBB134_19:                             ;   in Loop: Header=BB134_7 Depth=1
	s_wait_alu 0xfffe
	s_or_b32 exec_lo, exec_lo, s21
	s_and_saveexec_b32 s21, s35
	s_cbranch_execz .LBB134_24
; %bb.20:                               ;   in Loop: Header=BB134_7 Depth=1
	v_mul_f64_e32 v[0:1], s[14:15], v[34:35]
	v_mul_f64_e32 v[2:3], s[12:13], v[34:35]
	s_and_not1_b32 vcc_lo, exec_lo, s33
	s_mov_b32 s30, -1
	s_delay_alu instid0(VALU_DEP_2) | instskip(NEXT) | instid1(VALU_DEP_2)
	v_fma_f64 v[0:1], s[12:13], v[32:33], -v[0:1]
	v_fma_f64 v[2:3], s[14:15], v[32:33], v[2:3]
	s_wait_alu 0xfffe
	s_cbranch_vccnz .LBB134_22
; %bb.21:                               ;   in Loop: Header=BB134_7 Depth=1
	v_lshlrev_b64_e32 v[6:7], 4, v[10:11]
	s_mov_b32 s30, 0
	s_delay_alu instid0(VALU_DEP_1) | instskip(SKIP_1) | instid1(VALU_DEP_2)
	v_add_co_u32 v6, vcc_lo, v4, v6
	s_wait_alu 0xfffd
	v_add_co_ci_u32_e64 v7, null, v5, v7, vcc_lo
	global_load_b128 v[20:23], v[6:7], off
	s_wait_loadcnt 0x0
	v_mul_f64_e32 v[32:33], s[8:9], v[22:23]
	v_mul_f64_e32 v[22:23], s[6:7], v[22:23]
	s_delay_alu instid0(VALU_DEP_2) | instskip(NEXT) | instid1(VALU_DEP_2)
	v_fma_f64 v[32:33], s[6:7], v[20:21], -v[32:33]
	v_fma_f64 v[22:23], s[8:9], v[20:21], v[22:23]
	s_delay_alu instid0(VALU_DEP_2) | instskip(NEXT) | instid1(VALU_DEP_2)
	v_add_f64_e32 v[20:21], v[0:1], v[32:33]
	v_add_f64_e32 v[22:23], v[2:3], v[22:23]
	global_store_b128 v[6:7], v[20:23], off
.LBB134_22:                             ;   in Loop: Header=BB134_7 Depth=1
	s_wait_alu 0xfffe
	s_and_not1_b32 vcc_lo, exec_lo, s30
	s_wait_alu 0xfffe
	s_cbranch_vccnz .LBB134_24
; %bb.23:                               ;   in Loop: Header=BB134_7 Depth=1
	v_lshlrev_b64_e32 v[6:7], 4, v[10:11]
	s_delay_alu instid0(VALU_DEP_1) | instskip(SKIP_1) | instid1(VALU_DEP_2)
	v_add_co_u32 v4, vcc_lo, v4, v6
	s_wait_alu 0xfffd
	v_add_co_ci_u32_e64 v5, null, v5, v7, vcc_lo
	global_store_b128 v[4:5], v[0:3], off
.LBB134_24:                             ;   in Loop: Header=BB134_7 Depth=1
	s_wait_alu 0xfffe
	s_or_b32 exec_lo, exec_lo, s21
	v_add_co_u32 v6, vcc_lo, s18, v18
	s_wait_alu 0xfffd
	v_add_co_ci_u32_e64 v7, null, s19, v19, vcc_lo
	s_and_saveexec_b32 s18, s22
	s_cbranch_execz .LBB134_29
; %bb.25:                               ;   in Loop: Header=BB134_7 Depth=1
	v_mul_f64_e32 v[0:1], s[14:15], v[30:31]
	v_mul_f64_e32 v[2:3], s[12:13], v[30:31]
	v_lshlrev_b64_e32 v[4:5], 4, v[8:9]
	s_and_not1_b32 vcc_lo, exec_lo, s33
	s_mov_b32 s19, -1
	s_delay_alu instid0(VALU_DEP_3) | instskip(NEXT) | instid1(VALU_DEP_3)
	v_fma_f64 v[0:1], s[12:13], v[28:29], -v[0:1]
	v_fma_f64 v[2:3], s[14:15], v[28:29], v[2:3]
	s_wait_alu 0xfffe
	s_cbranch_vccnz .LBB134_27
; %bb.26:                               ;   in Loop: Header=BB134_7 Depth=1
	v_add_co_u32 v28, vcc_lo, v6, v4
	s_wait_alu 0xfffd
	v_add_co_ci_u32_e64 v29, null, v7, v5, vcc_lo
	s_mov_b32 s19, 0
	global_load_b128 v[20:23], v[28:29], off
	s_wait_loadcnt 0x0
	v_mul_f64_e32 v[30:31], s[8:9], v[22:23]
	v_mul_f64_e32 v[22:23], s[6:7], v[22:23]
	s_delay_alu instid0(VALU_DEP_2) | instskip(NEXT) | instid1(VALU_DEP_2)
	v_fma_f64 v[30:31], s[6:7], v[20:21], -v[30:31]
	v_fma_f64 v[22:23], s[8:9], v[20:21], v[22:23]
	s_delay_alu instid0(VALU_DEP_2) | instskip(NEXT) | instid1(VALU_DEP_2)
	v_add_f64_e32 v[20:21], v[0:1], v[30:31]
	v_add_f64_e32 v[22:23], v[2:3], v[22:23]
	global_store_b128 v[28:29], v[20:23], off
.LBB134_27:                             ;   in Loop: Header=BB134_7 Depth=1
	s_wait_alu 0xfffe
	s_and_not1_b32 vcc_lo, exec_lo, s19
	s_wait_alu 0xfffe
	s_cbranch_vccnz .LBB134_29
; %bb.28:                               ;   in Loop: Header=BB134_7 Depth=1
	v_add_co_u32 v4, vcc_lo, v6, v4
	s_wait_alu 0xfffd
	v_add_co_ci_u32_e64 v5, null, v7, v5, vcc_lo
	global_store_b128 v[4:5], v[0:3], off
.LBB134_29:                             ;   in Loop: Header=BB134_7 Depth=1
	s_wait_alu 0xfffe
	s_or_b32 exec_lo, exec_lo, s18
	s_and_saveexec_b32 s18, s24
	s_cbranch_execz .LBB134_6
; %bb.30:                               ;   in Loop: Header=BB134_7 Depth=1
	v_mul_f64_e32 v[0:1], s[14:15], v[24:25]
	v_mul_f64_e32 v[2:3], s[12:13], v[24:25]
	v_lshlrev_b64_e32 v[4:5], 4, v[10:11]
	s_and_not1_b32 vcc_lo, exec_lo, s33
	s_mov_b32 s19, -1
	s_delay_alu instid0(VALU_DEP_3) | instskip(NEXT) | instid1(VALU_DEP_3)
	v_fma_f64 v[0:1], s[12:13], v[26:27], -v[0:1]
	v_fma_f64 v[2:3], s[14:15], v[26:27], v[2:3]
	s_wait_alu 0xfffe
	s_cbranch_vccnz .LBB134_32
; %bb.31:                               ;   in Loop: Header=BB134_7 Depth=1
	v_add_co_u32 v24, vcc_lo, v6, v4
	s_wait_alu 0xfffd
	v_add_co_ci_u32_e64 v25, null, v7, v5, vcc_lo
	s_mov_b32 s19, 0
	global_load_b128 v[20:23], v[24:25], off
	s_wait_loadcnt 0x0
	v_mul_f64_e32 v[26:27], s[8:9], v[22:23]
	v_mul_f64_e32 v[22:23], s[6:7], v[22:23]
	s_delay_alu instid0(VALU_DEP_2) | instskip(NEXT) | instid1(VALU_DEP_2)
	v_fma_f64 v[26:27], s[6:7], v[20:21], -v[26:27]
	v_fma_f64 v[22:23], s[8:9], v[20:21], v[22:23]
	s_delay_alu instid0(VALU_DEP_2) | instskip(NEXT) | instid1(VALU_DEP_2)
	v_add_f64_e32 v[20:21], v[0:1], v[26:27]
	v_add_f64_e32 v[22:23], v[2:3], v[22:23]
	global_store_b128 v[24:25], v[20:23], off
.LBB134_32:                             ;   in Loop: Header=BB134_7 Depth=1
	s_wait_alu 0xfffe
	s_and_not1_b32 vcc_lo, exec_lo, s19
	s_wait_alu 0xfffe
	s_cbranch_vccnz .LBB134_6
; %bb.33:                               ;   in Loop: Header=BB134_7 Depth=1
	v_add_co_u32 v4, vcc_lo, v6, v4
	s_wait_alu 0xfffd
	v_add_co_ci_u32_e64 v5, null, v7, v5, vcc_lo
	global_store_b128 v[4:5], v[0:3], off
	s_branch .LBB134_6
.LBB134_34:
.LBB134_35:
	s_nop 0
	s_sendmsg sendmsg(MSG_DEALLOC_VGPRS)
	s_endpgm
	.section	.rodata,"a",@progbits
	.p2align	6, 0x0
	.amdhsa_kernel _ZL29rocblas_internal_gemmt_kernelIiLi16ELi32ELi8ELc67ELc67ELc85ELb1ELb1E19rocblas_complex_numIdES1_PKS1_PS1_EviT_T9_T10_S5_lS7_S5_lS6_T11_S5_li
		.amdhsa_group_segment_fixed_size 8192
		.amdhsa_private_segment_fixed_size 0
		.amdhsa_kernarg_size 116
		.amdhsa_user_sgpr_count 2
		.amdhsa_user_sgpr_dispatch_ptr 0
		.amdhsa_user_sgpr_queue_ptr 0
		.amdhsa_user_sgpr_kernarg_segment_ptr 1
		.amdhsa_user_sgpr_dispatch_id 0
		.amdhsa_user_sgpr_private_segment_size 0
		.amdhsa_wavefront_size32 1
		.amdhsa_uses_dynamic_stack 0
		.amdhsa_enable_private_segment 0
		.amdhsa_system_sgpr_workgroup_id_x 1
		.amdhsa_system_sgpr_workgroup_id_y 1
		.amdhsa_system_sgpr_workgroup_id_z 1
		.amdhsa_system_sgpr_workgroup_info 0
		.amdhsa_system_vgpr_workitem_id 1
		.amdhsa_next_free_vgpr 130
		.amdhsa_next_free_sgpr 40
		.amdhsa_reserve_vcc 1
		.amdhsa_float_round_mode_32 0
		.amdhsa_float_round_mode_16_64 0
		.amdhsa_float_denorm_mode_32 3
		.amdhsa_float_denorm_mode_16_64 3
		.amdhsa_fp16_overflow 0
		.amdhsa_workgroup_processor_mode 1
		.amdhsa_memory_ordered 1
		.amdhsa_forward_progress 1
		.amdhsa_inst_pref_size 27
		.amdhsa_round_robin_scheduling 0
		.amdhsa_exception_fp_ieee_invalid_op 0
		.amdhsa_exception_fp_denorm_src 0
		.amdhsa_exception_fp_ieee_div_zero 0
		.amdhsa_exception_fp_ieee_overflow 0
		.amdhsa_exception_fp_ieee_underflow 0
		.amdhsa_exception_fp_ieee_inexact 0
		.amdhsa_exception_int_div_zero 0
	.end_amdhsa_kernel
	.section	.text._ZL29rocblas_internal_gemmt_kernelIiLi16ELi32ELi8ELc67ELc67ELc85ELb1ELb1E19rocblas_complex_numIdES1_PKS1_PS1_EviT_T9_T10_S5_lS7_S5_lS6_T11_S5_li,"axG",@progbits,_ZL29rocblas_internal_gemmt_kernelIiLi16ELi32ELi8ELc67ELc67ELc85ELb1ELb1E19rocblas_complex_numIdES1_PKS1_PS1_EviT_T9_T10_S5_lS7_S5_lS6_T11_S5_li,comdat
.Lfunc_end134:
	.size	_ZL29rocblas_internal_gemmt_kernelIiLi16ELi32ELi8ELc67ELc67ELc85ELb1ELb1E19rocblas_complex_numIdES1_PKS1_PS1_EviT_T9_T10_S5_lS7_S5_lS6_T11_S5_li, .Lfunc_end134-_ZL29rocblas_internal_gemmt_kernelIiLi16ELi32ELi8ELc67ELc67ELc85ELb1ELb1E19rocblas_complex_numIdES1_PKS1_PS1_EviT_T9_T10_S5_lS7_S5_lS6_T11_S5_li
                                        ; -- End function
	.set _ZL29rocblas_internal_gemmt_kernelIiLi16ELi32ELi8ELc67ELc67ELc85ELb1ELb1E19rocblas_complex_numIdES1_PKS1_PS1_EviT_T9_T10_S5_lS7_S5_lS6_T11_S5_li.num_vgpr, 130
	.set _ZL29rocblas_internal_gemmt_kernelIiLi16ELi32ELi8ELc67ELc67ELc85ELb1ELb1E19rocblas_complex_numIdES1_PKS1_PS1_EviT_T9_T10_S5_lS7_S5_lS6_T11_S5_li.num_agpr, 0
	.set _ZL29rocblas_internal_gemmt_kernelIiLi16ELi32ELi8ELc67ELc67ELc85ELb1ELb1E19rocblas_complex_numIdES1_PKS1_PS1_EviT_T9_T10_S5_lS7_S5_lS6_T11_S5_li.numbered_sgpr, 40
	.set _ZL29rocblas_internal_gemmt_kernelIiLi16ELi32ELi8ELc67ELc67ELc85ELb1ELb1E19rocblas_complex_numIdES1_PKS1_PS1_EviT_T9_T10_S5_lS7_S5_lS6_T11_S5_li.num_named_barrier, 0
	.set _ZL29rocblas_internal_gemmt_kernelIiLi16ELi32ELi8ELc67ELc67ELc85ELb1ELb1E19rocblas_complex_numIdES1_PKS1_PS1_EviT_T9_T10_S5_lS7_S5_lS6_T11_S5_li.private_seg_size, 0
	.set _ZL29rocblas_internal_gemmt_kernelIiLi16ELi32ELi8ELc67ELc67ELc85ELb1ELb1E19rocblas_complex_numIdES1_PKS1_PS1_EviT_T9_T10_S5_lS7_S5_lS6_T11_S5_li.uses_vcc, 1
	.set _ZL29rocblas_internal_gemmt_kernelIiLi16ELi32ELi8ELc67ELc67ELc85ELb1ELb1E19rocblas_complex_numIdES1_PKS1_PS1_EviT_T9_T10_S5_lS7_S5_lS6_T11_S5_li.uses_flat_scratch, 0
	.set _ZL29rocblas_internal_gemmt_kernelIiLi16ELi32ELi8ELc67ELc67ELc85ELb1ELb1E19rocblas_complex_numIdES1_PKS1_PS1_EviT_T9_T10_S5_lS7_S5_lS6_T11_S5_li.has_dyn_sized_stack, 0
	.set _ZL29rocblas_internal_gemmt_kernelIiLi16ELi32ELi8ELc67ELc67ELc85ELb1ELb1E19rocblas_complex_numIdES1_PKS1_PS1_EviT_T9_T10_S5_lS7_S5_lS6_T11_S5_li.has_recursion, 0
	.set _ZL29rocblas_internal_gemmt_kernelIiLi16ELi32ELi8ELc67ELc67ELc85ELb1ELb1E19rocblas_complex_numIdES1_PKS1_PS1_EviT_T9_T10_S5_lS7_S5_lS6_T11_S5_li.has_indirect_call, 0
	.section	.AMDGPU.csdata,"",@progbits
; Kernel info:
; codeLenInByte = 3404
; TotalNumSgprs: 42
; NumVgprs: 130
; ScratchSize: 0
; MemoryBound: 1
; FloatMode: 240
; IeeeMode: 1
; LDSByteSize: 8192 bytes/workgroup (compile time only)
; SGPRBlocks: 0
; VGPRBlocks: 16
; NumSGPRsForWavesPerEU: 42
; NumVGPRsForWavesPerEU: 130
; Occupancy: 10
; WaveLimiterHint : 0
; COMPUTE_PGM_RSRC2:SCRATCH_EN: 0
; COMPUTE_PGM_RSRC2:USER_SGPR: 2
; COMPUTE_PGM_RSRC2:TRAP_HANDLER: 0
; COMPUTE_PGM_RSRC2:TGID_X_EN: 1
; COMPUTE_PGM_RSRC2:TGID_Y_EN: 1
; COMPUTE_PGM_RSRC2:TGID_Z_EN: 1
; COMPUTE_PGM_RSRC2:TIDIG_COMP_CNT: 1
	.section	.text._ZL29rocblas_internal_gemmt_kernelIiLi16ELi32ELi8ELc78ELc78ELc76ELb0ELb0E19rocblas_complex_numIdES1_PKS1_PS1_EviT_T9_T10_S5_lS7_S5_lS6_T11_S5_li,"axG",@progbits,_ZL29rocblas_internal_gemmt_kernelIiLi16ELi32ELi8ELc78ELc78ELc76ELb0ELb0E19rocblas_complex_numIdES1_PKS1_PS1_EviT_T9_T10_S5_lS7_S5_lS6_T11_S5_li,comdat
	.globl	_ZL29rocblas_internal_gemmt_kernelIiLi16ELi32ELi8ELc78ELc78ELc76ELb0ELb0E19rocblas_complex_numIdES1_PKS1_PS1_EviT_T9_T10_S5_lS7_S5_lS6_T11_S5_li ; -- Begin function _ZL29rocblas_internal_gemmt_kernelIiLi16ELi32ELi8ELc78ELc78ELc76ELb0ELb0E19rocblas_complex_numIdES1_PKS1_PS1_EviT_T9_T10_S5_lS7_S5_lS6_T11_S5_li
	.p2align	8
	.type	_ZL29rocblas_internal_gemmt_kernelIiLi16ELi32ELi8ELc78ELc78ELc76ELb0ELb0E19rocblas_complex_numIdES1_PKS1_PS1_EviT_T9_T10_S5_lS7_S5_lS6_T11_S5_li,@function
_ZL29rocblas_internal_gemmt_kernelIiLi16ELi32ELi8ELc78ELc78ELc76ELb0ELb0E19rocblas_complex_numIdES1_PKS1_PS1_EviT_T9_T10_S5_lS7_S5_lS6_T11_S5_li: ; @_ZL29rocblas_internal_gemmt_kernelIiLi16ELi32ELi8ELc78ELc78ELc76ELb0ELb0E19rocblas_complex_numIdES1_PKS1_PS1_EviT_T9_T10_S5_lS7_S5_lS6_T11_S5_li
; %bb.0:
	s_clause 0x2
	s_load_b256 s[8:15], s[0:1], 0x40
	s_load_b64 s[4:5], s[0:1], 0x0
	s_load_b128 s[16:19], s[0:1], 0x8
	s_wait_kmcnt 0x0
	v_cmp_eq_f64_e64 s2, s[10:11], 1.0
	v_cmp_eq_f64_e64 s3, s[12:13], 0
	s_and_b32 s2, s2, s3
	s_delay_alu instid0(SALU_CYCLE_1)
	s_and_not1_b32 vcc_lo, exec_lo, s2
	s_mov_b32 s2, -1
	s_cbranch_vccnz .LBB135_3
; %bb.1:
	s_cmp_lg_u32 s5, 0
	s_cbranch_scc0 .LBB135_38
; %bb.2:
	v_cmp_neq_f64_e64 s2, s[16:17], 0
	v_cmp_neq_f64_e64 s6, s[18:19], 0
	s_or_b32 s2, s2, s6
.LBB135_3:
	s_delay_alu instid0(SALU_CYCLE_1)
	s_and_b32 vcc_lo, exec_lo, s2
	s_cbranch_vccz .LBB135_39
; %bb.4:
	s_load_b32 s27, s[0:1], 0x70
	s_lshr_b32 s6, ttmp7, 16
	s_wait_kmcnt 0x0
	s_cmp_ge_u32 s6, s27
	s_cbranch_scc1 .LBB135_39
; %bb.5:
	v_cmp_neq_f64_e64 s30, s[16:17], 0
	v_cmp_neq_f64_e64 s31, s[18:19], 0
	;; [unrolled: 1-line block ×3, first 2 shown]
	v_and_b32_e32 v1, 0x3ff, v0
	v_bfe_u32 v2, v0, 10, 10
	s_clause 0x4
	s_load_b96 s[24:26], s[0:1], 0x18
	s_load_b128 s[20:23], s[0:1], 0x28
	s_load_b32 s36, s[0:1], 0x38
	s_load_b32 s37, s[0:1], 0x60
	s_load_b64 s[28:29], s[0:1], 0x68
	v_and_b32_e32 v37, 7, v0
	s_lshl_b32 s0, ttmp7, 5
	s_lshl_b32 s1, ttmp9, 5
	v_lshl_add_u32 v0, v2, 4, v1
	s_and_b32 s2, s0, 0x1fffe0
	v_lshlrev_b32_e32 v4, 4, v37
	v_lshlrev_b32_e32 v38, 4, v1
	v_add_nc_u32_e32 v5, s1, v1
	v_add_nc_u32_e32 v1, s2, v2
	v_lshl_add_u32 v39, v2, 7, 0x1000
	v_and_b32_e32 v2, 31, v0
	v_lshrrev_b32_e32 v3, 3, v0
	v_lshrrev_b32_e32 v40, 5, v0
	v_cmp_le_i32_e32 vcc_lo, v1, v5
	v_cmp_gt_i32_e64 s0, s4, v5
	v_add_nc_u32_e32 v7, 16, v5
	v_or_b32_e32 v0, s1, v2
	v_add_nc_u32_e32 v11, s2, v3
	v_lshlrev_b32_e32 v2, 4, v2
	v_lshl_or_b32 v3, v3, 7, v4
	s_wait_kmcnt 0x0
	s_ashr_i32 s35, s26, 31
	v_mad_co_i64_i32 v[9:10], null, v40, s26, 0
	v_lshl_or_b32 v41, v40, 9, v2
	v_add_nc_u32_e32 v42, 0x1000, v3
	v_mad_co_i64_i32 v[2:3], null, v1, s37, 0
	v_add_nc_u32_e32 v13, 16, v1
	v_cmp_gt_i32_e64 s1, s4, v0
	v_cmp_gt_i32_e64 s2, s4, v11
	v_lshlrev_b64_e32 v[9:10], 4, v[9:10]
	v_mad_co_i64_i32 v[11:12], null, s36, v11, 0
	s_or_b32 s38, s30, s31
	s_cmp_gt_i32 s5, 0
	s_mov_b32 s34, s26
	s_cselect_b32 s39, -1, 0
	s_xor_b32 s3, s3, -1
	s_and_b32 s31, vcc_lo, s0
	v_cmp_le_i32_e32 vcc_lo, v1, v7
	v_ashrrev_i32_e32 v1, 31, v0
	s_wait_alu 0xfffe
	s_or_b32 s30, s33, s3
	v_cmp_gt_i32_e64 s3, s4, v7
	v_mad_co_i64_i32 v[15:16], null, v13, s37, 0
	v_lshlrev_b64_e32 v[0:1], 4, v[0:1]
	v_cmp_le_i32_e64 s4, v13, v7
	s_and_b32 s26, vcc_lo, s3
	v_cmp_le_i32_e32 vcc_lo, v13, v5
	v_lshlrev_b64_e32 v[13:14], 4, v[2:3]
	v_ashrrev_i32_e32 v6, 31, v5
	v_lshlrev_b64_e32 v[15:16], 4, v[15:16]
	v_ashrrev_i32_e32 v8, 31, v7
	s_and_b32 s33, vcc_lo, s0
	v_add_co_u32 v9, vcc_lo, v9, v0
	s_delay_alu instid0(VALU_DEP_1) | instskip(SKIP_1) | instid1(VALU_DEP_3)
	v_add_co_ci_u32_e64 v10, null, v10, v1, vcc_lo
	v_lshlrev_b64_e32 v[0:1], 4, v[11:12]
	v_add_co_u32 v9, vcc_lo, s24, v9
	s_wait_alu 0xfffd
	s_delay_alu instid0(VALU_DEP_3)
	v_add_co_ci_u32_e64 v10, null, s25, v10, vcc_lo
	s_mov_b32 s7, 0
	v_add_co_u32 v0, vcc_lo, v0, v4
	s_wait_alu 0xfffd
	v_add_co_ci_u32_e64 v1, null, 0, v1, vcc_lo
	s_and_b32 s3, s4, s3
	v_add_co_u32 v11, vcc_lo, s22, v0
	s_wait_alu 0xfffd
	v_add_co_ci_u32_e64 v12, null, s23, v1, vcc_lo
	v_mov_b32_e32 v0, 0
	s_lshl_b64 s[20:21], s[20:21], 4
	s_lshl_b64 s[24:25], s[34:35], 7
	s_and_b32 s4, s38, s39
	s_lshl_b64 s[8:9], s[8:9], 4
	s_xor_b32 s22, s1, -1
	s_xor_b32 s2, s2, -1
	s_branch .LBB135_7
.LBB135_6:                              ;   in Loop: Header=BB135_7 Depth=1
	s_wait_alu 0xfffe
	s_or_b32 exec_lo, exec_lo, s0
	s_add_co_i32 s6, s6, 0x10000
	s_wait_alu 0xfffe
	s_cmp_lt_u32 s6, s27
	s_cbranch_scc0 .LBB135_39
.LBB135_7:                              ; =>This Loop Header: Depth=1
                                        ;     Child Loop BB135_10 Depth 2
	v_mov_b32_e32 v33, 0
	v_mov_b32_e32 v29, 0
	;; [unrolled: 1-line block ×3, first 2 shown]
	v_dual_mov_b32 v23, 0 :: v_dual_mov_b32 v34, 0
	v_dual_mov_b32 v35, 0 :: v_dual_mov_b32 v30, 0
	;; [unrolled: 1-line block ×5, first 2 shown]
	v_mov_b32_e32 v32, 0
	v_mov_b32_e32 v28, 0
	v_mov_b32_e32 v22, 0
	s_wait_alu 0xfffe
	s_and_not1_b32 vcc_lo, exec_lo, s4
	s_wait_alu 0xfffe
	s_cbranch_vccnz .LBB135_18
; %bb.8:                                ;   in Loop: Header=BB135_7 Depth=1
	v_mad_co_u64_u32 v[17:18], null, s20, s6, v[9:10]
	v_mad_co_u64_u32 v[19:20], null, s8, s6, v[11:12]
	v_mov_b32_e32 v21, 0
	v_mov_b32_e32 v23, 0
	;; [unrolled: 1-line block ×4, first 2 shown]
	v_dual_mov_b32 v1, v18 :: v_dual_mov_b32 v22, 0
	v_mov_b32_e32 v2, v20
	v_dual_mov_b32 v24, 0 :: v_dual_mov_b32 v27, 0
	v_dual_mov_b32 v26, 0 :: v_dual_mov_b32 v31, 0
	s_delay_alu instid0(VALU_DEP_3)
	v_mad_co_u64_u32 v[3:4], null, s21, s6, v[1:2]
	v_dual_mov_b32 v30, 0 :: v_dual_mov_b32 v35, 0
	v_dual_mov_b32 v33, 0 :: v_dual_mov_b32 v28, 0
	v_mov_b32_e32 v32, 0
	v_mov_b32_e32 v36, 0
	v_mad_co_u64_u32 v[1:2], null, s9, s6, v[2:3]
	v_mov_b32_e32 v34, 0
	v_mov_b32_e32 v18, v3
	s_mov_b32 s0, 0
	s_delay_alu instid0(VALU_DEP_3)
	v_mov_b32_e32 v20, v1
	s_branch .LBB135_10
.LBB135_9:                              ;   in Loop: Header=BB135_10 Depth=2
	s_wait_alu 0xfffe
	s_or_b32 exec_lo, exec_lo, s1
	s_wait_dscnt 0x0
	s_barrier_signal -1
	s_barrier_wait -1
	global_inv scope:SCOPE_SE
	ds_load_b128 v[1:4], v39
	ds_load_b128 v[43:46], v39 offset:16
	ds_load_b128 v[47:50], v39 offset:32
	;; [unrolled: 1-line block ×3, first 2 shown]
	ds_load_b128 v[55:58], v38
	v_add_co_u32 v17, vcc_lo, v17, s24
	s_wait_alu 0xfffd
	v_add_co_ci_u32_e64 v18, null, s25, v18, vcc_lo
	v_add_co_u32 v19, vcc_lo, 0x80, v19
	s_wait_alu 0xfffd
	v_add_co_ci_u32_e64 v20, null, 0, v20, vcc_lo
	s_add_co_i32 s0, s0, 8
	s_wait_alu 0xfffe
	s_cmp_lt_i32 s0, s5
	s_wait_dscnt 0x0
	v_mul_f64_e32 v[59:60], v[3:4], v[57:58]
	v_mul_f64_e32 v[61:62], v[1:2], v[57:58]
	s_delay_alu instid0(VALU_DEP_2) | instskip(NEXT) | instid1(VALU_DEP_2)
	v_fma_f64 v[59:60], v[1:2], v[55:56], -v[59:60]
	v_fma_f64 v[61:62], v[3:4], v[55:56], v[61:62]
	s_delay_alu instid0(VALU_DEP_2) | instskip(NEXT) | instid1(VALU_DEP_2)
	v_add_f64_e32 v[59:60], v[33:34], v[59:60]
	v_add_f64_e32 v[61:62], v[61:62], v[35:36]
	ds_load_b128 v[33:36], v38 offset:256
	s_wait_dscnt 0x0
	v_mul_f64_e32 v[63:64], v[3:4], v[35:36]
	s_delay_alu instid0(VALU_DEP_1) | instskip(SKIP_1) | instid1(VALU_DEP_2)
	v_fma_f64 v[63:64], v[1:2], v[33:34], -v[63:64]
	v_mul_f64_e32 v[1:2], v[1:2], v[35:36]
	v_add_f64_e32 v[29:30], v[29:30], v[63:64]
	s_delay_alu instid0(VALU_DEP_2) | instskip(NEXT) | instid1(VALU_DEP_1)
	v_fma_f64 v[1:2], v[3:4], v[33:34], v[1:2]
	v_add_f64_e32 v[31:32], v[1:2], v[31:32]
	ds_load_b128 v[1:4], v39 offset:2048
	s_wait_dscnt 0x0
	v_mul_f64_e32 v[63:64], v[3:4], v[57:58]
	v_mul_f64_e32 v[57:58], v[1:2], v[57:58]
	s_delay_alu instid0(VALU_DEP_2) | instskip(NEXT) | instid1(VALU_DEP_2)
	v_fma_f64 v[63:64], v[1:2], v[55:56], -v[63:64]
	v_fma_f64 v[55:56], v[3:4], v[55:56], v[57:58]
	s_delay_alu instid0(VALU_DEP_2) | instskip(SKIP_1) | instid1(VALU_DEP_3)
	v_add_f64_e32 v[57:58], v[25:26], v[63:64]
	v_mul_f64_e32 v[25:26], v[3:4], v[35:36]
	v_add_f64_e32 v[55:56], v[55:56], v[27:28]
	s_delay_alu instid0(VALU_DEP_2) | instskip(SKIP_1) | instid1(VALU_DEP_1)
	v_fma_f64 v[25:26], v[1:2], v[33:34], -v[25:26]
	v_mul_f64_e32 v[1:2], v[1:2], v[35:36]
	v_fma_f64 v[1:2], v[3:4], v[33:34], v[1:2]
	s_delay_alu instid0(VALU_DEP_3) | instskip(NEXT) | instid1(VALU_DEP_2)
	v_add_f64_e32 v[33:34], v[23:24], v[25:26]
	v_add_f64_e32 v[35:36], v[1:2], v[21:22]
	ds_load_b128 v[1:4], v38 offset:512
	s_wait_dscnt 0x0
	v_mul_f64_e32 v[21:22], v[45:46], v[3:4]
	v_mul_f64_e32 v[23:24], v[43:44], v[3:4]
	s_delay_alu instid0(VALU_DEP_2) | instskip(NEXT) | instid1(VALU_DEP_2)
	v_fma_f64 v[21:22], v[43:44], v[1:2], -v[21:22]
	v_fma_f64 v[23:24], v[45:46], v[1:2], v[23:24]
	s_delay_alu instid0(VALU_DEP_2) | instskip(NEXT) | instid1(VALU_DEP_2)
	v_add_f64_e32 v[59:60], v[59:60], v[21:22]
	v_add_f64_e32 v[61:62], v[23:24], v[61:62]
	ds_load_b128 v[21:24], v38 offset:768
	s_wait_dscnt 0x0
	v_mul_f64_e32 v[25:26], v[45:46], v[23:24]
	v_mul_f64_e32 v[27:28], v[43:44], v[23:24]
	s_delay_alu instid0(VALU_DEP_2) | instskip(NEXT) | instid1(VALU_DEP_2)
	v_fma_f64 v[25:26], v[43:44], v[21:22], -v[25:26]
	v_fma_f64 v[27:28], v[45:46], v[21:22], v[27:28]
	s_delay_alu instid0(VALU_DEP_2) | instskip(NEXT) | instid1(VALU_DEP_2)
	v_add_f64_e32 v[29:30], v[29:30], v[25:26]
	v_add_f64_e32 v[31:32], v[27:28], v[31:32]
	ds_load_b128 v[25:28], v39 offset:2064
	s_wait_dscnt 0x0
	v_mul_f64_e32 v[43:44], v[27:28], v[3:4]
	v_mul_f64_e32 v[3:4], v[25:26], v[3:4]
	s_delay_alu instid0(VALU_DEP_2) | instskip(NEXT) | instid1(VALU_DEP_2)
	v_fma_f64 v[43:44], v[25:26], v[1:2], -v[43:44]
	v_fma_f64 v[1:2], v[27:28], v[1:2], v[3:4]
	v_mul_f64_e32 v[3:4], v[25:26], v[23:24]
	s_delay_alu instid0(VALU_DEP_3) | instskip(NEXT) | instid1(VALU_DEP_3)
	v_add_f64_e32 v[43:44], v[57:58], v[43:44]
	v_add_f64_e32 v[45:46], v[1:2], v[55:56]
	v_mul_f64_e32 v[1:2], v[27:28], v[23:24]
	s_delay_alu instid0(VALU_DEP_4) | instskip(NEXT) | instid1(VALU_DEP_2)
	v_fma_f64 v[3:4], v[27:28], v[21:22], v[3:4]
	v_fma_f64 v[1:2], v[25:26], v[21:22], -v[1:2]
	s_delay_alu instid0(VALU_DEP_2) | instskip(NEXT) | instid1(VALU_DEP_2)
	v_add_f64_e32 v[35:36], v[3:4], v[35:36]
	v_add_f64_e32 v[33:34], v[33:34], v[1:2]
	ds_load_b128 v[1:4], v38 offset:1024
	s_wait_dscnt 0x0
	v_mul_f64_e32 v[21:22], v[49:50], v[3:4]
	v_mul_f64_e32 v[23:24], v[47:48], v[3:4]
	s_delay_alu instid0(VALU_DEP_2) | instskip(NEXT) | instid1(VALU_DEP_2)
	v_fma_f64 v[21:22], v[47:48], v[1:2], -v[21:22]
	v_fma_f64 v[23:24], v[49:50], v[1:2], v[23:24]
	s_delay_alu instid0(VALU_DEP_2) | instskip(NEXT) | instid1(VALU_DEP_2)
	v_add_f64_e32 v[55:56], v[59:60], v[21:22]
	v_add_f64_e32 v[57:58], v[23:24], v[61:62]
	ds_load_b128 v[21:24], v38 offset:1280
	s_wait_dscnt 0x0
	v_mul_f64_e32 v[25:26], v[49:50], v[23:24]
	v_mul_f64_e32 v[27:28], v[47:48], v[23:24]
	s_delay_alu instid0(VALU_DEP_2) | instskip(NEXT) | instid1(VALU_DEP_2)
	v_fma_f64 v[25:26], v[47:48], v[21:22], -v[25:26]
	v_fma_f64 v[27:28], v[49:50], v[21:22], v[27:28]
	s_delay_alu instid0(VALU_DEP_2) | instskip(NEXT) | instid1(VALU_DEP_2)
	v_add_f64_e32 v[29:30], v[29:30], v[25:26]
	v_add_f64_e32 v[31:32], v[27:28], v[31:32]
	ds_load_b128 v[25:28], v39 offset:2080
	s_wait_dscnt 0x0
	v_mul_f64_e32 v[47:48], v[27:28], v[3:4]
	v_mul_f64_e32 v[3:4], v[25:26], v[3:4]
	s_delay_alu instid0(VALU_DEP_2) | instskip(NEXT) | instid1(VALU_DEP_2)
	v_fma_f64 v[47:48], v[25:26], v[1:2], -v[47:48]
	v_fma_f64 v[1:2], v[27:28], v[1:2], v[3:4]
	v_mul_f64_e32 v[3:4], v[25:26], v[23:24]
	s_delay_alu instid0(VALU_DEP_3) | instskip(NEXT) | instid1(VALU_DEP_3)
	v_add_f64_e32 v[43:44], v[43:44], v[47:48]
	v_add_f64_e32 v[45:46], v[1:2], v[45:46]
	v_mul_f64_e32 v[1:2], v[27:28], v[23:24]
	s_delay_alu instid0(VALU_DEP_4) | instskip(NEXT) | instid1(VALU_DEP_2)
	v_fma_f64 v[3:4], v[27:28], v[21:22], v[3:4]
	v_fma_f64 v[1:2], v[25:26], v[21:22], -v[1:2]
	s_delay_alu instid0(VALU_DEP_2) | instskip(NEXT) | instid1(VALU_DEP_2)
	;; [unrolled: 38-line block ×3, first 2 shown]
	v_add_f64_e32 v[35:36], v[3:4], v[35:36]
	v_add_f64_e32 v[33:34], v[33:34], v[1:2]
	ds_load_b128 v[1:4], v39 offset:64
	ds_load_b128 v[21:24], v38 offset:2048
	s_wait_dscnt 0x0
	v_mul_f64_e32 v[25:26], v[3:4], v[23:24]
	v_mul_f64_e32 v[27:28], v[1:2], v[23:24]
	s_delay_alu instid0(VALU_DEP_2) | instskip(NEXT) | instid1(VALU_DEP_2)
	v_fma_f64 v[25:26], v[1:2], v[21:22], -v[25:26]
	v_fma_f64 v[27:28], v[3:4], v[21:22], v[27:28]
	s_delay_alu instid0(VALU_DEP_2) | instskip(NEXT) | instid1(VALU_DEP_2)
	v_add_f64_e32 v[47:48], v[47:48], v[25:26]
	v_add_f64_e32 v[49:50], v[27:28], v[49:50]
	ds_load_b128 v[25:28], v38 offset:2304
	s_wait_dscnt 0x0
	v_mul_f64_e32 v[51:52], v[3:4], v[27:28]
	s_delay_alu instid0(VALU_DEP_1) | instskip(SKIP_1) | instid1(VALU_DEP_2)
	v_fma_f64 v[51:52], v[1:2], v[25:26], -v[51:52]
	v_mul_f64_e32 v[1:2], v[1:2], v[27:28]
	v_add_f64_e32 v[29:30], v[29:30], v[51:52]
	s_delay_alu instid0(VALU_DEP_2) | instskip(NEXT) | instid1(VALU_DEP_1)
	v_fma_f64 v[1:2], v[3:4], v[25:26], v[1:2]
	v_add_f64_e32 v[31:32], v[1:2], v[31:32]
	ds_load_b128 v[1:4], v39 offset:2112
	s_wait_dscnt 0x0
	v_mul_f64_e32 v[51:52], v[3:4], v[23:24]
	v_mul_f64_e32 v[23:24], v[1:2], v[23:24]
	s_delay_alu instid0(VALU_DEP_2) | instskip(NEXT) | instid1(VALU_DEP_2)
	v_fma_f64 v[51:52], v[1:2], v[21:22], -v[51:52]
	v_fma_f64 v[21:22], v[3:4], v[21:22], v[23:24]
	s_delay_alu instid0(VALU_DEP_2) | instskip(NEXT) | instid1(VALU_DEP_2)
	v_add_f64_e32 v[43:44], v[43:44], v[51:52]
	v_add_f64_e32 v[45:46], v[21:22], v[45:46]
	v_mul_f64_e32 v[21:22], v[3:4], v[27:28]
	s_delay_alu instid0(VALU_DEP_1) | instskip(SKIP_1) | instid1(VALU_DEP_2)
	v_fma_f64 v[21:22], v[1:2], v[25:26], -v[21:22]
	v_mul_f64_e32 v[1:2], v[1:2], v[27:28]
	v_add_f64_e32 v[33:34], v[33:34], v[21:22]
	s_delay_alu instid0(VALU_DEP_2) | instskip(NEXT) | instid1(VALU_DEP_1)
	v_fma_f64 v[1:2], v[3:4], v[25:26], v[1:2]
	v_add_f64_e32 v[35:36], v[1:2], v[35:36]
	ds_load_b128 v[1:4], v39 offset:80
	ds_load_b128 v[21:24], v38 offset:2560
	s_wait_dscnt 0x0
	v_mul_f64_e32 v[25:26], v[3:4], v[23:24]
	v_mul_f64_e32 v[27:28], v[1:2], v[23:24]
	s_delay_alu instid0(VALU_DEP_2) | instskip(NEXT) | instid1(VALU_DEP_2)
	v_fma_f64 v[25:26], v[1:2], v[21:22], -v[25:26]
	v_fma_f64 v[27:28], v[3:4], v[21:22], v[27:28]
	s_delay_alu instid0(VALU_DEP_2) | instskip(NEXT) | instid1(VALU_DEP_2)
	v_add_f64_e32 v[47:48], v[47:48], v[25:26]
	v_add_f64_e32 v[49:50], v[27:28], v[49:50]
	ds_load_b128 v[25:28], v38 offset:2816
	s_wait_dscnt 0x0
	v_mul_f64_e32 v[51:52], v[3:4], v[27:28]
	s_delay_alu instid0(VALU_DEP_1) | instskip(SKIP_1) | instid1(VALU_DEP_2)
	v_fma_f64 v[51:52], v[1:2], v[25:26], -v[51:52]
	v_mul_f64_e32 v[1:2], v[1:2], v[27:28]
	v_add_f64_e32 v[29:30], v[29:30], v[51:52]
	s_delay_alu instid0(VALU_DEP_2) | instskip(NEXT) | instid1(VALU_DEP_1)
	v_fma_f64 v[1:2], v[3:4], v[25:26], v[1:2]
	v_add_f64_e32 v[31:32], v[1:2], v[31:32]
	ds_load_b128 v[1:4], v39 offset:2128
	s_wait_dscnt 0x0
	v_mul_f64_e32 v[51:52], v[3:4], v[23:24]
	v_mul_f64_e32 v[23:24], v[1:2], v[23:24]
	s_delay_alu instid0(VALU_DEP_2) | instskip(NEXT) | instid1(VALU_DEP_2)
	v_fma_f64 v[51:52], v[1:2], v[21:22], -v[51:52]
	v_fma_f64 v[21:22], v[3:4], v[21:22], v[23:24]
	s_delay_alu instid0(VALU_DEP_2) | instskip(NEXT) | instid1(VALU_DEP_2)
	v_add_f64_e32 v[43:44], v[43:44], v[51:52]
	v_add_f64_e32 v[45:46], v[21:22], v[45:46]
	v_mul_f64_e32 v[21:22], v[3:4], v[27:28]
	s_delay_alu instid0(VALU_DEP_1) | instskip(SKIP_1) | instid1(VALU_DEP_2)
	v_fma_f64 v[21:22], v[1:2], v[25:26], -v[21:22]
	v_mul_f64_e32 v[1:2], v[1:2], v[27:28]
	v_add_f64_e32 v[33:34], v[33:34], v[21:22]
	s_delay_alu instid0(VALU_DEP_2) | instskip(NEXT) | instid1(VALU_DEP_1)
	v_fma_f64 v[1:2], v[3:4], v[25:26], v[1:2]
	v_add_f64_e32 v[35:36], v[1:2], v[35:36]
	ds_load_b128 v[1:4], v39 offset:96
	ds_load_b128 v[21:24], v38 offset:3072
	s_wait_dscnt 0x0
	v_mul_f64_e32 v[25:26], v[3:4], v[23:24]
	v_mul_f64_e32 v[27:28], v[1:2], v[23:24]
	s_delay_alu instid0(VALU_DEP_2) | instskip(NEXT) | instid1(VALU_DEP_2)
	v_fma_f64 v[25:26], v[1:2], v[21:22], -v[25:26]
	v_fma_f64 v[27:28], v[3:4], v[21:22], v[27:28]
	s_delay_alu instid0(VALU_DEP_2) | instskip(NEXT) | instid1(VALU_DEP_2)
	v_add_f64_e32 v[47:48], v[47:48], v[25:26]
	v_add_f64_e32 v[49:50], v[27:28], v[49:50]
	ds_load_b128 v[25:28], v38 offset:3328
	s_wait_dscnt 0x0
	v_mul_f64_e32 v[51:52], v[3:4], v[27:28]
	s_delay_alu instid0(VALU_DEP_1) | instskip(SKIP_1) | instid1(VALU_DEP_2)
	v_fma_f64 v[51:52], v[1:2], v[25:26], -v[51:52]
	v_mul_f64_e32 v[1:2], v[1:2], v[27:28]
	v_add_f64_e32 v[29:30], v[29:30], v[51:52]
	s_delay_alu instid0(VALU_DEP_2) | instskip(NEXT) | instid1(VALU_DEP_1)
	v_fma_f64 v[1:2], v[3:4], v[25:26], v[1:2]
	v_add_f64_e32 v[31:32], v[1:2], v[31:32]
	ds_load_b128 v[1:4], v39 offset:2144
	s_wait_dscnt 0x0
	v_mul_f64_e32 v[51:52], v[3:4], v[23:24]
	v_mul_f64_e32 v[23:24], v[1:2], v[23:24]
	s_delay_alu instid0(VALU_DEP_2) | instskip(NEXT) | instid1(VALU_DEP_2)
	v_fma_f64 v[51:52], v[1:2], v[21:22], -v[51:52]
	v_fma_f64 v[21:22], v[3:4], v[21:22], v[23:24]
	s_delay_alu instid0(VALU_DEP_2) | instskip(NEXT) | instid1(VALU_DEP_2)
	v_add_f64_e32 v[51:52], v[43:44], v[51:52]
	v_add_f64_e32 v[53:54], v[21:22], v[45:46]
	v_mul_f64_e32 v[21:22], v[3:4], v[27:28]
	s_delay_alu instid0(VALU_DEP_1) | instskip(SKIP_1) | instid1(VALU_DEP_2)
	v_fma_f64 v[21:22], v[1:2], v[25:26], -v[21:22]
	v_mul_f64_e32 v[1:2], v[1:2], v[27:28]
	v_add_f64_e32 v[55:56], v[33:34], v[21:22]
	s_delay_alu instid0(VALU_DEP_2) | instskip(NEXT) | instid1(VALU_DEP_1)
	v_fma_f64 v[1:2], v[3:4], v[25:26], v[1:2]
	v_add_f64_e32 v[57:58], v[1:2], v[35:36]
	ds_load_b128 v[1:4], v39 offset:112
	ds_load_b128 v[21:24], v38 offset:3584
	ds_load_b128 v[43:46], v38 offset:3840
	s_wait_dscnt 0x1
	v_mul_f64_e32 v[25:26], v[3:4], v[23:24]
	v_mul_f64_e32 v[27:28], v[1:2], v[23:24]
	s_delay_alu instid0(VALU_DEP_2) | instskip(NEXT) | instid1(VALU_DEP_2)
	v_fma_f64 v[25:26], v[1:2], v[21:22], -v[25:26]
	v_fma_f64 v[27:28], v[3:4], v[21:22], v[27:28]
	s_delay_alu instid0(VALU_DEP_2) | instskip(SKIP_2) | instid1(VALU_DEP_3)
	v_add_f64_e32 v[33:34], v[47:48], v[25:26]
	s_wait_dscnt 0x0
	v_mul_f64_e32 v[25:26], v[3:4], v[45:46]
	v_add_f64_e32 v[35:36], v[27:28], v[49:50]
	s_delay_alu instid0(VALU_DEP_2) | instskip(SKIP_1) | instid1(VALU_DEP_2)
	v_fma_f64 v[25:26], v[1:2], v[43:44], -v[25:26]
	v_mul_f64_e32 v[1:2], v[1:2], v[45:46]
	v_add_f64_e32 v[29:30], v[29:30], v[25:26]
	s_delay_alu instid0(VALU_DEP_2) | instskip(NEXT) | instid1(VALU_DEP_1)
	v_fma_f64 v[1:2], v[3:4], v[43:44], v[1:2]
	v_add_f64_e32 v[31:32], v[1:2], v[31:32]
	ds_load_b128 v[1:4], v39 offset:2160
	s_wait_loadcnt_dscnt 0x0
	s_barrier_signal -1
	s_barrier_wait -1
	global_inv scope:SCOPE_SE
	v_mul_f64_e32 v[25:26], v[3:4], v[23:24]
	v_mul_f64_e32 v[23:24], v[1:2], v[23:24]
	s_delay_alu instid0(VALU_DEP_2) | instskip(NEXT) | instid1(VALU_DEP_2)
	v_fma_f64 v[25:26], v[1:2], v[21:22], -v[25:26]
	v_fma_f64 v[21:22], v[3:4], v[21:22], v[23:24]
	s_delay_alu instid0(VALU_DEP_2) | instskip(NEXT) | instid1(VALU_DEP_2)
	v_add_f64_e32 v[25:26], v[51:52], v[25:26]
	v_add_f64_e32 v[27:28], v[21:22], v[53:54]
	v_mul_f64_e32 v[21:22], v[3:4], v[45:46]
	s_delay_alu instid0(VALU_DEP_1) | instskip(SKIP_1) | instid1(VALU_DEP_2)
	v_fma_f64 v[21:22], v[1:2], v[43:44], -v[21:22]
	v_mul_f64_e32 v[1:2], v[1:2], v[45:46]
	v_add_f64_e32 v[23:24], v[55:56], v[21:22]
	s_delay_alu instid0(VALU_DEP_2) | instskip(NEXT) | instid1(VALU_DEP_1)
	v_fma_f64 v[1:2], v[3:4], v[43:44], v[1:2]
	v_add_f64_e32 v[21:22], v[1:2], v[57:58]
	s_cbranch_scc0 .LBB135_18
.LBB135_10:                             ;   Parent Loop BB135_7 Depth=1
                                        ; =>  This Inner Loop Header: Depth=2
	s_wait_alu 0xfffe
	v_add_nc_u32_e32 v1, s0, v40
	s_delay_alu instid0(VALU_DEP_1)
	v_cmp_le_i32_e32 vcc_lo, s5, v1
	s_or_b32 s1, s22, vcc_lo
	s_wait_alu 0xfffe
	s_and_saveexec_b32 s23, s1
	s_wait_alu 0xfffe
	s_xor_b32 s1, exec_lo, s23
; %bb.11:                               ;   in Loop: Header=BB135_10 Depth=2
	v_dual_mov_b32 v1, v0 :: v_dual_mov_b32 v2, v0
	v_mov_b32_e32 v3, v0
	ds_store_b128 v41, v[0:3]
; %bb.12:                               ;   in Loop: Header=BB135_10 Depth=2
	s_wait_alu 0xfffe
	s_and_not1_saveexec_b32 s1, s1
	s_cbranch_execz .LBB135_14
; %bb.13:                               ;   in Loop: Header=BB135_10 Depth=2
	global_load_b128 v[1:4], v[17:18], off
	s_wait_loadcnt 0x0
	ds_store_2addr_b64 v41, v[1:2], v[3:4] offset1:1
.LBB135_14:                             ;   in Loop: Header=BB135_10 Depth=2
	s_wait_alu 0xfffe
	s_or_b32 exec_lo, exec_lo, s1
	v_add_nc_u32_e32 v1, s0, v37
	s_delay_alu instid0(VALU_DEP_1)
	v_cmp_le_i32_e32 vcc_lo, s5, v1
	s_or_b32 s1, vcc_lo, s2
	s_wait_alu 0xfffe
	s_and_saveexec_b32 s23, s1
	s_wait_alu 0xfffe
	s_xor_b32 s1, exec_lo, s23
; %bb.15:                               ;   in Loop: Header=BB135_10 Depth=2
	v_dual_mov_b32 v1, v0 :: v_dual_mov_b32 v2, v0
	v_mov_b32_e32 v3, v0
	ds_store_b128 v42, v[0:3]
; %bb.16:                               ;   in Loop: Header=BB135_10 Depth=2
	s_wait_alu 0xfffe
	s_and_not1_saveexec_b32 s1, s1
	s_cbranch_execz .LBB135_9
; %bb.17:                               ;   in Loop: Header=BB135_10 Depth=2
	global_load_b128 v[1:4], v[19:20], off
	s_wait_loadcnt 0x0
	ds_store_2addr_b64 v42, v[1:2], v[3:4] offset1:1
	s_branch .LBB135_9
.LBB135_18:                             ;   in Loop: Header=BB135_7 Depth=1
	s_mul_u64 s[0:1], s[28:29], s[6:7]
	s_wait_alu 0xfffe
	s_lshl_b64 s[0:1], s[0:1], 4
	s_wait_alu 0xfffe
	s_add_nc_u64 s[0:1], s[14:15], s[0:1]
	s_wait_alu 0xfffe
	v_add_co_u32 v17, vcc_lo, s0, v13
	s_wait_alu 0xfffd
	v_add_co_ci_u32_e64 v18, null, s1, v14, vcc_lo
	s_and_saveexec_b32 s23, s31
	s_cbranch_execz .LBB135_23
; %bb.19:                               ;   in Loop: Header=BB135_7 Depth=1
	v_mul_f64_e32 v[1:2], s[18:19], v[35:36]
	v_mul_f64_e32 v[3:4], s[16:17], v[35:36]
	s_and_b32 vcc_lo, exec_lo, s30
	s_mov_b32 s34, -1
	s_delay_alu instid0(VALU_DEP_2) | instskip(NEXT) | instid1(VALU_DEP_2)
	v_fma_f64 v[1:2], s[16:17], v[33:34], -v[1:2]
	v_fma_f64 v[3:4], s[18:19], v[33:34], v[3:4]
	s_wait_alu 0xfffe
	s_cbranch_vccz .LBB135_21
; %bb.20:                               ;   in Loop: Header=BB135_7 Depth=1
	v_lshlrev_b64_e32 v[19:20], 4, v[5:6]
	s_mov_b32 s34, 0
	s_delay_alu instid0(VALU_DEP_1) | instskip(SKIP_1) | instid1(VALU_DEP_2)
	v_add_co_u32 v19, vcc_lo, v17, v19
	s_wait_alu 0xfffd
	v_add_co_ci_u32_e64 v20, null, v18, v20, vcc_lo
	global_load_b128 v[33:36], v[19:20], off
	s_wait_loadcnt 0x0
	v_mul_f64_e32 v[43:44], s[12:13], v[35:36]
	v_mul_f64_e32 v[35:36], s[10:11], v[35:36]
	s_delay_alu instid0(VALU_DEP_2) | instskip(NEXT) | instid1(VALU_DEP_2)
	v_fma_f64 v[43:44], s[10:11], v[33:34], -v[43:44]
	v_fma_f64 v[35:36], s[12:13], v[33:34], v[35:36]
	s_delay_alu instid0(VALU_DEP_2) | instskip(NEXT) | instid1(VALU_DEP_2)
	v_add_f64_e32 v[33:34], v[1:2], v[43:44]
	v_add_f64_e32 v[35:36], v[3:4], v[35:36]
	global_store_b128 v[19:20], v[33:36], off
.LBB135_21:                             ;   in Loop: Header=BB135_7 Depth=1
	s_and_not1_b32 vcc_lo, exec_lo, s34
	s_wait_alu 0xfffe
	s_cbranch_vccnz .LBB135_23
; %bb.22:                               ;   in Loop: Header=BB135_7 Depth=1
	v_lshlrev_b64_e32 v[19:20], 4, v[5:6]
	s_delay_alu instid0(VALU_DEP_1) | instskip(SKIP_1) | instid1(VALU_DEP_2)
	v_add_co_u32 v19, vcc_lo, v17, v19
	s_wait_alu 0xfffd
	v_add_co_ci_u32_e64 v20, null, v18, v20, vcc_lo
	global_store_b128 v[19:20], v[1:4], off
.LBB135_23:                             ;   in Loop: Header=BB135_7 Depth=1
	s_wait_alu 0xfffe
	s_or_b32 exec_lo, exec_lo, s23
	s_and_saveexec_b32 s23, s26
	s_cbranch_execz .LBB135_28
; %bb.24:                               ;   in Loop: Header=BB135_7 Depth=1
	v_mul_f64_e32 v[1:2], s[18:19], v[31:32]
	v_mul_f64_e32 v[3:4], s[16:17], v[31:32]
	s_and_not1_b32 vcc_lo, exec_lo, s30
	s_mov_b32 s34, -1
	s_delay_alu instid0(VALU_DEP_2) | instskip(NEXT) | instid1(VALU_DEP_2)
	v_fma_f64 v[1:2], s[16:17], v[29:30], -v[1:2]
	v_fma_f64 v[3:4], s[18:19], v[29:30], v[3:4]
	s_wait_alu 0xfffe
	s_cbranch_vccnz .LBB135_26
; %bb.25:                               ;   in Loop: Header=BB135_7 Depth=1
	v_lshlrev_b64_e32 v[19:20], 4, v[7:8]
	s_mov_b32 s34, 0
	s_delay_alu instid0(VALU_DEP_1) | instskip(SKIP_1) | instid1(VALU_DEP_2)
	v_add_co_u32 v19, vcc_lo, v17, v19
	s_wait_alu 0xfffd
	v_add_co_ci_u32_e64 v20, null, v18, v20, vcc_lo
	global_load_b128 v[29:32], v[19:20], off
	s_wait_loadcnt 0x0
	v_mul_f64_e32 v[33:34], s[12:13], v[31:32]
	v_mul_f64_e32 v[31:32], s[10:11], v[31:32]
	s_delay_alu instid0(VALU_DEP_2) | instskip(NEXT) | instid1(VALU_DEP_2)
	v_fma_f64 v[33:34], s[10:11], v[29:30], -v[33:34]
	v_fma_f64 v[31:32], s[12:13], v[29:30], v[31:32]
	s_delay_alu instid0(VALU_DEP_2) | instskip(NEXT) | instid1(VALU_DEP_2)
	v_add_f64_e32 v[29:30], v[1:2], v[33:34]
	v_add_f64_e32 v[31:32], v[3:4], v[31:32]
	global_store_b128 v[19:20], v[29:32], off
.LBB135_26:                             ;   in Loop: Header=BB135_7 Depth=1
	s_and_not1_b32 vcc_lo, exec_lo, s34
	s_wait_alu 0xfffe
	s_cbranch_vccnz .LBB135_28
; %bb.27:                               ;   in Loop: Header=BB135_7 Depth=1
	v_lshlrev_b64_e32 v[19:20], 4, v[7:8]
	s_delay_alu instid0(VALU_DEP_1) | instskip(SKIP_1) | instid1(VALU_DEP_2)
	v_add_co_u32 v17, vcc_lo, v17, v19
	s_wait_alu 0xfffd
	v_add_co_ci_u32_e64 v18, null, v18, v20, vcc_lo
	global_store_b128 v[17:18], v[1:4], off
.LBB135_28:                             ;   in Loop: Header=BB135_7 Depth=1
	s_wait_alu 0xfffe
	s_or_b32 exec_lo, exec_lo, s23
	v_add_co_u32 v19, vcc_lo, s0, v15
	s_wait_alu 0xfffd
	v_add_co_ci_u32_e64 v20, null, s1, v16, vcc_lo
	s_and_saveexec_b32 s0, s33
	s_cbranch_execz .LBB135_33
; %bb.29:                               ;   in Loop: Header=BB135_7 Depth=1
	v_mul_f64_e32 v[1:2], s[18:19], v[27:28]
	v_mul_f64_e32 v[3:4], s[16:17], v[27:28]
	v_lshlrev_b64_e32 v[17:18], 4, v[5:6]
	s_and_not1_b32 vcc_lo, exec_lo, s30
	s_mov_b32 s1, -1
	s_delay_alu instid0(VALU_DEP_3) | instskip(NEXT) | instid1(VALU_DEP_3)
	v_fma_f64 v[1:2], s[16:17], v[25:26], -v[1:2]
	v_fma_f64 v[3:4], s[18:19], v[25:26], v[3:4]
	s_wait_alu 0xfffe
	s_cbranch_vccnz .LBB135_31
; %bb.30:                               ;   in Loop: Header=BB135_7 Depth=1
	v_add_co_u32 v29, vcc_lo, v19, v17
	s_wait_alu 0xfffd
	v_add_co_ci_u32_e64 v30, null, v20, v18, vcc_lo
	s_mov_b32 s1, 0
	global_load_b128 v[25:28], v[29:30], off
	s_wait_loadcnt 0x0
	v_mul_f64_e32 v[31:32], s[12:13], v[27:28]
	v_mul_f64_e32 v[27:28], s[10:11], v[27:28]
	s_delay_alu instid0(VALU_DEP_2) | instskip(NEXT) | instid1(VALU_DEP_2)
	v_fma_f64 v[31:32], s[10:11], v[25:26], -v[31:32]
	v_fma_f64 v[27:28], s[12:13], v[25:26], v[27:28]
	s_delay_alu instid0(VALU_DEP_2) | instskip(NEXT) | instid1(VALU_DEP_2)
	v_add_f64_e32 v[25:26], v[1:2], v[31:32]
	v_add_f64_e32 v[27:28], v[3:4], v[27:28]
	global_store_b128 v[29:30], v[25:28], off
.LBB135_31:                             ;   in Loop: Header=BB135_7 Depth=1
	s_wait_alu 0xfffe
	s_and_not1_b32 vcc_lo, exec_lo, s1
	s_wait_alu 0xfffe
	s_cbranch_vccnz .LBB135_33
; %bb.32:                               ;   in Loop: Header=BB135_7 Depth=1
	v_add_co_u32 v17, vcc_lo, v19, v17
	s_wait_alu 0xfffd
	v_add_co_ci_u32_e64 v18, null, v20, v18, vcc_lo
	global_store_b128 v[17:18], v[1:4], off
.LBB135_33:                             ;   in Loop: Header=BB135_7 Depth=1
	s_wait_alu 0xfffe
	s_or_b32 exec_lo, exec_lo, s0
	s_and_saveexec_b32 s0, s3
	s_cbranch_execz .LBB135_6
; %bb.34:                               ;   in Loop: Header=BB135_7 Depth=1
	v_mul_f64_e32 v[1:2], s[18:19], v[21:22]
	v_mul_f64_e32 v[3:4], s[16:17], v[21:22]
	v_lshlrev_b64_e32 v[17:18], 4, v[7:8]
	s_and_not1_b32 vcc_lo, exec_lo, s30
	s_mov_b32 s1, -1
	s_delay_alu instid0(VALU_DEP_3) | instskip(NEXT) | instid1(VALU_DEP_3)
	v_fma_f64 v[1:2], s[16:17], v[23:24], -v[1:2]
	v_fma_f64 v[3:4], s[18:19], v[23:24], v[3:4]
	s_wait_alu 0xfffe
	s_cbranch_vccnz .LBB135_36
; %bb.35:                               ;   in Loop: Header=BB135_7 Depth=1
	v_add_co_u32 v25, vcc_lo, v19, v17
	s_wait_alu 0xfffd
	v_add_co_ci_u32_e64 v26, null, v20, v18, vcc_lo
	s_mov_b32 s1, 0
	global_load_b128 v[21:24], v[25:26], off
	s_wait_loadcnt 0x0
	v_mul_f64_e32 v[27:28], s[12:13], v[23:24]
	v_mul_f64_e32 v[23:24], s[10:11], v[23:24]
	s_delay_alu instid0(VALU_DEP_2) | instskip(NEXT) | instid1(VALU_DEP_2)
	v_fma_f64 v[27:28], s[10:11], v[21:22], -v[27:28]
	v_fma_f64 v[23:24], s[12:13], v[21:22], v[23:24]
	s_delay_alu instid0(VALU_DEP_2) | instskip(NEXT) | instid1(VALU_DEP_2)
	v_add_f64_e32 v[21:22], v[1:2], v[27:28]
	v_add_f64_e32 v[23:24], v[3:4], v[23:24]
	global_store_b128 v[25:26], v[21:24], off
.LBB135_36:                             ;   in Loop: Header=BB135_7 Depth=1
	s_wait_alu 0xfffe
	s_and_not1_b32 vcc_lo, exec_lo, s1
	s_wait_alu 0xfffe
	s_cbranch_vccnz .LBB135_6
; %bb.37:                               ;   in Loop: Header=BB135_7 Depth=1
	v_add_co_u32 v17, vcc_lo, v19, v17
	s_wait_alu 0xfffd
	v_add_co_ci_u32_e64 v18, null, v20, v18, vcc_lo
	global_store_b128 v[17:18], v[1:4], off
	s_branch .LBB135_6
.LBB135_38:
.LBB135_39:
	s_endpgm
	.section	.rodata,"a",@progbits
	.p2align	6, 0x0
	.amdhsa_kernel _ZL29rocblas_internal_gemmt_kernelIiLi16ELi32ELi8ELc78ELc78ELc76ELb0ELb0E19rocblas_complex_numIdES1_PKS1_PS1_EviT_T9_T10_S5_lS7_S5_lS6_T11_S5_li
		.amdhsa_group_segment_fixed_size 8192
		.amdhsa_private_segment_fixed_size 0
		.amdhsa_kernarg_size 116
		.amdhsa_user_sgpr_count 2
		.amdhsa_user_sgpr_dispatch_ptr 0
		.amdhsa_user_sgpr_queue_ptr 0
		.amdhsa_user_sgpr_kernarg_segment_ptr 1
		.amdhsa_user_sgpr_dispatch_id 0
		.amdhsa_user_sgpr_private_segment_size 0
		.amdhsa_wavefront_size32 1
		.amdhsa_uses_dynamic_stack 0
		.amdhsa_enable_private_segment 0
		.amdhsa_system_sgpr_workgroup_id_x 1
		.amdhsa_system_sgpr_workgroup_id_y 1
		.amdhsa_system_sgpr_workgroup_id_z 1
		.amdhsa_system_sgpr_workgroup_info 0
		.amdhsa_system_vgpr_workitem_id 1
		.amdhsa_next_free_vgpr 65
		.amdhsa_next_free_sgpr 40
		.amdhsa_reserve_vcc 1
		.amdhsa_float_round_mode_32 0
		.amdhsa_float_round_mode_16_64 0
		.amdhsa_float_denorm_mode_32 3
		.amdhsa_float_denorm_mode_16_64 3
		.amdhsa_fp16_overflow 0
		.amdhsa_workgroup_processor_mode 1
		.amdhsa_memory_ordered 1
		.amdhsa_forward_progress 1
		.amdhsa_inst_pref_size 29
		.amdhsa_round_robin_scheduling 0
		.amdhsa_exception_fp_ieee_invalid_op 0
		.amdhsa_exception_fp_denorm_src 0
		.amdhsa_exception_fp_ieee_div_zero 0
		.amdhsa_exception_fp_ieee_overflow 0
		.amdhsa_exception_fp_ieee_underflow 0
		.amdhsa_exception_fp_ieee_inexact 0
		.amdhsa_exception_int_div_zero 0
	.end_amdhsa_kernel
	.section	.text._ZL29rocblas_internal_gemmt_kernelIiLi16ELi32ELi8ELc78ELc78ELc76ELb0ELb0E19rocblas_complex_numIdES1_PKS1_PS1_EviT_T9_T10_S5_lS7_S5_lS6_T11_S5_li,"axG",@progbits,_ZL29rocblas_internal_gemmt_kernelIiLi16ELi32ELi8ELc78ELc78ELc76ELb0ELb0E19rocblas_complex_numIdES1_PKS1_PS1_EviT_T9_T10_S5_lS7_S5_lS6_T11_S5_li,comdat
.Lfunc_end135:
	.size	_ZL29rocblas_internal_gemmt_kernelIiLi16ELi32ELi8ELc78ELc78ELc76ELb0ELb0E19rocblas_complex_numIdES1_PKS1_PS1_EviT_T9_T10_S5_lS7_S5_lS6_T11_S5_li, .Lfunc_end135-_ZL29rocblas_internal_gemmt_kernelIiLi16ELi32ELi8ELc78ELc78ELc76ELb0ELb0E19rocblas_complex_numIdES1_PKS1_PS1_EviT_T9_T10_S5_lS7_S5_lS6_T11_S5_li
                                        ; -- End function
	.set _ZL29rocblas_internal_gemmt_kernelIiLi16ELi32ELi8ELc78ELc78ELc76ELb0ELb0E19rocblas_complex_numIdES1_PKS1_PS1_EviT_T9_T10_S5_lS7_S5_lS6_T11_S5_li.num_vgpr, 65
	.set _ZL29rocblas_internal_gemmt_kernelIiLi16ELi32ELi8ELc78ELc78ELc76ELb0ELb0E19rocblas_complex_numIdES1_PKS1_PS1_EviT_T9_T10_S5_lS7_S5_lS6_T11_S5_li.num_agpr, 0
	.set _ZL29rocblas_internal_gemmt_kernelIiLi16ELi32ELi8ELc78ELc78ELc76ELb0ELb0E19rocblas_complex_numIdES1_PKS1_PS1_EviT_T9_T10_S5_lS7_S5_lS6_T11_S5_li.numbered_sgpr, 40
	.set _ZL29rocblas_internal_gemmt_kernelIiLi16ELi32ELi8ELc78ELc78ELc76ELb0ELb0E19rocblas_complex_numIdES1_PKS1_PS1_EviT_T9_T10_S5_lS7_S5_lS6_T11_S5_li.num_named_barrier, 0
	.set _ZL29rocblas_internal_gemmt_kernelIiLi16ELi32ELi8ELc78ELc78ELc76ELb0ELb0E19rocblas_complex_numIdES1_PKS1_PS1_EviT_T9_T10_S5_lS7_S5_lS6_T11_S5_li.private_seg_size, 0
	.set _ZL29rocblas_internal_gemmt_kernelIiLi16ELi32ELi8ELc78ELc78ELc76ELb0ELb0E19rocblas_complex_numIdES1_PKS1_PS1_EviT_T9_T10_S5_lS7_S5_lS6_T11_S5_li.uses_vcc, 1
	.set _ZL29rocblas_internal_gemmt_kernelIiLi16ELi32ELi8ELc78ELc78ELc76ELb0ELb0E19rocblas_complex_numIdES1_PKS1_PS1_EviT_T9_T10_S5_lS7_S5_lS6_T11_S5_li.uses_flat_scratch, 0
	.set _ZL29rocblas_internal_gemmt_kernelIiLi16ELi32ELi8ELc78ELc78ELc76ELb0ELb0E19rocblas_complex_numIdES1_PKS1_PS1_EviT_T9_T10_S5_lS7_S5_lS6_T11_S5_li.has_dyn_sized_stack, 0
	.set _ZL29rocblas_internal_gemmt_kernelIiLi16ELi32ELi8ELc78ELc78ELc76ELb0ELb0E19rocblas_complex_numIdES1_PKS1_PS1_EviT_T9_T10_S5_lS7_S5_lS6_T11_S5_li.has_recursion, 0
	.set _ZL29rocblas_internal_gemmt_kernelIiLi16ELi32ELi8ELc78ELc78ELc76ELb0ELb0E19rocblas_complex_numIdES1_PKS1_PS1_EviT_T9_T10_S5_lS7_S5_lS6_T11_S5_li.has_indirect_call, 0
	.section	.AMDGPU.csdata,"",@progbits
; Kernel info:
; codeLenInByte = 3684
; TotalNumSgprs: 42
; NumVgprs: 65
; ScratchSize: 0
; MemoryBound: 0
; FloatMode: 240
; IeeeMode: 1
; LDSByteSize: 8192 bytes/workgroup (compile time only)
; SGPRBlocks: 0
; VGPRBlocks: 8
; NumSGPRsForWavesPerEU: 42
; NumVGPRsForWavesPerEU: 65
; Occupancy: 16
; WaveLimiterHint : 0
; COMPUTE_PGM_RSRC2:SCRATCH_EN: 0
; COMPUTE_PGM_RSRC2:USER_SGPR: 2
; COMPUTE_PGM_RSRC2:TRAP_HANDLER: 0
; COMPUTE_PGM_RSRC2:TGID_X_EN: 1
; COMPUTE_PGM_RSRC2:TGID_Y_EN: 1
; COMPUTE_PGM_RSRC2:TGID_Z_EN: 1
; COMPUTE_PGM_RSRC2:TIDIG_COMP_CNT: 1
	.section	.text._ZL29rocblas_internal_gemmt_kernelIiLi16ELi32ELi8ELc78ELc84ELc76ELb0ELb0E19rocblas_complex_numIdES1_PKS1_PS1_EviT_T9_T10_S5_lS7_S5_lS6_T11_S5_li,"axG",@progbits,_ZL29rocblas_internal_gemmt_kernelIiLi16ELi32ELi8ELc78ELc84ELc76ELb0ELb0E19rocblas_complex_numIdES1_PKS1_PS1_EviT_T9_T10_S5_lS7_S5_lS6_T11_S5_li,comdat
	.globl	_ZL29rocblas_internal_gemmt_kernelIiLi16ELi32ELi8ELc78ELc84ELc76ELb0ELb0E19rocblas_complex_numIdES1_PKS1_PS1_EviT_T9_T10_S5_lS7_S5_lS6_T11_S5_li ; -- Begin function _ZL29rocblas_internal_gemmt_kernelIiLi16ELi32ELi8ELc78ELc84ELc76ELb0ELb0E19rocblas_complex_numIdES1_PKS1_PS1_EviT_T9_T10_S5_lS7_S5_lS6_T11_S5_li
	.p2align	8
	.type	_ZL29rocblas_internal_gemmt_kernelIiLi16ELi32ELi8ELc78ELc84ELc76ELb0ELb0E19rocblas_complex_numIdES1_PKS1_PS1_EviT_T9_T10_S5_lS7_S5_lS6_T11_S5_li,@function
_ZL29rocblas_internal_gemmt_kernelIiLi16ELi32ELi8ELc78ELc84ELc76ELb0ELb0E19rocblas_complex_numIdES1_PKS1_PS1_EviT_T9_T10_S5_lS7_S5_lS6_T11_S5_li: ; @_ZL29rocblas_internal_gemmt_kernelIiLi16ELi32ELi8ELc78ELc84ELc76ELb0ELb0E19rocblas_complex_numIdES1_PKS1_PS1_EviT_T9_T10_S5_lS7_S5_lS6_T11_S5_li
; %bb.0:
	s_clause 0x2
	s_load_b256 s[8:15], s[0:1], 0x40
	s_load_b64 s[4:5], s[0:1], 0x0
	s_load_b128 s[16:19], s[0:1], 0x8
	s_wait_kmcnt 0x0
	v_cmp_eq_f64_e64 s2, s[10:11], 1.0
	v_cmp_eq_f64_e64 s3, s[12:13], 0
	s_and_b32 s2, s2, s3
	s_delay_alu instid0(SALU_CYCLE_1)
	s_and_not1_b32 vcc_lo, exec_lo, s2
	s_mov_b32 s2, -1
	s_cbranch_vccnz .LBB136_3
; %bb.1:
	s_cmp_lg_u32 s5, 0
	s_cbranch_scc0 .LBB136_38
; %bb.2:
	v_cmp_neq_f64_e64 s2, s[16:17], 0
	v_cmp_neq_f64_e64 s6, s[18:19], 0
	s_or_b32 s2, s2, s6
.LBB136_3:
	s_delay_alu instid0(SALU_CYCLE_1)
	s_and_b32 vcc_lo, exec_lo, s2
	s_cbranch_vccz .LBB136_39
; %bb.4:
	s_load_b32 s27, s[0:1], 0x70
	s_lshr_b32 s6, ttmp7, 16
	s_wait_kmcnt 0x0
	s_cmp_ge_u32 s6, s27
	s_cbranch_scc1 .LBB136_39
; %bb.5:
	v_cmp_neq_f64_e64 s2, s[16:17], 0
	v_cmp_neq_f64_e64 s33, s[18:19], 0
	;; [unrolled: 1-line block ×3, first 2 shown]
	s_clause 0x4
	s_load_b96 s[24:26], s[0:1], 0x18
	s_load_b128 s[20:23], s[0:1], 0x28
	s_load_b32 s30, s[0:1], 0x38
	s_load_b32 s35, s[0:1], 0x60
	s_load_b64 s[28:29], s[0:1], 0x68
	v_and_b32_e32 v1, 0x3ff, v0
	v_bfe_u32 v2, v0, 10, 10
	v_and_b32_e32 v37, 7, v0
	s_lshl_b32 s0, ttmp7, 5
	s_lshl_b32 s1, ttmp9, 5
	s_and_b32 s31, s0, 0x1fffe0
	v_lshl_add_u32 v0, v2, 4, v1
	v_lshlrev_b32_e32 v3, 4, v37
	v_lshlrev_b32_e32 v38, 4, v1
	v_add_nc_u32_e32 v5, s1, v1
	v_add_nc_u32_e32 v1, s31, v2
	v_lshl_add_u32 v39, v2, 7, 0x1000
	v_and_b32_e32 v2, 31, v0
	v_lshrrev_b32_e32 v4, 3, v0
	v_lshrrev_b32_e32 v40, 5, v0
	v_cmp_le_i32_e32 vcc_lo, v1, v5
	v_cmp_gt_i32_e64 s0, s4, v5
	v_add_nc_u32_e32 v7, 16, v5
	v_or_b32_e32 v0, s1, v2
	v_add_nc_u32_e32 v13, s31, v4
	v_lshlrev_b32_e32 v2, 4, v2
	v_lshl_or_b32 v3, v4, 7, v3
	s_wait_kmcnt 0x0
	s_ashr_i32 s37, s26, 31
	s_ashr_i32 s31, s30, 31
	v_mad_co_i64_i32 v[9:10], null, v40, s26, 0
	v_lshl_or_b32 v41, v40, 9, v2
	v_add_nc_u32_e32 v42, 0x1000, v3
	v_mad_co_i64_i32 v[2:3], null, v1, s35, 0
	v_add_nc_u32_e32 v4, 16, v1
	v_cmp_gt_i32_e64 s1, s4, v0
	v_lshlrev_b64_e32 v[9:10], 4, v[9:10]
	v_mad_co_i64_i32 v[11:12], null, s30, v37, 0
	s_or_b32 s38, s2, s33
	s_cmp_gt_i32 s5, 0
	s_mov_b32 s36, s26
	s_cselect_b32 s39, -1, 0
	s_xor_b32 s3, s3, -1
	v_cmp_gt_i32_e64 s2, s4, v13
	s_or_b32 s33, s34, s3
	s_and_b32 s34, vcc_lo, s0
	v_cmp_le_i32_e32 vcc_lo, v1, v7
	v_ashrrev_i32_e32 v1, 31, v0
	v_cmp_gt_i32_e64 s3, s4, v7
	v_cmp_le_i32_e64 s4, v4, v7
	v_mad_co_i64_i32 v[15:16], null, v4, s35, 0
	s_delay_alu instid0(VALU_DEP_4) | instskip(NEXT) | instid1(VALU_DEP_4)
	v_lshlrev_b64_e32 v[0:1], 4, v[0:1]
	s_and_b32 s26, vcc_lo, s3
	v_cmp_le_i32_e32 vcc_lo, v4, v5
	v_ashrrev_i32_e32 v6, 31, v5
	v_ashrrev_i32_e32 v8, 31, v7
	s_mov_b32 s7, 0
	v_lshlrev_b64_e32 v[15:16], 4, v[15:16]
	s_and_b32 s35, vcc_lo, s0
	v_add_co_u32 v4, vcc_lo, v9, v0
	s_delay_alu instid0(VALU_DEP_1) | instskip(SKIP_2) | instid1(VALU_DEP_4)
	v_add_co_ci_u32_e64 v10, null, v10, v1, vcc_lo
	v_lshlrev_b64_e32 v[0:1], 4, v[11:12]
	v_lshlrev_b32_e32 v11, 4, v13
	v_add_co_u32 v9, vcc_lo, s24, v4
	s_wait_alu 0xfffd
	v_add_co_ci_u32_e64 v10, null, s25, v10, vcc_lo
	s_delay_alu instid0(VALU_DEP_3) | instskip(SKIP_3) | instid1(VALU_DEP_3)
	v_add_co_u32 v0, vcc_lo, v0, v11
	s_wait_alu 0xfffd
	v_add_co_ci_u32_e64 v1, null, 0, v1, vcc_lo
	v_lshlrev_b64_e32 v[13:14], 4, v[2:3]
	v_add_co_u32 v11, vcc_lo, s22, v0
	s_wait_alu 0xfffd
	s_delay_alu instid0(VALU_DEP_3)
	v_add_co_ci_u32_e64 v12, null, s23, v1, vcc_lo
	v_mov_b32_e32 v0, 0
	s_and_b32 s3, s4, s3
	s_lshl_b64 s[20:21], s[20:21], 4
	s_lshl_b64 s[24:25], s[36:37], 7
	;; [unrolled: 1-line block ×3, first 2 shown]
	s_and_b32 s4, s38, s39
	s_wait_alu 0xfffe
	s_lshl_b64 s[22:23], s[30:31], 7
	s_xor_b32 s30, s1, -1
	s_xor_b32 s2, s2, -1
	s_branch .LBB136_7
.LBB136_6:                              ;   in Loop: Header=BB136_7 Depth=1
	s_wait_alu 0xfffe
	s_or_b32 exec_lo, exec_lo, s0
	s_add_co_i32 s6, s6, 0x10000
	s_wait_alu 0xfffe
	s_cmp_lt_u32 s6, s27
	s_cbranch_scc0 .LBB136_39
.LBB136_7:                              ; =>This Loop Header: Depth=1
                                        ;     Child Loop BB136_10 Depth 2
	v_mov_b32_e32 v33, 0
	v_mov_b32_e32 v29, 0
	;; [unrolled: 1-line block ×3, first 2 shown]
	v_dual_mov_b32 v23, 0 :: v_dual_mov_b32 v34, 0
	v_dual_mov_b32 v35, 0 :: v_dual_mov_b32 v30, 0
	;; [unrolled: 1-line block ×5, first 2 shown]
	v_mov_b32_e32 v32, 0
	v_mov_b32_e32 v28, 0
	;; [unrolled: 1-line block ×3, first 2 shown]
	s_and_not1_b32 vcc_lo, exec_lo, s4
	s_wait_alu 0xfffe
	s_cbranch_vccnz .LBB136_18
; %bb.8:                                ;   in Loop: Header=BB136_7 Depth=1
	v_mad_co_u64_u32 v[17:18], null, s20, s6, v[9:10]
	v_mad_co_u64_u32 v[19:20], null, s8, s6, v[11:12]
	v_mov_b32_e32 v21, 0
	v_mov_b32_e32 v23, 0
	;; [unrolled: 1-line block ×4, first 2 shown]
	v_dual_mov_b32 v1, v18 :: v_dual_mov_b32 v22, 0
	v_mov_b32_e32 v2, v20
	v_dual_mov_b32 v24, 0 :: v_dual_mov_b32 v27, 0
	v_dual_mov_b32 v26, 0 :: v_dual_mov_b32 v31, 0
	s_delay_alu instid0(VALU_DEP_3)
	v_mad_co_u64_u32 v[3:4], null, s21, s6, v[1:2]
	v_dual_mov_b32 v30, 0 :: v_dual_mov_b32 v35, 0
	v_dual_mov_b32 v33, 0 :: v_dual_mov_b32 v28, 0
	v_mov_b32_e32 v32, 0
	v_mov_b32_e32 v36, 0
	v_mad_co_u64_u32 v[1:2], null, s9, s6, v[2:3]
	v_mov_b32_e32 v34, 0
	v_mov_b32_e32 v18, v3
	s_mov_b32 s0, 0
	s_delay_alu instid0(VALU_DEP_3)
	v_mov_b32_e32 v20, v1
	s_branch .LBB136_10
.LBB136_9:                              ;   in Loop: Header=BB136_10 Depth=2
	s_wait_alu 0xfffe
	s_or_b32 exec_lo, exec_lo, s1
	s_wait_dscnt 0x0
	s_barrier_signal -1
	s_barrier_wait -1
	global_inv scope:SCOPE_SE
	ds_load_b128 v[1:4], v39
	ds_load_b128 v[43:46], v39 offset:16
	ds_load_b128 v[47:50], v39 offset:32
	;; [unrolled: 1-line block ×3, first 2 shown]
	ds_load_b128 v[55:58], v38
	v_add_co_u32 v17, vcc_lo, v17, s24
	s_wait_alu 0xfffd
	v_add_co_ci_u32_e64 v18, null, s25, v18, vcc_lo
	v_add_co_u32 v19, vcc_lo, v19, s22
	s_wait_alu 0xfffd
	v_add_co_ci_u32_e64 v20, null, s23, v20, vcc_lo
	s_add_co_i32 s0, s0, 8
	s_wait_alu 0xfffe
	s_cmp_lt_i32 s0, s5
	s_wait_dscnt 0x0
	v_mul_f64_e32 v[59:60], v[3:4], v[57:58]
	v_mul_f64_e32 v[61:62], v[1:2], v[57:58]
	s_delay_alu instid0(VALU_DEP_2) | instskip(NEXT) | instid1(VALU_DEP_2)
	v_fma_f64 v[59:60], v[1:2], v[55:56], -v[59:60]
	v_fma_f64 v[61:62], v[3:4], v[55:56], v[61:62]
	s_delay_alu instid0(VALU_DEP_2) | instskip(NEXT) | instid1(VALU_DEP_2)
	v_add_f64_e32 v[59:60], v[33:34], v[59:60]
	v_add_f64_e32 v[61:62], v[61:62], v[35:36]
	ds_load_b128 v[33:36], v38 offset:256
	s_wait_dscnt 0x0
	v_mul_f64_e32 v[63:64], v[3:4], v[35:36]
	s_delay_alu instid0(VALU_DEP_1) | instskip(SKIP_1) | instid1(VALU_DEP_2)
	v_fma_f64 v[63:64], v[1:2], v[33:34], -v[63:64]
	v_mul_f64_e32 v[1:2], v[1:2], v[35:36]
	v_add_f64_e32 v[29:30], v[29:30], v[63:64]
	s_delay_alu instid0(VALU_DEP_2) | instskip(NEXT) | instid1(VALU_DEP_1)
	v_fma_f64 v[1:2], v[3:4], v[33:34], v[1:2]
	v_add_f64_e32 v[31:32], v[1:2], v[31:32]
	ds_load_b128 v[1:4], v39 offset:2048
	s_wait_dscnt 0x0
	v_mul_f64_e32 v[63:64], v[3:4], v[57:58]
	v_mul_f64_e32 v[57:58], v[1:2], v[57:58]
	s_delay_alu instid0(VALU_DEP_2) | instskip(NEXT) | instid1(VALU_DEP_2)
	v_fma_f64 v[63:64], v[1:2], v[55:56], -v[63:64]
	v_fma_f64 v[55:56], v[3:4], v[55:56], v[57:58]
	s_delay_alu instid0(VALU_DEP_2) | instskip(SKIP_1) | instid1(VALU_DEP_3)
	v_add_f64_e32 v[57:58], v[25:26], v[63:64]
	v_mul_f64_e32 v[25:26], v[3:4], v[35:36]
	v_add_f64_e32 v[55:56], v[55:56], v[27:28]
	s_delay_alu instid0(VALU_DEP_2) | instskip(SKIP_1) | instid1(VALU_DEP_1)
	v_fma_f64 v[25:26], v[1:2], v[33:34], -v[25:26]
	v_mul_f64_e32 v[1:2], v[1:2], v[35:36]
	v_fma_f64 v[1:2], v[3:4], v[33:34], v[1:2]
	s_delay_alu instid0(VALU_DEP_3) | instskip(NEXT) | instid1(VALU_DEP_2)
	v_add_f64_e32 v[33:34], v[23:24], v[25:26]
	v_add_f64_e32 v[35:36], v[1:2], v[21:22]
	ds_load_b128 v[1:4], v38 offset:512
	s_wait_dscnt 0x0
	v_mul_f64_e32 v[21:22], v[45:46], v[3:4]
	v_mul_f64_e32 v[23:24], v[43:44], v[3:4]
	s_delay_alu instid0(VALU_DEP_2) | instskip(NEXT) | instid1(VALU_DEP_2)
	v_fma_f64 v[21:22], v[43:44], v[1:2], -v[21:22]
	v_fma_f64 v[23:24], v[45:46], v[1:2], v[23:24]
	s_delay_alu instid0(VALU_DEP_2) | instskip(NEXT) | instid1(VALU_DEP_2)
	v_add_f64_e32 v[59:60], v[59:60], v[21:22]
	v_add_f64_e32 v[61:62], v[23:24], v[61:62]
	ds_load_b128 v[21:24], v38 offset:768
	s_wait_dscnt 0x0
	v_mul_f64_e32 v[25:26], v[45:46], v[23:24]
	v_mul_f64_e32 v[27:28], v[43:44], v[23:24]
	s_delay_alu instid0(VALU_DEP_2) | instskip(NEXT) | instid1(VALU_DEP_2)
	v_fma_f64 v[25:26], v[43:44], v[21:22], -v[25:26]
	v_fma_f64 v[27:28], v[45:46], v[21:22], v[27:28]
	s_delay_alu instid0(VALU_DEP_2) | instskip(NEXT) | instid1(VALU_DEP_2)
	v_add_f64_e32 v[29:30], v[29:30], v[25:26]
	v_add_f64_e32 v[31:32], v[27:28], v[31:32]
	ds_load_b128 v[25:28], v39 offset:2064
	s_wait_dscnt 0x0
	v_mul_f64_e32 v[43:44], v[27:28], v[3:4]
	v_mul_f64_e32 v[3:4], v[25:26], v[3:4]
	s_delay_alu instid0(VALU_DEP_2) | instskip(NEXT) | instid1(VALU_DEP_2)
	v_fma_f64 v[43:44], v[25:26], v[1:2], -v[43:44]
	v_fma_f64 v[1:2], v[27:28], v[1:2], v[3:4]
	v_mul_f64_e32 v[3:4], v[25:26], v[23:24]
	s_delay_alu instid0(VALU_DEP_3) | instskip(NEXT) | instid1(VALU_DEP_3)
	v_add_f64_e32 v[43:44], v[57:58], v[43:44]
	v_add_f64_e32 v[45:46], v[1:2], v[55:56]
	v_mul_f64_e32 v[1:2], v[27:28], v[23:24]
	s_delay_alu instid0(VALU_DEP_4) | instskip(NEXT) | instid1(VALU_DEP_2)
	v_fma_f64 v[3:4], v[27:28], v[21:22], v[3:4]
	v_fma_f64 v[1:2], v[25:26], v[21:22], -v[1:2]
	s_delay_alu instid0(VALU_DEP_2) | instskip(NEXT) | instid1(VALU_DEP_2)
	v_add_f64_e32 v[35:36], v[3:4], v[35:36]
	v_add_f64_e32 v[33:34], v[33:34], v[1:2]
	ds_load_b128 v[1:4], v38 offset:1024
	s_wait_dscnt 0x0
	v_mul_f64_e32 v[21:22], v[49:50], v[3:4]
	v_mul_f64_e32 v[23:24], v[47:48], v[3:4]
	s_delay_alu instid0(VALU_DEP_2) | instskip(NEXT) | instid1(VALU_DEP_2)
	v_fma_f64 v[21:22], v[47:48], v[1:2], -v[21:22]
	v_fma_f64 v[23:24], v[49:50], v[1:2], v[23:24]
	s_delay_alu instid0(VALU_DEP_2) | instskip(NEXT) | instid1(VALU_DEP_2)
	v_add_f64_e32 v[55:56], v[59:60], v[21:22]
	v_add_f64_e32 v[57:58], v[23:24], v[61:62]
	ds_load_b128 v[21:24], v38 offset:1280
	s_wait_dscnt 0x0
	v_mul_f64_e32 v[25:26], v[49:50], v[23:24]
	v_mul_f64_e32 v[27:28], v[47:48], v[23:24]
	s_delay_alu instid0(VALU_DEP_2) | instskip(NEXT) | instid1(VALU_DEP_2)
	v_fma_f64 v[25:26], v[47:48], v[21:22], -v[25:26]
	v_fma_f64 v[27:28], v[49:50], v[21:22], v[27:28]
	s_delay_alu instid0(VALU_DEP_2) | instskip(NEXT) | instid1(VALU_DEP_2)
	v_add_f64_e32 v[29:30], v[29:30], v[25:26]
	v_add_f64_e32 v[31:32], v[27:28], v[31:32]
	ds_load_b128 v[25:28], v39 offset:2080
	s_wait_dscnt 0x0
	v_mul_f64_e32 v[47:48], v[27:28], v[3:4]
	v_mul_f64_e32 v[3:4], v[25:26], v[3:4]
	s_delay_alu instid0(VALU_DEP_2) | instskip(NEXT) | instid1(VALU_DEP_2)
	v_fma_f64 v[47:48], v[25:26], v[1:2], -v[47:48]
	v_fma_f64 v[1:2], v[27:28], v[1:2], v[3:4]
	v_mul_f64_e32 v[3:4], v[25:26], v[23:24]
	s_delay_alu instid0(VALU_DEP_3) | instskip(NEXT) | instid1(VALU_DEP_3)
	v_add_f64_e32 v[43:44], v[43:44], v[47:48]
	v_add_f64_e32 v[45:46], v[1:2], v[45:46]
	v_mul_f64_e32 v[1:2], v[27:28], v[23:24]
	s_delay_alu instid0(VALU_DEP_4) | instskip(NEXT) | instid1(VALU_DEP_2)
	v_fma_f64 v[3:4], v[27:28], v[21:22], v[3:4]
	v_fma_f64 v[1:2], v[25:26], v[21:22], -v[1:2]
	s_delay_alu instid0(VALU_DEP_2) | instskip(NEXT) | instid1(VALU_DEP_2)
	;; [unrolled: 38-line block ×3, first 2 shown]
	v_add_f64_e32 v[35:36], v[3:4], v[35:36]
	v_add_f64_e32 v[33:34], v[33:34], v[1:2]
	ds_load_b128 v[1:4], v39 offset:64
	ds_load_b128 v[21:24], v38 offset:2048
	s_wait_dscnt 0x0
	v_mul_f64_e32 v[25:26], v[3:4], v[23:24]
	v_mul_f64_e32 v[27:28], v[1:2], v[23:24]
	s_delay_alu instid0(VALU_DEP_2) | instskip(NEXT) | instid1(VALU_DEP_2)
	v_fma_f64 v[25:26], v[1:2], v[21:22], -v[25:26]
	v_fma_f64 v[27:28], v[3:4], v[21:22], v[27:28]
	s_delay_alu instid0(VALU_DEP_2) | instskip(NEXT) | instid1(VALU_DEP_2)
	v_add_f64_e32 v[47:48], v[47:48], v[25:26]
	v_add_f64_e32 v[49:50], v[27:28], v[49:50]
	ds_load_b128 v[25:28], v38 offset:2304
	s_wait_dscnt 0x0
	v_mul_f64_e32 v[51:52], v[3:4], v[27:28]
	s_delay_alu instid0(VALU_DEP_1) | instskip(SKIP_1) | instid1(VALU_DEP_2)
	v_fma_f64 v[51:52], v[1:2], v[25:26], -v[51:52]
	v_mul_f64_e32 v[1:2], v[1:2], v[27:28]
	v_add_f64_e32 v[29:30], v[29:30], v[51:52]
	s_delay_alu instid0(VALU_DEP_2) | instskip(NEXT) | instid1(VALU_DEP_1)
	v_fma_f64 v[1:2], v[3:4], v[25:26], v[1:2]
	v_add_f64_e32 v[31:32], v[1:2], v[31:32]
	ds_load_b128 v[1:4], v39 offset:2112
	s_wait_dscnt 0x0
	v_mul_f64_e32 v[51:52], v[3:4], v[23:24]
	v_mul_f64_e32 v[23:24], v[1:2], v[23:24]
	s_delay_alu instid0(VALU_DEP_2) | instskip(NEXT) | instid1(VALU_DEP_2)
	v_fma_f64 v[51:52], v[1:2], v[21:22], -v[51:52]
	v_fma_f64 v[21:22], v[3:4], v[21:22], v[23:24]
	s_delay_alu instid0(VALU_DEP_2) | instskip(NEXT) | instid1(VALU_DEP_2)
	v_add_f64_e32 v[43:44], v[43:44], v[51:52]
	v_add_f64_e32 v[45:46], v[21:22], v[45:46]
	v_mul_f64_e32 v[21:22], v[3:4], v[27:28]
	s_delay_alu instid0(VALU_DEP_1) | instskip(SKIP_1) | instid1(VALU_DEP_2)
	v_fma_f64 v[21:22], v[1:2], v[25:26], -v[21:22]
	v_mul_f64_e32 v[1:2], v[1:2], v[27:28]
	v_add_f64_e32 v[33:34], v[33:34], v[21:22]
	s_delay_alu instid0(VALU_DEP_2) | instskip(NEXT) | instid1(VALU_DEP_1)
	v_fma_f64 v[1:2], v[3:4], v[25:26], v[1:2]
	v_add_f64_e32 v[35:36], v[1:2], v[35:36]
	ds_load_b128 v[1:4], v39 offset:80
	ds_load_b128 v[21:24], v38 offset:2560
	s_wait_dscnt 0x0
	v_mul_f64_e32 v[25:26], v[3:4], v[23:24]
	v_mul_f64_e32 v[27:28], v[1:2], v[23:24]
	s_delay_alu instid0(VALU_DEP_2) | instskip(NEXT) | instid1(VALU_DEP_2)
	v_fma_f64 v[25:26], v[1:2], v[21:22], -v[25:26]
	v_fma_f64 v[27:28], v[3:4], v[21:22], v[27:28]
	s_delay_alu instid0(VALU_DEP_2) | instskip(NEXT) | instid1(VALU_DEP_2)
	v_add_f64_e32 v[47:48], v[47:48], v[25:26]
	v_add_f64_e32 v[49:50], v[27:28], v[49:50]
	ds_load_b128 v[25:28], v38 offset:2816
	s_wait_dscnt 0x0
	v_mul_f64_e32 v[51:52], v[3:4], v[27:28]
	s_delay_alu instid0(VALU_DEP_1) | instskip(SKIP_1) | instid1(VALU_DEP_2)
	v_fma_f64 v[51:52], v[1:2], v[25:26], -v[51:52]
	v_mul_f64_e32 v[1:2], v[1:2], v[27:28]
	v_add_f64_e32 v[29:30], v[29:30], v[51:52]
	s_delay_alu instid0(VALU_DEP_2) | instskip(NEXT) | instid1(VALU_DEP_1)
	v_fma_f64 v[1:2], v[3:4], v[25:26], v[1:2]
	v_add_f64_e32 v[31:32], v[1:2], v[31:32]
	ds_load_b128 v[1:4], v39 offset:2128
	s_wait_dscnt 0x0
	v_mul_f64_e32 v[51:52], v[3:4], v[23:24]
	v_mul_f64_e32 v[23:24], v[1:2], v[23:24]
	s_delay_alu instid0(VALU_DEP_2) | instskip(NEXT) | instid1(VALU_DEP_2)
	v_fma_f64 v[51:52], v[1:2], v[21:22], -v[51:52]
	v_fma_f64 v[21:22], v[3:4], v[21:22], v[23:24]
	s_delay_alu instid0(VALU_DEP_2) | instskip(NEXT) | instid1(VALU_DEP_2)
	v_add_f64_e32 v[43:44], v[43:44], v[51:52]
	v_add_f64_e32 v[45:46], v[21:22], v[45:46]
	v_mul_f64_e32 v[21:22], v[3:4], v[27:28]
	s_delay_alu instid0(VALU_DEP_1) | instskip(SKIP_1) | instid1(VALU_DEP_2)
	v_fma_f64 v[21:22], v[1:2], v[25:26], -v[21:22]
	v_mul_f64_e32 v[1:2], v[1:2], v[27:28]
	v_add_f64_e32 v[33:34], v[33:34], v[21:22]
	s_delay_alu instid0(VALU_DEP_2) | instskip(NEXT) | instid1(VALU_DEP_1)
	v_fma_f64 v[1:2], v[3:4], v[25:26], v[1:2]
	;; [unrolled: 39-line block ×3, first 2 shown]
	v_add_f64_e32 v[57:58], v[1:2], v[35:36]
	ds_load_b128 v[1:4], v39 offset:112
	ds_load_b128 v[21:24], v38 offset:3584
	;; [unrolled: 1-line block ×3, first 2 shown]
	s_wait_dscnt 0x1
	v_mul_f64_e32 v[25:26], v[3:4], v[23:24]
	v_mul_f64_e32 v[27:28], v[1:2], v[23:24]
	s_delay_alu instid0(VALU_DEP_2) | instskip(NEXT) | instid1(VALU_DEP_2)
	v_fma_f64 v[25:26], v[1:2], v[21:22], -v[25:26]
	v_fma_f64 v[27:28], v[3:4], v[21:22], v[27:28]
	s_delay_alu instid0(VALU_DEP_2) | instskip(SKIP_2) | instid1(VALU_DEP_3)
	v_add_f64_e32 v[33:34], v[47:48], v[25:26]
	s_wait_dscnt 0x0
	v_mul_f64_e32 v[25:26], v[3:4], v[45:46]
	v_add_f64_e32 v[35:36], v[27:28], v[49:50]
	s_delay_alu instid0(VALU_DEP_2) | instskip(SKIP_1) | instid1(VALU_DEP_2)
	v_fma_f64 v[25:26], v[1:2], v[43:44], -v[25:26]
	v_mul_f64_e32 v[1:2], v[1:2], v[45:46]
	v_add_f64_e32 v[29:30], v[29:30], v[25:26]
	s_delay_alu instid0(VALU_DEP_2) | instskip(NEXT) | instid1(VALU_DEP_1)
	v_fma_f64 v[1:2], v[3:4], v[43:44], v[1:2]
	v_add_f64_e32 v[31:32], v[1:2], v[31:32]
	ds_load_b128 v[1:4], v39 offset:2160
	s_wait_loadcnt_dscnt 0x0
	s_barrier_signal -1
	s_barrier_wait -1
	global_inv scope:SCOPE_SE
	v_mul_f64_e32 v[25:26], v[3:4], v[23:24]
	v_mul_f64_e32 v[23:24], v[1:2], v[23:24]
	s_delay_alu instid0(VALU_DEP_2) | instskip(NEXT) | instid1(VALU_DEP_2)
	v_fma_f64 v[25:26], v[1:2], v[21:22], -v[25:26]
	v_fma_f64 v[21:22], v[3:4], v[21:22], v[23:24]
	s_delay_alu instid0(VALU_DEP_2) | instskip(NEXT) | instid1(VALU_DEP_2)
	v_add_f64_e32 v[25:26], v[51:52], v[25:26]
	v_add_f64_e32 v[27:28], v[21:22], v[53:54]
	v_mul_f64_e32 v[21:22], v[3:4], v[45:46]
	s_delay_alu instid0(VALU_DEP_1) | instskip(SKIP_1) | instid1(VALU_DEP_2)
	v_fma_f64 v[21:22], v[1:2], v[43:44], -v[21:22]
	v_mul_f64_e32 v[1:2], v[1:2], v[45:46]
	v_add_f64_e32 v[23:24], v[55:56], v[21:22]
	s_delay_alu instid0(VALU_DEP_2) | instskip(NEXT) | instid1(VALU_DEP_1)
	v_fma_f64 v[1:2], v[3:4], v[43:44], v[1:2]
	v_add_f64_e32 v[21:22], v[1:2], v[57:58]
	s_cbranch_scc0 .LBB136_18
.LBB136_10:                             ;   Parent Loop BB136_7 Depth=1
                                        ; =>  This Inner Loop Header: Depth=2
	s_wait_alu 0xfffe
	v_add_nc_u32_e32 v1, s0, v40
	s_delay_alu instid0(VALU_DEP_1)
	v_cmp_le_i32_e32 vcc_lo, s5, v1
	s_or_b32 s1, s30, vcc_lo
	s_wait_alu 0xfffe
	s_and_saveexec_b32 s31, s1
	s_wait_alu 0xfffe
	s_xor_b32 s1, exec_lo, s31
; %bb.11:                               ;   in Loop: Header=BB136_10 Depth=2
	v_dual_mov_b32 v1, v0 :: v_dual_mov_b32 v2, v0
	v_mov_b32_e32 v3, v0
	ds_store_b128 v41, v[0:3]
; %bb.12:                               ;   in Loop: Header=BB136_10 Depth=2
	s_wait_alu 0xfffe
	s_and_not1_saveexec_b32 s1, s1
	s_cbranch_execz .LBB136_14
; %bb.13:                               ;   in Loop: Header=BB136_10 Depth=2
	global_load_b128 v[1:4], v[17:18], off
	s_wait_loadcnt 0x0
	ds_store_2addr_b64 v41, v[1:2], v[3:4] offset1:1
.LBB136_14:                             ;   in Loop: Header=BB136_10 Depth=2
	s_wait_alu 0xfffe
	s_or_b32 exec_lo, exec_lo, s1
	v_add_nc_u32_e32 v1, s0, v37
	s_delay_alu instid0(VALU_DEP_1)
	v_cmp_le_i32_e32 vcc_lo, s5, v1
	s_or_b32 s1, vcc_lo, s2
	s_wait_alu 0xfffe
	s_and_saveexec_b32 s31, s1
	s_wait_alu 0xfffe
	s_xor_b32 s1, exec_lo, s31
; %bb.15:                               ;   in Loop: Header=BB136_10 Depth=2
	v_dual_mov_b32 v1, v0 :: v_dual_mov_b32 v2, v0
	v_mov_b32_e32 v3, v0
	ds_store_b128 v42, v[0:3]
; %bb.16:                               ;   in Loop: Header=BB136_10 Depth=2
	s_wait_alu 0xfffe
	s_and_not1_saveexec_b32 s1, s1
	s_cbranch_execz .LBB136_9
; %bb.17:                               ;   in Loop: Header=BB136_10 Depth=2
	global_load_b128 v[1:4], v[19:20], off
	s_wait_loadcnt 0x0
	ds_store_2addr_b64 v42, v[1:2], v[3:4] offset1:1
	s_branch .LBB136_9
.LBB136_18:                             ;   in Loop: Header=BB136_7 Depth=1
	s_mul_u64 s[0:1], s[28:29], s[6:7]
	s_wait_alu 0xfffe
	s_lshl_b64 s[0:1], s[0:1], 4
	s_wait_alu 0xfffe
	s_add_nc_u64 s[0:1], s[14:15], s[0:1]
	s_wait_alu 0xfffe
	v_add_co_u32 v17, vcc_lo, s0, v13
	s_wait_alu 0xfffd
	v_add_co_ci_u32_e64 v18, null, s1, v14, vcc_lo
	s_and_saveexec_b32 s31, s34
	s_cbranch_execz .LBB136_23
; %bb.19:                               ;   in Loop: Header=BB136_7 Depth=1
	v_mul_f64_e32 v[1:2], s[18:19], v[35:36]
	v_mul_f64_e32 v[3:4], s[16:17], v[35:36]
	s_and_b32 vcc_lo, exec_lo, s33
	s_mov_b32 s36, -1
	s_delay_alu instid0(VALU_DEP_2) | instskip(NEXT) | instid1(VALU_DEP_2)
	v_fma_f64 v[1:2], s[16:17], v[33:34], -v[1:2]
	v_fma_f64 v[3:4], s[18:19], v[33:34], v[3:4]
	s_wait_alu 0xfffe
	s_cbranch_vccz .LBB136_21
; %bb.20:                               ;   in Loop: Header=BB136_7 Depth=1
	v_lshlrev_b64_e32 v[19:20], 4, v[5:6]
	s_mov_b32 s36, 0
	s_delay_alu instid0(VALU_DEP_1) | instskip(SKIP_1) | instid1(VALU_DEP_2)
	v_add_co_u32 v19, vcc_lo, v17, v19
	s_wait_alu 0xfffd
	v_add_co_ci_u32_e64 v20, null, v18, v20, vcc_lo
	global_load_b128 v[33:36], v[19:20], off
	s_wait_loadcnt 0x0
	v_mul_f64_e32 v[43:44], s[12:13], v[35:36]
	v_mul_f64_e32 v[35:36], s[10:11], v[35:36]
	s_delay_alu instid0(VALU_DEP_2) | instskip(NEXT) | instid1(VALU_DEP_2)
	v_fma_f64 v[43:44], s[10:11], v[33:34], -v[43:44]
	v_fma_f64 v[35:36], s[12:13], v[33:34], v[35:36]
	s_delay_alu instid0(VALU_DEP_2) | instskip(NEXT) | instid1(VALU_DEP_2)
	v_add_f64_e32 v[33:34], v[1:2], v[43:44]
	v_add_f64_e32 v[35:36], v[3:4], v[35:36]
	global_store_b128 v[19:20], v[33:36], off
.LBB136_21:                             ;   in Loop: Header=BB136_7 Depth=1
	s_and_not1_b32 vcc_lo, exec_lo, s36
	s_wait_alu 0xfffe
	s_cbranch_vccnz .LBB136_23
; %bb.22:                               ;   in Loop: Header=BB136_7 Depth=1
	v_lshlrev_b64_e32 v[19:20], 4, v[5:6]
	s_delay_alu instid0(VALU_DEP_1) | instskip(SKIP_1) | instid1(VALU_DEP_2)
	v_add_co_u32 v19, vcc_lo, v17, v19
	s_wait_alu 0xfffd
	v_add_co_ci_u32_e64 v20, null, v18, v20, vcc_lo
	global_store_b128 v[19:20], v[1:4], off
.LBB136_23:                             ;   in Loop: Header=BB136_7 Depth=1
	s_wait_alu 0xfffe
	s_or_b32 exec_lo, exec_lo, s31
	s_and_saveexec_b32 s31, s26
	s_cbranch_execz .LBB136_28
; %bb.24:                               ;   in Loop: Header=BB136_7 Depth=1
	v_mul_f64_e32 v[1:2], s[18:19], v[31:32]
	v_mul_f64_e32 v[3:4], s[16:17], v[31:32]
	s_and_not1_b32 vcc_lo, exec_lo, s33
	s_mov_b32 s36, -1
	s_delay_alu instid0(VALU_DEP_2) | instskip(NEXT) | instid1(VALU_DEP_2)
	v_fma_f64 v[1:2], s[16:17], v[29:30], -v[1:2]
	v_fma_f64 v[3:4], s[18:19], v[29:30], v[3:4]
	s_wait_alu 0xfffe
	s_cbranch_vccnz .LBB136_26
; %bb.25:                               ;   in Loop: Header=BB136_7 Depth=1
	v_lshlrev_b64_e32 v[19:20], 4, v[7:8]
	s_mov_b32 s36, 0
	s_delay_alu instid0(VALU_DEP_1) | instskip(SKIP_1) | instid1(VALU_DEP_2)
	v_add_co_u32 v19, vcc_lo, v17, v19
	s_wait_alu 0xfffd
	v_add_co_ci_u32_e64 v20, null, v18, v20, vcc_lo
	global_load_b128 v[29:32], v[19:20], off
	s_wait_loadcnt 0x0
	v_mul_f64_e32 v[33:34], s[12:13], v[31:32]
	v_mul_f64_e32 v[31:32], s[10:11], v[31:32]
	s_delay_alu instid0(VALU_DEP_2) | instskip(NEXT) | instid1(VALU_DEP_2)
	v_fma_f64 v[33:34], s[10:11], v[29:30], -v[33:34]
	v_fma_f64 v[31:32], s[12:13], v[29:30], v[31:32]
	s_delay_alu instid0(VALU_DEP_2) | instskip(NEXT) | instid1(VALU_DEP_2)
	v_add_f64_e32 v[29:30], v[1:2], v[33:34]
	v_add_f64_e32 v[31:32], v[3:4], v[31:32]
	global_store_b128 v[19:20], v[29:32], off
.LBB136_26:                             ;   in Loop: Header=BB136_7 Depth=1
	s_and_not1_b32 vcc_lo, exec_lo, s36
	s_wait_alu 0xfffe
	s_cbranch_vccnz .LBB136_28
; %bb.27:                               ;   in Loop: Header=BB136_7 Depth=1
	v_lshlrev_b64_e32 v[19:20], 4, v[7:8]
	s_delay_alu instid0(VALU_DEP_1) | instskip(SKIP_1) | instid1(VALU_DEP_2)
	v_add_co_u32 v17, vcc_lo, v17, v19
	s_wait_alu 0xfffd
	v_add_co_ci_u32_e64 v18, null, v18, v20, vcc_lo
	global_store_b128 v[17:18], v[1:4], off
.LBB136_28:                             ;   in Loop: Header=BB136_7 Depth=1
	s_wait_alu 0xfffe
	s_or_b32 exec_lo, exec_lo, s31
	v_add_co_u32 v19, vcc_lo, s0, v15
	s_wait_alu 0xfffd
	v_add_co_ci_u32_e64 v20, null, s1, v16, vcc_lo
	s_and_saveexec_b32 s0, s35
	s_cbranch_execz .LBB136_33
; %bb.29:                               ;   in Loop: Header=BB136_7 Depth=1
	v_mul_f64_e32 v[1:2], s[18:19], v[27:28]
	v_mul_f64_e32 v[3:4], s[16:17], v[27:28]
	v_lshlrev_b64_e32 v[17:18], 4, v[5:6]
	s_and_not1_b32 vcc_lo, exec_lo, s33
	s_mov_b32 s1, -1
	s_delay_alu instid0(VALU_DEP_3) | instskip(NEXT) | instid1(VALU_DEP_3)
	v_fma_f64 v[1:2], s[16:17], v[25:26], -v[1:2]
	v_fma_f64 v[3:4], s[18:19], v[25:26], v[3:4]
	s_wait_alu 0xfffe
	s_cbranch_vccnz .LBB136_31
; %bb.30:                               ;   in Loop: Header=BB136_7 Depth=1
	v_add_co_u32 v29, vcc_lo, v19, v17
	s_wait_alu 0xfffd
	v_add_co_ci_u32_e64 v30, null, v20, v18, vcc_lo
	s_mov_b32 s1, 0
	global_load_b128 v[25:28], v[29:30], off
	s_wait_loadcnt 0x0
	v_mul_f64_e32 v[31:32], s[12:13], v[27:28]
	v_mul_f64_e32 v[27:28], s[10:11], v[27:28]
	s_delay_alu instid0(VALU_DEP_2) | instskip(NEXT) | instid1(VALU_DEP_2)
	v_fma_f64 v[31:32], s[10:11], v[25:26], -v[31:32]
	v_fma_f64 v[27:28], s[12:13], v[25:26], v[27:28]
	s_delay_alu instid0(VALU_DEP_2) | instskip(NEXT) | instid1(VALU_DEP_2)
	v_add_f64_e32 v[25:26], v[1:2], v[31:32]
	v_add_f64_e32 v[27:28], v[3:4], v[27:28]
	global_store_b128 v[29:30], v[25:28], off
.LBB136_31:                             ;   in Loop: Header=BB136_7 Depth=1
	s_wait_alu 0xfffe
	s_and_not1_b32 vcc_lo, exec_lo, s1
	s_wait_alu 0xfffe
	s_cbranch_vccnz .LBB136_33
; %bb.32:                               ;   in Loop: Header=BB136_7 Depth=1
	v_add_co_u32 v17, vcc_lo, v19, v17
	s_wait_alu 0xfffd
	v_add_co_ci_u32_e64 v18, null, v20, v18, vcc_lo
	global_store_b128 v[17:18], v[1:4], off
.LBB136_33:                             ;   in Loop: Header=BB136_7 Depth=1
	s_wait_alu 0xfffe
	s_or_b32 exec_lo, exec_lo, s0
	s_and_saveexec_b32 s0, s3
	s_cbranch_execz .LBB136_6
; %bb.34:                               ;   in Loop: Header=BB136_7 Depth=1
	v_mul_f64_e32 v[1:2], s[18:19], v[21:22]
	v_mul_f64_e32 v[3:4], s[16:17], v[21:22]
	v_lshlrev_b64_e32 v[17:18], 4, v[7:8]
	s_and_not1_b32 vcc_lo, exec_lo, s33
	s_mov_b32 s1, -1
	s_delay_alu instid0(VALU_DEP_3) | instskip(NEXT) | instid1(VALU_DEP_3)
	v_fma_f64 v[1:2], s[16:17], v[23:24], -v[1:2]
	v_fma_f64 v[3:4], s[18:19], v[23:24], v[3:4]
	s_wait_alu 0xfffe
	s_cbranch_vccnz .LBB136_36
; %bb.35:                               ;   in Loop: Header=BB136_7 Depth=1
	v_add_co_u32 v25, vcc_lo, v19, v17
	s_wait_alu 0xfffd
	v_add_co_ci_u32_e64 v26, null, v20, v18, vcc_lo
	s_mov_b32 s1, 0
	global_load_b128 v[21:24], v[25:26], off
	s_wait_loadcnt 0x0
	v_mul_f64_e32 v[27:28], s[12:13], v[23:24]
	v_mul_f64_e32 v[23:24], s[10:11], v[23:24]
	s_delay_alu instid0(VALU_DEP_2) | instskip(NEXT) | instid1(VALU_DEP_2)
	v_fma_f64 v[27:28], s[10:11], v[21:22], -v[27:28]
	v_fma_f64 v[23:24], s[12:13], v[21:22], v[23:24]
	s_delay_alu instid0(VALU_DEP_2) | instskip(NEXT) | instid1(VALU_DEP_2)
	v_add_f64_e32 v[21:22], v[1:2], v[27:28]
	v_add_f64_e32 v[23:24], v[3:4], v[23:24]
	global_store_b128 v[25:26], v[21:24], off
.LBB136_36:                             ;   in Loop: Header=BB136_7 Depth=1
	s_wait_alu 0xfffe
	s_and_not1_b32 vcc_lo, exec_lo, s1
	s_wait_alu 0xfffe
	s_cbranch_vccnz .LBB136_6
; %bb.37:                               ;   in Loop: Header=BB136_7 Depth=1
	v_add_co_u32 v17, vcc_lo, v19, v17
	s_wait_alu 0xfffd
	v_add_co_ci_u32_e64 v18, null, v20, v18, vcc_lo
	global_store_b128 v[17:18], v[1:4], off
	s_branch .LBB136_6
.LBB136_38:
.LBB136_39:
	s_endpgm
	.section	.rodata,"a",@progbits
	.p2align	6, 0x0
	.amdhsa_kernel _ZL29rocblas_internal_gemmt_kernelIiLi16ELi32ELi8ELc78ELc84ELc76ELb0ELb0E19rocblas_complex_numIdES1_PKS1_PS1_EviT_T9_T10_S5_lS7_S5_lS6_T11_S5_li
		.amdhsa_group_segment_fixed_size 8192
		.amdhsa_private_segment_fixed_size 0
		.amdhsa_kernarg_size 116
		.amdhsa_user_sgpr_count 2
		.amdhsa_user_sgpr_dispatch_ptr 0
		.amdhsa_user_sgpr_queue_ptr 0
		.amdhsa_user_sgpr_kernarg_segment_ptr 1
		.amdhsa_user_sgpr_dispatch_id 0
		.amdhsa_user_sgpr_private_segment_size 0
		.amdhsa_wavefront_size32 1
		.amdhsa_uses_dynamic_stack 0
		.amdhsa_enable_private_segment 0
		.amdhsa_system_sgpr_workgroup_id_x 1
		.amdhsa_system_sgpr_workgroup_id_y 1
		.amdhsa_system_sgpr_workgroup_id_z 1
		.amdhsa_system_sgpr_workgroup_info 0
		.amdhsa_system_vgpr_workitem_id 1
		.amdhsa_next_free_vgpr 65
		.amdhsa_next_free_sgpr 40
		.amdhsa_reserve_vcc 1
		.amdhsa_float_round_mode_32 0
		.amdhsa_float_round_mode_16_64 0
		.amdhsa_float_denorm_mode_32 3
		.amdhsa_float_denorm_mode_16_64 3
		.amdhsa_fp16_overflow 0
		.amdhsa_workgroup_processor_mode 1
		.amdhsa_memory_ordered 1
		.amdhsa_forward_progress 1
		.amdhsa_inst_pref_size 29
		.amdhsa_round_robin_scheduling 0
		.amdhsa_exception_fp_ieee_invalid_op 0
		.amdhsa_exception_fp_denorm_src 0
		.amdhsa_exception_fp_ieee_div_zero 0
		.amdhsa_exception_fp_ieee_overflow 0
		.amdhsa_exception_fp_ieee_underflow 0
		.amdhsa_exception_fp_ieee_inexact 0
		.amdhsa_exception_int_div_zero 0
	.end_amdhsa_kernel
	.section	.text._ZL29rocblas_internal_gemmt_kernelIiLi16ELi32ELi8ELc78ELc84ELc76ELb0ELb0E19rocblas_complex_numIdES1_PKS1_PS1_EviT_T9_T10_S5_lS7_S5_lS6_T11_S5_li,"axG",@progbits,_ZL29rocblas_internal_gemmt_kernelIiLi16ELi32ELi8ELc78ELc84ELc76ELb0ELb0E19rocblas_complex_numIdES1_PKS1_PS1_EviT_T9_T10_S5_lS7_S5_lS6_T11_S5_li,comdat
.Lfunc_end136:
	.size	_ZL29rocblas_internal_gemmt_kernelIiLi16ELi32ELi8ELc78ELc84ELc76ELb0ELb0E19rocblas_complex_numIdES1_PKS1_PS1_EviT_T9_T10_S5_lS7_S5_lS6_T11_S5_li, .Lfunc_end136-_ZL29rocblas_internal_gemmt_kernelIiLi16ELi32ELi8ELc78ELc84ELc76ELb0ELb0E19rocblas_complex_numIdES1_PKS1_PS1_EviT_T9_T10_S5_lS7_S5_lS6_T11_S5_li
                                        ; -- End function
	.set _ZL29rocblas_internal_gemmt_kernelIiLi16ELi32ELi8ELc78ELc84ELc76ELb0ELb0E19rocblas_complex_numIdES1_PKS1_PS1_EviT_T9_T10_S5_lS7_S5_lS6_T11_S5_li.num_vgpr, 65
	.set _ZL29rocblas_internal_gemmt_kernelIiLi16ELi32ELi8ELc78ELc84ELc76ELb0ELb0E19rocblas_complex_numIdES1_PKS1_PS1_EviT_T9_T10_S5_lS7_S5_lS6_T11_S5_li.num_agpr, 0
	.set _ZL29rocblas_internal_gemmt_kernelIiLi16ELi32ELi8ELc78ELc84ELc76ELb0ELb0E19rocblas_complex_numIdES1_PKS1_PS1_EviT_T9_T10_S5_lS7_S5_lS6_T11_S5_li.numbered_sgpr, 40
	.set _ZL29rocblas_internal_gemmt_kernelIiLi16ELi32ELi8ELc78ELc84ELc76ELb0ELb0E19rocblas_complex_numIdES1_PKS1_PS1_EviT_T9_T10_S5_lS7_S5_lS6_T11_S5_li.num_named_barrier, 0
	.set _ZL29rocblas_internal_gemmt_kernelIiLi16ELi32ELi8ELc78ELc84ELc76ELb0ELb0E19rocblas_complex_numIdES1_PKS1_PS1_EviT_T9_T10_S5_lS7_S5_lS6_T11_S5_li.private_seg_size, 0
	.set _ZL29rocblas_internal_gemmt_kernelIiLi16ELi32ELi8ELc78ELc84ELc76ELb0ELb0E19rocblas_complex_numIdES1_PKS1_PS1_EviT_T9_T10_S5_lS7_S5_lS6_T11_S5_li.uses_vcc, 1
	.set _ZL29rocblas_internal_gemmt_kernelIiLi16ELi32ELi8ELc78ELc84ELc76ELb0ELb0E19rocblas_complex_numIdES1_PKS1_PS1_EviT_T9_T10_S5_lS7_S5_lS6_T11_S5_li.uses_flat_scratch, 0
	.set _ZL29rocblas_internal_gemmt_kernelIiLi16ELi32ELi8ELc78ELc84ELc76ELb0ELb0E19rocblas_complex_numIdES1_PKS1_PS1_EviT_T9_T10_S5_lS7_S5_lS6_T11_S5_li.has_dyn_sized_stack, 0
	.set _ZL29rocblas_internal_gemmt_kernelIiLi16ELi32ELi8ELc78ELc84ELc76ELb0ELb0E19rocblas_complex_numIdES1_PKS1_PS1_EviT_T9_T10_S5_lS7_S5_lS6_T11_S5_li.has_recursion, 0
	.set _ZL29rocblas_internal_gemmt_kernelIiLi16ELi32ELi8ELc78ELc84ELc76ELb0ELb0E19rocblas_complex_numIdES1_PKS1_PS1_EviT_T9_T10_S5_lS7_S5_lS6_T11_S5_li.has_indirect_call, 0
	.section	.AMDGPU.csdata,"",@progbits
; Kernel info:
; codeLenInByte = 3696
; TotalNumSgprs: 42
; NumVgprs: 65
; ScratchSize: 0
; MemoryBound: 0
; FloatMode: 240
; IeeeMode: 1
; LDSByteSize: 8192 bytes/workgroup (compile time only)
; SGPRBlocks: 0
; VGPRBlocks: 8
; NumSGPRsForWavesPerEU: 42
; NumVGPRsForWavesPerEU: 65
; Occupancy: 16
; WaveLimiterHint : 0
; COMPUTE_PGM_RSRC2:SCRATCH_EN: 0
; COMPUTE_PGM_RSRC2:USER_SGPR: 2
; COMPUTE_PGM_RSRC2:TRAP_HANDLER: 0
; COMPUTE_PGM_RSRC2:TGID_X_EN: 1
; COMPUTE_PGM_RSRC2:TGID_Y_EN: 1
; COMPUTE_PGM_RSRC2:TGID_Z_EN: 1
; COMPUTE_PGM_RSRC2:TIDIG_COMP_CNT: 1
	.section	.text._ZL29rocblas_internal_gemmt_kernelIiLi16ELi32ELi8ELc78ELc67ELc76ELb0ELb1E19rocblas_complex_numIdES1_PKS1_PS1_EviT_T9_T10_S5_lS7_S5_lS6_T11_S5_li,"axG",@progbits,_ZL29rocblas_internal_gemmt_kernelIiLi16ELi32ELi8ELc78ELc67ELc76ELb0ELb1E19rocblas_complex_numIdES1_PKS1_PS1_EviT_T9_T10_S5_lS7_S5_lS6_T11_S5_li,comdat
	.globl	_ZL29rocblas_internal_gemmt_kernelIiLi16ELi32ELi8ELc78ELc67ELc76ELb0ELb1E19rocblas_complex_numIdES1_PKS1_PS1_EviT_T9_T10_S5_lS7_S5_lS6_T11_S5_li ; -- Begin function _ZL29rocblas_internal_gemmt_kernelIiLi16ELi32ELi8ELc78ELc67ELc76ELb0ELb1E19rocblas_complex_numIdES1_PKS1_PS1_EviT_T9_T10_S5_lS7_S5_lS6_T11_S5_li
	.p2align	8
	.type	_ZL29rocblas_internal_gemmt_kernelIiLi16ELi32ELi8ELc78ELc67ELc76ELb0ELb1E19rocblas_complex_numIdES1_PKS1_PS1_EviT_T9_T10_S5_lS7_S5_lS6_T11_S5_li,@function
_ZL29rocblas_internal_gemmt_kernelIiLi16ELi32ELi8ELc78ELc67ELc76ELb0ELb1E19rocblas_complex_numIdES1_PKS1_PS1_EviT_T9_T10_S5_lS7_S5_lS6_T11_S5_li: ; @_ZL29rocblas_internal_gemmt_kernelIiLi16ELi32ELi8ELc78ELc67ELc76ELb0ELb1E19rocblas_complex_numIdES1_PKS1_PS1_EviT_T9_T10_S5_lS7_S5_lS6_T11_S5_li
; %bb.0:
	s_clause 0x2
	s_load_b256 s[8:15], s[0:1], 0x40
	s_load_b64 s[4:5], s[0:1], 0x0
	s_load_b128 s[16:19], s[0:1], 0x8
	s_wait_kmcnt 0x0
	v_cmp_eq_f64_e64 s2, s[10:11], 1.0
	v_cmp_eq_f64_e64 s3, s[12:13], 0
	s_and_b32 s2, s2, s3
	s_delay_alu instid0(SALU_CYCLE_1)
	s_and_not1_b32 vcc_lo, exec_lo, s2
	s_mov_b32 s2, -1
	s_cbranch_vccnz .LBB137_3
; %bb.1:
	s_cmp_lg_u32 s5, 0
	s_cbranch_scc0 .LBB137_36
; %bb.2:
	v_cmp_neq_f64_e64 s2, s[16:17], 0
	v_cmp_neq_f64_e64 s6, s[18:19], 0
	s_or_b32 s2, s2, s6
.LBB137_3:
	s_delay_alu instid0(SALU_CYCLE_1)
	s_and_b32 vcc_lo, exec_lo, s2
	s_cbranch_vccz .LBB137_37
; %bb.4:
	s_load_b32 s27, s[0:1], 0x70
	s_lshr_b32 s6, ttmp7, 16
	s_wait_kmcnt 0x0
	s_cmp_ge_u32 s6, s27
	s_cbranch_scc1 .LBB137_37
; %bb.5:
	v_cmp_neq_f64_e64 s33, s[16:17], 0
	v_cmp_neq_f64_e64 s34, s[18:19], 0
	v_cmp_neq_f64_e64 s35, s[10:11], 0
	s_clause 0x4
	s_load_b96 s[24:26], s[0:1], 0x18
	s_load_b128 s[20:23], s[0:1], 0x28
	s_load_b32 s30, s[0:1], 0x38
	s_load_b32 s38, s[0:1], 0x60
	s_load_b64 s[28:29], s[0:1], 0x68
	v_and_b32_e32 v1, 0x3ff, v0
	v_bfe_u32 v2, v0, 10, 10
	v_and_b32_e32 v37, 7, v0
	s_lshl_b32 s1, ttmp7, 5
	s_lshl_b32 s0, ttmp9, 5
	s_and_b32 s2, s1, 0x1fffe0
	v_lshl_add_u32 v0, v2, 4, v1
	v_lshlrev_b32_e32 v3, 4, v37
	v_lshlrev_b32_e32 v38, 4, v1
	v_add_nc_u32_e32 v5, s0, v1
	v_add_nc_u32_e32 v1, s2, v2
	v_lshl_add_u32 v39, v2, 7, 0x1000
	v_and_b32_e32 v2, 31, v0
	v_lshrrev_b32_e32 v4, 3, v0
	v_lshrrev_b32_e32 v40, 5, v0
	v_cmp_le_i32_e32 vcc_lo, v1, v5
	v_cmp_gt_i32_e64 s1, s4, v5
	v_add_nc_u32_e32 v7, 16, v5
	v_or_b32_e32 v0, s0, v2
	v_lshlrev_b32_e32 v2, 4, v2
	v_lshl_or_b32 v3, v4, 7, v3
	s_wait_kmcnt 0x0
	s_ashr_i32 s37, s26, 31
	s_ashr_i32 s31, s30, 31
	v_mad_co_i64_i32 v[9:10], null, v40, s26, 0
	v_add_nc_u32_e32 v13, s2, v4
	v_lshl_or_b32 v41, v40, 9, v2
	v_add_nc_u32_e32 v42, 0x1000, v3
	v_mad_co_i64_i32 v[2:3], null, v1, s38, 0
	v_add_nc_u32_e32 v4, 16, v1
	v_cmp_gt_i32_e64 s2, s4, v0
	v_lshlrev_b64_e32 v[9:10], 4, v[9:10]
	v_mad_co_i64_i32 v[11:12], null, s30, v37, 0
	s_or_b32 s39, s33, s34
	s_cmp_gt_i32 s5, 0
	s_mov_b32 s36, s26
	s_cselect_b32 s40, -1, 0
	s_xor_b32 s3, s3, -1
	s_and_b32 s34, vcc_lo, s1
	v_cmp_le_i32_e32 vcc_lo, v1, v7
	v_ashrrev_i32_e32 v1, 31, v0
	s_wait_alu 0xfffe
	s_or_b32 s33, s35, s3
	v_cmp_gt_i32_e64 s3, s4, v7
	v_cmp_gt_i32_e64 s0, s4, v13
	v_cmp_le_i32_e64 s4, v4, v7
	v_lshlrev_b64_e32 v[0:1], 4, v[0:1]
	v_mad_co_i64_i32 v[15:16], null, v4, s38, 0
	s_and_b32 s26, vcc_lo, s3
	v_cmp_le_i32_e32 vcc_lo, v4, v5
	v_ashrrev_i32_e32 v6, 31, v5
	v_ashrrev_i32_e32 v8, 31, v7
	s_mov_b32 s7, 0
	s_and_b32 s4, s4, s3
	s_and_b32 s1, vcc_lo, s1
	v_add_co_u32 v4, vcc_lo, v9, v0
	s_delay_alu instid0(VALU_DEP_1) | instskip(SKIP_2) | instid1(VALU_DEP_4)
	v_add_co_ci_u32_e64 v10, null, v10, v1, vcc_lo
	v_lshlrev_b64_e32 v[0:1], 4, v[11:12]
	v_lshlrev_b32_e32 v11, 4, v13
	v_add_co_u32 v9, vcc_lo, s24, v4
	s_wait_alu 0xfffd
	v_add_co_ci_u32_e64 v10, null, s25, v10, vcc_lo
	s_delay_alu instid0(VALU_DEP_3) | instskip(SKIP_3) | instid1(VALU_DEP_3)
	v_add_co_u32 v0, vcc_lo, v0, v11
	s_wait_alu 0xfffd
	v_add_co_ci_u32_e64 v1, null, 0, v1, vcc_lo
	v_lshlrev_b64_e32 v[13:14], 4, v[2:3]
	v_add_co_u32 v0, vcc_lo, s22, v0
	s_wait_alu 0xfffd
	s_delay_alu instid0(VALU_DEP_3) | instskip(SKIP_1) | instid1(VALU_DEP_3)
	v_add_co_ci_u32_e64 v1, null, s23, v1, vcc_lo
	v_lshlrev_b64_e32 v[15:16], 4, v[15:16]
	v_add_co_u32 v11, vcc_lo, v0, 8
	s_wait_alu 0xfffd
	s_delay_alu instid0(VALU_DEP_3)
	v_add_co_ci_u32_e64 v12, null, 0, v1, vcc_lo
	v_mov_b32_e32 v0, 0
	s_lshl_b64 s[20:21], s[20:21], 4
	s_lshl_b64 s[22:23], s[36:37], 7
	s_and_b32 s35, s39, s40
	s_lshl_b64 s[8:9], s[8:9], 4
	s_lshl_b64 s[24:25], s[30:31], 7
	s_xor_b32 s30, s2, -1
	s_branch .LBB137_7
.LBB137_6:                              ;   in Loop: Header=BB137_7 Depth=1
	s_wait_alu 0xfffe
	s_or_b32 exec_lo, exec_lo, s2
	s_add_co_i32 s6, s6, 0x10000
	s_wait_alu 0xfffe
	s_cmp_lt_u32 s6, s27
	s_cbranch_scc0 .LBB137_37
.LBB137_7:                              ; =>This Loop Header: Depth=1
                                        ;     Child Loop BB137_10 Depth 2
	v_mov_b32_e32 v33, 0
	v_mov_b32_e32 v29, 0
	;; [unrolled: 1-line block ×3, first 2 shown]
	v_dual_mov_b32 v23, 0 :: v_dual_mov_b32 v34, 0
	v_dual_mov_b32 v35, 0 :: v_dual_mov_b32 v30, 0
	;; [unrolled: 1-line block ×5, first 2 shown]
	v_mov_b32_e32 v32, 0
	v_mov_b32_e32 v28, 0
	;; [unrolled: 1-line block ×3, first 2 shown]
	s_and_not1_b32 vcc_lo, exec_lo, s35
	s_wait_alu 0xfffe
	s_cbranch_vccnz .LBB137_16
; %bb.8:                                ;   in Loop: Header=BB137_7 Depth=1
	v_mad_co_u64_u32 v[17:18], null, s20, s6, v[9:10]
	v_mad_co_u64_u32 v[19:20], null, s8, s6, v[11:12]
	v_mov_b32_e32 v21, 0
	v_mov_b32_e32 v23, 0
	;; [unrolled: 1-line block ×4, first 2 shown]
	v_dual_mov_b32 v1, v18 :: v_dual_mov_b32 v22, 0
	v_mov_b32_e32 v2, v20
	v_dual_mov_b32 v24, 0 :: v_dual_mov_b32 v27, 0
	v_dual_mov_b32 v26, 0 :: v_dual_mov_b32 v31, 0
	s_delay_alu instid0(VALU_DEP_3)
	v_mad_co_u64_u32 v[3:4], null, s21, s6, v[1:2]
	v_dual_mov_b32 v30, 0 :: v_dual_mov_b32 v35, 0
	v_dual_mov_b32 v33, 0 :: v_dual_mov_b32 v28, 0
	v_mov_b32_e32 v32, 0
	v_mov_b32_e32 v36, 0
	v_mad_co_u64_u32 v[1:2], null, s9, s6, v[2:3]
	v_mov_b32_e32 v34, 0
	v_mov_b32_e32 v18, v3
	s_mov_b32 s2, 0
	s_delay_alu instid0(VALU_DEP_3)
	v_mov_b32_e32 v20, v1
	s_branch .LBB137_10
.LBB137_9:                              ;   in Loop: Header=BB137_10 Depth=2
	s_wait_alu 0xfffe
	s_or_b32 exec_lo, exec_lo, s3
	ds_store_b128 v42, v[1:4]
	s_wait_dscnt 0x0
	s_barrier_signal -1
	s_barrier_wait -1
	global_inv scope:SCOPE_SE
	ds_load_b128 v[1:4], v39
	ds_load_b128 v[43:46], v38
	ds_load_b128 v[47:50], v38 offset:256
	ds_load_b128 v[51:54], v39 offset:2048
	;; [unrolled: 1-line block ×10, first 2 shown]
	v_add_co_u32 v17, vcc_lo, v17, s22
	s_wait_alu 0xfffd
	v_add_co_ci_u32_e64 v18, null, s23, v18, vcc_lo
	v_add_co_u32 v19, vcc_lo, v19, s24
	s_wait_alu 0xfffd
	v_add_co_ci_u32_e64 v20, null, s25, v20, vcc_lo
	s_add_co_i32 s2, s2, 8
	s_wait_alu 0xfffe
	s_cmp_lt_i32 s2, s5
	s_wait_dscnt 0xa
	v_mul_f64_e32 v[87:88], v[3:4], v[45:46]
	v_mul_f64_e32 v[89:90], v[1:2], v[45:46]
	s_wait_dscnt 0x9
	v_mul_f64_e32 v[91:92], v[3:4], v[49:50]
	v_mul_f64_e32 v[93:94], v[1:2], v[49:50]
	;; [unrolled: 3-line block ×3, first 2 shown]
	v_mul_f64_e32 v[97:98], v[53:54], v[49:50]
	v_mul_f64_e32 v[49:50], v[51:52], v[49:50]
	s_wait_dscnt 0x5
	v_mul_f64_e32 v[99:100], v[57:58], v[65:66]
	v_mul_f64_e32 v[101:102], v[55:56], v[65:66]
	s_wait_dscnt 0x4
	v_mul_f64_e32 v[103:104], v[57:58], v[69:70]
	v_mul_f64_e32 v[105:106], v[55:56], v[69:70]
	;; [unrolled: 1-line block ×6, first 2 shown]
	s_wait_dscnt 0x2
	v_mul_f64_e32 v[115:116], v[73:74], v[77:78]
	v_mul_f64_e32 v[117:118], v[71:72], v[77:78]
	s_wait_dscnt 0x1
	v_mul_f64_e32 v[119:120], v[73:74], v[81:82]
	v_mul_f64_e32 v[121:122], v[71:72], v[81:82]
	;; [unrolled: 3-line block ×3, first 2 shown]
	v_mul_f64_e32 v[125:126], v[85:86], v[81:82]
	v_mul_f64_e32 v[81:82], v[83:84], v[81:82]
	v_fma_f64 v[87:88], v[1:2], v[43:44], -v[87:88]
	v_fma_f64 v[89:90], v[3:4], v[43:44], v[89:90]
	v_fma_f64 v[91:92], v[1:2], v[47:48], -v[91:92]
	v_fma_f64 v[93:94], v[3:4], v[47:48], v[93:94]
	;; [unrolled: 2-line block ×8, first 2 shown]
	ds_load_b128 v[1:4], v39 offset:48
	ds_load_b128 v[43:46], v39 offset:2096
	;; [unrolled: 1-line block ×4, first 2 shown]
	v_fma_f64 v[115:116], v[71:72], v[75:76], -v[115:116]
	v_fma_f64 v[117:118], v[73:74], v[75:76], v[117:118]
	v_fma_f64 v[71:72], v[71:72], v[79:80], -v[119:120]
	v_fma_f64 v[73:74], v[73:74], v[79:80], v[121:122]
	;; [unrolled: 2-line block ×4, first 2 shown]
	s_wait_dscnt 0x1
	v_mul_f64_e32 v[105:106], v[1:2], v[49:50]
	s_wait_dscnt 0x0
	v_mul_f64_e32 v[107:108], v[3:4], v[53:54]
	v_mul_f64_e32 v[109:110], v[1:2], v[53:54]
	v_add_f64_e32 v[65:66], v[33:34], v[87:88]
	v_add_f64_e32 v[67:68], v[89:90], v[35:36]
	;; [unrolled: 1-line block ×8, first 2 shown]
	v_mul_f64_e32 v[97:98], v[3:4], v[49:50]
	v_mul_f64_e32 v[111:112], v[45:46], v[49:50]
	;; [unrolled: 1-line block ×5, first 2 shown]
	ds_load_b128 v[21:24], v39 offset:64
	ds_load_b128 v[25:28], v38 offset:2048
	;; [unrolled: 1-line block ×4, first 2 shown]
	s_wait_dscnt 0x0
	v_mul_f64_e32 v[121:122], v[35:36], v[27:28]
	v_mul_f64_e32 v[123:124], v[35:36], v[31:32]
	v_fma_f64 v[105:106], v[3:4], v[47:48], v[105:106]
	v_fma_f64 v[107:108], v[1:2], v[51:52], -v[107:108]
	v_fma_f64 v[109:110], v[3:4], v[51:52], v[109:110]
	v_add_f64_e32 v[81:82], v[65:66], v[99:100]
	v_add_f64_e32 v[83:84], v[101:102], v[67:68]
	v_add_f64_e32 v[69:70], v[69:70], v[55:56]
	v_add_f64_e32 v[85:86], v[57:58], v[87:88]
	v_add_f64_e32 v[87:88], v[89:90], v[103:104]
	v_add_f64_e32 v[89:90], v[63:64], v[91:92]
	v_add_f64_e32 v[91:92], v[93:94], v[59:60]
	v_add_f64_e32 v[93:94], v[61:62], v[95:96]
	v_mul_f64_e32 v[95:96], v[23:24], v[27:28]
	v_mul_f64_e32 v[99:100], v[21:22], v[27:28]
	;; [unrolled: 1-line block ×6, first 2 shown]
	v_fma_f64 v[97:98], v[1:2], v[47:48], -v[97:98]
	v_fma_f64 v[111:112], v[43:44], v[47:48], -v[111:112]
	v_fma_f64 v[125:126], v[45:46], v[47:48], v[49:50]
	v_fma_f64 v[113:114], v[43:44], v[51:52], -v[113:114]
	v_fma_f64 v[51:52], v[45:46], v[51:52], v[127:128]
	ds_load_b128 v[53:56], v39 offset:80
	ds_load_b128 v[57:60], v39 offset:2128
	;; [unrolled: 1-line block ×4, first 2 shown]
	v_fma_f64 v[121:122], v[33:34], v[25:26], -v[121:122]
	v_fma_f64 v[123:124], v[33:34], v[29:30], -v[123:124]
	v_add_f64_e32 v[81:82], v[81:82], v[115:116]
	v_add_f64_e32 v[83:84], v[117:118], v[83:84]
	v_add_f64_e32 v[115:116], v[69:70], v[71:72]
	v_add_f64_e32 v[73:74], v[73:74], v[85:86]
	v_add_f64_e32 v[85:86], v[87:88], v[119:120]
	v_add_f64_e32 v[75:76], v[75:76], v[89:90]
	v_add_f64_e32 v[77:78], v[91:92], v[77:78]
	v_add_f64_e32 v[79:80], v[79:80], v[93:94]
	s_wait_dscnt 0x1
	v_mul_f64_e32 v[87:88], v[55:56], v[63:64]
	v_mul_f64_e32 v[89:90], v[53:54], v[63:64]
	s_wait_dscnt 0x0
	v_mul_f64_e32 v[91:92], v[55:56], v[67:68]
	v_mul_f64_e32 v[93:94], v[53:54], v[67:68]
	v_mul_f64_e32 v[117:118], v[59:60], v[63:64]
	v_mul_f64_e32 v[63:64], v[57:58], v[63:64]
	v_mul_f64_e32 v[119:120], v[59:60], v[67:68]
	v_mul_f64_e32 v[67:68], v[57:58], v[67:68]
	v_fma_f64 v[95:96], v[21:22], v[25:26], -v[95:96]
	v_fma_f64 v[99:100], v[23:24], v[25:26], v[99:100]
	v_fma_f64 v[101:102], v[21:22], v[29:30], -v[101:102]
	v_fma_f64 v[103:104], v[23:24], v[29:30], v[103:104]
	v_fma_f64 v[127:128], v[35:36], v[25:26], v[27:28]
	;; [unrolled: 1-line block ×3, first 2 shown]
	ds_load_b128 v[1:4], v39 offset:96
	ds_load_b128 v[43:46], v38 offset:3072
	;; [unrolled: 1-line block ×8, first 2 shown]
	s_wait_loadcnt_dscnt 0x0
	s_barrier_signal -1
	s_barrier_wait -1
	global_inv scope:SCOPE_SE
	v_add_f64_e32 v[81:82], v[81:82], v[97:98]
	v_add_f64_e32 v[83:84], v[105:106], v[83:84]
	;; [unrolled: 1-line block ×8, first 2 shown]
	v_mul_f64_e32 v[79:80], v[3:4], v[45:46]
	v_mul_f64_e32 v[105:106], v[1:2], v[45:46]
	;; [unrolled: 1-line block ×8, first 2 shown]
	v_fma_f64 v[87:88], v[53:54], v[61:62], -v[87:88]
	v_fma_f64 v[89:90], v[55:56], v[61:62], v[89:90]
	v_fma_f64 v[53:54], v[53:54], v[65:66], -v[91:92]
	v_fma_f64 v[55:56], v[55:56], v[65:66], v[93:94]
	;; [unrolled: 2-line block ×4, first 2 shown]
	v_mul_f64_e32 v[93:94], v[23:24], v[35:36]
	v_add_f64_e32 v[63:64], v[81:82], v[95:96]
	v_add_f64_e32 v[65:66], v[99:100], v[83:84]
	;; [unrolled: 1-line block ×8, first 2 shown]
	v_mul_f64_e32 v[83:84], v[23:24], v[31:32]
	v_mul_f64_e32 v[85:86], v[21:22], v[31:32]
	;; [unrolled: 1-line block ×7, first 2 shown]
	v_fma_f64 v[79:80], v[1:2], v[43:44], -v[79:80]
	v_fma_f64 v[101:102], v[3:4], v[43:44], v[105:106]
	v_fma_f64 v[1:2], v[1:2], v[47:48], -v[107:108]
	v_fma_f64 v[3:4], v[3:4], v[47:48], v[109:110]
	;; [unrolled: 2-line block ×4, first 2 shown]
	v_add_f64_e32 v[49:50], v[63:64], v[87:88]
	v_add_f64_e32 v[63:64], v[89:90], v[65:66]
	v_add_f64_e32 v[53:54], v[67:68], v[53:54]
	v_add_f64_e32 v[55:56], v[55:56], v[73:74]
	v_add_f64_e32 v[65:66], v[81:82], v[91:92]
	v_add_f64_e32 v[61:62], v[61:62], v[75:76]
	v_add_f64_e32 v[57:58], v[77:78], v[57:58]
	v_add_f64_e32 v[51:52], v[59:60], v[51:52]
	v_fma_f64 v[59:60], v[21:22], v[29:30], -v[83:84]
	v_fma_f64 v[67:68], v[23:24], v[29:30], v[85:86]
	v_fma_f64 v[21:22], v[21:22], v[33:34], -v[93:94]
	v_fma_f64 v[23:24], v[23:24], v[33:34], v[95:96]
	;; [unrolled: 2-line block ×4, first 2 shown]
	v_add_f64_e32 v[25:26], v[49:50], v[79:80]
	v_add_f64_e32 v[27:28], v[101:102], v[63:64]
	;; [unrolled: 1-line block ×16, first 2 shown]
	s_cbranch_scc0 .LBB137_16
.LBB137_10:                             ;   Parent Loop BB137_7 Depth=1
                                        ; =>  This Inner Loop Header: Depth=2
	s_wait_alu 0xfffe
	v_add_nc_u32_e32 v1, s2, v40
	s_delay_alu instid0(VALU_DEP_1)
	v_cmp_le_i32_e32 vcc_lo, s5, v1
	s_or_b32 s3, s30, vcc_lo
	s_wait_alu 0xfffe
	s_and_saveexec_b32 s31, s3
	s_wait_alu 0xfffe
	s_xor_b32 s3, exec_lo, s31
; %bb.11:                               ;   in Loop: Header=BB137_10 Depth=2
	v_dual_mov_b32 v1, v0 :: v_dual_mov_b32 v2, v0
	v_mov_b32_e32 v3, v0
	ds_store_b128 v41, v[0:3]
; %bb.12:                               ;   in Loop: Header=BB137_10 Depth=2
	s_wait_alu 0xfffe
	s_and_not1_saveexec_b32 s3, s3
	s_cbranch_execz .LBB137_14
; %bb.13:                               ;   in Loop: Header=BB137_10 Depth=2
	global_load_b128 v[1:4], v[17:18], off
	s_wait_loadcnt 0x0
	ds_store_2addr_b64 v41, v[1:2], v[3:4] offset1:1
.LBB137_14:                             ;   in Loop: Header=BB137_10 Depth=2
	s_wait_alu 0xfffe
	s_or_b32 exec_lo, exec_lo, s3
	v_add_nc_u32_e32 v1, s2, v37
	v_mov_b32_e32 v3, 0
	v_mov_b32_e32 v4, 0
	s_delay_alu instid0(VALU_DEP_3)
	v_cmp_gt_i32_e32 vcc_lo, s5, v1
	v_mov_b32_e32 v1, 0
	v_mov_b32_e32 v2, 0
	s_and_b32 s31, vcc_lo, s0
	s_wait_alu 0xfffe
	s_and_saveexec_b32 s3, s31
	s_cbranch_execz .LBB137_9
; %bb.15:                               ;   in Loop: Header=BB137_10 Depth=2
	global_load_b128 v[1:4], v[19:20], off offset:-8
	s_wait_loadcnt 0x0
	v_xor_b32_e32 v4, 0x80000000, v4
	s_branch .LBB137_9
.LBB137_16:                             ;   in Loop: Header=BB137_7 Depth=1
	s_mul_u64 s[2:3], s[28:29], s[6:7]
	s_wait_alu 0xfffe
	s_lshl_b64 s[2:3], s[2:3], 4
	s_wait_alu 0xfffe
	s_add_nc_u64 s[2:3], s[14:15], s[2:3]
	s_wait_alu 0xfffe
	v_add_co_u32 v17, vcc_lo, s2, v13
	s_wait_alu 0xfffd
	v_add_co_ci_u32_e64 v18, null, s3, v14, vcc_lo
	s_and_saveexec_b32 s31, s34
	s_cbranch_execz .LBB137_21
; %bb.17:                               ;   in Loop: Header=BB137_7 Depth=1
	v_mul_f64_e32 v[1:2], s[18:19], v[35:36]
	v_mul_f64_e32 v[3:4], s[16:17], v[35:36]
	s_and_b32 vcc_lo, exec_lo, s33
	s_mov_b32 s36, -1
	s_delay_alu instid0(VALU_DEP_2) | instskip(NEXT) | instid1(VALU_DEP_2)
	v_fma_f64 v[1:2], s[16:17], v[33:34], -v[1:2]
	v_fma_f64 v[3:4], s[18:19], v[33:34], v[3:4]
	s_wait_alu 0xfffe
	s_cbranch_vccz .LBB137_19
; %bb.18:                               ;   in Loop: Header=BB137_7 Depth=1
	v_lshlrev_b64_e32 v[19:20], 4, v[5:6]
	s_mov_b32 s36, 0
	s_delay_alu instid0(VALU_DEP_1) | instskip(SKIP_1) | instid1(VALU_DEP_2)
	v_add_co_u32 v19, vcc_lo, v17, v19
	s_wait_alu 0xfffd
	v_add_co_ci_u32_e64 v20, null, v18, v20, vcc_lo
	global_load_b128 v[33:36], v[19:20], off
	s_wait_loadcnt 0x0
	v_mul_f64_e32 v[43:44], s[12:13], v[35:36]
	v_mul_f64_e32 v[35:36], s[10:11], v[35:36]
	s_delay_alu instid0(VALU_DEP_2) | instskip(NEXT) | instid1(VALU_DEP_2)
	v_fma_f64 v[43:44], s[10:11], v[33:34], -v[43:44]
	v_fma_f64 v[35:36], s[12:13], v[33:34], v[35:36]
	s_delay_alu instid0(VALU_DEP_2) | instskip(NEXT) | instid1(VALU_DEP_2)
	v_add_f64_e32 v[33:34], v[1:2], v[43:44]
	v_add_f64_e32 v[35:36], v[3:4], v[35:36]
	global_store_b128 v[19:20], v[33:36], off
.LBB137_19:                             ;   in Loop: Header=BB137_7 Depth=1
	s_and_not1_b32 vcc_lo, exec_lo, s36
	s_wait_alu 0xfffe
	s_cbranch_vccnz .LBB137_21
; %bb.20:                               ;   in Loop: Header=BB137_7 Depth=1
	v_lshlrev_b64_e32 v[19:20], 4, v[5:6]
	s_delay_alu instid0(VALU_DEP_1) | instskip(SKIP_1) | instid1(VALU_DEP_2)
	v_add_co_u32 v19, vcc_lo, v17, v19
	s_wait_alu 0xfffd
	v_add_co_ci_u32_e64 v20, null, v18, v20, vcc_lo
	global_store_b128 v[19:20], v[1:4], off
.LBB137_21:                             ;   in Loop: Header=BB137_7 Depth=1
	s_wait_alu 0xfffe
	s_or_b32 exec_lo, exec_lo, s31
	s_and_saveexec_b32 s31, s26
	s_cbranch_execz .LBB137_26
; %bb.22:                               ;   in Loop: Header=BB137_7 Depth=1
	v_mul_f64_e32 v[1:2], s[18:19], v[31:32]
	v_mul_f64_e32 v[3:4], s[16:17], v[31:32]
	s_and_not1_b32 vcc_lo, exec_lo, s33
	s_mov_b32 s36, -1
	s_delay_alu instid0(VALU_DEP_2) | instskip(NEXT) | instid1(VALU_DEP_2)
	v_fma_f64 v[1:2], s[16:17], v[29:30], -v[1:2]
	v_fma_f64 v[3:4], s[18:19], v[29:30], v[3:4]
	s_wait_alu 0xfffe
	s_cbranch_vccnz .LBB137_24
; %bb.23:                               ;   in Loop: Header=BB137_7 Depth=1
	v_lshlrev_b64_e32 v[19:20], 4, v[7:8]
	s_mov_b32 s36, 0
	s_delay_alu instid0(VALU_DEP_1) | instskip(SKIP_1) | instid1(VALU_DEP_2)
	v_add_co_u32 v19, vcc_lo, v17, v19
	s_wait_alu 0xfffd
	v_add_co_ci_u32_e64 v20, null, v18, v20, vcc_lo
	global_load_b128 v[29:32], v[19:20], off
	s_wait_loadcnt 0x0
	v_mul_f64_e32 v[33:34], s[12:13], v[31:32]
	v_mul_f64_e32 v[31:32], s[10:11], v[31:32]
	s_delay_alu instid0(VALU_DEP_2) | instskip(NEXT) | instid1(VALU_DEP_2)
	v_fma_f64 v[33:34], s[10:11], v[29:30], -v[33:34]
	v_fma_f64 v[31:32], s[12:13], v[29:30], v[31:32]
	s_delay_alu instid0(VALU_DEP_2) | instskip(NEXT) | instid1(VALU_DEP_2)
	v_add_f64_e32 v[29:30], v[1:2], v[33:34]
	v_add_f64_e32 v[31:32], v[3:4], v[31:32]
	global_store_b128 v[19:20], v[29:32], off
.LBB137_24:                             ;   in Loop: Header=BB137_7 Depth=1
	s_and_not1_b32 vcc_lo, exec_lo, s36
	s_wait_alu 0xfffe
	s_cbranch_vccnz .LBB137_26
; %bb.25:                               ;   in Loop: Header=BB137_7 Depth=1
	v_lshlrev_b64_e32 v[19:20], 4, v[7:8]
	s_delay_alu instid0(VALU_DEP_1) | instskip(SKIP_1) | instid1(VALU_DEP_2)
	v_add_co_u32 v17, vcc_lo, v17, v19
	s_wait_alu 0xfffd
	v_add_co_ci_u32_e64 v18, null, v18, v20, vcc_lo
	global_store_b128 v[17:18], v[1:4], off
.LBB137_26:                             ;   in Loop: Header=BB137_7 Depth=1
	s_wait_alu 0xfffe
	s_or_b32 exec_lo, exec_lo, s31
	v_add_co_u32 v19, vcc_lo, s2, v15
	s_wait_alu 0xfffd
	v_add_co_ci_u32_e64 v20, null, s3, v16, vcc_lo
	s_and_saveexec_b32 s2, s1
	s_cbranch_execz .LBB137_31
; %bb.27:                               ;   in Loop: Header=BB137_7 Depth=1
	v_mul_f64_e32 v[1:2], s[18:19], v[27:28]
	v_mul_f64_e32 v[3:4], s[16:17], v[27:28]
	v_lshlrev_b64_e32 v[17:18], 4, v[5:6]
	s_and_not1_b32 vcc_lo, exec_lo, s33
	s_mov_b32 s3, -1
	s_delay_alu instid0(VALU_DEP_3) | instskip(NEXT) | instid1(VALU_DEP_3)
	v_fma_f64 v[1:2], s[16:17], v[25:26], -v[1:2]
	v_fma_f64 v[3:4], s[18:19], v[25:26], v[3:4]
	s_wait_alu 0xfffe
	s_cbranch_vccnz .LBB137_29
; %bb.28:                               ;   in Loop: Header=BB137_7 Depth=1
	v_add_co_u32 v29, vcc_lo, v19, v17
	s_wait_alu 0xfffd
	v_add_co_ci_u32_e64 v30, null, v20, v18, vcc_lo
	s_mov_b32 s3, 0
	global_load_b128 v[25:28], v[29:30], off
	s_wait_loadcnt 0x0
	v_mul_f64_e32 v[31:32], s[12:13], v[27:28]
	v_mul_f64_e32 v[27:28], s[10:11], v[27:28]
	s_delay_alu instid0(VALU_DEP_2) | instskip(NEXT) | instid1(VALU_DEP_2)
	v_fma_f64 v[31:32], s[10:11], v[25:26], -v[31:32]
	v_fma_f64 v[27:28], s[12:13], v[25:26], v[27:28]
	s_delay_alu instid0(VALU_DEP_2) | instskip(NEXT) | instid1(VALU_DEP_2)
	v_add_f64_e32 v[25:26], v[1:2], v[31:32]
	v_add_f64_e32 v[27:28], v[3:4], v[27:28]
	global_store_b128 v[29:30], v[25:28], off
.LBB137_29:                             ;   in Loop: Header=BB137_7 Depth=1
	s_wait_alu 0xfffe
	s_and_not1_b32 vcc_lo, exec_lo, s3
	s_wait_alu 0xfffe
	s_cbranch_vccnz .LBB137_31
; %bb.30:                               ;   in Loop: Header=BB137_7 Depth=1
	v_add_co_u32 v17, vcc_lo, v19, v17
	s_wait_alu 0xfffd
	v_add_co_ci_u32_e64 v18, null, v20, v18, vcc_lo
	global_store_b128 v[17:18], v[1:4], off
.LBB137_31:                             ;   in Loop: Header=BB137_7 Depth=1
	s_wait_alu 0xfffe
	s_or_b32 exec_lo, exec_lo, s2
	s_and_saveexec_b32 s2, s4
	s_cbranch_execz .LBB137_6
; %bb.32:                               ;   in Loop: Header=BB137_7 Depth=1
	v_mul_f64_e32 v[1:2], s[18:19], v[21:22]
	v_mul_f64_e32 v[3:4], s[16:17], v[21:22]
	v_lshlrev_b64_e32 v[17:18], 4, v[7:8]
	s_and_not1_b32 vcc_lo, exec_lo, s33
	s_mov_b32 s3, -1
	s_delay_alu instid0(VALU_DEP_3) | instskip(NEXT) | instid1(VALU_DEP_3)
	v_fma_f64 v[1:2], s[16:17], v[23:24], -v[1:2]
	v_fma_f64 v[3:4], s[18:19], v[23:24], v[3:4]
	s_wait_alu 0xfffe
	s_cbranch_vccnz .LBB137_34
; %bb.33:                               ;   in Loop: Header=BB137_7 Depth=1
	v_add_co_u32 v25, vcc_lo, v19, v17
	s_wait_alu 0xfffd
	v_add_co_ci_u32_e64 v26, null, v20, v18, vcc_lo
	s_mov_b32 s3, 0
	global_load_b128 v[21:24], v[25:26], off
	s_wait_loadcnt 0x0
	v_mul_f64_e32 v[27:28], s[12:13], v[23:24]
	v_mul_f64_e32 v[23:24], s[10:11], v[23:24]
	s_delay_alu instid0(VALU_DEP_2) | instskip(NEXT) | instid1(VALU_DEP_2)
	v_fma_f64 v[27:28], s[10:11], v[21:22], -v[27:28]
	v_fma_f64 v[23:24], s[12:13], v[21:22], v[23:24]
	s_delay_alu instid0(VALU_DEP_2) | instskip(NEXT) | instid1(VALU_DEP_2)
	v_add_f64_e32 v[21:22], v[1:2], v[27:28]
	v_add_f64_e32 v[23:24], v[3:4], v[23:24]
	global_store_b128 v[25:26], v[21:24], off
.LBB137_34:                             ;   in Loop: Header=BB137_7 Depth=1
	s_wait_alu 0xfffe
	s_and_not1_b32 vcc_lo, exec_lo, s3
	s_wait_alu 0xfffe
	s_cbranch_vccnz .LBB137_6
; %bb.35:                               ;   in Loop: Header=BB137_7 Depth=1
	v_add_co_u32 v17, vcc_lo, v19, v17
	s_wait_alu 0xfffd
	v_add_co_ci_u32_e64 v18, null, v20, v18, vcc_lo
	global_store_b128 v[17:18], v[1:4], off
	s_branch .LBB137_6
.LBB137_36:
.LBB137_37:
	s_nop 0
	s_sendmsg sendmsg(MSG_DEALLOC_VGPRS)
	s_endpgm
	.section	.rodata,"a",@progbits
	.p2align	6, 0x0
	.amdhsa_kernel _ZL29rocblas_internal_gemmt_kernelIiLi16ELi32ELi8ELc78ELc67ELc76ELb0ELb1E19rocblas_complex_numIdES1_PKS1_PS1_EviT_T9_T10_S5_lS7_S5_lS6_T11_S5_li
		.amdhsa_group_segment_fixed_size 8192
		.amdhsa_private_segment_fixed_size 0
		.amdhsa_kernarg_size 116
		.amdhsa_user_sgpr_count 2
		.amdhsa_user_sgpr_dispatch_ptr 0
		.amdhsa_user_sgpr_queue_ptr 0
		.amdhsa_user_sgpr_kernarg_segment_ptr 1
		.amdhsa_user_sgpr_dispatch_id 0
		.amdhsa_user_sgpr_private_segment_size 0
		.amdhsa_wavefront_size32 1
		.amdhsa_uses_dynamic_stack 0
		.amdhsa_enable_private_segment 0
		.amdhsa_system_sgpr_workgroup_id_x 1
		.amdhsa_system_sgpr_workgroup_id_y 1
		.amdhsa_system_sgpr_workgroup_id_z 1
		.amdhsa_system_sgpr_workgroup_info 0
		.amdhsa_system_vgpr_workitem_id 1
		.amdhsa_next_free_vgpr 131
		.amdhsa_next_free_sgpr 41
		.amdhsa_reserve_vcc 1
		.amdhsa_float_round_mode_32 0
		.amdhsa_float_round_mode_16_64 0
		.amdhsa_float_denorm_mode_32 3
		.amdhsa_float_denorm_mode_16_64 3
		.amdhsa_fp16_overflow 0
		.amdhsa_workgroup_processor_mode 1
		.amdhsa_memory_ordered 1
		.amdhsa_forward_progress 1
		.amdhsa_inst_pref_size 27
		.amdhsa_round_robin_scheduling 0
		.amdhsa_exception_fp_ieee_invalid_op 0
		.amdhsa_exception_fp_denorm_src 0
		.amdhsa_exception_fp_ieee_div_zero 0
		.amdhsa_exception_fp_ieee_overflow 0
		.amdhsa_exception_fp_ieee_underflow 0
		.amdhsa_exception_fp_ieee_inexact 0
		.amdhsa_exception_int_div_zero 0
	.end_amdhsa_kernel
	.section	.text._ZL29rocblas_internal_gemmt_kernelIiLi16ELi32ELi8ELc78ELc67ELc76ELb0ELb1E19rocblas_complex_numIdES1_PKS1_PS1_EviT_T9_T10_S5_lS7_S5_lS6_T11_S5_li,"axG",@progbits,_ZL29rocblas_internal_gemmt_kernelIiLi16ELi32ELi8ELc78ELc67ELc76ELb0ELb1E19rocblas_complex_numIdES1_PKS1_PS1_EviT_T9_T10_S5_lS7_S5_lS6_T11_S5_li,comdat
.Lfunc_end137:
	.size	_ZL29rocblas_internal_gemmt_kernelIiLi16ELi32ELi8ELc78ELc67ELc76ELb0ELb1E19rocblas_complex_numIdES1_PKS1_PS1_EviT_T9_T10_S5_lS7_S5_lS6_T11_S5_li, .Lfunc_end137-_ZL29rocblas_internal_gemmt_kernelIiLi16ELi32ELi8ELc78ELc67ELc76ELb0ELb1E19rocblas_complex_numIdES1_PKS1_PS1_EviT_T9_T10_S5_lS7_S5_lS6_T11_S5_li
                                        ; -- End function
	.set _ZL29rocblas_internal_gemmt_kernelIiLi16ELi32ELi8ELc78ELc67ELc76ELb0ELb1E19rocblas_complex_numIdES1_PKS1_PS1_EviT_T9_T10_S5_lS7_S5_lS6_T11_S5_li.num_vgpr, 131
	.set _ZL29rocblas_internal_gemmt_kernelIiLi16ELi32ELi8ELc78ELc67ELc76ELb0ELb1E19rocblas_complex_numIdES1_PKS1_PS1_EviT_T9_T10_S5_lS7_S5_lS6_T11_S5_li.num_agpr, 0
	.set _ZL29rocblas_internal_gemmt_kernelIiLi16ELi32ELi8ELc78ELc67ELc76ELb0ELb1E19rocblas_complex_numIdES1_PKS1_PS1_EviT_T9_T10_S5_lS7_S5_lS6_T11_S5_li.numbered_sgpr, 41
	.set _ZL29rocblas_internal_gemmt_kernelIiLi16ELi32ELi8ELc78ELc67ELc76ELb0ELb1E19rocblas_complex_numIdES1_PKS1_PS1_EviT_T9_T10_S5_lS7_S5_lS6_T11_S5_li.num_named_barrier, 0
	.set _ZL29rocblas_internal_gemmt_kernelIiLi16ELi32ELi8ELc78ELc67ELc76ELb0ELb1E19rocblas_complex_numIdES1_PKS1_PS1_EviT_T9_T10_S5_lS7_S5_lS6_T11_S5_li.private_seg_size, 0
	.set _ZL29rocblas_internal_gemmt_kernelIiLi16ELi32ELi8ELc78ELc67ELc76ELb0ELb1E19rocblas_complex_numIdES1_PKS1_PS1_EviT_T9_T10_S5_lS7_S5_lS6_T11_S5_li.uses_vcc, 1
	.set _ZL29rocblas_internal_gemmt_kernelIiLi16ELi32ELi8ELc78ELc67ELc76ELb0ELb1E19rocblas_complex_numIdES1_PKS1_PS1_EviT_T9_T10_S5_lS7_S5_lS6_T11_S5_li.uses_flat_scratch, 0
	.set _ZL29rocblas_internal_gemmt_kernelIiLi16ELi32ELi8ELc78ELc67ELc76ELb0ELb1E19rocblas_complex_numIdES1_PKS1_PS1_EviT_T9_T10_S5_lS7_S5_lS6_T11_S5_li.has_dyn_sized_stack, 0
	.set _ZL29rocblas_internal_gemmt_kernelIiLi16ELi32ELi8ELc78ELc67ELc76ELb0ELb1E19rocblas_complex_numIdES1_PKS1_PS1_EviT_T9_T10_S5_lS7_S5_lS6_T11_S5_li.has_recursion, 0
	.set _ZL29rocblas_internal_gemmt_kernelIiLi16ELi32ELi8ELc78ELc67ELc76ELb0ELb1E19rocblas_complex_numIdES1_PKS1_PS1_EviT_T9_T10_S5_lS7_S5_lS6_T11_S5_li.has_indirect_call, 0
	.section	.AMDGPU.csdata,"",@progbits
; Kernel info:
; codeLenInByte = 3412
; TotalNumSgprs: 43
; NumVgprs: 131
; ScratchSize: 0
; MemoryBound: 1
; FloatMode: 240
; IeeeMode: 1
; LDSByteSize: 8192 bytes/workgroup (compile time only)
; SGPRBlocks: 0
; VGPRBlocks: 16
; NumSGPRsForWavesPerEU: 43
; NumVGPRsForWavesPerEU: 131
; Occupancy: 10
; WaveLimiterHint : 0
; COMPUTE_PGM_RSRC2:SCRATCH_EN: 0
; COMPUTE_PGM_RSRC2:USER_SGPR: 2
; COMPUTE_PGM_RSRC2:TRAP_HANDLER: 0
; COMPUTE_PGM_RSRC2:TGID_X_EN: 1
; COMPUTE_PGM_RSRC2:TGID_Y_EN: 1
; COMPUTE_PGM_RSRC2:TGID_Z_EN: 1
; COMPUTE_PGM_RSRC2:TIDIG_COMP_CNT: 1
	.section	.text._ZL29rocblas_internal_gemmt_kernelIiLi16ELi32ELi8ELc84ELc78ELc76ELb0ELb0E19rocblas_complex_numIdES1_PKS1_PS1_EviT_T9_T10_S5_lS7_S5_lS6_T11_S5_li,"axG",@progbits,_ZL29rocblas_internal_gemmt_kernelIiLi16ELi32ELi8ELc84ELc78ELc76ELb0ELb0E19rocblas_complex_numIdES1_PKS1_PS1_EviT_T9_T10_S5_lS7_S5_lS6_T11_S5_li,comdat
	.globl	_ZL29rocblas_internal_gemmt_kernelIiLi16ELi32ELi8ELc84ELc78ELc76ELb0ELb0E19rocblas_complex_numIdES1_PKS1_PS1_EviT_T9_T10_S5_lS7_S5_lS6_T11_S5_li ; -- Begin function _ZL29rocblas_internal_gemmt_kernelIiLi16ELi32ELi8ELc84ELc78ELc76ELb0ELb0E19rocblas_complex_numIdES1_PKS1_PS1_EviT_T9_T10_S5_lS7_S5_lS6_T11_S5_li
	.p2align	8
	.type	_ZL29rocblas_internal_gemmt_kernelIiLi16ELi32ELi8ELc84ELc78ELc76ELb0ELb0E19rocblas_complex_numIdES1_PKS1_PS1_EviT_T9_T10_S5_lS7_S5_lS6_T11_S5_li,@function
_ZL29rocblas_internal_gemmt_kernelIiLi16ELi32ELi8ELc84ELc78ELc76ELb0ELb0E19rocblas_complex_numIdES1_PKS1_PS1_EviT_T9_T10_S5_lS7_S5_lS6_T11_S5_li: ; @_ZL29rocblas_internal_gemmt_kernelIiLi16ELi32ELi8ELc84ELc78ELc76ELb0ELb0E19rocblas_complex_numIdES1_PKS1_PS1_EviT_T9_T10_S5_lS7_S5_lS6_T11_S5_li
; %bb.0:
	s_clause 0x2
	s_load_b256 s[8:15], s[0:1], 0x40
	s_load_b64 s[4:5], s[0:1], 0x0
	s_load_b128 s[16:19], s[0:1], 0x8
	s_wait_kmcnt 0x0
	v_cmp_eq_f64_e64 s2, s[10:11], 1.0
	v_cmp_eq_f64_e64 s30, s[12:13], 0
	s_and_b32 s2, s2, s30
	s_delay_alu instid0(SALU_CYCLE_1)
	s_and_not1_b32 vcc_lo, exec_lo, s2
	s_mov_b32 s2, -1
	s_cbranch_vccnz .LBB138_3
; %bb.1:
	s_cmp_lg_u32 s5, 0
	s_cbranch_scc0 .LBB138_38
; %bb.2:
	v_cmp_neq_f64_e64 s2, s[16:17], 0
	v_cmp_neq_f64_e64 s3, s[18:19], 0
	s_or_b32 s2, s2, s3
.LBB138_3:
	s_delay_alu instid0(SALU_CYCLE_1)
	s_and_b32 vcc_lo, exec_lo, s2
	s_cbranch_vccz .LBB138_39
; %bb.4:
	s_load_b32 s27, s[0:1], 0x70
	s_lshr_b32 s6, ttmp7, 16
	s_wait_kmcnt 0x0
	s_cmp_ge_u32 s6, s27
	s_cbranch_scc1 .LBB138_39
; %bb.5:
	v_cmp_neq_f64_e64 s31, s[16:17], 0
	v_cmp_neq_f64_e64 s33, s[18:19], 0
	v_and_b32_e32 v1, 0x3ff, v0
	v_bfe_u32 v2, v0, 10, 10
	s_clause 0x4
	s_load_b96 s[24:26], s[0:1], 0x18
	s_load_b128 s[20:23], s[0:1], 0x28
	s_load_b32 s35, s[0:1], 0x38
	s_load_b32 s36, s[0:1], 0x60
	s_load_b64 s[28:29], s[0:1], 0x68
	v_and_b32_e32 v37, 7, v0
	s_lshl_b32 s1, ttmp9, 5
	v_lshlrev_b32_e32 v38, 4, v1
	v_lshl_add_u32 v0, v2, 4, v1
	v_add_nc_u32_e32 v5, s1, v1
	s_lshl_b32 s0, ttmp7, 5
	v_cmp_neq_f64_e64 s34, s[10:11], 0
	s_wait_alu 0xfffe
	s_and_b32 s2, s0, 0x1fffe0
	v_and_b32_e32 v1, 31, v0
	v_add_nc_u32_e32 v6, s2, v2
	v_lshl_add_u32 v39, v2, 7, 0x1000
	v_lshrrev_b32_e32 v40, 5, v0
	v_lshrrev_b32_e32 v0, 3, v0
	v_or_b32_e32 v2, s1, v1
	v_add_nc_u32_e32 v7, 16, v5
	v_cmp_le_i32_e32 vcc_lo, v6, v5
	v_cmp_gt_i32_e64 s0, s4, v5
	v_add_nc_u32_e32 v9, s2, v0
	v_cmp_gt_i32_e64 s3, s4, v2
	s_wait_kmcnt 0x0
	v_mad_co_i64_i32 v[2:3], null, s26, v2, 0
	v_add_nc_u32_e32 v11, 16, v6
	v_cmp_gt_i32_e64 s2, s4, v7
	v_cmp_gt_i32_e64 s4, s4, v9
	v_mad_co_i64_i32 v[9:10], null, s35, v9, 0
	v_cmp_le_i32_e64 s1, v6, v7
	v_lshlrev_b64_e32 v[2:3], 4, v[2:3]
	v_lshlrev_b32_e32 v12, 4, v40
	v_lshlrev_b32_e32 v4, 4, v37
	v_mad_co_i64_i32 v[15:16], null, v11, s36, 0
	v_lshlrev_b32_e32 v1, 4, v1
	v_ashrrev_i32_e32 v8, 31, v7
	s_or_b32 s37, s31, s33
	s_cmp_gt_i32 s5, 0
	v_lshl_or_b32 v0, v0, 7, v4
	s_cselect_b32 s38, -1, 0
	s_and_b32 s26, vcc_lo, s0
	v_cmp_le_i32_e32 vcc_lo, v11, v5
	s_and_b32 s31, s1, s2
	v_cmp_le_i32_e64 s1, v11, v7
	v_lshl_or_b32 v41, v40, 9, v1
	v_add_nc_u32_e32 v42, 0x1000, v0
	s_and_b32 s33, vcc_lo, s0
	v_add_co_u32 v11, vcc_lo, v2, v12
	s_delay_alu instid0(VALU_DEP_1) | instskip(SKIP_2) | instid1(VALU_DEP_4)
	v_add_co_ci_u32_e64 v12, null, 0, v3, vcc_lo
	v_lshlrev_b64_e32 v[2:3], 4, v[9:10]
	v_mad_co_i64_i32 v[0:1], null, v6, s36, 0
	v_add_co_u32 v9, vcc_lo, s24, v11
	s_wait_alu 0xfffd
	v_add_co_ci_u32_e64 v10, null, s25, v12, vcc_lo
	s_delay_alu instid0(VALU_DEP_4) | instskip(SKIP_3) | instid1(VALU_DEP_3)
	v_add_co_u32 v2, vcc_lo, v2, v4
	s_wait_alu 0xfffd
	v_add_co_ci_u32_e64 v3, null, 0, v3, vcc_lo
	v_lshlrev_b64_e32 v[13:14], 4, v[0:1]
	v_add_co_u32 v11, vcc_lo, s22, v2
	v_lshlrev_b64_e32 v[15:16], 4, v[15:16]
	v_ashrrev_i32_e32 v6, 31, v5
	s_wait_alu 0xfffd
	v_add_co_ci_u32_e64 v12, null, s23, v3, vcc_lo
	v_mov_b32_e32 v0, 0
	s_xor_b32 s30, s30, -1
	s_mov_b32 s7, 0
	s_or_b32 s30, s34, s30
	s_and_b32 s34, s1, s2
	s_lshl_b64 s[0:1], s[20:21], 4
	s_wait_alu 0xfffe
	s_and_b32 s20, s37, s38
	s_lshl_b64 s[8:9], s[8:9], 4
	s_xor_b32 s21, s3, -1
	s_xor_b32 s4, s4, -1
	s_branch .LBB138_7
.LBB138_6:                              ;   in Loop: Header=BB138_7 Depth=1
	s_wait_alu 0xfffe
	s_or_b32 exec_lo, exec_lo, s2
	s_add_co_i32 s6, s6, 0x10000
	s_wait_alu 0xfffe
	s_cmp_lt_u32 s6, s27
	s_cbranch_scc0 .LBB138_39
.LBB138_7:                              ; =>This Loop Header: Depth=1
                                        ;     Child Loop BB138_10 Depth 2
	v_mov_b32_e32 v33, 0
	v_mov_b32_e32 v29, 0
	;; [unrolled: 1-line block ×3, first 2 shown]
	v_dual_mov_b32 v23, 0 :: v_dual_mov_b32 v34, 0
	v_dual_mov_b32 v35, 0 :: v_dual_mov_b32 v30, 0
	;; [unrolled: 1-line block ×5, first 2 shown]
	v_mov_b32_e32 v32, 0
	v_mov_b32_e32 v28, 0
	;; [unrolled: 1-line block ×3, first 2 shown]
	s_and_not1_b32 vcc_lo, exec_lo, s20
	s_wait_alu 0xfffe
	s_cbranch_vccnz .LBB138_18
; %bb.8:                                ;   in Loop: Header=BB138_7 Depth=1
	v_mad_co_u64_u32 v[17:18], null, s0, s6, v[9:10]
	v_mad_co_u64_u32 v[19:20], null, s8, s6, v[11:12]
	v_mov_b32_e32 v21, 0
	v_mov_b32_e32 v23, 0
	v_mov_b32_e32 v25, 0
	v_mov_b32_e32 v29, 0
	v_dual_mov_b32 v1, v18 :: v_dual_mov_b32 v22, 0
	v_mov_b32_e32 v2, v20
	v_dual_mov_b32 v24, 0 :: v_dual_mov_b32 v27, 0
	v_dual_mov_b32 v26, 0 :: v_dual_mov_b32 v31, 0
	s_delay_alu instid0(VALU_DEP_3)
	v_mad_co_u64_u32 v[3:4], null, s1, s6, v[1:2]
	v_dual_mov_b32 v30, 0 :: v_dual_mov_b32 v35, 0
	v_dual_mov_b32 v33, 0 :: v_dual_mov_b32 v28, 0
	v_mov_b32_e32 v32, 0
	v_mov_b32_e32 v36, 0
	v_mad_co_u64_u32 v[1:2], null, s9, s6, v[2:3]
	v_mov_b32_e32 v34, 0
	v_mov_b32_e32 v18, v3
	s_mov_b32 s2, 0
	s_delay_alu instid0(VALU_DEP_3)
	v_mov_b32_e32 v20, v1
	s_branch .LBB138_10
.LBB138_9:                              ;   in Loop: Header=BB138_10 Depth=2
	s_wait_alu 0xfffe
	s_or_b32 exec_lo, exec_lo, s3
	s_wait_dscnt 0x0
	s_barrier_signal -1
	s_barrier_wait -1
	global_inv scope:SCOPE_SE
	ds_load_b128 v[1:4], v39
	ds_load_b128 v[43:46], v39 offset:16
	ds_load_b128 v[47:50], v39 offset:32
	;; [unrolled: 1-line block ×3, first 2 shown]
	ds_load_b128 v[55:58], v38
	v_add_co_u32 v17, vcc_lo, 0x80, v17
	s_wait_alu 0xfffd
	v_add_co_ci_u32_e64 v18, null, 0, v18, vcc_lo
	v_add_co_u32 v19, vcc_lo, 0x80, v19
	s_wait_alu 0xfffd
	v_add_co_ci_u32_e64 v20, null, 0, v20, vcc_lo
	s_add_co_i32 s2, s2, 8
	s_wait_alu 0xfffe
	s_cmp_lt_i32 s2, s5
	s_wait_dscnt 0x0
	v_mul_f64_e32 v[59:60], v[3:4], v[57:58]
	v_mul_f64_e32 v[61:62], v[1:2], v[57:58]
	s_delay_alu instid0(VALU_DEP_2) | instskip(NEXT) | instid1(VALU_DEP_2)
	v_fma_f64 v[59:60], v[1:2], v[55:56], -v[59:60]
	v_fma_f64 v[61:62], v[3:4], v[55:56], v[61:62]
	s_delay_alu instid0(VALU_DEP_2) | instskip(NEXT) | instid1(VALU_DEP_2)
	v_add_f64_e32 v[59:60], v[33:34], v[59:60]
	v_add_f64_e32 v[61:62], v[61:62], v[35:36]
	ds_load_b128 v[33:36], v38 offset:256
	s_wait_dscnt 0x0
	v_mul_f64_e32 v[63:64], v[3:4], v[35:36]
	s_delay_alu instid0(VALU_DEP_1) | instskip(SKIP_1) | instid1(VALU_DEP_2)
	v_fma_f64 v[63:64], v[1:2], v[33:34], -v[63:64]
	v_mul_f64_e32 v[1:2], v[1:2], v[35:36]
	v_add_f64_e32 v[29:30], v[29:30], v[63:64]
	s_delay_alu instid0(VALU_DEP_2) | instskip(NEXT) | instid1(VALU_DEP_1)
	v_fma_f64 v[1:2], v[3:4], v[33:34], v[1:2]
	v_add_f64_e32 v[31:32], v[1:2], v[31:32]
	ds_load_b128 v[1:4], v39 offset:2048
	s_wait_dscnt 0x0
	v_mul_f64_e32 v[63:64], v[3:4], v[57:58]
	v_mul_f64_e32 v[57:58], v[1:2], v[57:58]
	s_delay_alu instid0(VALU_DEP_2) | instskip(NEXT) | instid1(VALU_DEP_2)
	v_fma_f64 v[63:64], v[1:2], v[55:56], -v[63:64]
	v_fma_f64 v[55:56], v[3:4], v[55:56], v[57:58]
	s_delay_alu instid0(VALU_DEP_2) | instskip(SKIP_1) | instid1(VALU_DEP_3)
	v_add_f64_e32 v[57:58], v[25:26], v[63:64]
	v_mul_f64_e32 v[25:26], v[3:4], v[35:36]
	v_add_f64_e32 v[55:56], v[55:56], v[27:28]
	s_delay_alu instid0(VALU_DEP_2) | instskip(SKIP_1) | instid1(VALU_DEP_1)
	v_fma_f64 v[25:26], v[1:2], v[33:34], -v[25:26]
	v_mul_f64_e32 v[1:2], v[1:2], v[35:36]
	v_fma_f64 v[1:2], v[3:4], v[33:34], v[1:2]
	s_delay_alu instid0(VALU_DEP_3) | instskip(NEXT) | instid1(VALU_DEP_2)
	v_add_f64_e32 v[33:34], v[23:24], v[25:26]
	v_add_f64_e32 v[35:36], v[1:2], v[21:22]
	ds_load_b128 v[1:4], v38 offset:512
	s_wait_dscnt 0x0
	v_mul_f64_e32 v[21:22], v[45:46], v[3:4]
	v_mul_f64_e32 v[23:24], v[43:44], v[3:4]
	s_delay_alu instid0(VALU_DEP_2) | instskip(NEXT) | instid1(VALU_DEP_2)
	v_fma_f64 v[21:22], v[43:44], v[1:2], -v[21:22]
	v_fma_f64 v[23:24], v[45:46], v[1:2], v[23:24]
	s_delay_alu instid0(VALU_DEP_2) | instskip(NEXT) | instid1(VALU_DEP_2)
	v_add_f64_e32 v[59:60], v[59:60], v[21:22]
	v_add_f64_e32 v[61:62], v[23:24], v[61:62]
	ds_load_b128 v[21:24], v38 offset:768
	s_wait_dscnt 0x0
	v_mul_f64_e32 v[25:26], v[45:46], v[23:24]
	v_mul_f64_e32 v[27:28], v[43:44], v[23:24]
	s_delay_alu instid0(VALU_DEP_2) | instskip(NEXT) | instid1(VALU_DEP_2)
	v_fma_f64 v[25:26], v[43:44], v[21:22], -v[25:26]
	v_fma_f64 v[27:28], v[45:46], v[21:22], v[27:28]
	s_delay_alu instid0(VALU_DEP_2) | instskip(NEXT) | instid1(VALU_DEP_2)
	v_add_f64_e32 v[29:30], v[29:30], v[25:26]
	v_add_f64_e32 v[31:32], v[27:28], v[31:32]
	ds_load_b128 v[25:28], v39 offset:2064
	s_wait_dscnt 0x0
	v_mul_f64_e32 v[43:44], v[27:28], v[3:4]
	v_mul_f64_e32 v[3:4], v[25:26], v[3:4]
	s_delay_alu instid0(VALU_DEP_2) | instskip(NEXT) | instid1(VALU_DEP_2)
	v_fma_f64 v[43:44], v[25:26], v[1:2], -v[43:44]
	v_fma_f64 v[1:2], v[27:28], v[1:2], v[3:4]
	v_mul_f64_e32 v[3:4], v[25:26], v[23:24]
	s_delay_alu instid0(VALU_DEP_3) | instskip(NEXT) | instid1(VALU_DEP_3)
	v_add_f64_e32 v[43:44], v[57:58], v[43:44]
	v_add_f64_e32 v[45:46], v[1:2], v[55:56]
	v_mul_f64_e32 v[1:2], v[27:28], v[23:24]
	s_delay_alu instid0(VALU_DEP_4) | instskip(NEXT) | instid1(VALU_DEP_2)
	v_fma_f64 v[3:4], v[27:28], v[21:22], v[3:4]
	v_fma_f64 v[1:2], v[25:26], v[21:22], -v[1:2]
	s_delay_alu instid0(VALU_DEP_2) | instskip(NEXT) | instid1(VALU_DEP_2)
	v_add_f64_e32 v[35:36], v[3:4], v[35:36]
	v_add_f64_e32 v[33:34], v[33:34], v[1:2]
	ds_load_b128 v[1:4], v38 offset:1024
	s_wait_dscnt 0x0
	v_mul_f64_e32 v[21:22], v[49:50], v[3:4]
	v_mul_f64_e32 v[23:24], v[47:48], v[3:4]
	s_delay_alu instid0(VALU_DEP_2) | instskip(NEXT) | instid1(VALU_DEP_2)
	v_fma_f64 v[21:22], v[47:48], v[1:2], -v[21:22]
	v_fma_f64 v[23:24], v[49:50], v[1:2], v[23:24]
	s_delay_alu instid0(VALU_DEP_2) | instskip(NEXT) | instid1(VALU_DEP_2)
	v_add_f64_e32 v[55:56], v[59:60], v[21:22]
	v_add_f64_e32 v[57:58], v[23:24], v[61:62]
	ds_load_b128 v[21:24], v38 offset:1280
	s_wait_dscnt 0x0
	v_mul_f64_e32 v[25:26], v[49:50], v[23:24]
	v_mul_f64_e32 v[27:28], v[47:48], v[23:24]
	s_delay_alu instid0(VALU_DEP_2) | instskip(NEXT) | instid1(VALU_DEP_2)
	v_fma_f64 v[25:26], v[47:48], v[21:22], -v[25:26]
	v_fma_f64 v[27:28], v[49:50], v[21:22], v[27:28]
	s_delay_alu instid0(VALU_DEP_2) | instskip(NEXT) | instid1(VALU_DEP_2)
	v_add_f64_e32 v[29:30], v[29:30], v[25:26]
	v_add_f64_e32 v[31:32], v[27:28], v[31:32]
	ds_load_b128 v[25:28], v39 offset:2080
	s_wait_dscnt 0x0
	v_mul_f64_e32 v[47:48], v[27:28], v[3:4]
	v_mul_f64_e32 v[3:4], v[25:26], v[3:4]
	s_delay_alu instid0(VALU_DEP_2) | instskip(NEXT) | instid1(VALU_DEP_2)
	v_fma_f64 v[47:48], v[25:26], v[1:2], -v[47:48]
	v_fma_f64 v[1:2], v[27:28], v[1:2], v[3:4]
	v_mul_f64_e32 v[3:4], v[25:26], v[23:24]
	s_delay_alu instid0(VALU_DEP_3) | instskip(NEXT) | instid1(VALU_DEP_3)
	v_add_f64_e32 v[43:44], v[43:44], v[47:48]
	v_add_f64_e32 v[45:46], v[1:2], v[45:46]
	v_mul_f64_e32 v[1:2], v[27:28], v[23:24]
	s_delay_alu instid0(VALU_DEP_4) | instskip(NEXT) | instid1(VALU_DEP_2)
	v_fma_f64 v[3:4], v[27:28], v[21:22], v[3:4]
	v_fma_f64 v[1:2], v[25:26], v[21:22], -v[1:2]
	s_delay_alu instid0(VALU_DEP_2) | instskip(NEXT) | instid1(VALU_DEP_2)
	;; [unrolled: 38-line block ×3, first 2 shown]
	v_add_f64_e32 v[35:36], v[3:4], v[35:36]
	v_add_f64_e32 v[33:34], v[33:34], v[1:2]
	ds_load_b128 v[1:4], v39 offset:64
	ds_load_b128 v[21:24], v38 offset:2048
	s_wait_dscnt 0x0
	v_mul_f64_e32 v[25:26], v[3:4], v[23:24]
	v_mul_f64_e32 v[27:28], v[1:2], v[23:24]
	s_delay_alu instid0(VALU_DEP_2) | instskip(NEXT) | instid1(VALU_DEP_2)
	v_fma_f64 v[25:26], v[1:2], v[21:22], -v[25:26]
	v_fma_f64 v[27:28], v[3:4], v[21:22], v[27:28]
	s_delay_alu instid0(VALU_DEP_2) | instskip(NEXT) | instid1(VALU_DEP_2)
	v_add_f64_e32 v[47:48], v[47:48], v[25:26]
	v_add_f64_e32 v[49:50], v[27:28], v[49:50]
	ds_load_b128 v[25:28], v38 offset:2304
	s_wait_dscnt 0x0
	v_mul_f64_e32 v[51:52], v[3:4], v[27:28]
	s_delay_alu instid0(VALU_DEP_1) | instskip(SKIP_1) | instid1(VALU_DEP_2)
	v_fma_f64 v[51:52], v[1:2], v[25:26], -v[51:52]
	v_mul_f64_e32 v[1:2], v[1:2], v[27:28]
	v_add_f64_e32 v[29:30], v[29:30], v[51:52]
	s_delay_alu instid0(VALU_DEP_2) | instskip(NEXT) | instid1(VALU_DEP_1)
	v_fma_f64 v[1:2], v[3:4], v[25:26], v[1:2]
	v_add_f64_e32 v[31:32], v[1:2], v[31:32]
	ds_load_b128 v[1:4], v39 offset:2112
	s_wait_dscnt 0x0
	v_mul_f64_e32 v[51:52], v[3:4], v[23:24]
	v_mul_f64_e32 v[23:24], v[1:2], v[23:24]
	s_delay_alu instid0(VALU_DEP_2) | instskip(NEXT) | instid1(VALU_DEP_2)
	v_fma_f64 v[51:52], v[1:2], v[21:22], -v[51:52]
	v_fma_f64 v[21:22], v[3:4], v[21:22], v[23:24]
	s_delay_alu instid0(VALU_DEP_2) | instskip(NEXT) | instid1(VALU_DEP_2)
	v_add_f64_e32 v[43:44], v[43:44], v[51:52]
	v_add_f64_e32 v[45:46], v[21:22], v[45:46]
	v_mul_f64_e32 v[21:22], v[3:4], v[27:28]
	s_delay_alu instid0(VALU_DEP_1) | instskip(SKIP_1) | instid1(VALU_DEP_2)
	v_fma_f64 v[21:22], v[1:2], v[25:26], -v[21:22]
	v_mul_f64_e32 v[1:2], v[1:2], v[27:28]
	v_add_f64_e32 v[33:34], v[33:34], v[21:22]
	s_delay_alu instid0(VALU_DEP_2) | instskip(NEXT) | instid1(VALU_DEP_1)
	v_fma_f64 v[1:2], v[3:4], v[25:26], v[1:2]
	v_add_f64_e32 v[35:36], v[1:2], v[35:36]
	ds_load_b128 v[1:4], v39 offset:80
	ds_load_b128 v[21:24], v38 offset:2560
	s_wait_dscnt 0x0
	v_mul_f64_e32 v[25:26], v[3:4], v[23:24]
	v_mul_f64_e32 v[27:28], v[1:2], v[23:24]
	s_delay_alu instid0(VALU_DEP_2) | instskip(NEXT) | instid1(VALU_DEP_2)
	v_fma_f64 v[25:26], v[1:2], v[21:22], -v[25:26]
	v_fma_f64 v[27:28], v[3:4], v[21:22], v[27:28]
	s_delay_alu instid0(VALU_DEP_2) | instskip(NEXT) | instid1(VALU_DEP_2)
	v_add_f64_e32 v[47:48], v[47:48], v[25:26]
	v_add_f64_e32 v[49:50], v[27:28], v[49:50]
	ds_load_b128 v[25:28], v38 offset:2816
	s_wait_dscnt 0x0
	v_mul_f64_e32 v[51:52], v[3:4], v[27:28]
	s_delay_alu instid0(VALU_DEP_1) | instskip(SKIP_1) | instid1(VALU_DEP_2)
	v_fma_f64 v[51:52], v[1:2], v[25:26], -v[51:52]
	v_mul_f64_e32 v[1:2], v[1:2], v[27:28]
	v_add_f64_e32 v[29:30], v[29:30], v[51:52]
	s_delay_alu instid0(VALU_DEP_2) | instskip(NEXT) | instid1(VALU_DEP_1)
	v_fma_f64 v[1:2], v[3:4], v[25:26], v[1:2]
	v_add_f64_e32 v[31:32], v[1:2], v[31:32]
	ds_load_b128 v[1:4], v39 offset:2128
	s_wait_dscnt 0x0
	v_mul_f64_e32 v[51:52], v[3:4], v[23:24]
	v_mul_f64_e32 v[23:24], v[1:2], v[23:24]
	s_delay_alu instid0(VALU_DEP_2) | instskip(NEXT) | instid1(VALU_DEP_2)
	v_fma_f64 v[51:52], v[1:2], v[21:22], -v[51:52]
	v_fma_f64 v[21:22], v[3:4], v[21:22], v[23:24]
	s_delay_alu instid0(VALU_DEP_2) | instskip(NEXT) | instid1(VALU_DEP_2)
	v_add_f64_e32 v[43:44], v[43:44], v[51:52]
	v_add_f64_e32 v[45:46], v[21:22], v[45:46]
	v_mul_f64_e32 v[21:22], v[3:4], v[27:28]
	s_delay_alu instid0(VALU_DEP_1) | instskip(SKIP_1) | instid1(VALU_DEP_2)
	v_fma_f64 v[21:22], v[1:2], v[25:26], -v[21:22]
	v_mul_f64_e32 v[1:2], v[1:2], v[27:28]
	v_add_f64_e32 v[33:34], v[33:34], v[21:22]
	s_delay_alu instid0(VALU_DEP_2) | instskip(NEXT) | instid1(VALU_DEP_1)
	v_fma_f64 v[1:2], v[3:4], v[25:26], v[1:2]
	;; [unrolled: 39-line block ×3, first 2 shown]
	v_add_f64_e32 v[57:58], v[1:2], v[35:36]
	ds_load_b128 v[1:4], v39 offset:112
	ds_load_b128 v[21:24], v38 offset:3584
	;; [unrolled: 1-line block ×3, first 2 shown]
	s_wait_dscnt 0x1
	v_mul_f64_e32 v[25:26], v[3:4], v[23:24]
	v_mul_f64_e32 v[27:28], v[1:2], v[23:24]
	s_delay_alu instid0(VALU_DEP_2) | instskip(NEXT) | instid1(VALU_DEP_2)
	v_fma_f64 v[25:26], v[1:2], v[21:22], -v[25:26]
	v_fma_f64 v[27:28], v[3:4], v[21:22], v[27:28]
	s_delay_alu instid0(VALU_DEP_2) | instskip(SKIP_2) | instid1(VALU_DEP_3)
	v_add_f64_e32 v[33:34], v[47:48], v[25:26]
	s_wait_dscnt 0x0
	v_mul_f64_e32 v[25:26], v[3:4], v[45:46]
	v_add_f64_e32 v[35:36], v[27:28], v[49:50]
	s_delay_alu instid0(VALU_DEP_2) | instskip(SKIP_1) | instid1(VALU_DEP_2)
	v_fma_f64 v[25:26], v[1:2], v[43:44], -v[25:26]
	v_mul_f64_e32 v[1:2], v[1:2], v[45:46]
	v_add_f64_e32 v[29:30], v[29:30], v[25:26]
	s_delay_alu instid0(VALU_DEP_2) | instskip(NEXT) | instid1(VALU_DEP_1)
	v_fma_f64 v[1:2], v[3:4], v[43:44], v[1:2]
	v_add_f64_e32 v[31:32], v[1:2], v[31:32]
	ds_load_b128 v[1:4], v39 offset:2160
	s_wait_loadcnt_dscnt 0x0
	s_barrier_signal -1
	s_barrier_wait -1
	global_inv scope:SCOPE_SE
	v_mul_f64_e32 v[25:26], v[3:4], v[23:24]
	v_mul_f64_e32 v[23:24], v[1:2], v[23:24]
	s_delay_alu instid0(VALU_DEP_2) | instskip(NEXT) | instid1(VALU_DEP_2)
	v_fma_f64 v[25:26], v[1:2], v[21:22], -v[25:26]
	v_fma_f64 v[21:22], v[3:4], v[21:22], v[23:24]
	s_delay_alu instid0(VALU_DEP_2) | instskip(NEXT) | instid1(VALU_DEP_2)
	v_add_f64_e32 v[25:26], v[51:52], v[25:26]
	v_add_f64_e32 v[27:28], v[21:22], v[53:54]
	v_mul_f64_e32 v[21:22], v[3:4], v[45:46]
	s_delay_alu instid0(VALU_DEP_1) | instskip(SKIP_1) | instid1(VALU_DEP_2)
	v_fma_f64 v[21:22], v[1:2], v[43:44], -v[21:22]
	v_mul_f64_e32 v[1:2], v[1:2], v[45:46]
	v_add_f64_e32 v[23:24], v[55:56], v[21:22]
	s_delay_alu instid0(VALU_DEP_2) | instskip(NEXT) | instid1(VALU_DEP_1)
	v_fma_f64 v[1:2], v[3:4], v[43:44], v[1:2]
	v_add_f64_e32 v[21:22], v[1:2], v[57:58]
	s_cbranch_scc0 .LBB138_18
.LBB138_10:                             ;   Parent Loop BB138_7 Depth=1
                                        ; =>  This Inner Loop Header: Depth=2
	s_wait_alu 0xfffe
	v_add_nc_u32_e32 v1, s2, v40
	s_delay_alu instid0(VALU_DEP_1)
	v_cmp_le_i32_e32 vcc_lo, s5, v1
	s_or_b32 s3, s21, vcc_lo
	s_wait_alu 0xfffe
	s_and_saveexec_b32 s22, s3
	s_wait_alu 0xfffe
	s_xor_b32 s3, exec_lo, s22
; %bb.11:                               ;   in Loop: Header=BB138_10 Depth=2
	v_dual_mov_b32 v1, v0 :: v_dual_mov_b32 v2, v0
	v_mov_b32_e32 v3, v0
	ds_store_b128 v41, v[0:3]
; %bb.12:                               ;   in Loop: Header=BB138_10 Depth=2
	s_wait_alu 0xfffe
	s_and_not1_saveexec_b32 s3, s3
	s_cbranch_execz .LBB138_14
; %bb.13:                               ;   in Loop: Header=BB138_10 Depth=2
	global_load_b128 v[1:4], v[17:18], off
	s_wait_loadcnt 0x0
	ds_store_2addr_b64 v41, v[1:2], v[3:4] offset1:1
.LBB138_14:                             ;   in Loop: Header=BB138_10 Depth=2
	s_wait_alu 0xfffe
	s_or_b32 exec_lo, exec_lo, s3
	v_add_nc_u32_e32 v1, s2, v37
	s_delay_alu instid0(VALU_DEP_1)
	v_cmp_le_i32_e32 vcc_lo, s5, v1
	s_or_b32 s3, vcc_lo, s4
	s_wait_alu 0xfffe
	s_and_saveexec_b32 s22, s3
	s_wait_alu 0xfffe
	s_xor_b32 s3, exec_lo, s22
; %bb.15:                               ;   in Loop: Header=BB138_10 Depth=2
	v_dual_mov_b32 v1, v0 :: v_dual_mov_b32 v2, v0
	v_mov_b32_e32 v3, v0
	ds_store_b128 v42, v[0:3]
; %bb.16:                               ;   in Loop: Header=BB138_10 Depth=2
	s_wait_alu 0xfffe
	s_and_not1_saveexec_b32 s3, s3
	s_cbranch_execz .LBB138_9
; %bb.17:                               ;   in Loop: Header=BB138_10 Depth=2
	global_load_b128 v[1:4], v[19:20], off
	s_wait_loadcnt 0x0
	ds_store_2addr_b64 v42, v[1:2], v[3:4] offset1:1
	s_branch .LBB138_9
.LBB138_18:                             ;   in Loop: Header=BB138_7 Depth=1
	s_mul_u64 s[2:3], s[28:29], s[6:7]
	s_wait_alu 0xfffe
	s_lshl_b64 s[2:3], s[2:3], 4
	s_wait_alu 0xfffe
	s_add_nc_u64 s[2:3], s[14:15], s[2:3]
	s_wait_alu 0xfffe
	v_add_co_u32 v17, vcc_lo, s2, v13
	s_wait_alu 0xfffd
	v_add_co_ci_u32_e64 v18, null, s3, v14, vcc_lo
	s_and_saveexec_b32 s22, s26
	s_cbranch_execz .LBB138_23
; %bb.19:                               ;   in Loop: Header=BB138_7 Depth=1
	v_mul_f64_e32 v[1:2], s[18:19], v[35:36]
	v_mul_f64_e32 v[3:4], s[16:17], v[35:36]
	s_and_b32 vcc_lo, exec_lo, s30
	s_mov_b32 s23, -1
	s_delay_alu instid0(VALU_DEP_2) | instskip(NEXT) | instid1(VALU_DEP_2)
	v_fma_f64 v[1:2], s[16:17], v[33:34], -v[1:2]
	v_fma_f64 v[3:4], s[18:19], v[33:34], v[3:4]
	s_wait_alu 0xfffe
	s_cbranch_vccz .LBB138_21
; %bb.20:                               ;   in Loop: Header=BB138_7 Depth=1
	v_lshlrev_b64_e32 v[19:20], 4, v[5:6]
	s_mov_b32 s23, 0
	s_delay_alu instid0(VALU_DEP_1) | instskip(SKIP_1) | instid1(VALU_DEP_2)
	v_add_co_u32 v19, vcc_lo, v17, v19
	s_wait_alu 0xfffd
	v_add_co_ci_u32_e64 v20, null, v18, v20, vcc_lo
	global_load_b128 v[33:36], v[19:20], off
	s_wait_loadcnt 0x0
	v_mul_f64_e32 v[43:44], s[12:13], v[35:36]
	v_mul_f64_e32 v[35:36], s[10:11], v[35:36]
	s_delay_alu instid0(VALU_DEP_2) | instskip(NEXT) | instid1(VALU_DEP_2)
	v_fma_f64 v[43:44], s[10:11], v[33:34], -v[43:44]
	v_fma_f64 v[35:36], s[12:13], v[33:34], v[35:36]
	s_delay_alu instid0(VALU_DEP_2) | instskip(NEXT) | instid1(VALU_DEP_2)
	v_add_f64_e32 v[33:34], v[1:2], v[43:44]
	v_add_f64_e32 v[35:36], v[3:4], v[35:36]
	global_store_b128 v[19:20], v[33:36], off
.LBB138_21:                             ;   in Loop: Header=BB138_7 Depth=1
	s_wait_alu 0xfffe
	s_and_not1_b32 vcc_lo, exec_lo, s23
	s_wait_alu 0xfffe
	s_cbranch_vccnz .LBB138_23
; %bb.22:                               ;   in Loop: Header=BB138_7 Depth=1
	v_lshlrev_b64_e32 v[19:20], 4, v[5:6]
	s_delay_alu instid0(VALU_DEP_1) | instskip(SKIP_1) | instid1(VALU_DEP_2)
	v_add_co_u32 v19, vcc_lo, v17, v19
	s_wait_alu 0xfffd
	v_add_co_ci_u32_e64 v20, null, v18, v20, vcc_lo
	global_store_b128 v[19:20], v[1:4], off
.LBB138_23:                             ;   in Loop: Header=BB138_7 Depth=1
	s_wait_alu 0xfffe
	s_or_b32 exec_lo, exec_lo, s22
	s_and_saveexec_b32 s22, s31
	s_cbranch_execz .LBB138_28
; %bb.24:                               ;   in Loop: Header=BB138_7 Depth=1
	v_mul_f64_e32 v[1:2], s[18:19], v[31:32]
	v_mul_f64_e32 v[3:4], s[16:17], v[31:32]
	s_and_not1_b32 vcc_lo, exec_lo, s30
	s_mov_b32 s23, -1
	s_delay_alu instid0(VALU_DEP_2) | instskip(NEXT) | instid1(VALU_DEP_2)
	v_fma_f64 v[1:2], s[16:17], v[29:30], -v[1:2]
	v_fma_f64 v[3:4], s[18:19], v[29:30], v[3:4]
	s_wait_alu 0xfffe
	s_cbranch_vccnz .LBB138_26
; %bb.25:                               ;   in Loop: Header=BB138_7 Depth=1
	v_lshlrev_b64_e32 v[19:20], 4, v[7:8]
	s_mov_b32 s23, 0
	s_delay_alu instid0(VALU_DEP_1) | instskip(SKIP_1) | instid1(VALU_DEP_2)
	v_add_co_u32 v19, vcc_lo, v17, v19
	s_wait_alu 0xfffd
	v_add_co_ci_u32_e64 v20, null, v18, v20, vcc_lo
	global_load_b128 v[29:32], v[19:20], off
	s_wait_loadcnt 0x0
	v_mul_f64_e32 v[33:34], s[12:13], v[31:32]
	v_mul_f64_e32 v[31:32], s[10:11], v[31:32]
	s_delay_alu instid0(VALU_DEP_2) | instskip(NEXT) | instid1(VALU_DEP_2)
	v_fma_f64 v[33:34], s[10:11], v[29:30], -v[33:34]
	v_fma_f64 v[31:32], s[12:13], v[29:30], v[31:32]
	s_delay_alu instid0(VALU_DEP_2) | instskip(NEXT) | instid1(VALU_DEP_2)
	v_add_f64_e32 v[29:30], v[1:2], v[33:34]
	v_add_f64_e32 v[31:32], v[3:4], v[31:32]
	global_store_b128 v[19:20], v[29:32], off
.LBB138_26:                             ;   in Loop: Header=BB138_7 Depth=1
	s_wait_alu 0xfffe
	s_and_not1_b32 vcc_lo, exec_lo, s23
	s_wait_alu 0xfffe
	s_cbranch_vccnz .LBB138_28
; %bb.27:                               ;   in Loop: Header=BB138_7 Depth=1
	v_lshlrev_b64_e32 v[19:20], 4, v[7:8]
	s_delay_alu instid0(VALU_DEP_1) | instskip(SKIP_1) | instid1(VALU_DEP_2)
	v_add_co_u32 v17, vcc_lo, v17, v19
	s_wait_alu 0xfffd
	v_add_co_ci_u32_e64 v18, null, v18, v20, vcc_lo
	global_store_b128 v[17:18], v[1:4], off
.LBB138_28:                             ;   in Loop: Header=BB138_7 Depth=1
	s_wait_alu 0xfffe
	s_or_b32 exec_lo, exec_lo, s22
	v_add_co_u32 v19, vcc_lo, s2, v15
	s_wait_alu 0xfffd
	v_add_co_ci_u32_e64 v20, null, s3, v16, vcc_lo
	s_and_saveexec_b32 s2, s33
	s_cbranch_execz .LBB138_33
; %bb.29:                               ;   in Loop: Header=BB138_7 Depth=1
	v_mul_f64_e32 v[1:2], s[18:19], v[27:28]
	v_mul_f64_e32 v[3:4], s[16:17], v[27:28]
	v_lshlrev_b64_e32 v[17:18], 4, v[5:6]
	s_and_not1_b32 vcc_lo, exec_lo, s30
	s_mov_b32 s3, -1
	s_delay_alu instid0(VALU_DEP_3) | instskip(NEXT) | instid1(VALU_DEP_3)
	v_fma_f64 v[1:2], s[16:17], v[25:26], -v[1:2]
	v_fma_f64 v[3:4], s[18:19], v[25:26], v[3:4]
	s_wait_alu 0xfffe
	s_cbranch_vccnz .LBB138_31
; %bb.30:                               ;   in Loop: Header=BB138_7 Depth=1
	v_add_co_u32 v29, vcc_lo, v19, v17
	s_wait_alu 0xfffd
	v_add_co_ci_u32_e64 v30, null, v20, v18, vcc_lo
	s_mov_b32 s3, 0
	global_load_b128 v[25:28], v[29:30], off
	s_wait_loadcnt 0x0
	v_mul_f64_e32 v[31:32], s[12:13], v[27:28]
	v_mul_f64_e32 v[27:28], s[10:11], v[27:28]
	s_delay_alu instid0(VALU_DEP_2) | instskip(NEXT) | instid1(VALU_DEP_2)
	v_fma_f64 v[31:32], s[10:11], v[25:26], -v[31:32]
	v_fma_f64 v[27:28], s[12:13], v[25:26], v[27:28]
	s_delay_alu instid0(VALU_DEP_2) | instskip(NEXT) | instid1(VALU_DEP_2)
	v_add_f64_e32 v[25:26], v[1:2], v[31:32]
	v_add_f64_e32 v[27:28], v[3:4], v[27:28]
	global_store_b128 v[29:30], v[25:28], off
.LBB138_31:                             ;   in Loop: Header=BB138_7 Depth=1
	s_wait_alu 0xfffe
	s_and_not1_b32 vcc_lo, exec_lo, s3
	s_wait_alu 0xfffe
	s_cbranch_vccnz .LBB138_33
; %bb.32:                               ;   in Loop: Header=BB138_7 Depth=1
	v_add_co_u32 v17, vcc_lo, v19, v17
	s_wait_alu 0xfffd
	v_add_co_ci_u32_e64 v18, null, v20, v18, vcc_lo
	global_store_b128 v[17:18], v[1:4], off
.LBB138_33:                             ;   in Loop: Header=BB138_7 Depth=1
	s_wait_alu 0xfffe
	s_or_b32 exec_lo, exec_lo, s2
	s_and_saveexec_b32 s2, s34
	s_cbranch_execz .LBB138_6
; %bb.34:                               ;   in Loop: Header=BB138_7 Depth=1
	v_mul_f64_e32 v[1:2], s[18:19], v[21:22]
	v_mul_f64_e32 v[3:4], s[16:17], v[21:22]
	v_lshlrev_b64_e32 v[17:18], 4, v[7:8]
	s_and_not1_b32 vcc_lo, exec_lo, s30
	s_mov_b32 s3, -1
	s_delay_alu instid0(VALU_DEP_3) | instskip(NEXT) | instid1(VALU_DEP_3)
	v_fma_f64 v[1:2], s[16:17], v[23:24], -v[1:2]
	v_fma_f64 v[3:4], s[18:19], v[23:24], v[3:4]
	s_wait_alu 0xfffe
	s_cbranch_vccnz .LBB138_36
; %bb.35:                               ;   in Loop: Header=BB138_7 Depth=1
	v_add_co_u32 v25, vcc_lo, v19, v17
	s_wait_alu 0xfffd
	v_add_co_ci_u32_e64 v26, null, v20, v18, vcc_lo
	s_mov_b32 s3, 0
	global_load_b128 v[21:24], v[25:26], off
	s_wait_loadcnt 0x0
	v_mul_f64_e32 v[27:28], s[12:13], v[23:24]
	v_mul_f64_e32 v[23:24], s[10:11], v[23:24]
	s_delay_alu instid0(VALU_DEP_2) | instskip(NEXT) | instid1(VALU_DEP_2)
	v_fma_f64 v[27:28], s[10:11], v[21:22], -v[27:28]
	v_fma_f64 v[23:24], s[12:13], v[21:22], v[23:24]
	s_delay_alu instid0(VALU_DEP_2) | instskip(NEXT) | instid1(VALU_DEP_2)
	v_add_f64_e32 v[21:22], v[1:2], v[27:28]
	v_add_f64_e32 v[23:24], v[3:4], v[23:24]
	global_store_b128 v[25:26], v[21:24], off
.LBB138_36:                             ;   in Loop: Header=BB138_7 Depth=1
	s_wait_alu 0xfffe
	s_and_not1_b32 vcc_lo, exec_lo, s3
	s_wait_alu 0xfffe
	s_cbranch_vccnz .LBB138_6
; %bb.37:                               ;   in Loop: Header=BB138_7 Depth=1
	v_add_co_u32 v17, vcc_lo, v19, v17
	s_wait_alu 0xfffd
	v_add_co_ci_u32_e64 v18, null, v20, v18, vcc_lo
	global_store_b128 v[17:18], v[1:4], off
	s_branch .LBB138_6
.LBB138_38:
.LBB138_39:
	s_endpgm
	.section	.rodata,"a",@progbits
	.p2align	6, 0x0
	.amdhsa_kernel _ZL29rocblas_internal_gemmt_kernelIiLi16ELi32ELi8ELc84ELc78ELc76ELb0ELb0E19rocblas_complex_numIdES1_PKS1_PS1_EviT_T9_T10_S5_lS7_S5_lS6_T11_S5_li
		.amdhsa_group_segment_fixed_size 8192
		.amdhsa_private_segment_fixed_size 0
		.amdhsa_kernarg_size 116
		.amdhsa_user_sgpr_count 2
		.amdhsa_user_sgpr_dispatch_ptr 0
		.amdhsa_user_sgpr_queue_ptr 0
		.amdhsa_user_sgpr_kernarg_segment_ptr 1
		.amdhsa_user_sgpr_dispatch_id 0
		.amdhsa_user_sgpr_private_segment_size 0
		.amdhsa_wavefront_size32 1
		.amdhsa_uses_dynamic_stack 0
		.amdhsa_enable_private_segment 0
		.amdhsa_system_sgpr_workgroup_id_x 1
		.amdhsa_system_sgpr_workgroup_id_y 1
		.amdhsa_system_sgpr_workgroup_id_z 1
		.amdhsa_system_sgpr_workgroup_info 0
		.amdhsa_system_vgpr_workitem_id 1
		.amdhsa_next_free_vgpr 65
		.amdhsa_next_free_sgpr 39
		.amdhsa_reserve_vcc 1
		.amdhsa_float_round_mode_32 0
		.amdhsa_float_round_mode_16_64 0
		.amdhsa_float_denorm_mode_32 3
		.amdhsa_float_denorm_mode_16_64 3
		.amdhsa_fp16_overflow 0
		.amdhsa_workgroup_processor_mode 1
		.amdhsa_memory_ordered 1
		.amdhsa_forward_progress 1
		.amdhsa_inst_pref_size 29
		.amdhsa_round_robin_scheduling 0
		.amdhsa_exception_fp_ieee_invalid_op 0
		.amdhsa_exception_fp_denorm_src 0
		.amdhsa_exception_fp_ieee_div_zero 0
		.amdhsa_exception_fp_ieee_overflow 0
		.amdhsa_exception_fp_ieee_underflow 0
		.amdhsa_exception_fp_ieee_inexact 0
		.amdhsa_exception_int_div_zero 0
	.end_amdhsa_kernel
	.section	.text._ZL29rocblas_internal_gemmt_kernelIiLi16ELi32ELi8ELc84ELc78ELc76ELb0ELb0E19rocblas_complex_numIdES1_PKS1_PS1_EviT_T9_T10_S5_lS7_S5_lS6_T11_S5_li,"axG",@progbits,_ZL29rocblas_internal_gemmt_kernelIiLi16ELi32ELi8ELc84ELc78ELc76ELb0ELb0E19rocblas_complex_numIdES1_PKS1_PS1_EviT_T9_T10_S5_lS7_S5_lS6_T11_S5_li,comdat
.Lfunc_end138:
	.size	_ZL29rocblas_internal_gemmt_kernelIiLi16ELi32ELi8ELc84ELc78ELc76ELb0ELb0E19rocblas_complex_numIdES1_PKS1_PS1_EviT_T9_T10_S5_lS7_S5_lS6_T11_S5_li, .Lfunc_end138-_ZL29rocblas_internal_gemmt_kernelIiLi16ELi32ELi8ELc84ELc78ELc76ELb0ELb0E19rocblas_complex_numIdES1_PKS1_PS1_EviT_T9_T10_S5_lS7_S5_lS6_T11_S5_li
                                        ; -- End function
	.set _ZL29rocblas_internal_gemmt_kernelIiLi16ELi32ELi8ELc84ELc78ELc76ELb0ELb0E19rocblas_complex_numIdES1_PKS1_PS1_EviT_T9_T10_S5_lS7_S5_lS6_T11_S5_li.num_vgpr, 65
	.set _ZL29rocblas_internal_gemmt_kernelIiLi16ELi32ELi8ELc84ELc78ELc76ELb0ELb0E19rocblas_complex_numIdES1_PKS1_PS1_EviT_T9_T10_S5_lS7_S5_lS6_T11_S5_li.num_agpr, 0
	.set _ZL29rocblas_internal_gemmt_kernelIiLi16ELi32ELi8ELc84ELc78ELc76ELb0ELb0E19rocblas_complex_numIdES1_PKS1_PS1_EviT_T9_T10_S5_lS7_S5_lS6_T11_S5_li.numbered_sgpr, 39
	.set _ZL29rocblas_internal_gemmt_kernelIiLi16ELi32ELi8ELc84ELc78ELc76ELb0ELb0E19rocblas_complex_numIdES1_PKS1_PS1_EviT_T9_T10_S5_lS7_S5_lS6_T11_S5_li.num_named_barrier, 0
	.set _ZL29rocblas_internal_gemmt_kernelIiLi16ELi32ELi8ELc84ELc78ELc76ELb0ELb0E19rocblas_complex_numIdES1_PKS1_PS1_EviT_T9_T10_S5_lS7_S5_lS6_T11_S5_li.private_seg_size, 0
	.set _ZL29rocblas_internal_gemmt_kernelIiLi16ELi32ELi8ELc84ELc78ELc76ELb0ELb0E19rocblas_complex_numIdES1_PKS1_PS1_EviT_T9_T10_S5_lS7_S5_lS6_T11_S5_li.uses_vcc, 1
	.set _ZL29rocblas_internal_gemmt_kernelIiLi16ELi32ELi8ELc84ELc78ELc76ELb0ELb0E19rocblas_complex_numIdES1_PKS1_PS1_EviT_T9_T10_S5_lS7_S5_lS6_T11_S5_li.uses_flat_scratch, 0
	.set _ZL29rocblas_internal_gemmt_kernelIiLi16ELi32ELi8ELc84ELc78ELc76ELb0ELb0E19rocblas_complex_numIdES1_PKS1_PS1_EviT_T9_T10_S5_lS7_S5_lS6_T11_S5_li.has_dyn_sized_stack, 0
	.set _ZL29rocblas_internal_gemmt_kernelIiLi16ELi32ELi8ELc84ELc78ELc76ELb0ELb0E19rocblas_complex_numIdES1_PKS1_PS1_EviT_T9_T10_S5_lS7_S5_lS6_T11_S5_li.has_recursion, 0
	.set _ZL29rocblas_internal_gemmt_kernelIiLi16ELi32ELi8ELc84ELc78ELc76ELb0ELb0E19rocblas_complex_numIdES1_PKS1_PS1_EviT_T9_T10_S5_lS7_S5_lS6_T11_S5_li.has_indirect_call, 0
	.section	.AMDGPU.csdata,"",@progbits
; Kernel info:
; codeLenInByte = 3684
; TotalNumSgprs: 41
; NumVgprs: 65
; ScratchSize: 0
; MemoryBound: 0
; FloatMode: 240
; IeeeMode: 1
; LDSByteSize: 8192 bytes/workgroup (compile time only)
; SGPRBlocks: 0
; VGPRBlocks: 8
; NumSGPRsForWavesPerEU: 41
; NumVGPRsForWavesPerEU: 65
; Occupancy: 16
; WaveLimiterHint : 0
; COMPUTE_PGM_RSRC2:SCRATCH_EN: 0
; COMPUTE_PGM_RSRC2:USER_SGPR: 2
; COMPUTE_PGM_RSRC2:TRAP_HANDLER: 0
; COMPUTE_PGM_RSRC2:TGID_X_EN: 1
; COMPUTE_PGM_RSRC2:TGID_Y_EN: 1
; COMPUTE_PGM_RSRC2:TGID_Z_EN: 1
; COMPUTE_PGM_RSRC2:TIDIG_COMP_CNT: 1
	.section	.text._ZL29rocblas_internal_gemmt_kernelIiLi16ELi32ELi8ELc84ELc84ELc76ELb0ELb0E19rocblas_complex_numIdES1_PKS1_PS1_EviT_T9_T10_S5_lS7_S5_lS6_T11_S5_li,"axG",@progbits,_ZL29rocblas_internal_gemmt_kernelIiLi16ELi32ELi8ELc84ELc84ELc76ELb0ELb0E19rocblas_complex_numIdES1_PKS1_PS1_EviT_T9_T10_S5_lS7_S5_lS6_T11_S5_li,comdat
	.globl	_ZL29rocblas_internal_gemmt_kernelIiLi16ELi32ELi8ELc84ELc84ELc76ELb0ELb0E19rocblas_complex_numIdES1_PKS1_PS1_EviT_T9_T10_S5_lS7_S5_lS6_T11_S5_li ; -- Begin function _ZL29rocblas_internal_gemmt_kernelIiLi16ELi32ELi8ELc84ELc84ELc76ELb0ELb0E19rocblas_complex_numIdES1_PKS1_PS1_EviT_T9_T10_S5_lS7_S5_lS6_T11_S5_li
	.p2align	8
	.type	_ZL29rocblas_internal_gemmt_kernelIiLi16ELi32ELi8ELc84ELc84ELc76ELb0ELb0E19rocblas_complex_numIdES1_PKS1_PS1_EviT_T9_T10_S5_lS7_S5_lS6_T11_S5_li,@function
_ZL29rocblas_internal_gemmt_kernelIiLi16ELi32ELi8ELc84ELc84ELc76ELb0ELb0E19rocblas_complex_numIdES1_PKS1_PS1_EviT_T9_T10_S5_lS7_S5_lS6_T11_S5_li: ; @_ZL29rocblas_internal_gemmt_kernelIiLi16ELi32ELi8ELc84ELc84ELc76ELb0ELb0E19rocblas_complex_numIdES1_PKS1_PS1_EviT_T9_T10_S5_lS7_S5_lS6_T11_S5_li
; %bb.0:
	s_clause 0x2
	s_load_b256 s[8:15], s[0:1], 0x40
	s_load_b64 s[4:5], s[0:1], 0x0
	s_load_b128 s[16:19], s[0:1], 0x8
	s_wait_kmcnt 0x0
	v_cmp_eq_f64_e64 s2, s[10:11], 1.0
	v_cmp_eq_f64_e64 s33, s[12:13], 0
	s_and_b32 s2, s2, s33
	s_delay_alu instid0(SALU_CYCLE_1)
	s_and_not1_b32 vcc_lo, exec_lo, s2
	s_mov_b32 s2, -1
	s_cbranch_vccnz .LBB139_3
; %bb.1:
	s_cmp_lg_u32 s5, 0
	s_cbranch_scc0 .LBB139_38
; %bb.2:
	v_cmp_neq_f64_e64 s2, s[16:17], 0
	v_cmp_neq_f64_e64 s3, s[18:19], 0
	s_or_b32 s2, s2, s3
.LBB139_3:
	s_delay_alu instid0(SALU_CYCLE_1)
	s_and_b32 vcc_lo, exec_lo, s2
	s_cbranch_vccz .LBB139_39
; %bb.4:
	s_load_b32 s27, s[0:1], 0x70
	s_lshr_b32 s6, ttmp7, 16
	s_wait_kmcnt 0x0
	s_cmp_ge_u32 s6, s27
	s_cbranch_scc1 .LBB139_39
; %bb.5:
	v_cmp_neq_f64_e64 s34, s[16:17], 0
	v_cmp_neq_f64_e64 s35, s[18:19], 0
	v_and_b32_e32 v1, 0x3ff, v0
	v_bfe_u32 v2, v0, 10, 10
	s_clause 0x4
	s_load_b96 s[24:26], s[0:1], 0x18
	s_load_b128 s[20:23], s[0:1], 0x28
	s_load_b32 s30, s[0:1], 0x38
	s_load_b32 s37, s[0:1], 0x60
	s_load_b64 s[28:29], s[0:1], 0x68
	v_and_b32_e32 v37, 7, v0
	s_lshl_b32 s1, ttmp9, 5
	v_lshlrev_b32_e32 v38, 4, v1
	v_lshl_add_u32 v0, v2, 4, v1
	v_add_nc_u32_e32 v5, s1, v1
	s_lshl_b32 s0, ttmp7, 5
	v_cmp_neq_f64_e64 s36, s[10:11], 0
	s_wait_alu 0xfffe
	s_and_b32 s2, s0, 0x1fffe0
	v_and_b32_e32 v1, 31, v0
	v_lshlrev_b32_e32 v3, 4, v37
	v_lshrrev_b32_e32 v40, 5, v0
	v_lshrrev_b32_e32 v0, 3, v0
	v_add_nc_u32_e32 v4, s2, v2
	v_lshl_add_u32 v39, v2, 7, 0x1000
	v_or_b32_e32 v2, s1, v1
	v_add_nc_u32_e32 v7, 16, v5
	v_add_nc_u32_e32 v11, s2, v0
	v_lshlrev_b32_e32 v1, 4, v1
	v_lshl_or_b32 v0, v0, 7, v3
	v_cmp_gt_i32_e64 s2, s4, v2
	s_wait_kmcnt 0x0
	v_mad_co_i64_i32 v[2:3], null, s26, v2, 0
	v_cmp_le_i32_e32 vcc_lo, v4, v5
	v_cmp_gt_i32_e64 s0, s4, v5
	v_cmp_le_i32_e64 s1, v4, v7
	v_lshl_or_b32 v41, v40, 9, v1
	v_add_nc_u32_e32 v42, 0x1000, v0
	v_mad_co_i64_i32 v[0:1], null, v4, s37, 0
	v_add_nc_u32_e32 v4, 16, v4
	s_ashr_i32 s31, s30, 31
	v_lshlrev_b64_e32 v[2:3], 4, v[2:3]
	v_mad_co_i64_i32 v[9:10], null, s30, v37, 0
	s_or_b32 s38, s34, s35
	s_cmp_gt_i32 s5, 0
	v_cmp_gt_i32_e64 s3, s4, v11
	s_cselect_b32 s39, -1, 0
	v_cmp_gt_i32_e64 s4, s4, v7
	s_and_b32 s26, vcc_lo, s0
	v_cmp_le_i32_e32 vcc_lo, v4, v5
	v_lshlrev_b32_e32 v12, 4, v40
	v_mad_co_i64_i32 v[15:16], null, v4, s37, 0
	s_and_b32 s34, s1, s4
	v_cmp_le_i32_e64 s1, v4, v7
	s_and_b32 s35, vcc_lo, s0
	v_add_co_u32 v4, vcc_lo, v2, v12
	s_delay_alu instid0(VALU_DEP_1) | instskip(SKIP_2) | instid1(VALU_DEP_4)
	v_add_co_ci_u32_e64 v12, null, 0, v3, vcc_lo
	v_lshlrev_b64_e32 v[2:3], 4, v[9:10]
	v_lshlrev_b32_e32 v11, 4, v11
	v_add_co_u32 v9, vcc_lo, s24, v4
	s_wait_alu 0xfffd
	v_add_co_ci_u32_e64 v10, null, s25, v12, vcc_lo
	s_delay_alu instid0(VALU_DEP_3) | instskip(SKIP_3) | instid1(VALU_DEP_3)
	v_add_co_u32 v2, vcc_lo, v2, v11
	s_wait_alu 0xfffd
	v_add_co_ci_u32_e64 v3, null, 0, v3, vcc_lo
	v_lshlrev_b64_e32 v[13:14], 4, v[0:1]
	v_add_co_u32 v11, vcc_lo, s22, v2
	v_lshlrev_b64_e32 v[15:16], 4, v[15:16]
	v_ashrrev_i32_e32 v6, 31, v5
	v_ashrrev_i32_e32 v8, 31, v7
	s_wait_alu 0xfffd
	v_add_co_ci_u32_e64 v12, null, s23, v3, vcc_lo
	v_mov_b32_e32 v0, 0
	s_xor_b32 s33, s33, -1
	s_mov_b32 s7, 0
	s_or_b32 s33, s36, s33
	s_and_b32 s4, s1, s4
	s_lshl_b64 s[0:1], s[20:21], 4
	s_lshl_b64 s[8:9], s[8:9], 4
	s_and_b32 s22, s38, s39
	s_lshl_b64 s[20:21], s[30:31], 7
	s_xor_b32 s23, s2, -1
	s_xor_b32 s24, s3, -1
	s_branch .LBB139_7
.LBB139_6:                              ;   in Loop: Header=BB139_7 Depth=1
	s_wait_alu 0xfffe
	s_or_b32 exec_lo, exec_lo, s2
	s_add_co_i32 s6, s6, 0x10000
	s_wait_alu 0xfffe
	s_cmp_lt_u32 s6, s27
	s_cbranch_scc0 .LBB139_39
.LBB139_7:                              ; =>This Loop Header: Depth=1
                                        ;     Child Loop BB139_10 Depth 2
	v_mov_b32_e32 v33, 0
	v_mov_b32_e32 v29, 0
	;; [unrolled: 1-line block ×3, first 2 shown]
	v_dual_mov_b32 v23, 0 :: v_dual_mov_b32 v34, 0
	v_dual_mov_b32 v35, 0 :: v_dual_mov_b32 v30, 0
	;; [unrolled: 1-line block ×5, first 2 shown]
	v_mov_b32_e32 v32, 0
	v_mov_b32_e32 v28, 0
	;; [unrolled: 1-line block ×3, first 2 shown]
	s_wait_alu 0xfffe
	s_and_not1_b32 vcc_lo, exec_lo, s22
	s_wait_alu 0xfffe
	s_cbranch_vccnz .LBB139_18
; %bb.8:                                ;   in Loop: Header=BB139_7 Depth=1
	v_mad_co_u64_u32 v[17:18], null, s0, s6, v[9:10]
	v_mad_co_u64_u32 v[19:20], null, s8, s6, v[11:12]
	v_mov_b32_e32 v21, 0
	v_mov_b32_e32 v23, 0
	;; [unrolled: 1-line block ×4, first 2 shown]
	v_dual_mov_b32 v1, v18 :: v_dual_mov_b32 v22, 0
	v_mov_b32_e32 v2, v20
	v_dual_mov_b32 v24, 0 :: v_dual_mov_b32 v27, 0
	v_dual_mov_b32 v26, 0 :: v_dual_mov_b32 v31, 0
	s_delay_alu instid0(VALU_DEP_3)
	v_mad_co_u64_u32 v[3:4], null, s1, s6, v[1:2]
	v_dual_mov_b32 v30, 0 :: v_dual_mov_b32 v35, 0
	v_dual_mov_b32 v33, 0 :: v_dual_mov_b32 v28, 0
	v_mov_b32_e32 v32, 0
	v_mov_b32_e32 v36, 0
	v_mad_co_u64_u32 v[1:2], null, s9, s6, v[2:3]
	v_mov_b32_e32 v34, 0
	v_mov_b32_e32 v18, v3
	s_mov_b32 s2, 0
	s_delay_alu instid0(VALU_DEP_3)
	v_mov_b32_e32 v20, v1
	s_branch .LBB139_10
.LBB139_9:                              ;   in Loop: Header=BB139_10 Depth=2
	s_wait_alu 0xfffe
	s_or_b32 exec_lo, exec_lo, s3
	s_wait_dscnt 0x0
	s_barrier_signal -1
	s_barrier_wait -1
	global_inv scope:SCOPE_SE
	ds_load_b128 v[1:4], v39
	ds_load_b128 v[43:46], v39 offset:16
	ds_load_b128 v[47:50], v39 offset:32
	;; [unrolled: 1-line block ×3, first 2 shown]
	ds_load_b128 v[55:58], v38
	v_add_co_u32 v17, vcc_lo, 0x80, v17
	s_wait_alu 0xfffd
	v_add_co_ci_u32_e64 v18, null, 0, v18, vcc_lo
	v_add_co_u32 v19, vcc_lo, v19, s20
	s_wait_alu 0xfffd
	v_add_co_ci_u32_e64 v20, null, s21, v20, vcc_lo
	s_add_co_i32 s2, s2, 8
	s_wait_alu 0xfffe
	s_cmp_lt_i32 s2, s5
	s_wait_dscnt 0x0
	v_mul_f64_e32 v[59:60], v[3:4], v[57:58]
	v_mul_f64_e32 v[61:62], v[1:2], v[57:58]
	s_delay_alu instid0(VALU_DEP_2) | instskip(NEXT) | instid1(VALU_DEP_2)
	v_fma_f64 v[59:60], v[1:2], v[55:56], -v[59:60]
	v_fma_f64 v[61:62], v[3:4], v[55:56], v[61:62]
	s_delay_alu instid0(VALU_DEP_2) | instskip(NEXT) | instid1(VALU_DEP_2)
	v_add_f64_e32 v[59:60], v[33:34], v[59:60]
	v_add_f64_e32 v[61:62], v[61:62], v[35:36]
	ds_load_b128 v[33:36], v38 offset:256
	s_wait_dscnt 0x0
	v_mul_f64_e32 v[63:64], v[3:4], v[35:36]
	s_delay_alu instid0(VALU_DEP_1) | instskip(SKIP_1) | instid1(VALU_DEP_2)
	v_fma_f64 v[63:64], v[1:2], v[33:34], -v[63:64]
	v_mul_f64_e32 v[1:2], v[1:2], v[35:36]
	v_add_f64_e32 v[29:30], v[29:30], v[63:64]
	s_delay_alu instid0(VALU_DEP_2) | instskip(NEXT) | instid1(VALU_DEP_1)
	v_fma_f64 v[1:2], v[3:4], v[33:34], v[1:2]
	v_add_f64_e32 v[31:32], v[1:2], v[31:32]
	ds_load_b128 v[1:4], v39 offset:2048
	s_wait_dscnt 0x0
	v_mul_f64_e32 v[63:64], v[3:4], v[57:58]
	v_mul_f64_e32 v[57:58], v[1:2], v[57:58]
	s_delay_alu instid0(VALU_DEP_2) | instskip(NEXT) | instid1(VALU_DEP_2)
	v_fma_f64 v[63:64], v[1:2], v[55:56], -v[63:64]
	v_fma_f64 v[55:56], v[3:4], v[55:56], v[57:58]
	s_delay_alu instid0(VALU_DEP_2) | instskip(SKIP_1) | instid1(VALU_DEP_3)
	v_add_f64_e32 v[57:58], v[25:26], v[63:64]
	v_mul_f64_e32 v[25:26], v[3:4], v[35:36]
	v_add_f64_e32 v[55:56], v[55:56], v[27:28]
	s_delay_alu instid0(VALU_DEP_2) | instskip(SKIP_1) | instid1(VALU_DEP_1)
	v_fma_f64 v[25:26], v[1:2], v[33:34], -v[25:26]
	v_mul_f64_e32 v[1:2], v[1:2], v[35:36]
	v_fma_f64 v[1:2], v[3:4], v[33:34], v[1:2]
	s_delay_alu instid0(VALU_DEP_3) | instskip(NEXT) | instid1(VALU_DEP_2)
	v_add_f64_e32 v[33:34], v[23:24], v[25:26]
	v_add_f64_e32 v[35:36], v[1:2], v[21:22]
	ds_load_b128 v[1:4], v38 offset:512
	s_wait_dscnt 0x0
	v_mul_f64_e32 v[21:22], v[45:46], v[3:4]
	v_mul_f64_e32 v[23:24], v[43:44], v[3:4]
	s_delay_alu instid0(VALU_DEP_2) | instskip(NEXT) | instid1(VALU_DEP_2)
	v_fma_f64 v[21:22], v[43:44], v[1:2], -v[21:22]
	v_fma_f64 v[23:24], v[45:46], v[1:2], v[23:24]
	s_delay_alu instid0(VALU_DEP_2) | instskip(NEXT) | instid1(VALU_DEP_2)
	v_add_f64_e32 v[59:60], v[59:60], v[21:22]
	v_add_f64_e32 v[61:62], v[23:24], v[61:62]
	ds_load_b128 v[21:24], v38 offset:768
	s_wait_dscnt 0x0
	v_mul_f64_e32 v[25:26], v[45:46], v[23:24]
	v_mul_f64_e32 v[27:28], v[43:44], v[23:24]
	s_delay_alu instid0(VALU_DEP_2) | instskip(NEXT) | instid1(VALU_DEP_2)
	v_fma_f64 v[25:26], v[43:44], v[21:22], -v[25:26]
	v_fma_f64 v[27:28], v[45:46], v[21:22], v[27:28]
	s_delay_alu instid0(VALU_DEP_2) | instskip(NEXT) | instid1(VALU_DEP_2)
	v_add_f64_e32 v[29:30], v[29:30], v[25:26]
	v_add_f64_e32 v[31:32], v[27:28], v[31:32]
	ds_load_b128 v[25:28], v39 offset:2064
	s_wait_dscnt 0x0
	v_mul_f64_e32 v[43:44], v[27:28], v[3:4]
	v_mul_f64_e32 v[3:4], v[25:26], v[3:4]
	s_delay_alu instid0(VALU_DEP_2) | instskip(NEXT) | instid1(VALU_DEP_2)
	v_fma_f64 v[43:44], v[25:26], v[1:2], -v[43:44]
	v_fma_f64 v[1:2], v[27:28], v[1:2], v[3:4]
	v_mul_f64_e32 v[3:4], v[25:26], v[23:24]
	s_delay_alu instid0(VALU_DEP_3) | instskip(NEXT) | instid1(VALU_DEP_3)
	v_add_f64_e32 v[43:44], v[57:58], v[43:44]
	v_add_f64_e32 v[45:46], v[1:2], v[55:56]
	v_mul_f64_e32 v[1:2], v[27:28], v[23:24]
	s_delay_alu instid0(VALU_DEP_4) | instskip(NEXT) | instid1(VALU_DEP_2)
	v_fma_f64 v[3:4], v[27:28], v[21:22], v[3:4]
	v_fma_f64 v[1:2], v[25:26], v[21:22], -v[1:2]
	s_delay_alu instid0(VALU_DEP_2) | instskip(NEXT) | instid1(VALU_DEP_2)
	v_add_f64_e32 v[35:36], v[3:4], v[35:36]
	v_add_f64_e32 v[33:34], v[33:34], v[1:2]
	ds_load_b128 v[1:4], v38 offset:1024
	s_wait_dscnt 0x0
	v_mul_f64_e32 v[21:22], v[49:50], v[3:4]
	v_mul_f64_e32 v[23:24], v[47:48], v[3:4]
	s_delay_alu instid0(VALU_DEP_2) | instskip(NEXT) | instid1(VALU_DEP_2)
	v_fma_f64 v[21:22], v[47:48], v[1:2], -v[21:22]
	v_fma_f64 v[23:24], v[49:50], v[1:2], v[23:24]
	s_delay_alu instid0(VALU_DEP_2) | instskip(NEXT) | instid1(VALU_DEP_2)
	v_add_f64_e32 v[55:56], v[59:60], v[21:22]
	v_add_f64_e32 v[57:58], v[23:24], v[61:62]
	ds_load_b128 v[21:24], v38 offset:1280
	s_wait_dscnt 0x0
	v_mul_f64_e32 v[25:26], v[49:50], v[23:24]
	v_mul_f64_e32 v[27:28], v[47:48], v[23:24]
	s_delay_alu instid0(VALU_DEP_2) | instskip(NEXT) | instid1(VALU_DEP_2)
	v_fma_f64 v[25:26], v[47:48], v[21:22], -v[25:26]
	v_fma_f64 v[27:28], v[49:50], v[21:22], v[27:28]
	s_delay_alu instid0(VALU_DEP_2) | instskip(NEXT) | instid1(VALU_DEP_2)
	v_add_f64_e32 v[29:30], v[29:30], v[25:26]
	v_add_f64_e32 v[31:32], v[27:28], v[31:32]
	ds_load_b128 v[25:28], v39 offset:2080
	s_wait_dscnt 0x0
	v_mul_f64_e32 v[47:48], v[27:28], v[3:4]
	v_mul_f64_e32 v[3:4], v[25:26], v[3:4]
	s_delay_alu instid0(VALU_DEP_2) | instskip(NEXT) | instid1(VALU_DEP_2)
	v_fma_f64 v[47:48], v[25:26], v[1:2], -v[47:48]
	v_fma_f64 v[1:2], v[27:28], v[1:2], v[3:4]
	v_mul_f64_e32 v[3:4], v[25:26], v[23:24]
	s_delay_alu instid0(VALU_DEP_3) | instskip(NEXT) | instid1(VALU_DEP_3)
	v_add_f64_e32 v[43:44], v[43:44], v[47:48]
	v_add_f64_e32 v[45:46], v[1:2], v[45:46]
	v_mul_f64_e32 v[1:2], v[27:28], v[23:24]
	s_delay_alu instid0(VALU_DEP_4) | instskip(NEXT) | instid1(VALU_DEP_2)
	v_fma_f64 v[3:4], v[27:28], v[21:22], v[3:4]
	v_fma_f64 v[1:2], v[25:26], v[21:22], -v[1:2]
	s_delay_alu instid0(VALU_DEP_2) | instskip(NEXT) | instid1(VALU_DEP_2)
	;; [unrolled: 38-line block ×3, first 2 shown]
	v_add_f64_e32 v[35:36], v[3:4], v[35:36]
	v_add_f64_e32 v[33:34], v[33:34], v[1:2]
	ds_load_b128 v[1:4], v39 offset:64
	ds_load_b128 v[21:24], v38 offset:2048
	s_wait_dscnt 0x0
	v_mul_f64_e32 v[25:26], v[3:4], v[23:24]
	v_mul_f64_e32 v[27:28], v[1:2], v[23:24]
	s_delay_alu instid0(VALU_DEP_2) | instskip(NEXT) | instid1(VALU_DEP_2)
	v_fma_f64 v[25:26], v[1:2], v[21:22], -v[25:26]
	v_fma_f64 v[27:28], v[3:4], v[21:22], v[27:28]
	s_delay_alu instid0(VALU_DEP_2) | instskip(NEXT) | instid1(VALU_DEP_2)
	v_add_f64_e32 v[47:48], v[47:48], v[25:26]
	v_add_f64_e32 v[49:50], v[27:28], v[49:50]
	ds_load_b128 v[25:28], v38 offset:2304
	s_wait_dscnt 0x0
	v_mul_f64_e32 v[51:52], v[3:4], v[27:28]
	s_delay_alu instid0(VALU_DEP_1) | instskip(SKIP_1) | instid1(VALU_DEP_2)
	v_fma_f64 v[51:52], v[1:2], v[25:26], -v[51:52]
	v_mul_f64_e32 v[1:2], v[1:2], v[27:28]
	v_add_f64_e32 v[29:30], v[29:30], v[51:52]
	s_delay_alu instid0(VALU_DEP_2) | instskip(NEXT) | instid1(VALU_DEP_1)
	v_fma_f64 v[1:2], v[3:4], v[25:26], v[1:2]
	v_add_f64_e32 v[31:32], v[1:2], v[31:32]
	ds_load_b128 v[1:4], v39 offset:2112
	s_wait_dscnt 0x0
	v_mul_f64_e32 v[51:52], v[3:4], v[23:24]
	v_mul_f64_e32 v[23:24], v[1:2], v[23:24]
	s_delay_alu instid0(VALU_DEP_2) | instskip(NEXT) | instid1(VALU_DEP_2)
	v_fma_f64 v[51:52], v[1:2], v[21:22], -v[51:52]
	v_fma_f64 v[21:22], v[3:4], v[21:22], v[23:24]
	s_delay_alu instid0(VALU_DEP_2) | instskip(NEXT) | instid1(VALU_DEP_2)
	v_add_f64_e32 v[43:44], v[43:44], v[51:52]
	v_add_f64_e32 v[45:46], v[21:22], v[45:46]
	v_mul_f64_e32 v[21:22], v[3:4], v[27:28]
	s_delay_alu instid0(VALU_DEP_1) | instskip(SKIP_1) | instid1(VALU_DEP_2)
	v_fma_f64 v[21:22], v[1:2], v[25:26], -v[21:22]
	v_mul_f64_e32 v[1:2], v[1:2], v[27:28]
	v_add_f64_e32 v[33:34], v[33:34], v[21:22]
	s_delay_alu instid0(VALU_DEP_2) | instskip(NEXT) | instid1(VALU_DEP_1)
	v_fma_f64 v[1:2], v[3:4], v[25:26], v[1:2]
	v_add_f64_e32 v[35:36], v[1:2], v[35:36]
	ds_load_b128 v[1:4], v39 offset:80
	ds_load_b128 v[21:24], v38 offset:2560
	s_wait_dscnt 0x0
	v_mul_f64_e32 v[25:26], v[3:4], v[23:24]
	v_mul_f64_e32 v[27:28], v[1:2], v[23:24]
	s_delay_alu instid0(VALU_DEP_2) | instskip(NEXT) | instid1(VALU_DEP_2)
	v_fma_f64 v[25:26], v[1:2], v[21:22], -v[25:26]
	v_fma_f64 v[27:28], v[3:4], v[21:22], v[27:28]
	s_delay_alu instid0(VALU_DEP_2) | instskip(NEXT) | instid1(VALU_DEP_2)
	v_add_f64_e32 v[47:48], v[47:48], v[25:26]
	v_add_f64_e32 v[49:50], v[27:28], v[49:50]
	ds_load_b128 v[25:28], v38 offset:2816
	s_wait_dscnt 0x0
	v_mul_f64_e32 v[51:52], v[3:4], v[27:28]
	s_delay_alu instid0(VALU_DEP_1) | instskip(SKIP_1) | instid1(VALU_DEP_2)
	v_fma_f64 v[51:52], v[1:2], v[25:26], -v[51:52]
	v_mul_f64_e32 v[1:2], v[1:2], v[27:28]
	v_add_f64_e32 v[29:30], v[29:30], v[51:52]
	s_delay_alu instid0(VALU_DEP_2) | instskip(NEXT) | instid1(VALU_DEP_1)
	v_fma_f64 v[1:2], v[3:4], v[25:26], v[1:2]
	v_add_f64_e32 v[31:32], v[1:2], v[31:32]
	ds_load_b128 v[1:4], v39 offset:2128
	s_wait_dscnt 0x0
	v_mul_f64_e32 v[51:52], v[3:4], v[23:24]
	v_mul_f64_e32 v[23:24], v[1:2], v[23:24]
	s_delay_alu instid0(VALU_DEP_2) | instskip(NEXT) | instid1(VALU_DEP_2)
	v_fma_f64 v[51:52], v[1:2], v[21:22], -v[51:52]
	v_fma_f64 v[21:22], v[3:4], v[21:22], v[23:24]
	s_delay_alu instid0(VALU_DEP_2) | instskip(NEXT) | instid1(VALU_DEP_2)
	v_add_f64_e32 v[43:44], v[43:44], v[51:52]
	v_add_f64_e32 v[45:46], v[21:22], v[45:46]
	v_mul_f64_e32 v[21:22], v[3:4], v[27:28]
	s_delay_alu instid0(VALU_DEP_1) | instskip(SKIP_1) | instid1(VALU_DEP_2)
	v_fma_f64 v[21:22], v[1:2], v[25:26], -v[21:22]
	v_mul_f64_e32 v[1:2], v[1:2], v[27:28]
	v_add_f64_e32 v[33:34], v[33:34], v[21:22]
	s_delay_alu instid0(VALU_DEP_2) | instskip(NEXT) | instid1(VALU_DEP_1)
	v_fma_f64 v[1:2], v[3:4], v[25:26], v[1:2]
	;; [unrolled: 39-line block ×3, first 2 shown]
	v_add_f64_e32 v[57:58], v[1:2], v[35:36]
	ds_load_b128 v[1:4], v39 offset:112
	ds_load_b128 v[21:24], v38 offset:3584
	;; [unrolled: 1-line block ×3, first 2 shown]
	s_wait_dscnt 0x1
	v_mul_f64_e32 v[25:26], v[3:4], v[23:24]
	v_mul_f64_e32 v[27:28], v[1:2], v[23:24]
	s_delay_alu instid0(VALU_DEP_2) | instskip(NEXT) | instid1(VALU_DEP_2)
	v_fma_f64 v[25:26], v[1:2], v[21:22], -v[25:26]
	v_fma_f64 v[27:28], v[3:4], v[21:22], v[27:28]
	s_delay_alu instid0(VALU_DEP_2) | instskip(SKIP_2) | instid1(VALU_DEP_3)
	v_add_f64_e32 v[33:34], v[47:48], v[25:26]
	s_wait_dscnt 0x0
	v_mul_f64_e32 v[25:26], v[3:4], v[45:46]
	v_add_f64_e32 v[35:36], v[27:28], v[49:50]
	s_delay_alu instid0(VALU_DEP_2) | instskip(SKIP_1) | instid1(VALU_DEP_2)
	v_fma_f64 v[25:26], v[1:2], v[43:44], -v[25:26]
	v_mul_f64_e32 v[1:2], v[1:2], v[45:46]
	v_add_f64_e32 v[29:30], v[29:30], v[25:26]
	s_delay_alu instid0(VALU_DEP_2) | instskip(NEXT) | instid1(VALU_DEP_1)
	v_fma_f64 v[1:2], v[3:4], v[43:44], v[1:2]
	v_add_f64_e32 v[31:32], v[1:2], v[31:32]
	ds_load_b128 v[1:4], v39 offset:2160
	s_wait_loadcnt_dscnt 0x0
	s_barrier_signal -1
	s_barrier_wait -1
	global_inv scope:SCOPE_SE
	v_mul_f64_e32 v[25:26], v[3:4], v[23:24]
	v_mul_f64_e32 v[23:24], v[1:2], v[23:24]
	s_delay_alu instid0(VALU_DEP_2) | instskip(NEXT) | instid1(VALU_DEP_2)
	v_fma_f64 v[25:26], v[1:2], v[21:22], -v[25:26]
	v_fma_f64 v[21:22], v[3:4], v[21:22], v[23:24]
	s_delay_alu instid0(VALU_DEP_2) | instskip(NEXT) | instid1(VALU_DEP_2)
	v_add_f64_e32 v[25:26], v[51:52], v[25:26]
	v_add_f64_e32 v[27:28], v[21:22], v[53:54]
	v_mul_f64_e32 v[21:22], v[3:4], v[45:46]
	s_delay_alu instid0(VALU_DEP_1) | instskip(SKIP_1) | instid1(VALU_DEP_2)
	v_fma_f64 v[21:22], v[1:2], v[43:44], -v[21:22]
	v_mul_f64_e32 v[1:2], v[1:2], v[45:46]
	v_add_f64_e32 v[23:24], v[55:56], v[21:22]
	s_delay_alu instid0(VALU_DEP_2) | instskip(NEXT) | instid1(VALU_DEP_1)
	v_fma_f64 v[1:2], v[3:4], v[43:44], v[1:2]
	v_add_f64_e32 v[21:22], v[1:2], v[57:58]
	s_cbranch_scc0 .LBB139_18
.LBB139_10:                             ;   Parent Loop BB139_7 Depth=1
                                        ; =>  This Inner Loop Header: Depth=2
	s_wait_alu 0xfffe
	v_add_nc_u32_e32 v1, s2, v40
	s_delay_alu instid0(VALU_DEP_1)
	v_cmp_le_i32_e32 vcc_lo, s5, v1
	s_or_b32 s3, s23, vcc_lo
	s_wait_alu 0xfffe
	s_and_saveexec_b32 s25, s3
	s_wait_alu 0xfffe
	s_xor_b32 s3, exec_lo, s25
; %bb.11:                               ;   in Loop: Header=BB139_10 Depth=2
	v_dual_mov_b32 v1, v0 :: v_dual_mov_b32 v2, v0
	v_mov_b32_e32 v3, v0
	ds_store_b128 v41, v[0:3]
; %bb.12:                               ;   in Loop: Header=BB139_10 Depth=2
	s_wait_alu 0xfffe
	s_and_not1_saveexec_b32 s3, s3
	s_cbranch_execz .LBB139_14
; %bb.13:                               ;   in Loop: Header=BB139_10 Depth=2
	global_load_b128 v[1:4], v[17:18], off
	s_wait_loadcnt 0x0
	ds_store_2addr_b64 v41, v[1:2], v[3:4] offset1:1
.LBB139_14:                             ;   in Loop: Header=BB139_10 Depth=2
	s_wait_alu 0xfffe
	s_or_b32 exec_lo, exec_lo, s3
	v_add_nc_u32_e32 v1, s2, v37
	s_delay_alu instid0(VALU_DEP_1)
	v_cmp_le_i32_e32 vcc_lo, s5, v1
	s_or_b32 s3, vcc_lo, s24
	s_wait_alu 0xfffe
	s_and_saveexec_b32 s25, s3
	s_wait_alu 0xfffe
	s_xor_b32 s3, exec_lo, s25
; %bb.15:                               ;   in Loop: Header=BB139_10 Depth=2
	v_dual_mov_b32 v1, v0 :: v_dual_mov_b32 v2, v0
	v_mov_b32_e32 v3, v0
	ds_store_b128 v42, v[0:3]
; %bb.16:                               ;   in Loop: Header=BB139_10 Depth=2
	s_wait_alu 0xfffe
	s_and_not1_saveexec_b32 s3, s3
	s_cbranch_execz .LBB139_9
; %bb.17:                               ;   in Loop: Header=BB139_10 Depth=2
	global_load_b128 v[1:4], v[19:20], off
	s_wait_loadcnt 0x0
	ds_store_2addr_b64 v42, v[1:2], v[3:4] offset1:1
	s_branch .LBB139_9
.LBB139_18:                             ;   in Loop: Header=BB139_7 Depth=1
	s_mul_u64 s[2:3], s[28:29], s[6:7]
	s_wait_alu 0xfffe
	s_lshl_b64 s[2:3], s[2:3], 4
	s_wait_alu 0xfffe
	s_add_nc_u64 s[2:3], s[14:15], s[2:3]
	s_wait_alu 0xfffe
	v_add_co_u32 v17, vcc_lo, s2, v13
	s_wait_alu 0xfffd
	v_add_co_ci_u32_e64 v18, null, s3, v14, vcc_lo
	s_and_saveexec_b32 s25, s26
	s_cbranch_execz .LBB139_23
; %bb.19:                               ;   in Loop: Header=BB139_7 Depth=1
	v_mul_f64_e32 v[1:2], s[18:19], v[35:36]
	v_mul_f64_e32 v[3:4], s[16:17], v[35:36]
	s_and_b32 vcc_lo, exec_lo, s33
	s_mov_b32 s30, -1
	s_delay_alu instid0(VALU_DEP_2) | instskip(NEXT) | instid1(VALU_DEP_2)
	v_fma_f64 v[1:2], s[16:17], v[33:34], -v[1:2]
	v_fma_f64 v[3:4], s[18:19], v[33:34], v[3:4]
	s_wait_alu 0xfffe
	s_cbranch_vccz .LBB139_21
; %bb.20:                               ;   in Loop: Header=BB139_7 Depth=1
	v_lshlrev_b64_e32 v[19:20], 4, v[5:6]
	s_mov_b32 s30, 0
	s_delay_alu instid0(VALU_DEP_1) | instskip(SKIP_1) | instid1(VALU_DEP_2)
	v_add_co_u32 v19, vcc_lo, v17, v19
	s_wait_alu 0xfffd
	v_add_co_ci_u32_e64 v20, null, v18, v20, vcc_lo
	global_load_b128 v[33:36], v[19:20], off
	s_wait_loadcnt 0x0
	v_mul_f64_e32 v[43:44], s[12:13], v[35:36]
	v_mul_f64_e32 v[35:36], s[10:11], v[35:36]
	s_delay_alu instid0(VALU_DEP_2) | instskip(NEXT) | instid1(VALU_DEP_2)
	v_fma_f64 v[43:44], s[10:11], v[33:34], -v[43:44]
	v_fma_f64 v[35:36], s[12:13], v[33:34], v[35:36]
	s_delay_alu instid0(VALU_DEP_2) | instskip(NEXT) | instid1(VALU_DEP_2)
	v_add_f64_e32 v[33:34], v[1:2], v[43:44]
	v_add_f64_e32 v[35:36], v[3:4], v[35:36]
	global_store_b128 v[19:20], v[33:36], off
.LBB139_21:                             ;   in Loop: Header=BB139_7 Depth=1
	s_wait_alu 0xfffe
	s_and_not1_b32 vcc_lo, exec_lo, s30
	s_wait_alu 0xfffe
	s_cbranch_vccnz .LBB139_23
; %bb.22:                               ;   in Loop: Header=BB139_7 Depth=1
	v_lshlrev_b64_e32 v[19:20], 4, v[5:6]
	s_delay_alu instid0(VALU_DEP_1) | instskip(SKIP_1) | instid1(VALU_DEP_2)
	v_add_co_u32 v19, vcc_lo, v17, v19
	s_wait_alu 0xfffd
	v_add_co_ci_u32_e64 v20, null, v18, v20, vcc_lo
	global_store_b128 v[19:20], v[1:4], off
.LBB139_23:                             ;   in Loop: Header=BB139_7 Depth=1
	s_wait_alu 0xfffe
	s_or_b32 exec_lo, exec_lo, s25
	s_and_saveexec_b32 s25, s34
	s_cbranch_execz .LBB139_28
; %bb.24:                               ;   in Loop: Header=BB139_7 Depth=1
	v_mul_f64_e32 v[1:2], s[18:19], v[31:32]
	v_mul_f64_e32 v[3:4], s[16:17], v[31:32]
	s_and_not1_b32 vcc_lo, exec_lo, s33
	s_mov_b32 s30, -1
	s_delay_alu instid0(VALU_DEP_2) | instskip(NEXT) | instid1(VALU_DEP_2)
	v_fma_f64 v[1:2], s[16:17], v[29:30], -v[1:2]
	v_fma_f64 v[3:4], s[18:19], v[29:30], v[3:4]
	s_wait_alu 0xfffe
	s_cbranch_vccnz .LBB139_26
; %bb.25:                               ;   in Loop: Header=BB139_7 Depth=1
	v_lshlrev_b64_e32 v[19:20], 4, v[7:8]
	s_mov_b32 s30, 0
	s_delay_alu instid0(VALU_DEP_1) | instskip(SKIP_1) | instid1(VALU_DEP_2)
	v_add_co_u32 v19, vcc_lo, v17, v19
	s_wait_alu 0xfffd
	v_add_co_ci_u32_e64 v20, null, v18, v20, vcc_lo
	global_load_b128 v[29:32], v[19:20], off
	s_wait_loadcnt 0x0
	v_mul_f64_e32 v[33:34], s[12:13], v[31:32]
	v_mul_f64_e32 v[31:32], s[10:11], v[31:32]
	s_delay_alu instid0(VALU_DEP_2) | instskip(NEXT) | instid1(VALU_DEP_2)
	v_fma_f64 v[33:34], s[10:11], v[29:30], -v[33:34]
	v_fma_f64 v[31:32], s[12:13], v[29:30], v[31:32]
	s_delay_alu instid0(VALU_DEP_2) | instskip(NEXT) | instid1(VALU_DEP_2)
	v_add_f64_e32 v[29:30], v[1:2], v[33:34]
	v_add_f64_e32 v[31:32], v[3:4], v[31:32]
	global_store_b128 v[19:20], v[29:32], off
.LBB139_26:                             ;   in Loop: Header=BB139_7 Depth=1
	s_wait_alu 0xfffe
	s_and_not1_b32 vcc_lo, exec_lo, s30
	s_wait_alu 0xfffe
	s_cbranch_vccnz .LBB139_28
; %bb.27:                               ;   in Loop: Header=BB139_7 Depth=1
	v_lshlrev_b64_e32 v[19:20], 4, v[7:8]
	s_delay_alu instid0(VALU_DEP_1) | instskip(SKIP_1) | instid1(VALU_DEP_2)
	v_add_co_u32 v17, vcc_lo, v17, v19
	s_wait_alu 0xfffd
	v_add_co_ci_u32_e64 v18, null, v18, v20, vcc_lo
	global_store_b128 v[17:18], v[1:4], off
.LBB139_28:                             ;   in Loop: Header=BB139_7 Depth=1
	s_wait_alu 0xfffe
	s_or_b32 exec_lo, exec_lo, s25
	v_add_co_u32 v19, vcc_lo, s2, v15
	s_wait_alu 0xfffd
	v_add_co_ci_u32_e64 v20, null, s3, v16, vcc_lo
	s_and_saveexec_b32 s2, s35
	s_cbranch_execz .LBB139_33
; %bb.29:                               ;   in Loop: Header=BB139_7 Depth=1
	v_mul_f64_e32 v[1:2], s[18:19], v[27:28]
	v_mul_f64_e32 v[3:4], s[16:17], v[27:28]
	v_lshlrev_b64_e32 v[17:18], 4, v[5:6]
	s_and_not1_b32 vcc_lo, exec_lo, s33
	s_mov_b32 s3, -1
	s_delay_alu instid0(VALU_DEP_3) | instskip(NEXT) | instid1(VALU_DEP_3)
	v_fma_f64 v[1:2], s[16:17], v[25:26], -v[1:2]
	v_fma_f64 v[3:4], s[18:19], v[25:26], v[3:4]
	s_wait_alu 0xfffe
	s_cbranch_vccnz .LBB139_31
; %bb.30:                               ;   in Loop: Header=BB139_7 Depth=1
	v_add_co_u32 v29, vcc_lo, v19, v17
	s_wait_alu 0xfffd
	v_add_co_ci_u32_e64 v30, null, v20, v18, vcc_lo
	s_mov_b32 s3, 0
	global_load_b128 v[25:28], v[29:30], off
	s_wait_loadcnt 0x0
	v_mul_f64_e32 v[31:32], s[12:13], v[27:28]
	v_mul_f64_e32 v[27:28], s[10:11], v[27:28]
	s_delay_alu instid0(VALU_DEP_2) | instskip(NEXT) | instid1(VALU_DEP_2)
	v_fma_f64 v[31:32], s[10:11], v[25:26], -v[31:32]
	v_fma_f64 v[27:28], s[12:13], v[25:26], v[27:28]
	s_delay_alu instid0(VALU_DEP_2) | instskip(NEXT) | instid1(VALU_DEP_2)
	v_add_f64_e32 v[25:26], v[1:2], v[31:32]
	v_add_f64_e32 v[27:28], v[3:4], v[27:28]
	global_store_b128 v[29:30], v[25:28], off
.LBB139_31:                             ;   in Loop: Header=BB139_7 Depth=1
	s_wait_alu 0xfffe
	s_and_not1_b32 vcc_lo, exec_lo, s3
	s_wait_alu 0xfffe
	s_cbranch_vccnz .LBB139_33
; %bb.32:                               ;   in Loop: Header=BB139_7 Depth=1
	v_add_co_u32 v17, vcc_lo, v19, v17
	s_wait_alu 0xfffd
	v_add_co_ci_u32_e64 v18, null, v20, v18, vcc_lo
	global_store_b128 v[17:18], v[1:4], off
.LBB139_33:                             ;   in Loop: Header=BB139_7 Depth=1
	s_wait_alu 0xfffe
	s_or_b32 exec_lo, exec_lo, s2
	s_and_saveexec_b32 s2, s4
	s_cbranch_execz .LBB139_6
; %bb.34:                               ;   in Loop: Header=BB139_7 Depth=1
	v_mul_f64_e32 v[1:2], s[18:19], v[21:22]
	v_mul_f64_e32 v[3:4], s[16:17], v[21:22]
	v_lshlrev_b64_e32 v[17:18], 4, v[7:8]
	s_and_not1_b32 vcc_lo, exec_lo, s33
	s_mov_b32 s3, -1
	s_delay_alu instid0(VALU_DEP_3) | instskip(NEXT) | instid1(VALU_DEP_3)
	v_fma_f64 v[1:2], s[16:17], v[23:24], -v[1:2]
	v_fma_f64 v[3:4], s[18:19], v[23:24], v[3:4]
	s_wait_alu 0xfffe
	s_cbranch_vccnz .LBB139_36
; %bb.35:                               ;   in Loop: Header=BB139_7 Depth=1
	v_add_co_u32 v25, vcc_lo, v19, v17
	s_wait_alu 0xfffd
	v_add_co_ci_u32_e64 v26, null, v20, v18, vcc_lo
	s_mov_b32 s3, 0
	global_load_b128 v[21:24], v[25:26], off
	s_wait_loadcnt 0x0
	v_mul_f64_e32 v[27:28], s[12:13], v[23:24]
	v_mul_f64_e32 v[23:24], s[10:11], v[23:24]
	s_delay_alu instid0(VALU_DEP_2) | instskip(NEXT) | instid1(VALU_DEP_2)
	v_fma_f64 v[27:28], s[10:11], v[21:22], -v[27:28]
	v_fma_f64 v[23:24], s[12:13], v[21:22], v[23:24]
	s_delay_alu instid0(VALU_DEP_2) | instskip(NEXT) | instid1(VALU_DEP_2)
	v_add_f64_e32 v[21:22], v[1:2], v[27:28]
	v_add_f64_e32 v[23:24], v[3:4], v[23:24]
	global_store_b128 v[25:26], v[21:24], off
.LBB139_36:                             ;   in Loop: Header=BB139_7 Depth=1
	s_wait_alu 0xfffe
	s_and_not1_b32 vcc_lo, exec_lo, s3
	s_wait_alu 0xfffe
	s_cbranch_vccnz .LBB139_6
; %bb.37:                               ;   in Loop: Header=BB139_7 Depth=1
	v_add_co_u32 v17, vcc_lo, v19, v17
	s_wait_alu 0xfffd
	v_add_co_ci_u32_e64 v18, null, v20, v18, vcc_lo
	global_store_b128 v[17:18], v[1:4], off
	s_branch .LBB139_6
.LBB139_38:
.LBB139_39:
	s_endpgm
	.section	.rodata,"a",@progbits
	.p2align	6, 0x0
	.amdhsa_kernel _ZL29rocblas_internal_gemmt_kernelIiLi16ELi32ELi8ELc84ELc84ELc76ELb0ELb0E19rocblas_complex_numIdES1_PKS1_PS1_EviT_T9_T10_S5_lS7_S5_lS6_T11_S5_li
		.amdhsa_group_segment_fixed_size 8192
		.amdhsa_private_segment_fixed_size 0
		.amdhsa_kernarg_size 116
		.amdhsa_user_sgpr_count 2
		.amdhsa_user_sgpr_dispatch_ptr 0
		.amdhsa_user_sgpr_queue_ptr 0
		.amdhsa_user_sgpr_kernarg_segment_ptr 1
		.amdhsa_user_sgpr_dispatch_id 0
		.amdhsa_user_sgpr_private_segment_size 0
		.amdhsa_wavefront_size32 1
		.amdhsa_uses_dynamic_stack 0
		.amdhsa_enable_private_segment 0
		.amdhsa_system_sgpr_workgroup_id_x 1
		.amdhsa_system_sgpr_workgroup_id_y 1
		.amdhsa_system_sgpr_workgroup_id_z 1
		.amdhsa_system_sgpr_workgroup_info 0
		.amdhsa_system_vgpr_workitem_id 1
		.amdhsa_next_free_vgpr 65
		.amdhsa_next_free_sgpr 40
		.amdhsa_reserve_vcc 1
		.amdhsa_float_round_mode_32 0
		.amdhsa_float_round_mode_16_64 0
		.amdhsa_float_denorm_mode_32 3
		.amdhsa_float_denorm_mode_16_64 3
		.amdhsa_fp16_overflow 0
		.amdhsa_workgroup_processor_mode 1
		.amdhsa_memory_ordered 1
		.amdhsa_forward_progress 1
		.amdhsa_inst_pref_size 29
		.amdhsa_round_robin_scheduling 0
		.amdhsa_exception_fp_ieee_invalid_op 0
		.amdhsa_exception_fp_denorm_src 0
		.amdhsa_exception_fp_ieee_div_zero 0
		.amdhsa_exception_fp_ieee_overflow 0
		.amdhsa_exception_fp_ieee_underflow 0
		.amdhsa_exception_fp_ieee_inexact 0
		.amdhsa_exception_int_div_zero 0
	.end_amdhsa_kernel
	.section	.text._ZL29rocblas_internal_gemmt_kernelIiLi16ELi32ELi8ELc84ELc84ELc76ELb0ELb0E19rocblas_complex_numIdES1_PKS1_PS1_EviT_T9_T10_S5_lS7_S5_lS6_T11_S5_li,"axG",@progbits,_ZL29rocblas_internal_gemmt_kernelIiLi16ELi32ELi8ELc84ELc84ELc76ELb0ELb0E19rocblas_complex_numIdES1_PKS1_PS1_EviT_T9_T10_S5_lS7_S5_lS6_T11_S5_li,comdat
.Lfunc_end139:
	.size	_ZL29rocblas_internal_gemmt_kernelIiLi16ELi32ELi8ELc84ELc84ELc76ELb0ELb0E19rocblas_complex_numIdES1_PKS1_PS1_EviT_T9_T10_S5_lS7_S5_lS6_T11_S5_li, .Lfunc_end139-_ZL29rocblas_internal_gemmt_kernelIiLi16ELi32ELi8ELc84ELc84ELc76ELb0ELb0E19rocblas_complex_numIdES1_PKS1_PS1_EviT_T9_T10_S5_lS7_S5_lS6_T11_S5_li
                                        ; -- End function
	.set _ZL29rocblas_internal_gemmt_kernelIiLi16ELi32ELi8ELc84ELc84ELc76ELb0ELb0E19rocblas_complex_numIdES1_PKS1_PS1_EviT_T9_T10_S5_lS7_S5_lS6_T11_S5_li.num_vgpr, 65
	.set _ZL29rocblas_internal_gemmt_kernelIiLi16ELi32ELi8ELc84ELc84ELc76ELb0ELb0E19rocblas_complex_numIdES1_PKS1_PS1_EviT_T9_T10_S5_lS7_S5_lS6_T11_S5_li.num_agpr, 0
	.set _ZL29rocblas_internal_gemmt_kernelIiLi16ELi32ELi8ELc84ELc84ELc76ELb0ELb0E19rocblas_complex_numIdES1_PKS1_PS1_EviT_T9_T10_S5_lS7_S5_lS6_T11_S5_li.numbered_sgpr, 40
	.set _ZL29rocblas_internal_gemmt_kernelIiLi16ELi32ELi8ELc84ELc84ELc76ELb0ELb0E19rocblas_complex_numIdES1_PKS1_PS1_EviT_T9_T10_S5_lS7_S5_lS6_T11_S5_li.num_named_barrier, 0
	.set _ZL29rocblas_internal_gemmt_kernelIiLi16ELi32ELi8ELc84ELc84ELc76ELb0ELb0E19rocblas_complex_numIdES1_PKS1_PS1_EviT_T9_T10_S5_lS7_S5_lS6_T11_S5_li.private_seg_size, 0
	.set _ZL29rocblas_internal_gemmt_kernelIiLi16ELi32ELi8ELc84ELc84ELc76ELb0ELb0E19rocblas_complex_numIdES1_PKS1_PS1_EviT_T9_T10_S5_lS7_S5_lS6_T11_S5_li.uses_vcc, 1
	.set _ZL29rocblas_internal_gemmt_kernelIiLi16ELi32ELi8ELc84ELc84ELc76ELb0ELb0E19rocblas_complex_numIdES1_PKS1_PS1_EviT_T9_T10_S5_lS7_S5_lS6_T11_S5_li.uses_flat_scratch, 0
	.set _ZL29rocblas_internal_gemmt_kernelIiLi16ELi32ELi8ELc84ELc84ELc76ELb0ELb0E19rocblas_complex_numIdES1_PKS1_PS1_EviT_T9_T10_S5_lS7_S5_lS6_T11_S5_li.has_dyn_sized_stack, 0
	.set _ZL29rocblas_internal_gemmt_kernelIiLi16ELi32ELi8ELc84ELc84ELc76ELb0ELb0E19rocblas_complex_numIdES1_PKS1_PS1_EviT_T9_T10_S5_lS7_S5_lS6_T11_S5_li.has_recursion, 0
	.set _ZL29rocblas_internal_gemmt_kernelIiLi16ELi32ELi8ELc84ELc84ELc76ELb0ELb0E19rocblas_complex_numIdES1_PKS1_PS1_EviT_T9_T10_S5_lS7_S5_lS6_T11_S5_li.has_indirect_call, 0
	.section	.AMDGPU.csdata,"",@progbits
; Kernel info:
; codeLenInByte = 3692
; TotalNumSgprs: 42
; NumVgprs: 65
; ScratchSize: 0
; MemoryBound: 0
; FloatMode: 240
; IeeeMode: 1
; LDSByteSize: 8192 bytes/workgroup (compile time only)
; SGPRBlocks: 0
; VGPRBlocks: 8
; NumSGPRsForWavesPerEU: 42
; NumVGPRsForWavesPerEU: 65
; Occupancy: 16
; WaveLimiterHint : 0
; COMPUTE_PGM_RSRC2:SCRATCH_EN: 0
; COMPUTE_PGM_RSRC2:USER_SGPR: 2
; COMPUTE_PGM_RSRC2:TRAP_HANDLER: 0
; COMPUTE_PGM_RSRC2:TGID_X_EN: 1
; COMPUTE_PGM_RSRC2:TGID_Y_EN: 1
; COMPUTE_PGM_RSRC2:TGID_Z_EN: 1
; COMPUTE_PGM_RSRC2:TIDIG_COMP_CNT: 1
	.section	.text._ZL29rocblas_internal_gemmt_kernelIiLi16ELi32ELi8ELc84ELc67ELc76ELb0ELb1E19rocblas_complex_numIdES1_PKS1_PS1_EviT_T9_T10_S5_lS7_S5_lS6_T11_S5_li,"axG",@progbits,_ZL29rocblas_internal_gemmt_kernelIiLi16ELi32ELi8ELc84ELc67ELc76ELb0ELb1E19rocblas_complex_numIdES1_PKS1_PS1_EviT_T9_T10_S5_lS7_S5_lS6_T11_S5_li,comdat
	.globl	_ZL29rocblas_internal_gemmt_kernelIiLi16ELi32ELi8ELc84ELc67ELc76ELb0ELb1E19rocblas_complex_numIdES1_PKS1_PS1_EviT_T9_T10_S5_lS7_S5_lS6_T11_S5_li ; -- Begin function _ZL29rocblas_internal_gemmt_kernelIiLi16ELi32ELi8ELc84ELc67ELc76ELb0ELb1E19rocblas_complex_numIdES1_PKS1_PS1_EviT_T9_T10_S5_lS7_S5_lS6_T11_S5_li
	.p2align	8
	.type	_ZL29rocblas_internal_gemmt_kernelIiLi16ELi32ELi8ELc84ELc67ELc76ELb0ELb1E19rocblas_complex_numIdES1_PKS1_PS1_EviT_T9_T10_S5_lS7_S5_lS6_T11_S5_li,@function
_ZL29rocblas_internal_gemmt_kernelIiLi16ELi32ELi8ELc84ELc67ELc76ELb0ELb1E19rocblas_complex_numIdES1_PKS1_PS1_EviT_T9_T10_S5_lS7_S5_lS6_T11_S5_li: ; @_ZL29rocblas_internal_gemmt_kernelIiLi16ELi32ELi8ELc84ELc67ELc76ELb0ELb1E19rocblas_complex_numIdES1_PKS1_PS1_EviT_T9_T10_S5_lS7_S5_lS6_T11_S5_li
; %bb.0:
	s_clause 0x2
	s_load_b256 s[8:15], s[0:1], 0x40
	s_load_b64 s[6:7], s[0:1], 0x0
	s_load_b128 s[16:19], s[0:1], 0x8
	s_wait_kmcnt 0x0
	v_cmp_eq_f64_e64 s2, s[10:11], 1.0
	v_cmp_eq_f64_e64 s5, s[12:13], 0
	s_and_b32 s2, s2, s5
	s_delay_alu instid0(SALU_CYCLE_1)
	s_and_not1_b32 vcc_lo, exec_lo, s2
	s_mov_b32 s2, -1
	s_cbranch_vccnz .LBB140_3
; %bb.1:
	s_cmp_lg_u32 s7, 0
	s_cbranch_scc0 .LBB140_36
; %bb.2:
	v_cmp_neq_f64_e64 s2, s[16:17], 0
	v_cmp_neq_f64_e64 s3, s[18:19], 0
	s_or_b32 s2, s2, s3
.LBB140_3:
	s_delay_alu instid0(SALU_CYCLE_1)
	s_and_b32 vcc_lo, exec_lo, s2
	s_cbranch_vccz .LBB140_37
; %bb.4:
	s_load_b32 s27, s[0:1], 0x70
	s_lshr_b32 s28, ttmp7, 16
	s_wait_kmcnt 0x0
	s_cmp_ge_u32 s28, s27
	s_cbranch_scc1 .LBB140_37
; %bb.5:
	v_cmp_neq_f64_e64 s33, s[16:17], 0
	v_cmp_neq_f64_e64 s36, s[18:19], 0
	v_and_b32_e32 v1, 0x3ff, v0
	v_bfe_u32 v2, v0, 10, 10
	s_clause 0x4
	s_load_b96 s[24:26], s[0:1], 0x18
	s_load_b128 s[20:23], s[0:1], 0x28
	s_load_b32 s34, s[0:1], 0x38
	s_load_b32 s38, s[0:1], 0x60
	s_load_b64 s[30:31], s[0:1], 0x68
	v_and_b32_e32 v37, 7, v0
	s_lshl_b32 s0, ttmp9, 5
	v_lshlrev_b32_e32 v38, 4, v1
	v_lshl_add_u32 v0, v2, 4, v1
	v_add_nc_u32_e32 v5, s0, v1
	s_lshl_b32 s1, ttmp7, 5
	v_cmp_neq_f64_e64 s37, s[10:11], 0
	s_wait_alu 0xfffe
	s_and_b32 s2, s1, 0x1fffe0
	v_and_b32_e32 v1, 31, v0
	v_lshlrev_b32_e32 v3, 4, v37
	v_lshrrev_b32_e32 v40, 5, v0
	v_lshrrev_b32_e32 v0, 3, v0
	v_add_nc_u32_e32 v4, s2, v2
	v_lshl_add_u32 v39, v2, 7, 0x1000
	v_or_b32_e32 v2, s0, v1
	v_add_nc_u32_e32 v7, 16, v5
	v_add_nc_u32_e32 v11, s2, v0
	v_lshlrev_b32_e32 v1, 4, v1
	v_lshl_or_b32 v0, v0, 7, v3
	v_cmp_gt_i32_e64 s4, s6, v2
	s_wait_kmcnt 0x0
	v_mad_co_i64_i32 v[2:3], null, s26, v2, 0
	v_mad_co_i64_i32 v[9:10], null, s34, v37, 0
	v_cmp_le_i32_e32 vcc_lo, v4, v5
	v_cmp_gt_i32_e64 s1, s6, v5
	v_cmp_le_i32_e64 s2, v4, v7
	v_cmp_gt_i32_e64 s3, s6, v7
	v_lshl_or_b32 v41, v40, 9, v1
	v_add_nc_u32_e32 v42, 0x1000, v0
	v_mad_co_i64_i32 v[0:1], null, v4, s38, 0
	v_add_nc_u32_e32 v4, 16, v4
	s_ashr_i32 s35, s34, 31
	s_or_b32 s39, s33, s36
	s_cmp_gt_i32 s7, 0
	v_lshlrev_b64_e32 v[2:3], 4, v[2:3]
	s_cselect_b32 s40, -1, 0
	s_and_b32 s33, vcc_lo, s1
	s_and_b32 s36, s2, s3
	v_cmp_le_i32_e32 vcc_lo, v4, v5
	v_cmp_le_i32_e64 s2, v4, v7
	v_mad_co_i64_i32 v[15:16], null, v4, s38, 0
	v_lshlrev_b32_e32 v4, 4, v40
	v_lshlrev_b64_e32 v[9:10], 4, v[9:10]
	v_cmp_gt_i32_e64 s0, s6, v11
	v_lshlrev_b32_e32 v11, 4, v11
	s_and_b32 s1, vcc_lo, s1
	v_add_co_u32 v2, vcc_lo, v2, v4
	s_delay_alu instid0(VALU_DEP_1) | instskip(NEXT) | instid1(VALU_DEP_3)
	v_add_co_ci_u32_e64 v3, null, 0, v3, vcc_lo
	v_add_co_u32 v4, vcc_lo, v9, v11
	s_wait_alu 0xfffd
	v_add_co_ci_u32_e64 v11, null, 0, v10, vcc_lo
	v_add_co_u32 v9, vcc_lo, s24, v2
	s_wait_alu 0xfffd
	;; [unrolled: 3-line block ×3, first 2 shown]
	v_add_co_ci_u32_e64 v3, null, s23, v11, vcc_lo
	v_lshlrev_b64_e32 v[13:14], 4, v[0:1]
	s_delay_alu instid0(VALU_DEP_3)
	v_add_co_u32 v11, vcc_lo, v2, 8
	v_lshlrev_b64_e32 v[15:16], 4, v[15:16]
	v_ashrrev_i32_e32 v6, 31, v5
	v_ashrrev_i32_e32 v8, 31, v7
	s_wait_alu 0xfffd
	v_add_co_ci_u32_e64 v12, null, 0, v3, vcc_lo
	v_mov_b32_e32 v0, 0
	s_xor_b32 s5, s5, -1
	s_mov_b32 s29, 0
	s_or_b32 s6, s37, s5
	s_and_b32 s26, s2, s3
	s_lshl_b64 s[2:3], s[20:21], 4
	s_wait_alu 0xfffe
	s_and_b32 s22, s39, s40
	s_lshl_b64 s[8:9], s[8:9], 4
	s_lshl_b64 s[20:21], s[34:35], 7
	s_xor_b32 s23, s4, -1
	s_branch .LBB140_7
.LBB140_6:                              ;   in Loop: Header=BB140_7 Depth=1
	s_wait_alu 0xfffe
	s_or_b32 exec_lo, exec_lo, s4
	s_add_co_i32 s28, s28, 0x10000
	s_wait_alu 0xfffe
	s_cmp_lt_u32 s28, s27
	s_cbranch_scc0 .LBB140_37
.LBB140_7:                              ; =>This Loop Header: Depth=1
                                        ;     Child Loop BB140_10 Depth 2
	v_mov_b32_e32 v33, 0
	v_mov_b32_e32 v29, 0
	;; [unrolled: 1-line block ×3, first 2 shown]
	v_dual_mov_b32 v23, 0 :: v_dual_mov_b32 v34, 0
	v_dual_mov_b32 v35, 0 :: v_dual_mov_b32 v30, 0
	;; [unrolled: 1-line block ×5, first 2 shown]
	v_mov_b32_e32 v32, 0
	v_mov_b32_e32 v28, 0
	;; [unrolled: 1-line block ×3, first 2 shown]
	s_wait_alu 0xfffe
	s_and_not1_b32 vcc_lo, exec_lo, s22
	s_wait_alu 0xfffe
	s_cbranch_vccnz .LBB140_16
; %bb.8:                                ;   in Loop: Header=BB140_7 Depth=1
	v_mad_co_u64_u32 v[17:18], null, s2, s28, v[9:10]
	v_mad_co_u64_u32 v[19:20], null, s8, s28, v[11:12]
	v_mov_b32_e32 v21, 0
	v_mov_b32_e32 v23, 0
	;; [unrolled: 1-line block ×4, first 2 shown]
	v_dual_mov_b32 v1, v18 :: v_dual_mov_b32 v22, 0
	v_mov_b32_e32 v2, v20
	v_dual_mov_b32 v24, 0 :: v_dual_mov_b32 v27, 0
	v_dual_mov_b32 v26, 0 :: v_dual_mov_b32 v31, 0
	s_delay_alu instid0(VALU_DEP_3)
	v_mad_co_u64_u32 v[3:4], null, s3, s28, v[1:2]
	v_dual_mov_b32 v30, 0 :: v_dual_mov_b32 v35, 0
	v_dual_mov_b32 v33, 0 :: v_dual_mov_b32 v28, 0
	v_mov_b32_e32 v32, 0
	v_mov_b32_e32 v36, 0
	v_mad_co_u64_u32 v[1:2], null, s9, s28, v[2:3]
	v_mov_b32_e32 v34, 0
	v_mov_b32_e32 v18, v3
	s_mov_b32 s4, 0
	s_delay_alu instid0(VALU_DEP_3)
	v_mov_b32_e32 v20, v1
	s_branch .LBB140_10
.LBB140_9:                              ;   in Loop: Header=BB140_10 Depth=2
	s_wait_alu 0xfffe
	s_or_b32 exec_lo, exec_lo, s5
	ds_store_b128 v42, v[1:4]
	s_wait_dscnt 0x0
	s_barrier_signal -1
	s_barrier_wait -1
	global_inv scope:SCOPE_SE
	ds_load_b128 v[1:4], v39
	ds_load_b128 v[43:46], v38
	ds_load_b128 v[47:50], v38 offset:256
	ds_load_b128 v[51:54], v39 offset:2048
	;; [unrolled: 1-line block ×10, first 2 shown]
	v_add_co_u32 v17, vcc_lo, 0x80, v17
	s_wait_alu 0xfffd
	v_add_co_ci_u32_e64 v18, null, 0, v18, vcc_lo
	v_add_co_u32 v19, vcc_lo, v19, s20
	s_wait_alu 0xfffd
	v_add_co_ci_u32_e64 v20, null, s21, v20, vcc_lo
	s_add_co_i32 s4, s4, 8
	s_wait_alu 0xfffe
	s_cmp_lt_i32 s4, s7
	s_wait_dscnt 0xa
	v_mul_f64_e32 v[87:88], v[3:4], v[45:46]
	v_mul_f64_e32 v[89:90], v[1:2], v[45:46]
	s_wait_dscnt 0x9
	v_mul_f64_e32 v[91:92], v[3:4], v[49:50]
	v_mul_f64_e32 v[93:94], v[1:2], v[49:50]
	;; [unrolled: 3-line block ×3, first 2 shown]
	v_mul_f64_e32 v[97:98], v[53:54], v[49:50]
	v_mul_f64_e32 v[49:50], v[51:52], v[49:50]
	s_wait_dscnt 0x5
	v_mul_f64_e32 v[99:100], v[57:58], v[65:66]
	v_mul_f64_e32 v[101:102], v[55:56], v[65:66]
	s_wait_dscnt 0x4
	v_mul_f64_e32 v[103:104], v[57:58], v[69:70]
	v_mul_f64_e32 v[105:106], v[55:56], v[69:70]
	;; [unrolled: 1-line block ×6, first 2 shown]
	s_wait_dscnt 0x2
	v_mul_f64_e32 v[115:116], v[73:74], v[77:78]
	v_mul_f64_e32 v[117:118], v[71:72], v[77:78]
	s_wait_dscnt 0x1
	v_mul_f64_e32 v[119:120], v[73:74], v[81:82]
	v_mul_f64_e32 v[121:122], v[71:72], v[81:82]
	;; [unrolled: 3-line block ×3, first 2 shown]
	v_mul_f64_e32 v[125:126], v[85:86], v[81:82]
	v_mul_f64_e32 v[81:82], v[83:84], v[81:82]
	v_fma_f64 v[87:88], v[1:2], v[43:44], -v[87:88]
	v_fma_f64 v[89:90], v[3:4], v[43:44], v[89:90]
	v_fma_f64 v[91:92], v[1:2], v[47:48], -v[91:92]
	v_fma_f64 v[93:94], v[3:4], v[47:48], v[93:94]
	;; [unrolled: 2-line block ×8, first 2 shown]
	ds_load_b128 v[1:4], v39 offset:48
	ds_load_b128 v[43:46], v39 offset:2096
	;; [unrolled: 1-line block ×4, first 2 shown]
	v_fma_f64 v[115:116], v[71:72], v[75:76], -v[115:116]
	v_fma_f64 v[117:118], v[73:74], v[75:76], v[117:118]
	v_fma_f64 v[71:72], v[71:72], v[79:80], -v[119:120]
	v_fma_f64 v[73:74], v[73:74], v[79:80], v[121:122]
	;; [unrolled: 2-line block ×4, first 2 shown]
	s_wait_dscnt 0x1
	v_mul_f64_e32 v[105:106], v[1:2], v[49:50]
	s_wait_dscnt 0x0
	v_mul_f64_e32 v[107:108], v[3:4], v[53:54]
	v_mul_f64_e32 v[109:110], v[1:2], v[53:54]
	v_add_f64_e32 v[65:66], v[33:34], v[87:88]
	v_add_f64_e32 v[67:68], v[89:90], v[35:36]
	;; [unrolled: 1-line block ×8, first 2 shown]
	v_mul_f64_e32 v[97:98], v[3:4], v[49:50]
	v_mul_f64_e32 v[111:112], v[45:46], v[49:50]
	;; [unrolled: 1-line block ×5, first 2 shown]
	ds_load_b128 v[21:24], v39 offset:64
	ds_load_b128 v[25:28], v38 offset:2048
	;; [unrolled: 1-line block ×4, first 2 shown]
	s_wait_dscnt 0x0
	v_mul_f64_e32 v[121:122], v[35:36], v[27:28]
	v_mul_f64_e32 v[123:124], v[35:36], v[31:32]
	v_fma_f64 v[105:106], v[3:4], v[47:48], v[105:106]
	v_fma_f64 v[107:108], v[1:2], v[51:52], -v[107:108]
	v_fma_f64 v[109:110], v[3:4], v[51:52], v[109:110]
	v_add_f64_e32 v[81:82], v[65:66], v[99:100]
	v_add_f64_e32 v[83:84], v[101:102], v[67:68]
	;; [unrolled: 1-line block ×8, first 2 shown]
	v_mul_f64_e32 v[95:96], v[23:24], v[27:28]
	v_mul_f64_e32 v[99:100], v[21:22], v[27:28]
	;; [unrolled: 1-line block ×6, first 2 shown]
	v_fma_f64 v[97:98], v[1:2], v[47:48], -v[97:98]
	v_fma_f64 v[111:112], v[43:44], v[47:48], -v[111:112]
	v_fma_f64 v[125:126], v[45:46], v[47:48], v[49:50]
	v_fma_f64 v[113:114], v[43:44], v[51:52], -v[113:114]
	v_fma_f64 v[51:52], v[45:46], v[51:52], v[127:128]
	ds_load_b128 v[53:56], v39 offset:80
	ds_load_b128 v[57:60], v39 offset:2128
	;; [unrolled: 1-line block ×4, first 2 shown]
	v_fma_f64 v[121:122], v[33:34], v[25:26], -v[121:122]
	v_fma_f64 v[123:124], v[33:34], v[29:30], -v[123:124]
	v_add_f64_e32 v[81:82], v[81:82], v[115:116]
	v_add_f64_e32 v[83:84], v[117:118], v[83:84]
	;; [unrolled: 1-line block ×8, first 2 shown]
	s_wait_dscnt 0x1
	v_mul_f64_e32 v[87:88], v[55:56], v[63:64]
	v_mul_f64_e32 v[89:90], v[53:54], v[63:64]
	s_wait_dscnt 0x0
	v_mul_f64_e32 v[91:92], v[55:56], v[67:68]
	v_mul_f64_e32 v[93:94], v[53:54], v[67:68]
	;; [unrolled: 1-line block ×6, first 2 shown]
	v_fma_f64 v[95:96], v[21:22], v[25:26], -v[95:96]
	v_fma_f64 v[99:100], v[23:24], v[25:26], v[99:100]
	v_fma_f64 v[101:102], v[21:22], v[29:30], -v[101:102]
	v_fma_f64 v[103:104], v[23:24], v[29:30], v[103:104]
	v_fma_f64 v[127:128], v[35:36], v[25:26], v[27:28]
	;; [unrolled: 1-line block ×3, first 2 shown]
	ds_load_b128 v[1:4], v39 offset:96
	ds_load_b128 v[43:46], v38 offset:3072
	;; [unrolled: 1-line block ×8, first 2 shown]
	s_wait_loadcnt_dscnt 0x0
	s_barrier_signal -1
	s_barrier_wait -1
	global_inv scope:SCOPE_SE
	v_add_f64_e32 v[81:82], v[81:82], v[97:98]
	v_add_f64_e32 v[83:84], v[105:106], v[83:84]
	;; [unrolled: 1-line block ×8, first 2 shown]
	v_mul_f64_e32 v[79:80], v[3:4], v[45:46]
	v_mul_f64_e32 v[105:106], v[1:2], v[45:46]
	;; [unrolled: 1-line block ×8, first 2 shown]
	v_fma_f64 v[87:88], v[53:54], v[61:62], -v[87:88]
	v_fma_f64 v[89:90], v[55:56], v[61:62], v[89:90]
	v_fma_f64 v[53:54], v[53:54], v[65:66], -v[91:92]
	v_fma_f64 v[55:56], v[55:56], v[65:66], v[93:94]
	;; [unrolled: 2-line block ×4, first 2 shown]
	v_mul_f64_e32 v[93:94], v[23:24], v[35:36]
	v_add_f64_e32 v[63:64], v[81:82], v[95:96]
	v_add_f64_e32 v[65:66], v[99:100], v[83:84]
	;; [unrolled: 1-line block ×8, first 2 shown]
	v_mul_f64_e32 v[83:84], v[23:24], v[31:32]
	v_mul_f64_e32 v[85:86], v[21:22], v[31:32]
	;; [unrolled: 1-line block ×7, first 2 shown]
	v_fma_f64 v[79:80], v[1:2], v[43:44], -v[79:80]
	v_fma_f64 v[101:102], v[3:4], v[43:44], v[105:106]
	v_fma_f64 v[1:2], v[1:2], v[47:48], -v[107:108]
	v_fma_f64 v[3:4], v[3:4], v[47:48], v[109:110]
	;; [unrolled: 2-line block ×4, first 2 shown]
	v_add_f64_e32 v[49:50], v[63:64], v[87:88]
	v_add_f64_e32 v[63:64], v[89:90], v[65:66]
	;; [unrolled: 1-line block ×8, first 2 shown]
	v_fma_f64 v[59:60], v[21:22], v[29:30], -v[83:84]
	v_fma_f64 v[67:68], v[23:24], v[29:30], v[85:86]
	v_fma_f64 v[21:22], v[21:22], v[33:34], -v[93:94]
	v_fma_f64 v[23:24], v[23:24], v[33:34], v[95:96]
	;; [unrolled: 2-line block ×4, first 2 shown]
	v_add_f64_e32 v[25:26], v[49:50], v[79:80]
	v_add_f64_e32 v[27:28], v[101:102], v[63:64]
	;; [unrolled: 1-line block ×16, first 2 shown]
	s_cbranch_scc0 .LBB140_16
.LBB140_10:                             ;   Parent Loop BB140_7 Depth=1
                                        ; =>  This Inner Loop Header: Depth=2
	s_wait_alu 0xfffe
	v_add_nc_u32_e32 v1, s4, v40
	s_delay_alu instid0(VALU_DEP_1)
	v_cmp_le_i32_e32 vcc_lo, s7, v1
	s_or_b32 s5, s23, vcc_lo
	s_wait_alu 0xfffe
	s_and_saveexec_b32 s24, s5
	s_wait_alu 0xfffe
	s_xor_b32 s5, exec_lo, s24
; %bb.11:                               ;   in Loop: Header=BB140_10 Depth=2
	v_dual_mov_b32 v1, v0 :: v_dual_mov_b32 v2, v0
	v_mov_b32_e32 v3, v0
	ds_store_b128 v41, v[0:3]
; %bb.12:                               ;   in Loop: Header=BB140_10 Depth=2
	s_wait_alu 0xfffe
	s_and_not1_saveexec_b32 s5, s5
	s_cbranch_execz .LBB140_14
; %bb.13:                               ;   in Loop: Header=BB140_10 Depth=2
	global_load_b128 v[1:4], v[17:18], off
	s_wait_loadcnt 0x0
	ds_store_2addr_b64 v41, v[1:2], v[3:4] offset1:1
.LBB140_14:                             ;   in Loop: Header=BB140_10 Depth=2
	s_wait_alu 0xfffe
	s_or_b32 exec_lo, exec_lo, s5
	v_add_nc_u32_e32 v1, s4, v37
	v_mov_b32_e32 v3, 0
	v_mov_b32_e32 v4, 0
	s_delay_alu instid0(VALU_DEP_3)
	v_cmp_gt_i32_e32 vcc_lo, s7, v1
	v_mov_b32_e32 v1, 0
	v_mov_b32_e32 v2, 0
	s_and_b32 s24, vcc_lo, s0
	s_wait_alu 0xfffe
	s_and_saveexec_b32 s5, s24
	s_cbranch_execz .LBB140_9
; %bb.15:                               ;   in Loop: Header=BB140_10 Depth=2
	global_load_b128 v[1:4], v[19:20], off offset:-8
	s_wait_loadcnt 0x0
	v_xor_b32_e32 v4, 0x80000000, v4
	s_branch .LBB140_9
.LBB140_16:                             ;   in Loop: Header=BB140_7 Depth=1
	s_mul_u64 s[4:5], s[30:31], s[28:29]
	s_wait_alu 0xfffe
	s_lshl_b64 s[4:5], s[4:5], 4
	s_wait_alu 0xfffe
	s_add_nc_u64 s[4:5], s[14:15], s[4:5]
	s_wait_alu 0xfffe
	v_add_co_u32 v17, vcc_lo, s4, v13
	s_wait_alu 0xfffd
	v_add_co_ci_u32_e64 v18, null, s5, v14, vcc_lo
	s_and_saveexec_b32 s24, s33
	s_cbranch_execz .LBB140_21
; %bb.17:                               ;   in Loop: Header=BB140_7 Depth=1
	v_mul_f64_e32 v[1:2], s[18:19], v[35:36]
	v_mul_f64_e32 v[3:4], s[16:17], v[35:36]
	s_and_b32 vcc_lo, exec_lo, s6
	s_mov_b32 s25, -1
	s_delay_alu instid0(VALU_DEP_2) | instskip(NEXT) | instid1(VALU_DEP_2)
	v_fma_f64 v[1:2], s[16:17], v[33:34], -v[1:2]
	v_fma_f64 v[3:4], s[18:19], v[33:34], v[3:4]
	s_wait_alu 0xfffe
	s_cbranch_vccz .LBB140_19
; %bb.18:                               ;   in Loop: Header=BB140_7 Depth=1
	v_lshlrev_b64_e32 v[19:20], 4, v[5:6]
	s_mov_b32 s25, 0
	s_delay_alu instid0(VALU_DEP_1) | instskip(SKIP_1) | instid1(VALU_DEP_2)
	v_add_co_u32 v19, vcc_lo, v17, v19
	s_wait_alu 0xfffd
	v_add_co_ci_u32_e64 v20, null, v18, v20, vcc_lo
	global_load_b128 v[33:36], v[19:20], off
	s_wait_loadcnt 0x0
	v_mul_f64_e32 v[43:44], s[12:13], v[35:36]
	v_mul_f64_e32 v[35:36], s[10:11], v[35:36]
	s_delay_alu instid0(VALU_DEP_2) | instskip(NEXT) | instid1(VALU_DEP_2)
	v_fma_f64 v[43:44], s[10:11], v[33:34], -v[43:44]
	v_fma_f64 v[35:36], s[12:13], v[33:34], v[35:36]
	s_delay_alu instid0(VALU_DEP_2) | instskip(NEXT) | instid1(VALU_DEP_2)
	v_add_f64_e32 v[33:34], v[1:2], v[43:44]
	v_add_f64_e32 v[35:36], v[3:4], v[35:36]
	global_store_b128 v[19:20], v[33:36], off
.LBB140_19:                             ;   in Loop: Header=BB140_7 Depth=1
	s_wait_alu 0xfffe
	s_and_not1_b32 vcc_lo, exec_lo, s25
	s_wait_alu 0xfffe
	s_cbranch_vccnz .LBB140_21
; %bb.20:                               ;   in Loop: Header=BB140_7 Depth=1
	v_lshlrev_b64_e32 v[19:20], 4, v[5:6]
	s_delay_alu instid0(VALU_DEP_1) | instskip(SKIP_1) | instid1(VALU_DEP_2)
	v_add_co_u32 v19, vcc_lo, v17, v19
	s_wait_alu 0xfffd
	v_add_co_ci_u32_e64 v20, null, v18, v20, vcc_lo
	global_store_b128 v[19:20], v[1:4], off
.LBB140_21:                             ;   in Loop: Header=BB140_7 Depth=1
	s_wait_alu 0xfffe
	s_or_b32 exec_lo, exec_lo, s24
	s_and_saveexec_b32 s24, s36
	s_cbranch_execz .LBB140_26
; %bb.22:                               ;   in Loop: Header=BB140_7 Depth=1
	v_mul_f64_e32 v[1:2], s[18:19], v[31:32]
	v_mul_f64_e32 v[3:4], s[16:17], v[31:32]
	s_and_not1_b32 vcc_lo, exec_lo, s6
	s_mov_b32 s25, -1
	s_delay_alu instid0(VALU_DEP_2) | instskip(NEXT) | instid1(VALU_DEP_2)
	v_fma_f64 v[1:2], s[16:17], v[29:30], -v[1:2]
	v_fma_f64 v[3:4], s[18:19], v[29:30], v[3:4]
	s_wait_alu 0xfffe
	s_cbranch_vccnz .LBB140_24
; %bb.23:                               ;   in Loop: Header=BB140_7 Depth=1
	v_lshlrev_b64_e32 v[19:20], 4, v[7:8]
	s_mov_b32 s25, 0
	s_delay_alu instid0(VALU_DEP_1) | instskip(SKIP_1) | instid1(VALU_DEP_2)
	v_add_co_u32 v19, vcc_lo, v17, v19
	s_wait_alu 0xfffd
	v_add_co_ci_u32_e64 v20, null, v18, v20, vcc_lo
	global_load_b128 v[29:32], v[19:20], off
	s_wait_loadcnt 0x0
	v_mul_f64_e32 v[33:34], s[12:13], v[31:32]
	v_mul_f64_e32 v[31:32], s[10:11], v[31:32]
	s_delay_alu instid0(VALU_DEP_2) | instskip(NEXT) | instid1(VALU_DEP_2)
	v_fma_f64 v[33:34], s[10:11], v[29:30], -v[33:34]
	v_fma_f64 v[31:32], s[12:13], v[29:30], v[31:32]
	s_delay_alu instid0(VALU_DEP_2) | instskip(NEXT) | instid1(VALU_DEP_2)
	v_add_f64_e32 v[29:30], v[1:2], v[33:34]
	v_add_f64_e32 v[31:32], v[3:4], v[31:32]
	global_store_b128 v[19:20], v[29:32], off
.LBB140_24:                             ;   in Loop: Header=BB140_7 Depth=1
	s_wait_alu 0xfffe
	s_and_not1_b32 vcc_lo, exec_lo, s25
	s_wait_alu 0xfffe
	s_cbranch_vccnz .LBB140_26
; %bb.25:                               ;   in Loop: Header=BB140_7 Depth=1
	v_lshlrev_b64_e32 v[19:20], 4, v[7:8]
	s_delay_alu instid0(VALU_DEP_1) | instskip(SKIP_1) | instid1(VALU_DEP_2)
	v_add_co_u32 v17, vcc_lo, v17, v19
	s_wait_alu 0xfffd
	v_add_co_ci_u32_e64 v18, null, v18, v20, vcc_lo
	global_store_b128 v[17:18], v[1:4], off
.LBB140_26:                             ;   in Loop: Header=BB140_7 Depth=1
	s_wait_alu 0xfffe
	s_or_b32 exec_lo, exec_lo, s24
	v_add_co_u32 v19, vcc_lo, s4, v15
	s_wait_alu 0xfffd
	v_add_co_ci_u32_e64 v20, null, s5, v16, vcc_lo
	s_and_saveexec_b32 s4, s1
	s_cbranch_execz .LBB140_31
; %bb.27:                               ;   in Loop: Header=BB140_7 Depth=1
	v_mul_f64_e32 v[1:2], s[18:19], v[27:28]
	v_mul_f64_e32 v[3:4], s[16:17], v[27:28]
	v_lshlrev_b64_e32 v[17:18], 4, v[5:6]
	s_and_not1_b32 vcc_lo, exec_lo, s6
	s_mov_b32 s5, -1
	s_delay_alu instid0(VALU_DEP_3) | instskip(NEXT) | instid1(VALU_DEP_3)
	v_fma_f64 v[1:2], s[16:17], v[25:26], -v[1:2]
	v_fma_f64 v[3:4], s[18:19], v[25:26], v[3:4]
	s_wait_alu 0xfffe
	s_cbranch_vccnz .LBB140_29
; %bb.28:                               ;   in Loop: Header=BB140_7 Depth=1
	v_add_co_u32 v29, vcc_lo, v19, v17
	s_wait_alu 0xfffd
	v_add_co_ci_u32_e64 v30, null, v20, v18, vcc_lo
	s_mov_b32 s5, 0
	global_load_b128 v[25:28], v[29:30], off
	s_wait_loadcnt 0x0
	v_mul_f64_e32 v[31:32], s[12:13], v[27:28]
	v_mul_f64_e32 v[27:28], s[10:11], v[27:28]
	s_delay_alu instid0(VALU_DEP_2) | instskip(NEXT) | instid1(VALU_DEP_2)
	v_fma_f64 v[31:32], s[10:11], v[25:26], -v[31:32]
	v_fma_f64 v[27:28], s[12:13], v[25:26], v[27:28]
	s_delay_alu instid0(VALU_DEP_2) | instskip(NEXT) | instid1(VALU_DEP_2)
	v_add_f64_e32 v[25:26], v[1:2], v[31:32]
	v_add_f64_e32 v[27:28], v[3:4], v[27:28]
	global_store_b128 v[29:30], v[25:28], off
.LBB140_29:                             ;   in Loop: Header=BB140_7 Depth=1
	s_wait_alu 0xfffe
	s_and_not1_b32 vcc_lo, exec_lo, s5
	s_wait_alu 0xfffe
	s_cbranch_vccnz .LBB140_31
; %bb.30:                               ;   in Loop: Header=BB140_7 Depth=1
	v_add_co_u32 v17, vcc_lo, v19, v17
	s_wait_alu 0xfffd
	v_add_co_ci_u32_e64 v18, null, v20, v18, vcc_lo
	global_store_b128 v[17:18], v[1:4], off
.LBB140_31:                             ;   in Loop: Header=BB140_7 Depth=1
	s_wait_alu 0xfffe
	s_or_b32 exec_lo, exec_lo, s4
	s_and_saveexec_b32 s4, s26
	s_cbranch_execz .LBB140_6
; %bb.32:                               ;   in Loop: Header=BB140_7 Depth=1
	v_mul_f64_e32 v[1:2], s[18:19], v[21:22]
	v_mul_f64_e32 v[3:4], s[16:17], v[21:22]
	v_lshlrev_b64_e32 v[17:18], 4, v[7:8]
	s_and_not1_b32 vcc_lo, exec_lo, s6
	s_mov_b32 s5, -1
	s_delay_alu instid0(VALU_DEP_3) | instskip(NEXT) | instid1(VALU_DEP_3)
	v_fma_f64 v[1:2], s[16:17], v[23:24], -v[1:2]
	v_fma_f64 v[3:4], s[18:19], v[23:24], v[3:4]
	s_wait_alu 0xfffe
	s_cbranch_vccnz .LBB140_34
; %bb.33:                               ;   in Loop: Header=BB140_7 Depth=1
	v_add_co_u32 v25, vcc_lo, v19, v17
	s_wait_alu 0xfffd
	v_add_co_ci_u32_e64 v26, null, v20, v18, vcc_lo
	s_mov_b32 s5, 0
	global_load_b128 v[21:24], v[25:26], off
	s_wait_loadcnt 0x0
	v_mul_f64_e32 v[27:28], s[12:13], v[23:24]
	v_mul_f64_e32 v[23:24], s[10:11], v[23:24]
	s_delay_alu instid0(VALU_DEP_2) | instskip(NEXT) | instid1(VALU_DEP_2)
	v_fma_f64 v[27:28], s[10:11], v[21:22], -v[27:28]
	v_fma_f64 v[23:24], s[12:13], v[21:22], v[23:24]
	s_delay_alu instid0(VALU_DEP_2) | instskip(NEXT) | instid1(VALU_DEP_2)
	v_add_f64_e32 v[21:22], v[1:2], v[27:28]
	v_add_f64_e32 v[23:24], v[3:4], v[23:24]
	global_store_b128 v[25:26], v[21:24], off
.LBB140_34:                             ;   in Loop: Header=BB140_7 Depth=1
	s_wait_alu 0xfffe
	s_and_not1_b32 vcc_lo, exec_lo, s5
	s_wait_alu 0xfffe
	s_cbranch_vccnz .LBB140_6
; %bb.35:                               ;   in Loop: Header=BB140_7 Depth=1
	v_add_co_u32 v17, vcc_lo, v19, v17
	s_wait_alu 0xfffd
	v_add_co_ci_u32_e64 v18, null, v20, v18, vcc_lo
	global_store_b128 v[17:18], v[1:4], off
	s_branch .LBB140_6
.LBB140_36:
.LBB140_37:
	s_nop 0
	s_sendmsg sendmsg(MSG_DEALLOC_VGPRS)
	s_endpgm
	.section	.rodata,"a",@progbits
	.p2align	6, 0x0
	.amdhsa_kernel _ZL29rocblas_internal_gemmt_kernelIiLi16ELi32ELi8ELc84ELc67ELc76ELb0ELb1E19rocblas_complex_numIdES1_PKS1_PS1_EviT_T9_T10_S5_lS7_S5_lS6_T11_S5_li
		.amdhsa_group_segment_fixed_size 8192
		.amdhsa_private_segment_fixed_size 0
		.amdhsa_kernarg_size 116
		.amdhsa_user_sgpr_count 2
		.amdhsa_user_sgpr_dispatch_ptr 0
		.amdhsa_user_sgpr_queue_ptr 0
		.amdhsa_user_sgpr_kernarg_segment_ptr 1
		.amdhsa_user_sgpr_dispatch_id 0
		.amdhsa_user_sgpr_private_segment_size 0
		.amdhsa_wavefront_size32 1
		.amdhsa_uses_dynamic_stack 0
		.amdhsa_enable_private_segment 0
		.amdhsa_system_sgpr_workgroup_id_x 1
		.amdhsa_system_sgpr_workgroup_id_y 1
		.amdhsa_system_sgpr_workgroup_id_z 1
		.amdhsa_system_sgpr_workgroup_info 0
		.amdhsa_system_vgpr_workitem_id 1
		.amdhsa_next_free_vgpr 131
		.amdhsa_next_free_sgpr 41
		.amdhsa_reserve_vcc 1
		.amdhsa_float_round_mode_32 0
		.amdhsa_float_round_mode_16_64 0
		.amdhsa_float_denorm_mode_32 3
		.amdhsa_float_denorm_mode_16_64 3
		.amdhsa_fp16_overflow 0
		.amdhsa_workgroup_processor_mode 1
		.amdhsa_memory_ordered 1
		.amdhsa_forward_progress 1
		.amdhsa_inst_pref_size 27
		.amdhsa_round_robin_scheduling 0
		.amdhsa_exception_fp_ieee_invalid_op 0
		.amdhsa_exception_fp_denorm_src 0
		.amdhsa_exception_fp_ieee_div_zero 0
		.amdhsa_exception_fp_ieee_overflow 0
		.amdhsa_exception_fp_ieee_underflow 0
		.amdhsa_exception_fp_ieee_inexact 0
		.amdhsa_exception_int_div_zero 0
	.end_amdhsa_kernel
	.section	.text._ZL29rocblas_internal_gemmt_kernelIiLi16ELi32ELi8ELc84ELc67ELc76ELb0ELb1E19rocblas_complex_numIdES1_PKS1_PS1_EviT_T9_T10_S5_lS7_S5_lS6_T11_S5_li,"axG",@progbits,_ZL29rocblas_internal_gemmt_kernelIiLi16ELi32ELi8ELc84ELc67ELc76ELb0ELb1E19rocblas_complex_numIdES1_PKS1_PS1_EviT_T9_T10_S5_lS7_S5_lS6_T11_S5_li,comdat
.Lfunc_end140:
	.size	_ZL29rocblas_internal_gemmt_kernelIiLi16ELi32ELi8ELc84ELc67ELc76ELb0ELb1E19rocblas_complex_numIdES1_PKS1_PS1_EviT_T9_T10_S5_lS7_S5_lS6_T11_S5_li, .Lfunc_end140-_ZL29rocblas_internal_gemmt_kernelIiLi16ELi32ELi8ELc84ELc67ELc76ELb0ELb1E19rocblas_complex_numIdES1_PKS1_PS1_EviT_T9_T10_S5_lS7_S5_lS6_T11_S5_li
                                        ; -- End function
	.set _ZL29rocblas_internal_gemmt_kernelIiLi16ELi32ELi8ELc84ELc67ELc76ELb0ELb1E19rocblas_complex_numIdES1_PKS1_PS1_EviT_T9_T10_S5_lS7_S5_lS6_T11_S5_li.num_vgpr, 131
	.set _ZL29rocblas_internal_gemmt_kernelIiLi16ELi32ELi8ELc84ELc67ELc76ELb0ELb1E19rocblas_complex_numIdES1_PKS1_PS1_EviT_T9_T10_S5_lS7_S5_lS6_T11_S5_li.num_agpr, 0
	.set _ZL29rocblas_internal_gemmt_kernelIiLi16ELi32ELi8ELc84ELc67ELc76ELb0ELb1E19rocblas_complex_numIdES1_PKS1_PS1_EviT_T9_T10_S5_lS7_S5_lS6_T11_S5_li.numbered_sgpr, 41
	.set _ZL29rocblas_internal_gemmt_kernelIiLi16ELi32ELi8ELc84ELc67ELc76ELb0ELb1E19rocblas_complex_numIdES1_PKS1_PS1_EviT_T9_T10_S5_lS7_S5_lS6_T11_S5_li.num_named_barrier, 0
	.set _ZL29rocblas_internal_gemmt_kernelIiLi16ELi32ELi8ELc84ELc67ELc76ELb0ELb1E19rocblas_complex_numIdES1_PKS1_PS1_EviT_T9_T10_S5_lS7_S5_lS6_T11_S5_li.private_seg_size, 0
	.set _ZL29rocblas_internal_gemmt_kernelIiLi16ELi32ELi8ELc84ELc67ELc76ELb0ELb1E19rocblas_complex_numIdES1_PKS1_PS1_EviT_T9_T10_S5_lS7_S5_lS6_T11_S5_li.uses_vcc, 1
	.set _ZL29rocblas_internal_gemmt_kernelIiLi16ELi32ELi8ELc84ELc67ELc76ELb0ELb1E19rocblas_complex_numIdES1_PKS1_PS1_EviT_T9_T10_S5_lS7_S5_lS6_T11_S5_li.uses_flat_scratch, 0
	.set _ZL29rocblas_internal_gemmt_kernelIiLi16ELi32ELi8ELc84ELc67ELc76ELb0ELb1E19rocblas_complex_numIdES1_PKS1_PS1_EviT_T9_T10_S5_lS7_S5_lS6_T11_S5_li.has_dyn_sized_stack, 0
	.set _ZL29rocblas_internal_gemmt_kernelIiLi16ELi32ELi8ELc84ELc67ELc76ELb0ELb1E19rocblas_complex_numIdES1_PKS1_PS1_EviT_T9_T10_S5_lS7_S5_lS6_T11_S5_li.has_recursion, 0
	.set _ZL29rocblas_internal_gemmt_kernelIiLi16ELi32ELi8ELc84ELc67ELc76ELb0ELb1E19rocblas_complex_numIdES1_PKS1_PS1_EviT_T9_T10_S5_lS7_S5_lS6_T11_S5_li.has_indirect_call, 0
	.section	.AMDGPU.csdata,"",@progbits
; Kernel info:
; codeLenInByte = 3412
; TotalNumSgprs: 43
; NumVgprs: 131
; ScratchSize: 0
; MemoryBound: 1
; FloatMode: 240
; IeeeMode: 1
; LDSByteSize: 8192 bytes/workgroup (compile time only)
; SGPRBlocks: 0
; VGPRBlocks: 16
; NumSGPRsForWavesPerEU: 43
; NumVGPRsForWavesPerEU: 131
; Occupancy: 10
; WaveLimiterHint : 0
; COMPUTE_PGM_RSRC2:SCRATCH_EN: 0
; COMPUTE_PGM_RSRC2:USER_SGPR: 2
; COMPUTE_PGM_RSRC2:TRAP_HANDLER: 0
; COMPUTE_PGM_RSRC2:TGID_X_EN: 1
; COMPUTE_PGM_RSRC2:TGID_Y_EN: 1
; COMPUTE_PGM_RSRC2:TGID_Z_EN: 1
; COMPUTE_PGM_RSRC2:TIDIG_COMP_CNT: 1
	.section	.text._ZL29rocblas_internal_gemmt_kernelIiLi16ELi32ELi8ELc67ELc78ELc76ELb1ELb0E19rocblas_complex_numIdES1_PKS1_PS1_EviT_T9_T10_S5_lS7_S5_lS6_T11_S5_li,"axG",@progbits,_ZL29rocblas_internal_gemmt_kernelIiLi16ELi32ELi8ELc67ELc78ELc76ELb1ELb0E19rocblas_complex_numIdES1_PKS1_PS1_EviT_T9_T10_S5_lS7_S5_lS6_T11_S5_li,comdat
	.globl	_ZL29rocblas_internal_gemmt_kernelIiLi16ELi32ELi8ELc67ELc78ELc76ELb1ELb0E19rocblas_complex_numIdES1_PKS1_PS1_EviT_T9_T10_S5_lS7_S5_lS6_T11_S5_li ; -- Begin function _ZL29rocblas_internal_gemmt_kernelIiLi16ELi32ELi8ELc67ELc78ELc76ELb1ELb0E19rocblas_complex_numIdES1_PKS1_PS1_EviT_T9_T10_S5_lS7_S5_lS6_T11_S5_li
	.p2align	8
	.type	_ZL29rocblas_internal_gemmt_kernelIiLi16ELi32ELi8ELc67ELc78ELc76ELb1ELb0E19rocblas_complex_numIdES1_PKS1_PS1_EviT_T9_T10_S5_lS7_S5_lS6_T11_S5_li,@function
_ZL29rocblas_internal_gemmt_kernelIiLi16ELi32ELi8ELc67ELc78ELc76ELb1ELb0E19rocblas_complex_numIdES1_PKS1_PS1_EviT_T9_T10_S5_lS7_S5_lS6_T11_S5_li: ; @_ZL29rocblas_internal_gemmt_kernelIiLi16ELi32ELi8ELc67ELc78ELc76ELb1ELb0E19rocblas_complex_numIdES1_PKS1_PS1_EviT_T9_T10_S5_lS7_S5_lS6_T11_S5_li
; %bb.0:
	s_clause 0x2
	s_load_b256 s[8:15], s[0:1], 0x40
	s_load_b64 s[4:5], s[0:1], 0x0
	s_load_b128 s[16:19], s[0:1], 0x8
	s_wait_kmcnt 0x0
	v_cmp_eq_f64_e64 s2, s[10:11], 1.0
	v_cmp_eq_f64_e64 s30, s[12:13], 0
	s_and_b32 s2, s2, s30
	s_delay_alu instid0(SALU_CYCLE_1)
	s_and_not1_b32 vcc_lo, exec_lo, s2
	s_mov_b32 s2, -1
	s_cbranch_vccnz .LBB141_3
; %bb.1:
	s_cmp_lg_u32 s5, 0
	s_cbranch_scc0 .LBB141_36
; %bb.2:
	v_cmp_neq_f64_e64 s2, s[16:17], 0
	v_cmp_neq_f64_e64 s3, s[18:19], 0
	s_or_b32 s2, s2, s3
.LBB141_3:
	s_delay_alu instid0(SALU_CYCLE_1)
	s_and_b32 vcc_lo, exec_lo, s2
	s_cbranch_vccz .LBB141_37
; %bb.4:
	s_load_b32 s27, s[0:1], 0x70
	s_lshr_b32 s6, ttmp7, 16
	s_wait_kmcnt 0x0
	s_cmp_ge_u32 s6, s27
	s_cbranch_scc1 .LBB141_37
; %bb.5:
	v_cmp_neq_f64_e64 s31, s[16:17], 0
	v_cmp_neq_f64_e64 s33, s[18:19], 0
	v_and_b32_e32 v1, 0x3ff, v0
	v_bfe_u32 v2, v0, 10, 10
	s_clause 0x4
	s_load_b96 s[24:26], s[0:1], 0x18
	s_load_b128 s[20:23], s[0:1], 0x28
	s_load_b32 s35, s[0:1], 0x38
	s_load_b32 s36, s[0:1], 0x60
	s_load_b64 s[28:29], s[0:1], 0x68
	v_and_b32_e32 v37, 7, v0
	s_lshl_b32 s0, ttmp9, 5
	v_lshlrev_b32_e32 v38, 4, v1
	v_lshl_add_u32 v0, v2, 4, v1
	v_add_nc_u32_e32 v5, s0, v1
	s_lshl_b32 s1, ttmp7, 5
	v_cmp_neq_f64_e64 s34, s[10:11], 0
	s_wait_alu 0xfffe
	s_and_b32 s2, s1, 0x1fffe0
	v_and_b32_e32 v1, 31, v0
	v_add_nc_u32_e32 v6, s2, v2
	v_lshl_add_u32 v39, v2, 7, 0x1000
	v_lshrrev_b32_e32 v40, 5, v0
	v_lshrrev_b32_e32 v0, 3, v0
	v_or_b32_e32 v2, s0, v1
	v_add_nc_u32_e32 v7, 16, v5
	v_cmp_le_i32_e32 vcc_lo, v6, v5
	v_cmp_gt_i32_e64 s1, s4, v5
	v_add_nc_u32_e32 v9, s2, v0
	v_cmp_gt_i32_e64 s0, s4, v2
	s_wait_kmcnt 0x0
	v_mad_co_i64_i32 v[2:3], null, s26, v2, 0
	v_add_nc_u32_e32 v11, 16, v6
	v_cmp_gt_i32_e64 s3, s4, v7
	v_cmp_gt_i32_e64 s4, s4, v9
	v_mad_co_i64_i32 v[9:10], null, s35, v9, 0
	v_cmp_le_i32_e64 s2, v6, v7
	v_lshlrev_b64_e32 v[2:3], 4, v[2:3]
	v_lshlrev_b32_e32 v12, 4, v40
	v_lshlrev_b32_e32 v4, 4, v37
	v_mad_co_i64_i32 v[15:16], null, v11, s36, 0
	v_lshlrev_b32_e32 v1, 4, v1
	v_ashrrev_i32_e32 v8, 31, v7
	s_or_b32 s37, s31, s33
	s_cmp_gt_i32 s5, 0
	v_lshl_or_b32 v0, v0, 7, v4
	s_cselect_b32 s38, -1, 0
	s_and_b32 s26, vcc_lo, s1
	v_cmp_le_i32_e32 vcc_lo, v11, v5
	s_and_b32 s31, s2, s3
	v_cmp_le_i32_e64 s2, v11, v7
	v_lshl_or_b32 v41, v40, 9, v1
	v_add_nc_u32_e32 v42, 0x1000, v0
	s_and_b32 s1, vcc_lo, s1
	v_add_co_u32 v11, vcc_lo, v2, v12
	s_delay_alu instid0(VALU_DEP_1) | instskip(SKIP_2) | instid1(VALU_DEP_4)
	v_add_co_ci_u32_e64 v12, null, 0, v3, vcc_lo
	v_lshlrev_b64_e32 v[2:3], 4, v[9:10]
	v_mad_co_i64_i32 v[0:1], null, v6, s36, 0
	v_add_co_u32 v9, vcc_lo, s24, v11
	s_wait_alu 0xfffd
	v_add_co_ci_u32_e64 v10, null, s25, v12, vcc_lo
	s_delay_alu instid0(VALU_DEP_4)
	v_add_co_u32 v2, vcc_lo, v2, v4
	s_wait_alu 0xfffd
	v_add_co_ci_u32_e64 v3, null, 0, v3, vcc_lo
	v_add_co_u32 v9, vcc_lo, v9, 8
	s_wait_alu 0xfffd
	v_add_co_ci_u32_e64 v10, null, 0, v10, vcc_lo
	v_add_co_u32 v11, vcc_lo, s22, v2
	v_lshlrev_b64_e32 v[13:14], 4, v[0:1]
	v_lshlrev_b64_e32 v[15:16], 4, v[15:16]
	v_ashrrev_i32_e32 v6, 31, v5
	s_wait_alu 0xfffd
	v_add_co_ci_u32_e64 v12, null, s23, v3, vcc_lo
	v_mov_b32_e32 v0, 0
	s_xor_b32 s30, s30, -1
	s_mov_b32 s7, 0
	s_or_b32 s30, s34, s30
	s_and_b32 s33, s2, s3
	s_wait_alu 0xfffe
	s_and_b32 s22, s37, s38
	s_lshl_b64 s[2:3], s[20:21], 4
	s_lshl_b64 s[8:9], s[8:9], 4
	s_xor_b32 s4, s4, -1
	s_branch .LBB141_7
.LBB141_6:                              ;   in Loop: Header=BB141_7 Depth=1
	s_wait_alu 0xfffe
	s_or_b32 exec_lo, exec_lo, s20
	s_add_co_i32 s6, s6, 0x10000
	s_wait_alu 0xfffe
	s_cmp_lt_u32 s6, s27
	s_cbranch_scc0 .LBB141_37
.LBB141_7:                              ; =>This Loop Header: Depth=1
                                        ;     Child Loop BB141_10 Depth 2
	v_mov_b32_e32 v33, 0
	v_mov_b32_e32 v29, 0
	;; [unrolled: 1-line block ×3, first 2 shown]
	v_dual_mov_b32 v23, 0 :: v_dual_mov_b32 v34, 0
	v_dual_mov_b32 v35, 0 :: v_dual_mov_b32 v30, 0
	v_dual_mov_b32 v31, 0 :: v_dual_mov_b32 v26, 0
	v_dual_mov_b32 v27, 0 :: v_dual_mov_b32 v24, 0
	v_dual_mov_b32 v21, 0 :: v_dual_mov_b32 v36, 0
	v_mov_b32_e32 v32, 0
	v_mov_b32_e32 v28, 0
	;; [unrolled: 1-line block ×3, first 2 shown]
	s_wait_alu 0xfffe
	s_and_not1_b32 vcc_lo, exec_lo, s22
	s_wait_alu 0xfffe
	s_cbranch_vccnz .LBB141_16
; %bb.8:                                ;   in Loop: Header=BB141_7 Depth=1
	v_mad_co_u64_u32 v[17:18], null, s2, s6, v[9:10]
	v_mad_co_u64_u32 v[19:20], null, s8, s6, v[11:12]
	v_mov_b32_e32 v21, 0
	v_mov_b32_e32 v23, 0
	;; [unrolled: 1-line block ×4, first 2 shown]
	v_dual_mov_b32 v1, v18 :: v_dual_mov_b32 v22, 0
	v_mov_b32_e32 v2, v20
	v_dual_mov_b32 v24, 0 :: v_dual_mov_b32 v27, 0
	v_dual_mov_b32 v26, 0 :: v_dual_mov_b32 v31, 0
	s_delay_alu instid0(VALU_DEP_3)
	v_mad_co_u64_u32 v[3:4], null, s3, s6, v[1:2]
	v_dual_mov_b32 v30, 0 :: v_dual_mov_b32 v35, 0
	v_dual_mov_b32 v33, 0 :: v_dual_mov_b32 v28, 0
	v_mov_b32_e32 v32, 0
	v_mov_b32_e32 v36, 0
	v_mad_co_u64_u32 v[1:2], null, s9, s6, v[2:3]
	v_mov_b32_e32 v34, 0
	v_mov_b32_e32 v18, v3
	s_mov_b32 s20, 0
	s_delay_alu instid0(VALU_DEP_3)
	v_mov_b32_e32 v20, v1
	s_branch .LBB141_10
.LBB141_9:                              ;   in Loop: Header=BB141_10 Depth=2
	s_wait_alu 0xfffe
	s_or_b32 exec_lo, exec_lo, s21
	s_wait_dscnt 0x0
	s_barrier_signal -1
	s_barrier_wait -1
	global_inv scope:SCOPE_SE
	ds_load_b128 v[1:4], v39
	ds_load_b128 v[43:46], v38
	ds_load_b128 v[47:50], v38 offset:256
	ds_load_b128 v[51:54], v39 offset:2048
	;; [unrolled: 1-line block ×10, first 2 shown]
	v_add_co_u32 v17, vcc_lo, 0x80, v17
	s_wait_alu 0xfffd
	v_add_co_ci_u32_e64 v18, null, 0, v18, vcc_lo
	v_add_co_u32 v19, vcc_lo, 0x80, v19
	s_wait_alu 0xfffd
	v_add_co_ci_u32_e64 v20, null, 0, v20, vcc_lo
	s_add_co_i32 s20, s20, 8
	s_wait_alu 0xfffe
	s_cmp_lt_i32 s20, s5
	s_wait_dscnt 0xa
	v_mul_f64_e32 v[87:88], v[3:4], v[45:46]
	v_mul_f64_e32 v[89:90], v[1:2], v[45:46]
	s_wait_dscnt 0x9
	v_mul_f64_e32 v[91:92], v[3:4], v[49:50]
	v_mul_f64_e32 v[93:94], v[1:2], v[49:50]
	s_wait_dscnt 0x8
	v_mul_f64_e32 v[95:96], v[53:54], v[45:46]
	v_mul_f64_e32 v[45:46], v[51:52], v[45:46]
	v_mul_f64_e32 v[97:98], v[53:54], v[49:50]
	v_mul_f64_e32 v[49:50], v[51:52], v[49:50]
	s_wait_dscnt 0x5
	v_mul_f64_e32 v[99:100], v[57:58], v[65:66]
	v_mul_f64_e32 v[101:102], v[55:56], v[65:66]
	s_wait_dscnt 0x4
	v_mul_f64_e32 v[103:104], v[57:58], v[69:70]
	v_mul_f64_e32 v[105:106], v[55:56], v[69:70]
	;; [unrolled: 1-line block ×6, first 2 shown]
	s_wait_dscnt 0x2
	v_mul_f64_e32 v[115:116], v[73:74], v[77:78]
	v_mul_f64_e32 v[117:118], v[71:72], v[77:78]
	s_wait_dscnt 0x1
	v_mul_f64_e32 v[119:120], v[73:74], v[81:82]
	v_mul_f64_e32 v[121:122], v[71:72], v[81:82]
	;; [unrolled: 3-line block ×3, first 2 shown]
	v_mul_f64_e32 v[125:126], v[85:86], v[81:82]
	v_mul_f64_e32 v[81:82], v[83:84], v[81:82]
	v_fma_f64 v[87:88], v[1:2], v[43:44], -v[87:88]
	v_fma_f64 v[89:90], v[3:4], v[43:44], v[89:90]
	v_fma_f64 v[91:92], v[1:2], v[47:48], -v[91:92]
	v_fma_f64 v[93:94], v[3:4], v[47:48], v[93:94]
	v_fma_f64 v[95:96], v[51:52], v[43:44], -v[95:96]
	v_fma_f64 v[111:112], v[53:54], v[43:44], v[45:46]
	v_fma_f64 v[97:98], v[51:52], v[47:48], -v[97:98]
	v_fma_f64 v[113:114], v[53:54], v[47:48], v[49:50]
	v_fma_f64 v[99:100], v[55:56], v[63:64], -v[99:100]
	v_fma_f64 v[101:102], v[57:58], v[63:64], v[101:102]
	v_fma_f64 v[55:56], v[55:56], v[67:68], -v[103:104]
	v_fma_f64 v[57:58], v[57:58], v[67:68], v[105:106]
	v_fma_f64 v[103:104], v[59:60], v[63:64], -v[107:108]
	v_fma_f64 v[63:64], v[61:62], v[63:64], v[65:66]
	v_fma_f64 v[59:60], v[59:60], v[67:68], -v[109:110]
	v_fma_f64 v[61:62], v[61:62], v[67:68], v[69:70]
	ds_load_b128 v[1:4], v39 offset:48
	ds_load_b128 v[43:46], v39 offset:2096
	;; [unrolled: 1-line block ×4, first 2 shown]
	v_fma_f64 v[115:116], v[71:72], v[75:76], -v[115:116]
	v_fma_f64 v[117:118], v[73:74], v[75:76], v[117:118]
	v_fma_f64 v[71:72], v[71:72], v[79:80], -v[119:120]
	v_fma_f64 v[73:74], v[73:74], v[79:80], v[121:122]
	;; [unrolled: 2-line block ×4, first 2 shown]
	s_wait_dscnt 0x1
	v_mul_f64_e32 v[105:106], v[1:2], v[49:50]
	s_wait_dscnt 0x0
	v_mul_f64_e32 v[107:108], v[3:4], v[53:54]
	v_mul_f64_e32 v[109:110], v[1:2], v[53:54]
	v_add_f64_e32 v[65:66], v[33:34], v[87:88]
	v_add_f64_e32 v[67:68], v[89:90], v[35:36]
	;; [unrolled: 1-line block ×8, first 2 shown]
	v_mul_f64_e32 v[97:98], v[3:4], v[49:50]
	v_mul_f64_e32 v[111:112], v[45:46], v[49:50]
	;; [unrolled: 1-line block ×5, first 2 shown]
	ds_load_b128 v[21:24], v39 offset:64
	ds_load_b128 v[25:28], v38 offset:2048
	;; [unrolled: 1-line block ×4, first 2 shown]
	s_wait_dscnt 0x0
	v_mul_f64_e32 v[121:122], v[35:36], v[27:28]
	v_mul_f64_e32 v[123:124], v[35:36], v[31:32]
	v_fma_f64 v[105:106], v[3:4], v[47:48], v[105:106]
	v_fma_f64 v[107:108], v[1:2], v[51:52], -v[107:108]
	v_fma_f64 v[109:110], v[3:4], v[51:52], v[109:110]
	v_add_f64_e32 v[81:82], v[65:66], v[99:100]
	v_add_f64_e32 v[83:84], v[101:102], v[67:68]
	;; [unrolled: 1-line block ×8, first 2 shown]
	v_mul_f64_e32 v[95:96], v[23:24], v[27:28]
	v_mul_f64_e32 v[99:100], v[21:22], v[27:28]
	;; [unrolled: 1-line block ×6, first 2 shown]
	v_fma_f64 v[97:98], v[1:2], v[47:48], -v[97:98]
	v_fma_f64 v[111:112], v[43:44], v[47:48], -v[111:112]
	v_fma_f64 v[125:126], v[45:46], v[47:48], v[49:50]
	v_fma_f64 v[113:114], v[43:44], v[51:52], -v[113:114]
	v_fma_f64 v[51:52], v[45:46], v[51:52], v[127:128]
	ds_load_b128 v[53:56], v39 offset:80
	ds_load_b128 v[57:60], v39 offset:2128
	;; [unrolled: 1-line block ×4, first 2 shown]
	v_fma_f64 v[121:122], v[33:34], v[25:26], -v[121:122]
	v_fma_f64 v[123:124], v[33:34], v[29:30], -v[123:124]
	v_add_f64_e32 v[81:82], v[81:82], v[115:116]
	v_add_f64_e32 v[83:84], v[117:118], v[83:84]
	;; [unrolled: 1-line block ×8, first 2 shown]
	s_wait_dscnt 0x1
	v_mul_f64_e32 v[87:88], v[55:56], v[63:64]
	v_mul_f64_e32 v[89:90], v[53:54], v[63:64]
	s_wait_dscnt 0x0
	v_mul_f64_e32 v[91:92], v[55:56], v[67:68]
	v_mul_f64_e32 v[93:94], v[53:54], v[67:68]
	;; [unrolled: 1-line block ×6, first 2 shown]
	v_fma_f64 v[95:96], v[21:22], v[25:26], -v[95:96]
	v_fma_f64 v[99:100], v[23:24], v[25:26], v[99:100]
	v_fma_f64 v[101:102], v[21:22], v[29:30], -v[101:102]
	v_fma_f64 v[103:104], v[23:24], v[29:30], v[103:104]
	v_fma_f64 v[127:128], v[35:36], v[25:26], v[27:28]
	;; [unrolled: 1-line block ×3, first 2 shown]
	ds_load_b128 v[1:4], v39 offset:96
	ds_load_b128 v[43:46], v38 offset:3072
	ds_load_b128 v[47:50], v38 offset:3328
	ds_load_b128 v[69:72], v39 offset:2144
	ds_load_b128 v[21:24], v39 offset:112
	ds_load_b128 v[25:28], v39 offset:2160
	ds_load_b128 v[29:32], v38 offset:3584
	ds_load_b128 v[33:36], v38 offset:3840
	s_wait_loadcnt_dscnt 0x0
	s_barrier_signal -1
	s_barrier_wait -1
	global_inv scope:SCOPE_SE
	v_add_f64_e32 v[81:82], v[81:82], v[97:98]
	v_add_f64_e32 v[83:84], v[105:106], v[83:84]
	;; [unrolled: 1-line block ×8, first 2 shown]
	v_mul_f64_e32 v[79:80], v[3:4], v[45:46]
	v_mul_f64_e32 v[105:106], v[1:2], v[45:46]
	;; [unrolled: 1-line block ×8, first 2 shown]
	v_fma_f64 v[87:88], v[53:54], v[61:62], -v[87:88]
	v_fma_f64 v[89:90], v[55:56], v[61:62], v[89:90]
	v_fma_f64 v[53:54], v[53:54], v[65:66], -v[91:92]
	v_fma_f64 v[55:56], v[55:56], v[65:66], v[93:94]
	;; [unrolled: 2-line block ×4, first 2 shown]
	v_mul_f64_e32 v[93:94], v[23:24], v[35:36]
	v_add_f64_e32 v[63:64], v[81:82], v[95:96]
	v_add_f64_e32 v[65:66], v[99:100], v[83:84]
	v_add_f64_e32 v[67:68], v[97:98], v[101:102]
	v_add_f64_e32 v[73:74], v[103:104], v[73:74]
	v_add_f64_e32 v[81:82], v[85:86], v[121:122]
	v_add_f64_e32 v[75:76], v[127:128], v[75:76]
	v_add_f64_e32 v[77:78], v[77:78], v[123:124]
	v_add_f64_e32 v[51:52], v[129:130], v[51:52]
	v_mul_f64_e32 v[83:84], v[23:24], v[31:32]
	v_mul_f64_e32 v[85:86], v[21:22], v[31:32]
	;; [unrolled: 1-line block ×7, first 2 shown]
	v_fma_f64 v[79:80], v[1:2], v[43:44], -v[79:80]
	v_fma_f64 v[101:102], v[3:4], v[43:44], v[105:106]
	v_fma_f64 v[1:2], v[1:2], v[47:48], -v[107:108]
	v_fma_f64 v[3:4], v[3:4], v[47:48], v[109:110]
	;; [unrolled: 2-line block ×4, first 2 shown]
	v_add_f64_e32 v[49:50], v[63:64], v[87:88]
	v_add_f64_e32 v[63:64], v[89:90], v[65:66]
	v_add_f64_e32 v[53:54], v[67:68], v[53:54]
	v_add_f64_e32 v[55:56], v[55:56], v[73:74]
	v_add_f64_e32 v[65:66], v[81:82], v[91:92]
	v_add_f64_e32 v[61:62], v[61:62], v[75:76]
	v_add_f64_e32 v[57:58], v[77:78], v[57:58]
	v_add_f64_e32 v[51:52], v[59:60], v[51:52]
	v_fma_f64 v[59:60], v[21:22], v[29:30], -v[83:84]
	v_fma_f64 v[67:68], v[23:24], v[29:30], v[85:86]
	v_fma_f64 v[21:22], v[21:22], v[33:34], -v[93:94]
	v_fma_f64 v[23:24], v[23:24], v[33:34], v[95:96]
	;; [unrolled: 2-line block ×4, first 2 shown]
	v_add_f64_e32 v[25:26], v[49:50], v[79:80]
	v_add_f64_e32 v[27:28], v[101:102], v[63:64]
	;; [unrolled: 1-line block ×16, first 2 shown]
	s_cbranch_scc0 .LBB141_16
.LBB141_10:                             ;   Parent Loop BB141_7 Depth=1
                                        ; =>  This Inner Loop Header: Depth=2
	s_wait_alu 0xfffe
	v_add_nc_u32_e32 v1, s20, v40
	v_mov_b32_e32 v3, 0
	v_mov_b32_e32 v4, 0
	s_delay_alu instid0(VALU_DEP_3)
	v_cmp_gt_i32_e32 vcc_lo, s5, v1
	v_mov_b32_e32 v1, 0
	v_mov_b32_e32 v2, 0
	s_and_b32 s23, s0, vcc_lo
	s_wait_alu 0xfffe
	s_and_saveexec_b32 s21, s23
	s_cbranch_execz .LBB141_12
; %bb.11:                               ;   in Loop: Header=BB141_10 Depth=2
	global_load_b128 v[1:4], v[17:18], off offset:-8
	s_wait_loadcnt 0x0
	v_xor_b32_e32 v4, 0x80000000, v4
.LBB141_12:                             ;   in Loop: Header=BB141_10 Depth=2
	s_wait_alu 0xfffe
	s_or_b32 exec_lo, exec_lo, s21
	v_add_nc_u32_e32 v43, s20, v37
	ds_store_b128 v41, v[1:4]
	v_cmp_le_i32_e32 vcc_lo, s5, v43
	s_or_b32 s21, vcc_lo, s4
	s_wait_alu 0xfffe
	s_and_saveexec_b32 s23, s21
	s_wait_alu 0xfffe
	s_xor_b32 s21, exec_lo, s23
; %bb.13:                               ;   in Loop: Header=BB141_10 Depth=2
	v_dual_mov_b32 v1, v0 :: v_dual_mov_b32 v2, v0
	v_mov_b32_e32 v3, v0
	ds_store_b128 v42, v[0:3]
; %bb.14:                               ;   in Loop: Header=BB141_10 Depth=2
	s_wait_alu 0xfffe
	s_and_not1_saveexec_b32 s21, s21
	s_cbranch_execz .LBB141_9
; %bb.15:                               ;   in Loop: Header=BB141_10 Depth=2
	global_load_b128 v[1:4], v[19:20], off
	s_wait_loadcnt 0x0
	ds_store_2addr_b64 v42, v[1:2], v[3:4] offset1:1
	s_branch .LBB141_9
.LBB141_16:                             ;   in Loop: Header=BB141_7 Depth=1
	s_mul_u64 s[20:21], s[28:29], s[6:7]
	s_wait_alu 0xfffe
	s_lshl_b64 s[20:21], s[20:21], 4
	s_wait_alu 0xfffe
	s_add_nc_u64 s[20:21], s[14:15], s[20:21]
	s_wait_alu 0xfffe
	v_add_co_u32 v17, vcc_lo, s20, v13
	s_wait_alu 0xfffd
	v_add_co_ci_u32_e64 v18, null, s21, v14, vcc_lo
	s_and_saveexec_b32 s23, s26
	s_cbranch_execz .LBB141_21
; %bb.17:                               ;   in Loop: Header=BB141_7 Depth=1
	v_mul_f64_e32 v[1:2], s[18:19], v[35:36]
	v_mul_f64_e32 v[3:4], s[16:17], v[35:36]
	s_and_b32 vcc_lo, exec_lo, s30
	s_mov_b32 s24, -1
	s_delay_alu instid0(VALU_DEP_2) | instskip(NEXT) | instid1(VALU_DEP_2)
	v_fma_f64 v[1:2], s[16:17], v[33:34], -v[1:2]
	v_fma_f64 v[3:4], s[18:19], v[33:34], v[3:4]
	s_wait_alu 0xfffe
	s_cbranch_vccz .LBB141_19
; %bb.18:                               ;   in Loop: Header=BB141_7 Depth=1
	v_lshlrev_b64_e32 v[19:20], 4, v[5:6]
	s_mov_b32 s24, 0
	s_delay_alu instid0(VALU_DEP_1) | instskip(SKIP_1) | instid1(VALU_DEP_2)
	v_add_co_u32 v19, vcc_lo, v17, v19
	s_wait_alu 0xfffd
	v_add_co_ci_u32_e64 v20, null, v18, v20, vcc_lo
	global_load_b128 v[33:36], v[19:20], off
	s_wait_loadcnt 0x0
	v_mul_f64_e32 v[43:44], s[12:13], v[35:36]
	v_mul_f64_e32 v[35:36], s[10:11], v[35:36]
	s_delay_alu instid0(VALU_DEP_2) | instskip(NEXT) | instid1(VALU_DEP_2)
	v_fma_f64 v[43:44], s[10:11], v[33:34], -v[43:44]
	v_fma_f64 v[35:36], s[12:13], v[33:34], v[35:36]
	s_delay_alu instid0(VALU_DEP_2) | instskip(NEXT) | instid1(VALU_DEP_2)
	v_add_f64_e32 v[33:34], v[1:2], v[43:44]
	v_add_f64_e32 v[35:36], v[3:4], v[35:36]
	global_store_b128 v[19:20], v[33:36], off
.LBB141_19:                             ;   in Loop: Header=BB141_7 Depth=1
	s_wait_alu 0xfffe
	s_and_not1_b32 vcc_lo, exec_lo, s24
	s_wait_alu 0xfffe
	s_cbranch_vccnz .LBB141_21
; %bb.20:                               ;   in Loop: Header=BB141_7 Depth=1
	v_lshlrev_b64_e32 v[19:20], 4, v[5:6]
	s_delay_alu instid0(VALU_DEP_1) | instskip(SKIP_1) | instid1(VALU_DEP_2)
	v_add_co_u32 v19, vcc_lo, v17, v19
	s_wait_alu 0xfffd
	v_add_co_ci_u32_e64 v20, null, v18, v20, vcc_lo
	global_store_b128 v[19:20], v[1:4], off
.LBB141_21:                             ;   in Loop: Header=BB141_7 Depth=1
	s_wait_alu 0xfffe
	s_or_b32 exec_lo, exec_lo, s23
	s_and_saveexec_b32 s23, s31
	s_cbranch_execz .LBB141_26
; %bb.22:                               ;   in Loop: Header=BB141_7 Depth=1
	v_mul_f64_e32 v[1:2], s[18:19], v[31:32]
	v_mul_f64_e32 v[3:4], s[16:17], v[31:32]
	s_and_not1_b32 vcc_lo, exec_lo, s30
	s_mov_b32 s24, -1
	s_delay_alu instid0(VALU_DEP_2) | instskip(NEXT) | instid1(VALU_DEP_2)
	v_fma_f64 v[1:2], s[16:17], v[29:30], -v[1:2]
	v_fma_f64 v[3:4], s[18:19], v[29:30], v[3:4]
	s_wait_alu 0xfffe
	s_cbranch_vccnz .LBB141_24
; %bb.23:                               ;   in Loop: Header=BB141_7 Depth=1
	v_lshlrev_b64_e32 v[19:20], 4, v[7:8]
	s_mov_b32 s24, 0
	s_delay_alu instid0(VALU_DEP_1) | instskip(SKIP_1) | instid1(VALU_DEP_2)
	v_add_co_u32 v19, vcc_lo, v17, v19
	s_wait_alu 0xfffd
	v_add_co_ci_u32_e64 v20, null, v18, v20, vcc_lo
	global_load_b128 v[29:32], v[19:20], off
	s_wait_loadcnt 0x0
	v_mul_f64_e32 v[33:34], s[12:13], v[31:32]
	v_mul_f64_e32 v[31:32], s[10:11], v[31:32]
	s_delay_alu instid0(VALU_DEP_2) | instskip(NEXT) | instid1(VALU_DEP_2)
	v_fma_f64 v[33:34], s[10:11], v[29:30], -v[33:34]
	v_fma_f64 v[31:32], s[12:13], v[29:30], v[31:32]
	s_delay_alu instid0(VALU_DEP_2) | instskip(NEXT) | instid1(VALU_DEP_2)
	v_add_f64_e32 v[29:30], v[1:2], v[33:34]
	v_add_f64_e32 v[31:32], v[3:4], v[31:32]
	global_store_b128 v[19:20], v[29:32], off
.LBB141_24:                             ;   in Loop: Header=BB141_7 Depth=1
	s_wait_alu 0xfffe
	s_and_not1_b32 vcc_lo, exec_lo, s24
	s_wait_alu 0xfffe
	s_cbranch_vccnz .LBB141_26
; %bb.25:                               ;   in Loop: Header=BB141_7 Depth=1
	v_lshlrev_b64_e32 v[19:20], 4, v[7:8]
	s_delay_alu instid0(VALU_DEP_1) | instskip(SKIP_1) | instid1(VALU_DEP_2)
	v_add_co_u32 v17, vcc_lo, v17, v19
	s_wait_alu 0xfffd
	v_add_co_ci_u32_e64 v18, null, v18, v20, vcc_lo
	global_store_b128 v[17:18], v[1:4], off
.LBB141_26:                             ;   in Loop: Header=BB141_7 Depth=1
	s_wait_alu 0xfffe
	s_or_b32 exec_lo, exec_lo, s23
	v_add_co_u32 v19, vcc_lo, s20, v15
	s_wait_alu 0xfffd
	v_add_co_ci_u32_e64 v20, null, s21, v16, vcc_lo
	s_and_saveexec_b32 s20, s1
	s_cbranch_execz .LBB141_31
; %bb.27:                               ;   in Loop: Header=BB141_7 Depth=1
	v_mul_f64_e32 v[1:2], s[18:19], v[27:28]
	v_mul_f64_e32 v[3:4], s[16:17], v[27:28]
	v_lshlrev_b64_e32 v[17:18], 4, v[5:6]
	s_and_not1_b32 vcc_lo, exec_lo, s30
	s_mov_b32 s21, -1
	s_delay_alu instid0(VALU_DEP_3) | instskip(NEXT) | instid1(VALU_DEP_3)
	v_fma_f64 v[1:2], s[16:17], v[25:26], -v[1:2]
	v_fma_f64 v[3:4], s[18:19], v[25:26], v[3:4]
	s_wait_alu 0xfffe
	s_cbranch_vccnz .LBB141_29
; %bb.28:                               ;   in Loop: Header=BB141_7 Depth=1
	v_add_co_u32 v29, vcc_lo, v19, v17
	s_wait_alu 0xfffd
	v_add_co_ci_u32_e64 v30, null, v20, v18, vcc_lo
	s_mov_b32 s21, 0
	global_load_b128 v[25:28], v[29:30], off
	s_wait_loadcnt 0x0
	v_mul_f64_e32 v[31:32], s[12:13], v[27:28]
	v_mul_f64_e32 v[27:28], s[10:11], v[27:28]
	s_delay_alu instid0(VALU_DEP_2) | instskip(NEXT) | instid1(VALU_DEP_2)
	v_fma_f64 v[31:32], s[10:11], v[25:26], -v[31:32]
	v_fma_f64 v[27:28], s[12:13], v[25:26], v[27:28]
	s_delay_alu instid0(VALU_DEP_2) | instskip(NEXT) | instid1(VALU_DEP_2)
	v_add_f64_e32 v[25:26], v[1:2], v[31:32]
	v_add_f64_e32 v[27:28], v[3:4], v[27:28]
	global_store_b128 v[29:30], v[25:28], off
.LBB141_29:                             ;   in Loop: Header=BB141_7 Depth=1
	s_wait_alu 0xfffe
	s_and_not1_b32 vcc_lo, exec_lo, s21
	s_wait_alu 0xfffe
	s_cbranch_vccnz .LBB141_31
; %bb.30:                               ;   in Loop: Header=BB141_7 Depth=1
	v_add_co_u32 v17, vcc_lo, v19, v17
	s_wait_alu 0xfffd
	v_add_co_ci_u32_e64 v18, null, v20, v18, vcc_lo
	global_store_b128 v[17:18], v[1:4], off
.LBB141_31:                             ;   in Loop: Header=BB141_7 Depth=1
	s_wait_alu 0xfffe
	s_or_b32 exec_lo, exec_lo, s20
	s_and_saveexec_b32 s20, s33
	s_cbranch_execz .LBB141_6
; %bb.32:                               ;   in Loop: Header=BB141_7 Depth=1
	v_mul_f64_e32 v[1:2], s[18:19], v[21:22]
	v_mul_f64_e32 v[3:4], s[16:17], v[21:22]
	v_lshlrev_b64_e32 v[17:18], 4, v[7:8]
	s_and_not1_b32 vcc_lo, exec_lo, s30
	s_mov_b32 s21, -1
	s_delay_alu instid0(VALU_DEP_3) | instskip(NEXT) | instid1(VALU_DEP_3)
	v_fma_f64 v[1:2], s[16:17], v[23:24], -v[1:2]
	v_fma_f64 v[3:4], s[18:19], v[23:24], v[3:4]
	s_wait_alu 0xfffe
	s_cbranch_vccnz .LBB141_34
; %bb.33:                               ;   in Loop: Header=BB141_7 Depth=1
	v_add_co_u32 v25, vcc_lo, v19, v17
	s_wait_alu 0xfffd
	v_add_co_ci_u32_e64 v26, null, v20, v18, vcc_lo
	s_mov_b32 s21, 0
	global_load_b128 v[21:24], v[25:26], off
	s_wait_loadcnt 0x0
	v_mul_f64_e32 v[27:28], s[12:13], v[23:24]
	v_mul_f64_e32 v[23:24], s[10:11], v[23:24]
	s_delay_alu instid0(VALU_DEP_2) | instskip(NEXT) | instid1(VALU_DEP_2)
	v_fma_f64 v[27:28], s[10:11], v[21:22], -v[27:28]
	v_fma_f64 v[23:24], s[12:13], v[21:22], v[23:24]
	s_delay_alu instid0(VALU_DEP_2) | instskip(NEXT) | instid1(VALU_DEP_2)
	v_add_f64_e32 v[21:22], v[1:2], v[27:28]
	v_add_f64_e32 v[23:24], v[3:4], v[23:24]
	global_store_b128 v[25:26], v[21:24], off
.LBB141_34:                             ;   in Loop: Header=BB141_7 Depth=1
	s_wait_alu 0xfffe
	s_and_not1_b32 vcc_lo, exec_lo, s21
	s_wait_alu 0xfffe
	s_cbranch_vccnz .LBB141_6
; %bb.35:                               ;   in Loop: Header=BB141_7 Depth=1
	v_add_co_u32 v17, vcc_lo, v19, v17
	s_wait_alu 0xfffd
	v_add_co_ci_u32_e64 v18, null, v20, v18, vcc_lo
	global_store_b128 v[17:18], v[1:4], off
	s_branch .LBB141_6
.LBB141_36:
.LBB141_37:
	s_nop 0
	s_sendmsg sendmsg(MSG_DEALLOC_VGPRS)
	s_endpgm
	.section	.rodata,"a",@progbits
	.p2align	6, 0x0
	.amdhsa_kernel _ZL29rocblas_internal_gemmt_kernelIiLi16ELi32ELi8ELc67ELc78ELc76ELb1ELb0E19rocblas_complex_numIdES1_PKS1_PS1_EviT_T9_T10_S5_lS7_S5_lS6_T11_S5_li
		.amdhsa_group_segment_fixed_size 8192
		.amdhsa_private_segment_fixed_size 0
		.amdhsa_kernarg_size 116
		.amdhsa_user_sgpr_count 2
		.amdhsa_user_sgpr_dispatch_ptr 0
		.amdhsa_user_sgpr_queue_ptr 0
		.amdhsa_user_sgpr_kernarg_segment_ptr 1
		.amdhsa_user_sgpr_dispatch_id 0
		.amdhsa_user_sgpr_private_segment_size 0
		.amdhsa_wavefront_size32 1
		.amdhsa_uses_dynamic_stack 0
		.amdhsa_enable_private_segment 0
		.amdhsa_system_sgpr_workgroup_id_x 1
		.amdhsa_system_sgpr_workgroup_id_y 1
		.amdhsa_system_sgpr_workgroup_id_z 1
		.amdhsa_system_sgpr_workgroup_info 0
		.amdhsa_system_vgpr_workitem_id 1
		.amdhsa_next_free_vgpr 131
		.amdhsa_next_free_sgpr 39
		.amdhsa_reserve_vcc 1
		.amdhsa_float_round_mode_32 0
		.amdhsa_float_round_mode_16_64 0
		.amdhsa_float_denorm_mode_32 3
		.amdhsa_float_denorm_mode_16_64 3
		.amdhsa_fp16_overflow 0
		.amdhsa_workgroup_processor_mode 1
		.amdhsa_memory_ordered 1
		.amdhsa_forward_progress 1
		.amdhsa_inst_pref_size 27
		.amdhsa_round_robin_scheduling 0
		.amdhsa_exception_fp_ieee_invalid_op 0
		.amdhsa_exception_fp_denorm_src 0
		.amdhsa_exception_fp_ieee_div_zero 0
		.amdhsa_exception_fp_ieee_overflow 0
		.amdhsa_exception_fp_ieee_underflow 0
		.amdhsa_exception_fp_ieee_inexact 0
		.amdhsa_exception_int_div_zero 0
	.end_amdhsa_kernel
	.section	.text._ZL29rocblas_internal_gemmt_kernelIiLi16ELi32ELi8ELc67ELc78ELc76ELb1ELb0E19rocblas_complex_numIdES1_PKS1_PS1_EviT_T9_T10_S5_lS7_S5_lS6_T11_S5_li,"axG",@progbits,_ZL29rocblas_internal_gemmt_kernelIiLi16ELi32ELi8ELc67ELc78ELc76ELb1ELb0E19rocblas_complex_numIdES1_PKS1_PS1_EviT_T9_T10_S5_lS7_S5_lS6_T11_S5_li,comdat
.Lfunc_end141:
	.size	_ZL29rocblas_internal_gemmt_kernelIiLi16ELi32ELi8ELc67ELc78ELc76ELb1ELb0E19rocblas_complex_numIdES1_PKS1_PS1_EviT_T9_T10_S5_lS7_S5_lS6_T11_S5_li, .Lfunc_end141-_ZL29rocblas_internal_gemmt_kernelIiLi16ELi32ELi8ELc67ELc78ELc76ELb1ELb0E19rocblas_complex_numIdES1_PKS1_PS1_EviT_T9_T10_S5_lS7_S5_lS6_T11_S5_li
                                        ; -- End function
	.set _ZL29rocblas_internal_gemmt_kernelIiLi16ELi32ELi8ELc67ELc78ELc76ELb1ELb0E19rocblas_complex_numIdES1_PKS1_PS1_EviT_T9_T10_S5_lS7_S5_lS6_T11_S5_li.num_vgpr, 131
	.set _ZL29rocblas_internal_gemmt_kernelIiLi16ELi32ELi8ELc67ELc78ELc76ELb1ELb0E19rocblas_complex_numIdES1_PKS1_PS1_EviT_T9_T10_S5_lS7_S5_lS6_T11_S5_li.num_agpr, 0
	.set _ZL29rocblas_internal_gemmt_kernelIiLi16ELi32ELi8ELc67ELc78ELc76ELb1ELb0E19rocblas_complex_numIdES1_PKS1_PS1_EviT_T9_T10_S5_lS7_S5_lS6_T11_S5_li.numbered_sgpr, 39
	.set _ZL29rocblas_internal_gemmt_kernelIiLi16ELi32ELi8ELc67ELc78ELc76ELb1ELb0E19rocblas_complex_numIdES1_PKS1_PS1_EviT_T9_T10_S5_lS7_S5_lS6_T11_S5_li.num_named_barrier, 0
	.set _ZL29rocblas_internal_gemmt_kernelIiLi16ELi32ELi8ELc67ELc78ELc76ELb1ELb0E19rocblas_complex_numIdES1_PKS1_PS1_EviT_T9_T10_S5_lS7_S5_lS6_T11_S5_li.private_seg_size, 0
	.set _ZL29rocblas_internal_gemmt_kernelIiLi16ELi32ELi8ELc67ELc78ELc76ELb1ELb0E19rocblas_complex_numIdES1_PKS1_PS1_EviT_T9_T10_S5_lS7_S5_lS6_T11_S5_li.uses_vcc, 1
	.set _ZL29rocblas_internal_gemmt_kernelIiLi16ELi32ELi8ELc67ELc78ELc76ELb1ELb0E19rocblas_complex_numIdES1_PKS1_PS1_EviT_T9_T10_S5_lS7_S5_lS6_T11_S5_li.uses_flat_scratch, 0
	.set _ZL29rocblas_internal_gemmt_kernelIiLi16ELi32ELi8ELc67ELc78ELc76ELb1ELb0E19rocblas_complex_numIdES1_PKS1_PS1_EviT_T9_T10_S5_lS7_S5_lS6_T11_S5_li.has_dyn_sized_stack, 0
	.set _ZL29rocblas_internal_gemmt_kernelIiLi16ELi32ELi8ELc67ELc78ELc76ELb1ELb0E19rocblas_complex_numIdES1_PKS1_PS1_EviT_T9_T10_S5_lS7_S5_lS6_T11_S5_li.has_recursion, 0
	.set _ZL29rocblas_internal_gemmt_kernelIiLi16ELi32ELi8ELc67ELc78ELc76ELb1ELb0E19rocblas_complex_numIdES1_PKS1_PS1_EviT_T9_T10_S5_lS7_S5_lS6_T11_S5_li.has_indirect_call, 0
	.section	.AMDGPU.csdata,"",@progbits
; Kernel info:
; codeLenInByte = 3400
; TotalNumSgprs: 41
; NumVgprs: 131
; ScratchSize: 0
; MemoryBound: 1
; FloatMode: 240
; IeeeMode: 1
; LDSByteSize: 8192 bytes/workgroup (compile time only)
; SGPRBlocks: 0
; VGPRBlocks: 16
; NumSGPRsForWavesPerEU: 41
; NumVGPRsForWavesPerEU: 131
; Occupancy: 10
; WaveLimiterHint : 0
; COMPUTE_PGM_RSRC2:SCRATCH_EN: 0
; COMPUTE_PGM_RSRC2:USER_SGPR: 2
; COMPUTE_PGM_RSRC2:TRAP_HANDLER: 0
; COMPUTE_PGM_RSRC2:TGID_X_EN: 1
; COMPUTE_PGM_RSRC2:TGID_Y_EN: 1
; COMPUTE_PGM_RSRC2:TGID_Z_EN: 1
; COMPUTE_PGM_RSRC2:TIDIG_COMP_CNT: 1
	.section	.text._ZL29rocblas_internal_gemmt_kernelIiLi16ELi32ELi8ELc67ELc84ELc76ELb1ELb0E19rocblas_complex_numIdES1_PKS1_PS1_EviT_T9_T10_S5_lS7_S5_lS6_T11_S5_li,"axG",@progbits,_ZL29rocblas_internal_gemmt_kernelIiLi16ELi32ELi8ELc67ELc84ELc76ELb1ELb0E19rocblas_complex_numIdES1_PKS1_PS1_EviT_T9_T10_S5_lS7_S5_lS6_T11_S5_li,comdat
	.globl	_ZL29rocblas_internal_gemmt_kernelIiLi16ELi32ELi8ELc67ELc84ELc76ELb1ELb0E19rocblas_complex_numIdES1_PKS1_PS1_EviT_T9_T10_S5_lS7_S5_lS6_T11_S5_li ; -- Begin function _ZL29rocblas_internal_gemmt_kernelIiLi16ELi32ELi8ELc67ELc84ELc76ELb1ELb0E19rocblas_complex_numIdES1_PKS1_PS1_EviT_T9_T10_S5_lS7_S5_lS6_T11_S5_li
	.p2align	8
	.type	_ZL29rocblas_internal_gemmt_kernelIiLi16ELi32ELi8ELc67ELc84ELc76ELb1ELb0E19rocblas_complex_numIdES1_PKS1_PS1_EviT_T9_T10_S5_lS7_S5_lS6_T11_S5_li,@function
_ZL29rocblas_internal_gemmt_kernelIiLi16ELi32ELi8ELc67ELc84ELc76ELb1ELb0E19rocblas_complex_numIdES1_PKS1_PS1_EviT_T9_T10_S5_lS7_S5_lS6_T11_S5_li: ; @_ZL29rocblas_internal_gemmt_kernelIiLi16ELi32ELi8ELc67ELc84ELc76ELb1ELb0E19rocblas_complex_numIdES1_PKS1_PS1_EviT_T9_T10_S5_lS7_S5_lS6_T11_S5_li
; %bb.0:
	s_clause 0x2
	s_load_b256 s[8:15], s[0:1], 0x40
	s_load_b64 s[4:5], s[0:1], 0x0
	s_load_b128 s[16:19], s[0:1], 0x8
	s_wait_kmcnt 0x0
	v_cmp_eq_f64_e64 s2, s[10:11], 1.0
	v_cmp_eq_f64_e64 s3, s[12:13], 0
	s_and_b32 s2, s2, s3
	s_delay_alu instid0(SALU_CYCLE_1)
	s_and_not1_b32 vcc_lo, exec_lo, s2
	s_mov_b32 s2, -1
	s_cbranch_vccnz .LBB142_3
; %bb.1:
	s_cmp_lg_u32 s5, 0
	s_cbranch_scc0 .LBB142_36
; %bb.2:
	v_cmp_neq_f64_e64 s2, s[16:17], 0
	v_cmp_neq_f64_e64 s6, s[18:19], 0
	s_or_b32 s2, s2, s6
.LBB142_3:
	s_delay_alu instid0(SALU_CYCLE_1)
	s_and_b32 vcc_lo, exec_lo, s2
	s_cbranch_vccz .LBB142_37
; %bb.4:
	s_load_b32 s27, s[0:1], 0x70
	s_lshr_b32 s6, ttmp7, 16
	s_wait_kmcnt 0x0
	s_cmp_ge_u32 s6, s27
	s_cbranch_scc1 .LBB142_37
; %bb.5:
	v_cmp_neq_f64_e64 s33, s[16:17], 0
	v_cmp_neq_f64_e64 s34, s[18:19], 0
	;; [unrolled: 1-line block ×3, first 2 shown]
	v_and_b32_e32 v1, 0x3ff, v0
	v_bfe_u32 v2, v0, 10, 10
	s_clause 0x4
	s_load_b96 s[24:26], s[0:1], 0x18
	s_load_b128 s[20:23], s[0:1], 0x28
	s_load_b32 s30, s[0:1], 0x38
	s_load_b32 s36, s[0:1], 0x60
	s_load_b64 s[28:29], s[0:1], 0x68
	v_and_b32_e32 v37, 7, v0
	s_lshl_b32 s0, ttmp9, 5
	s_lshl_b32 s1, ttmp7, 5
	v_lshl_add_u32 v0, v2, 4, v1
	v_lshlrev_b32_e32 v38, 4, v1
	v_add_nc_u32_e32 v5, s0, v1
	s_and_b32 s2, s1, 0x1fffe0
	v_lshlrev_b32_e32 v3, 4, v37
	v_and_b32_e32 v1, 31, v0
	v_add_nc_u32_e32 v4, s2, v2
	v_lshrrev_b32_e32 v40, 5, v0
	v_lshrrev_b32_e32 v0, 3, v0
	v_lshl_add_u32 v39, v2, 7, 0x1000
	v_or_b32_e32 v2, s0, v1
	v_cmp_le_i32_e32 vcc_lo, v4, v5
	v_cmp_gt_i32_e64 s1, s4, v5
	v_add_nc_u32_e32 v7, 16, v5
	v_lshlrev_b32_e32 v1, 4, v1
	v_add_nc_u32_e32 v11, s2, v0
	v_lshl_or_b32 v0, v0, 7, v3
	v_cmp_gt_i32_e64 s0, s4, v2
	s_wait_kmcnt 0x0
	v_mad_co_i64_i32 v[2:3], null, s26, v2, 0
	s_ashr_i32 s31, s30, 31
	v_lshl_or_b32 v41, v40, 9, v1
	v_add_nc_u32_e32 v42, 0x1000, v0
	v_mad_co_i64_i32 v[0:1], null, v4, s36, 0
	v_cmp_gt_i32_e64 s2, s4, v11
	v_lshlrev_b64_e32 v[2:3], 4, v[2:3]
	v_lshlrev_b32_e32 v12, 4, v40
	v_mad_co_i64_i32 v[9:10], null, s30, v37, 0
	s_or_b32 s37, s33, s34
	s_cmp_gt_i32 s5, 0
	v_lshlrev_b32_e32 v11, 4, v11
	s_cselect_b32 s38, -1, 0
	s_and_b32 s33, vcc_lo, s1
	v_cmp_le_i32_e32 vcc_lo, v4, v7
	v_add_nc_u32_e32 v4, 16, v4
	s_xor_b32 s3, s3, -1
	v_lshlrev_b64_e32 v[13:14], 4, v[0:1]
	s_wait_alu 0xfffe
	s_or_b32 s34, s35, s3
	v_cmp_gt_i32_e64 s3, s4, v7
	v_cmp_le_i32_e64 s4, v4, v5
	v_mad_co_i64_i32 v[15:16], null, v4, s36, 0
	v_ashrrev_i32_e32 v6, 31, v5
	s_delay_alu instid0(VALU_DEP_4) | instskip(NEXT) | instid1(VALU_DEP_3)
	s_and_b32 s26, vcc_lo, s3
	s_and_b32 s4, s4, s1
	v_cmp_le_i32_e32 vcc_lo, v4, v7
	v_add_co_u32 v2, s1, v2, v12
	s_wait_alu 0xf1ff
	v_add_co_ci_u32_e64 v3, null, 0, v3, s1
	s_and_b32 s1, vcc_lo, s3
	v_add_co_u32 v4, vcc_lo, s24, v2
	s_delay_alu instid0(VALU_DEP_1) | instskip(SKIP_1) | instid1(VALU_DEP_3)
	v_add_co_ci_u32_e64 v12, null, s25, v3, vcc_lo
	v_lshlrev_b64_e32 v[2:3], 4, v[9:10]
	v_add_co_u32 v9, vcc_lo, v4, 8
	s_wait_alu 0xfffd
	s_delay_alu instid0(VALU_DEP_3) | instskip(SKIP_1) | instid1(VALU_DEP_4)
	v_add_co_ci_u32_e64 v10, null, 0, v12, vcc_lo
	v_lshlrev_b64_e32 v[15:16], 4, v[15:16]
	v_add_co_u32 v2, vcc_lo, v2, v11
	s_wait_alu 0xfffd
	v_add_co_ci_u32_e64 v3, null, 0, v3, vcc_lo
	v_ashrrev_i32_e32 v8, 31, v7
	s_delay_alu instid0(VALU_DEP_3) | instskip(SKIP_1) | instid1(VALU_DEP_3)
	v_add_co_u32 v11, vcc_lo, s22, v2
	s_wait_alu 0xfffd
	v_add_co_ci_u32_e64 v12, null, s23, v3, vcc_lo
	v_mov_b32_e32 v0, 0
	s_mov_b32 s7, 0
	s_lshl_b64 s[20:21], s[20:21], 4
	s_and_b32 s24, s37, s38
	s_lshl_b64 s[8:9], s[8:9], 4
	s_lshl_b64 s[22:23], s[30:31], 7
	s_xor_b32 s25, s2, -1
	s_branch .LBB142_7
.LBB142_6:                              ;   in Loop: Header=BB142_7 Depth=1
	s_wait_alu 0xfffe
	s_or_b32 exec_lo, exec_lo, s2
	s_add_co_i32 s6, s6, 0x10000
	s_wait_alu 0xfffe
	s_cmp_lt_u32 s6, s27
	s_cbranch_scc0 .LBB142_37
.LBB142_7:                              ; =>This Loop Header: Depth=1
                                        ;     Child Loop BB142_10 Depth 2
	v_mov_b32_e32 v33, 0
	v_mov_b32_e32 v29, 0
	;; [unrolled: 1-line block ×3, first 2 shown]
	v_dual_mov_b32 v23, 0 :: v_dual_mov_b32 v34, 0
	v_dual_mov_b32 v35, 0 :: v_dual_mov_b32 v30, 0
	;; [unrolled: 1-line block ×5, first 2 shown]
	v_mov_b32_e32 v32, 0
	v_mov_b32_e32 v28, 0
	;; [unrolled: 1-line block ×3, first 2 shown]
	s_wait_alu 0xfffe
	s_and_not1_b32 vcc_lo, exec_lo, s24
	s_wait_alu 0xfffe
	s_cbranch_vccnz .LBB142_16
; %bb.8:                                ;   in Loop: Header=BB142_7 Depth=1
	v_mad_co_u64_u32 v[17:18], null, s20, s6, v[9:10]
	v_mad_co_u64_u32 v[19:20], null, s8, s6, v[11:12]
	v_mov_b32_e32 v21, 0
	v_mov_b32_e32 v23, 0
	;; [unrolled: 1-line block ×4, first 2 shown]
	v_dual_mov_b32 v1, v18 :: v_dual_mov_b32 v22, 0
	v_mov_b32_e32 v2, v20
	v_dual_mov_b32 v24, 0 :: v_dual_mov_b32 v27, 0
	v_dual_mov_b32 v26, 0 :: v_dual_mov_b32 v31, 0
	s_delay_alu instid0(VALU_DEP_3)
	v_mad_co_u64_u32 v[3:4], null, s21, s6, v[1:2]
	v_dual_mov_b32 v30, 0 :: v_dual_mov_b32 v35, 0
	v_dual_mov_b32 v33, 0 :: v_dual_mov_b32 v28, 0
	v_mov_b32_e32 v32, 0
	v_mov_b32_e32 v36, 0
	v_mad_co_u64_u32 v[1:2], null, s9, s6, v[2:3]
	v_mov_b32_e32 v34, 0
	v_mov_b32_e32 v18, v3
	s_mov_b32 s2, 0
	s_delay_alu instid0(VALU_DEP_3)
	v_mov_b32_e32 v20, v1
	s_branch .LBB142_10
.LBB142_9:                              ;   in Loop: Header=BB142_10 Depth=2
	s_wait_alu 0xfffe
	s_or_b32 exec_lo, exec_lo, s3
	s_wait_dscnt 0x0
	s_barrier_signal -1
	s_barrier_wait -1
	global_inv scope:SCOPE_SE
	ds_load_b128 v[1:4], v39
	ds_load_b128 v[43:46], v38
	ds_load_b128 v[47:50], v38 offset:256
	ds_load_b128 v[51:54], v39 offset:2048
	;; [unrolled: 1-line block ×10, first 2 shown]
	v_add_co_u32 v17, vcc_lo, 0x80, v17
	s_wait_alu 0xfffd
	v_add_co_ci_u32_e64 v18, null, 0, v18, vcc_lo
	v_add_co_u32 v19, vcc_lo, v19, s22
	s_wait_alu 0xfffd
	v_add_co_ci_u32_e64 v20, null, s23, v20, vcc_lo
	s_add_co_i32 s2, s2, 8
	s_wait_alu 0xfffe
	s_cmp_lt_i32 s2, s5
	s_wait_dscnt 0xa
	v_mul_f64_e32 v[87:88], v[3:4], v[45:46]
	v_mul_f64_e32 v[89:90], v[1:2], v[45:46]
	s_wait_dscnt 0x9
	v_mul_f64_e32 v[91:92], v[3:4], v[49:50]
	v_mul_f64_e32 v[93:94], v[1:2], v[49:50]
	;; [unrolled: 3-line block ×3, first 2 shown]
	v_mul_f64_e32 v[97:98], v[53:54], v[49:50]
	v_mul_f64_e32 v[49:50], v[51:52], v[49:50]
	s_wait_dscnt 0x5
	v_mul_f64_e32 v[99:100], v[57:58], v[65:66]
	v_mul_f64_e32 v[101:102], v[55:56], v[65:66]
	s_wait_dscnt 0x4
	v_mul_f64_e32 v[103:104], v[57:58], v[69:70]
	v_mul_f64_e32 v[105:106], v[55:56], v[69:70]
	;; [unrolled: 1-line block ×6, first 2 shown]
	s_wait_dscnt 0x2
	v_mul_f64_e32 v[115:116], v[73:74], v[77:78]
	v_mul_f64_e32 v[117:118], v[71:72], v[77:78]
	s_wait_dscnt 0x1
	v_mul_f64_e32 v[119:120], v[73:74], v[81:82]
	v_mul_f64_e32 v[121:122], v[71:72], v[81:82]
	;; [unrolled: 3-line block ×3, first 2 shown]
	v_mul_f64_e32 v[125:126], v[85:86], v[81:82]
	v_mul_f64_e32 v[81:82], v[83:84], v[81:82]
	v_fma_f64 v[87:88], v[1:2], v[43:44], -v[87:88]
	v_fma_f64 v[89:90], v[3:4], v[43:44], v[89:90]
	v_fma_f64 v[91:92], v[1:2], v[47:48], -v[91:92]
	v_fma_f64 v[93:94], v[3:4], v[47:48], v[93:94]
	;; [unrolled: 2-line block ×8, first 2 shown]
	ds_load_b128 v[1:4], v39 offset:48
	ds_load_b128 v[43:46], v39 offset:2096
	ds_load_b128 v[47:50], v38 offset:1536
	ds_load_b128 v[51:54], v38 offset:1792
	v_fma_f64 v[115:116], v[71:72], v[75:76], -v[115:116]
	v_fma_f64 v[117:118], v[73:74], v[75:76], v[117:118]
	v_fma_f64 v[71:72], v[71:72], v[79:80], -v[119:120]
	v_fma_f64 v[73:74], v[73:74], v[79:80], v[121:122]
	;; [unrolled: 2-line block ×4, first 2 shown]
	s_wait_dscnt 0x1
	v_mul_f64_e32 v[105:106], v[1:2], v[49:50]
	s_wait_dscnt 0x0
	v_mul_f64_e32 v[107:108], v[3:4], v[53:54]
	v_mul_f64_e32 v[109:110], v[1:2], v[53:54]
	v_add_f64_e32 v[65:66], v[33:34], v[87:88]
	v_add_f64_e32 v[67:68], v[89:90], v[35:36]
	;; [unrolled: 1-line block ×8, first 2 shown]
	v_mul_f64_e32 v[97:98], v[3:4], v[49:50]
	v_mul_f64_e32 v[111:112], v[45:46], v[49:50]
	;; [unrolled: 1-line block ×5, first 2 shown]
	ds_load_b128 v[21:24], v39 offset:64
	ds_load_b128 v[25:28], v38 offset:2048
	;; [unrolled: 1-line block ×4, first 2 shown]
	s_wait_dscnt 0x0
	v_mul_f64_e32 v[121:122], v[35:36], v[27:28]
	v_mul_f64_e32 v[123:124], v[35:36], v[31:32]
	v_fma_f64 v[105:106], v[3:4], v[47:48], v[105:106]
	v_fma_f64 v[107:108], v[1:2], v[51:52], -v[107:108]
	v_fma_f64 v[109:110], v[3:4], v[51:52], v[109:110]
	v_add_f64_e32 v[81:82], v[65:66], v[99:100]
	v_add_f64_e32 v[83:84], v[101:102], v[67:68]
	;; [unrolled: 1-line block ×8, first 2 shown]
	v_mul_f64_e32 v[95:96], v[23:24], v[27:28]
	v_mul_f64_e32 v[99:100], v[21:22], v[27:28]
	;; [unrolled: 1-line block ×6, first 2 shown]
	v_fma_f64 v[97:98], v[1:2], v[47:48], -v[97:98]
	v_fma_f64 v[111:112], v[43:44], v[47:48], -v[111:112]
	v_fma_f64 v[125:126], v[45:46], v[47:48], v[49:50]
	v_fma_f64 v[113:114], v[43:44], v[51:52], -v[113:114]
	v_fma_f64 v[51:52], v[45:46], v[51:52], v[127:128]
	ds_load_b128 v[53:56], v39 offset:80
	ds_load_b128 v[57:60], v39 offset:2128
	ds_load_b128 v[61:64], v38 offset:2560
	ds_load_b128 v[65:68], v38 offset:2816
	v_fma_f64 v[121:122], v[33:34], v[25:26], -v[121:122]
	v_fma_f64 v[123:124], v[33:34], v[29:30], -v[123:124]
	v_add_f64_e32 v[81:82], v[81:82], v[115:116]
	v_add_f64_e32 v[83:84], v[117:118], v[83:84]
	;; [unrolled: 1-line block ×8, first 2 shown]
	s_wait_dscnt 0x1
	v_mul_f64_e32 v[87:88], v[55:56], v[63:64]
	v_mul_f64_e32 v[89:90], v[53:54], v[63:64]
	s_wait_dscnt 0x0
	v_mul_f64_e32 v[91:92], v[55:56], v[67:68]
	v_mul_f64_e32 v[93:94], v[53:54], v[67:68]
	;; [unrolled: 1-line block ×6, first 2 shown]
	v_fma_f64 v[95:96], v[21:22], v[25:26], -v[95:96]
	v_fma_f64 v[99:100], v[23:24], v[25:26], v[99:100]
	v_fma_f64 v[101:102], v[21:22], v[29:30], -v[101:102]
	v_fma_f64 v[103:104], v[23:24], v[29:30], v[103:104]
	v_fma_f64 v[127:128], v[35:36], v[25:26], v[27:28]
	;; [unrolled: 1-line block ×3, first 2 shown]
	ds_load_b128 v[1:4], v39 offset:96
	ds_load_b128 v[43:46], v38 offset:3072
	;; [unrolled: 1-line block ×8, first 2 shown]
	s_wait_loadcnt_dscnt 0x0
	s_barrier_signal -1
	s_barrier_wait -1
	global_inv scope:SCOPE_SE
	v_add_f64_e32 v[81:82], v[81:82], v[97:98]
	v_add_f64_e32 v[83:84], v[105:106], v[83:84]
	;; [unrolled: 1-line block ×8, first 2 shown]
	v_mul_f64_e32 v[79:80], v[3:4], v[45:46]
	v_mul_f64_e32 v[105:106], v[1:2], v[45:46]
	;; [unrolled: 1-line block ×8, first 2 shown]
	v_fma_f64 v[87:88], v[53:54], v[61:62], -v[87:88]
	v_fma_f64 v[89:90], v[55:56], v[61:62], v[89:90]
	v_fma_f64 v[53:54], v[53:54], v[65:66], -v[91:92]
	v_fma_f64 v[55:56], v[55:56], v[65:66], v[93:94]
	;; [unrolled: 2-line block ×4, first 2 shown]
	v_mul_f64_e32 v[93:94], v[23:24], v[35:36]
	v_add_f64_e32 v[63:64], v[81:82], v[95:96]
	v_add_f64_e32 v[65:66], v[99:100], v[83:84]
	;; [unrolled: 1-line block ×8, first 2 shown]
	v_mul_f64_e32 v[83:84], v[23:24], v[31:32]
	v_mul_f64_e32 v[85:86], v[21:22], v[31:32]
	;; [unrolled: 1-line block ×7, first 2 shown]
	v_fma_f64 v[79:80], v[1:2], v[43:44], -v[79:80]
	v_fma_f64 v[101:102], v[3:4], v[43:44], v[105:106]
	v_fma_f64 v[1:2], v[1:2], v[47:48], -v[107:108]
	v_fma_f64 v[3:4], v[3:4], v[47:48], v[109:110]
	;; [unrolled: 2-line block ×4, first 2 shown]
	v_add_f64_e32 v[49:50], v[63:64], v[87:88]
	v_add_f64_e32 v[63:64], v[89:90], v[65:66]
	;; [unrolled: 1-line block ×8, first 2 shown]
	v_fma_f64 v[59:60], v[21:22], v[29:30], -v[83:84]
	v_fma_f64 v[67:68], v[23:24], v[29:30], v[85:86]
	v_fma_f64 v[21:22], v[21:22], v[33:34], -v[93:94]
	v_fma_f64 v[23:24], v[23:24], v[33:34], v[95:96]
	;; [unrolled: 2-line block ×4, first 2 shown]
	v_add_f64_e32 v[25:26], v[49:50], v[79:80]
	v_add_f64_e32 v[27:28], v[101:102], v[63:64]
	v_add_f64_e32 v[1:2], v[53:54], v[1:2]
	v_add_f64_e32 v[3:4], v[3:4], v[55:56]
	v_add_f64_e32 v[49:50], v[65:66], v[103:104]
	v_add_f64_e32 v[43:44], v[43:44], v[61:62]
	v_add_f64_e32 v[45:46], v[57:58], v[45:46]
	v_add_f64_e32 v[47:48], v[47:48], v[51:52]
	v_add_f64_e32 v[33:34], v[25:26], v[59:60]
	v_add_f64_e32 v[35:36], v[67:68], v[27:28]
	v_add_f64_e32 v[29:30], v[1:2], v[21:22]
	v_add_f64_e32 v[31:32], v[23:24], v[3:4]
	v_add_f64_e32 v[25:26], v[49:50], v[69:70]
	v_add_f64_e32 v[27:28], v[71:72], v[43:44]
	v_add_f64_e32 v[23:24], v[45:46], v[73:74]
	v_add_f64_e32 v[21:22], v[75:76], v[47:48]
	s_cbranch_scc0 .LBB142_16
.LBB142_10:                             ;   Parent Loop BB142_7 Depth=1
                                        ; =>  This Inner Loop Header: Depth=2
	s_wait_alu 0xfffe
	v_add_nc_u32_e32 v1, s2, v40
	v_mov_b32_e32 v3, 0
	v_mov_b32_e32 v4, 0
	s_delay_alu instid0(VALU_DEP_3)
	v_cmp_gt_i32_e32 vcc_lo, s5, v1
	v_mov_b32_e32 v1, 0
	v_mov_b32_e32 v2, 0
	s_and_b32 s30, s0, vcc_lo
	s_wait_alu 0xfffe
	s_and_saveexec_b32 s3, s30
	s_cbranch_execz .LBB142_12
; %bb.11:                               ;   in Loop: Header=BB142_10 Depth=2
	global_load_b128 v[1:4], v[17:18], off offset:-8
	s_wait_loadcnt 0x0
	v_xor_b32_e32 v4, 0x80000000, v4
.LBB142_12:                             ;   in Loop: Header=BB142_10 Depth=2
	s_wait_alu 0xfffe
	s_or_b32 exec_lo, exec_lo, s3
	v_add_nc_u32_e32 v43, s2, v37
	ds_store_b128 v41, v[1:4]
	v_cmp_le_i32_e32 vcc_lo, s5, v43
	s_or_b32 s3, vcc_lo, s25
	s_wait_alu 0xfffe
	s_and_saveexec_b32 s30, s3
	s_wait_alu 0xfffe
	s_xor_b32 s3, exec_lo, s30
; %bb.13:                               ;   in Loop: Header=BB142_10 Depth=2
	v_dual_mov_b32 v1, v0 :: v_dual_mov_b32 v2, v0
	v_mov_b32_e32 v3, v0
	ds_store_b128 v42, v[0:3]
; %bb.14:                               ;   in Loop: Header=BB142_10 Depth=2
	s_wait_alu 0xfffe
	s_and_not1_saveexec_b32 s3, s3
	s_cbranch_execz .LBB142_9
; %bb.15:                               ;   in Loop: Header=BB142_10 Depth=2
	global_load_b128 v[1:4], v[19:20], off
	s_wait_loadcnt 0x0
	ds_store_2addr_b64 v42, v[1:2], v[3:4] offset1:1
	s_branch .LBB142_9
.LBB142_16:                             ;   in Loop: Header=BB142_7 Depth=1
	s_mul_u64 s[2:3], s[28:29], s[6:7]
	s_wait_alu 0xfffe
	s_lshl_b64 s[2:3], s[2:3], 4
	s_wait_alu 0xfffe
	s_add_nc_u64 s[2:3], s[14:15], s[2:3]
	s_wait_alu 0xfffe
	v_add_co_u32 v17, vcc_lo, s2, v13
	s_wait_alu 0xfffd
	v_add_co_ci_u32_e64 v18, null, s3, v14, vcc_lo
	s_and_saveexec_b32 s30, s33
	s_cbranch_execz .LBB142_21
; %bb.17:                               ;   in Loop: Header=BB142_7 Depth=1
	v_mul_f64_e32 v[1:2], s[18:19], v[35:36]
	v_mul_f64_e32 v[3:4], s[16:17], v[35:36]
	s_and_b32 vcc_lo, exec_lo, s34
	s_mov_b32 s31, -1
	s_delay_alu instid0(VALU_DEP_2) | instskip(NEXT) | instid1(VALU_DEP_2)
	v_fma_f64 v[1:2], s[16:17], v[33:34], -v[1:2]
	v_fma_f64 v[3:4], s[18:19], v[33:34], v[3:4]
	s_wait_alu 0xfffe
	s_cbranch_vccz .LBB142_19
; %bb.18:                               ;   in Loop: Header=BB142_7 Depth=1
	v_lshlrev_b64_e32 v[19:20], 4, v[5:6]
	s_mov_b32 s31, 0
	s_delay_alu instid0(VALU_DEP_1) | instskip(SKIP_1) | instid1(VALU_DEP_2)
	v_add_co_u32 v19, vcc_lo, v17, v19
	s_wait_alu 0xfffd
	v_add_co_ci_u32_e64 v20, null, v18, v20, vcc_lo
	global_load_b128 v[33:36], v[19:20], off
	s_wait_loadcnt 0x0
	v_mul_f64_e32 v[43:44], s[12:13], v[35:36]
	v_mul_f64_e32 v[35:36], s[10:11], v[35:36]
	s_delay_alu instid0(VALU_DEP_2) | instskip(NEXT) | instid1(VALU_DEP_2)
	v_fma_f64 v[43:44], s[10:11], v[33:34], -v[43:44]
	v_fma_f64 v[35:36], s[12:13], v[33:34], v[35:36]
	s_delay_alu instid0(VALU_DEP_2) | instskip(NEXT) | instid1(VALU_DEP_2)
	v_add_f64_e32 v[33:34], v[1:2], v[43:44]
	v_add_f64_e32 v[35:36], v[3:4], v[35:36]
	global_store_b128 v[19:20], v[33:36], off
.LBB142_19:                             ;   in Loop: Header=BB142_7 Depth=1
	s_wait_alu 0xfffe
	s_and_not1_b32 vcc_lo, exec_lo, s31
	s_wait_alu 0xfffe
	s_cbranch_vccnz .LBB142_21
; %bb.20:                               ;   in Loop: Header=BB142_7 Depth=1
	v_lshlrev_b64_e32 v[19:20], 4, v[5:6]
	s_delay_alu instid0(VALU_DEP_1) | instskip(SKIP_1) | instid1(VALU_DEP_2)
	v_add_co_u32 v19, vcc_lo, v17, v19
	s_wait_alu 0xfffd
	v_add_co_ci_u32_e64 v20, null, v18, v20, vcc_lo
	global_store_b128 v[19:20], v[1:4], off
.LBB142_21:                             ;   in Loop: Header=BB142_7 Depth=1
	s_wait_alu 0xfffe
	s_or_b32 exec_lo, exec_lo, s30
	s_and_saveexec_b32 s30, s26
	s_cbranch_execz .LBB142_26
; %bb.22:                               ;   in Loop: Header=BB142_7 Depth=1
	v_mul_f64_e32 v[1:2], s[18:19], v[31:32]
	v_mul_f64_e32 v[3:4], s[16:17], v[31:32]
	s_and_not1_b32 vcc_lo, exec_lo, s34
	s_mov_b32 s31, -1
	s_delay_alu instid0(VALU_DEP_2) | instskip(NEXT) | instid1(VALU_DEP_2)
	v_fma_f64 v[1:2], s[16:17], v[29:30], -v[1:2]
	v_fma_f64 v[3:4], s[18:19], v[29:30], v[3:4]
	s_wait_alu 0xfffe
	s_cbranch_vccnz .LBB142_24
; %bb.23:                               ;   in Loop: Header=BB142_7 Depth=1
	v_lshlrev_b64_e32 v[19:20], 4, v[7:8]
	s_mov_b32 s31, 0
	s_delay_alu instid0(VALU_DEP_1) | instskip(SKIP_1) | instid1(VALU_DEP_2)
	v_add_co_u32 v19, vcc_lo, v17, v19
	s_wait_alu 0xfffd
	v_add_co_ci_u32_e64 v20, null, v18, v20, vcc_lo
	global_load_b128 v[29:32], v[19:20], off
	s_wait_loadcnt 0x0
	v_mul_f64_e32 v[33:34], s[12:13], v[31:32]
	v_mul_f64_e32 v[31:32], s[10:11], v[31:32]
	s_delay_alu instid0(VALU_DEP_2) | instskip(NEXT) | instid1(VALU_DEP_2)
	v_fma_f64 v[33:34], s[10:11], v[29:30], -v[33:34]
	v_fma_f64 v[31:32], s[12:13], v[29:30], v[31:32]
	s_delay_alu instid0(VALU_DEP_2) | instskip(NEXT) | instid1(VALU_DEP_2)
	v_add_f64_e32 v[29:30], v[1:2], v[33:34]
	v_add_f64_e32 v[31:32], v[3:4], v[31:32]
	global_store_b128 v[19:20], v[29:32], off
.LBB142_24:                             ;   in Loop: Header=BB142_7 Depth=1
	s_wait_alu 0xfffe
	s_and_not1_b32 vcc_lo, exec_lo, s31
	s_wait_alu 0xfffe
	s_cbranch_vccnz .LBB142_26
; %bb.25:                               ;   in Loop: Header=BB142_7 Depth=1
	v_lshlrev_b64_e32 v[19:20], 4, v[7:8]
	s_delay_alu instid0(VALU_DEP_1) | instskip(SKIP_1) | instid1(VALU_DEP_2)
	v_add_co_u32 v17, vcc_lo, v17, v19
	s_wait_alu 0xfffd
	v_add_co_ci_u32_e64 v18, null, v18, v20, vcc_lo
	global_store_b128 v[17:18], v[1:4], off
.LBB142_26:                             ;   in Loop: Header=BB142_7 Depth=1
	s_wait_alu 0xfffe
	s_or_b32 exec_lo, exec_lo, s30
	v_add_co_u32 v19, vcc_lo, s2, v15
	s_wait_alu 0xfffd
	v_add_co_ci_u32_e64 v20, null, s3, v16, vcc_lo
	s_and_saveexec_b32 s2, s4
	s_cbranch_execz .LBB142_31
; %bb.27:                               ;   in Loop: Header=BB142_7 Depth=1
	v_mul_f64_e32 v[1:2], s[18:19], v[27:28]
	v_mul_f64_e32 v[3:4], s[16:17], v[27:28]
	v_lshlrev_b64_e32 v[17:18], 4, v[5:6]
	s_and_not1_b32 vcc_lo, exec_lo, s34
	s_mov_b32 s3, -1
	s_delay_alu instid0(VALU_DEP_3) | instskip(NEXT) | instid1(VALU_DEP_3)
	v_fma_f64 v[1:2], s[16:17], v[25:26], -v[1:2]
	v_fma_f64 v[3:4], s[18:19], v[25:26], v[3:4]
	s_wait_alu 0xfffe
	s_cbranch_vccnz .LBB142_29
; %bb.28:                               ;   in Loop: Header=BB142_7 Depth=1
	v_add_co_u32 v29, vcc_lo, v19, v17
	s_wait_alu 0xfffd
	v_add_co_ci_u32_e64 v30, null, v20, v18, vcc_lo
	s_mov_b32 s3, 0
	global_load_b128 v[25:28], v[29:30], off
	s_wait_loadcnt 0x0
	v_mul_f64_e32 v[31:32], s[12:13], v[27:28]
	v_mul_f64_e32 v[27:28], s[10:11], v[27:28]
	s_delay_alu instid0(VALU_DEP_2) | instskip(NEXT) | instid1(VALU_DEP_2)
	v_fma_f64 v[31:32], s[10:11], v[25:26], -v[31:32]
	v_fma_f64 v[27:28], s[12:13], v[25:26], v[27:28]
	s_delay_alu instid0(VALU_DEP_2) | instskip(NEXT) | instid1(VALU_DEP_2)
	v_add_f64_e32 v[25:26], v[1:2], v[31:32]
	v_add_f64_e32 v[27:28], v[3:4], v[27:28]
	global_store_b128 v[29:30], v[25:28], off
.LBB142_29:                             ;   in Loop: Header=BB142_7 Depth=1
	s_wait_alu 0xfffe
	s_and_not1_b32 vcc_lo, exec_lo, s3
	s_wait_alu 0xfffe
	s_cbranch_vccnz .LBB142_31
; %bb.30:                               ;   in Loop: Header=BB142_7 Depth=1
	v_add_co_u32 v17, vcc_lo, v19, v17
	s_wait_alu 0xfffd
	v_add_co_ci_u32_e64 v18, null, v20, v18, vcc_lo
	global_store_b128 v[17:18], v[1:4], off
.LBB142_31:                             ;   in Loop: Header=BB142_7 Depth=1
	s_wait_alu 0xfffe
	s_or_b32 exec_lo, exec_lo, s2
	s_and_saveexec_b32 s2, s1
	s_cbranch_execz .LBB142_6
; %bb.32:                               ;   in Loop: Header=BB142_7 Depth=1
	v_mul_f64_e32 v[1:2], s[18:19], v[21:22]
	v_mul_f64_e32 v[3:4], s[16:17], v[21:22]
	v_lshlrev_b64_e32 v[17:18], 4, v[7:8]
	s_and_not1_b32 vcc_lo, exec_lo, s34
	s_mov_b32 s3, -1
	s_delay_alu instid0(VALU_DEP_3) | instskip(NEXT) | instid1(VALU_DEP_3)
	v_fma_f64 v[1:2], s[16:17], v[23:24], -v[1:2]
	v_fma_f64 v[3:4], s[18:19], v[23:24], v[3:4]
	s_wait_alu 0xfffe
	s_cbranch_vccnz .LBB142_34
; %bb.33:                               ;   in Loop: Header=BB142_7 Depth=1
	v_add_co_u32 v25, vcc_lo, v19, v17
	s_wait_alu 0xfffd
	v_add_co_ci_u32_e64 v26, null, v20, v18, vcc_lo
	s_mov_b32 s3, 0
	global_load_b128 v[21:24], v[25:26], off
	s_wait_loadcnt 0x0
	v_mul_f64_e32 v[27:28], s[12:13], v[23:24]
	v_mul_f64_e32 v[23:24], s[10:11], v[23:24]
	s_delay_alu instid0(VALU_DEP_2) | instskip(NEXT) | instid1(VALU_DEP_2)
	v_fma_f64 v[27:28], s[10:11], v[21:22], -v[27:28]
	v_fma_f64 v[23:24], s[12:13], v[21:22], v[23:24]
	s_delay_alu instid0(VALU_DEP_2) | instskip(NEXT) | instid1(VALU_DEP_2)
	v_add_f64_e32 v[21:22], v[1:2], v[27:28]
	v_add_f64_e32 v[23:24], v[3:4], v[23:24]
	global_store_b128 v[25:26], v[21:24], off
.LBB142_34:                             ;   in Loop: Header=BB142_7 Depth=1
	s_wait_alu 0xfffe
	s_and_not1_b32 vcc_lo, exec_lo, s3
	s_wait_alu 0xfffe
	s_cbranch_vccnz .LBB142_6
; %bb.35:                               ;   in Loop: Header=BB142_7 Depth=1
	v_add_co_u32 v17, vcc_lo, v19, v17
	s_wait_alu 0xfffd
	v_add_co_ci_u32_e64 v18, null, v20, v18, vcc_lo
	global_store_b128 v[17:18], v[1:4], off
	s_branch .LBB142_6
.LBB142_36:
.LBB142_37:
	s_nop 0
	s_sendmsg sendmsg(MSG_DEALLOC_VGPRS)
	s_endpgm
	.section	.rodata,"a",@progbits
	.p2align	6, 0x0
	.amdhsa_kernel _ZL29rocblas_internal_gemmt_kernelIiLi16ELi32ELi8ELc67ELc84ELc76ELb1ELb0E19rocblas_complex_numIdES1_PKS1_PS1_EviT_T9_T10_S5_lS7_S5_lS6_T11_S5_li
		.amdhsa_group_segment_fixed_size 8192
		.amdhsa_private_segment_fixed_size 0
		.amdhsa_kernarg_size 116
		.amdhsa_user_sgpr_count 2
		.amdhsa_user_sgpr_dispatch_ptr 0
		.amdhsa_user_sgpr_queue_ptr 0
		.amdhsa_user_sgpr_kernarg_segment_ptr 1
		.amdhsa_user_sgpr_dispatch_id 0
		.amdhsa_user_sgpr_private_segment_size 0
		.amdhsa_wavefront_size32 1
		.amdhsa_uses_dynamic_stack 0
		.amdhsa_enable_private_segment 0
		.amdhsa_system_sgpr_workgroup_id_x 1
		.amdhsa_system_sgpr_workgroup_id_y 1
		.amdhsa_system_sgpr_workgroup_id_z 1
		.amdhsa_system_sgpr_workgroup_info 0
		.amdhsa_system_vgpr_workitem_id 1
		.amdhsa_next_free_vgpr 131
		.amdhsa_next_free_sgpr 39
		.amdhsa_reserve_vcc 1
		.amdhsa_float_round_mode_32 0
		.amdhsa_float_round_mode_16_64 0
		.amdhsa_float_denorm_mode_32 3
		.amdhsa_float_denorm_mode_16_64 3
		.amdhsa_fp16_overflow 0
		.amdhsa_workgroup_processor_mode 1
		.amdhsa_memory_ordered 1
		.amdhsa_forward_progress 1
		.amdhsa_inst_pref_size 27
		.amdhsa_round_robin_scheduling 0
		.amdhsa_exception_fp_ieee_invalid_op 0
		.amdhsa_exception_fp_denorm_src 0
		.amdhsa_exception_fp_ieee_div_zero 0
		.amdhsa_exception_fp_ieee_overflow 0
		.amdhsa_exception_fp_ieee_underflow 0
		.amdhsa_exception_fp_ieee_inexact 0
		.amdhsa_exception_int_div_zero 0
	.end_amdhsa_kernel
	.section	.text._ZL29rocblas_internal_gemmt_kernelIiLi16ELi32ELi8ELc67ELc84ELc76ELb1ELb0E19rocblas_complex_numIdES1_PKS1_PS1_EviT_T9_T10_S5_lS7_S5_lS6_T11_S5_li,"axG",@progbits,_ZL29rocblas_internal_gemmt_kernelIiLi16ELi32ELi8ELc67ELc84ELc76ELb1ELb0E19rocblas_complex_numIdES1_PKS1_PS1_EviT_T9_T10_S5_lS7_S5_lS6_T11_S5_li,comdat
.Lfunc_end142:
	.size	_ZL29rocblas_internal_gemmt_kernelIiLi16ELi32ELi8ELc67ELc84ELc76ELb1ELb0E19rocblas_complex_numIdES1_PKS1_PS1_EviT_T9_T10_S5_lS7_S5_lS6_T11_S5_li, .Lfunc_end142-_ZL29rocblas_internal_gemmt_kernelIiLi16ELi32ELi8ELc67ELc84ELc76ELb1ELb0E19rocblas_complex_numIdES1_PKS1_PS1_EviT_T9_T10_S5_lS7_S5_lS6_T11_S5_li
                                        ; -- End function
	.set _ZL29rocblas_internal_gemmt_kernelIiLi16ELi32ELi8ELc67ELc84ELc76ELb1ELb0E19rocblas_complex_numIdES1_PKS1_PS1_EviT_T9_T10_S5_lS7_S5_lS6_T11_S5_li.num_vgpr, 131
	.set _ZL29rocblas_internal_gemmt_kernelIiLi16ELi32ELi8ELc67ELc84ELc76ELb1ELb0E19rocblas_complex_numIdES1_PKS1_PS1_EviT_T9_T10_S5_lS7_S5_lS6_T11_S5_li.num_agpr, 0
	.set _ZL29rocblas_internal_gemmt_kernelIiLi16ELi32ELi8ELc67ELc84ELc76ELb1ELb0E19rocblas_complex_numIdES1_PKS1_PS1_EviT_T9_T10_S5_lS7_S5_lS6_T11_S5_li.numbered_sgpr, 39
	.set _ZL29rocblas_internal_gemmt_kernelIiLi16ELi32ELi8ELc67ELc84ELc76ELb1ELb0E19rocblas_complex_numIdES1_PKS1_PS1_EviT_T9_T10_S5_lS7_S5_lS6_T11_S5_li.num_named_barrier, 0
	.set _ZL29rocblas_internal_gemmt_kernelIiLi16ELi32ELi8ELc67ELc84ELc76ELb1ELb0E19rocblas_complex_numIdES1_PKS1_PS1_EviT_T9_T10_S5_lS7_S5_lS6_T11_S5_li.private_seg_size, 0
	.set _ZL29rocblas_internal_gemmt_kernelIiLi16ELi32ELi8ELc67ELc84ELc76ELb1ELb0E19rocblas_complex_numIdES1_PKS1_PS1_EviT_T9_T10_S5_lS7_S5_lS6_T11_S5_li.uses_vcc, 1
	.set _ZL29rocblas_internal_gemmt_kernelIiLi16ELi32ELi8ELc67ELc84ELc76ELb1ELb0E19rocblas_complex_numIdES1_PKS1_PS1_EviT_T9_T10_S5_lS7_S5_lS6_T11_S5_li.uses_flat_scratch, 0
	.set _ZL29rocblas_internal_gemmt_kernelIiLi16ELi32ELi8ELc67ELc84ELc76ELb1ELb0E19rocblas_complex_numIdES1_PKS1_PS1_EviT_T9_T10_S5_lS7_S5_lS6_T11_S5_li.has_dyn_sized_stack, 0
	.set _ZL29rocblas_internal_gemmt_kernelIiLi16ELi32ELi8ELc67ELc84ELc76ELb1ELb0E19rocblas_complex_numIdES1_PKS1_PS1_EviT_T9_T10_S5_lS7_S5_lS6_T11_S5_li.has_recursion, 0
	.set _ZL29rocblas_internal_gemmt_kernelIiLi16ELi32ELi8ELc67ELc84ELc76ELb1ELb0E19rocblas_complex_numIdES1_PKS1_PS1_EviT_T9_T10_S5_lS7_S5_lS6_T11_S5_li.has_indirect_call, 0
	.section	.AMDGPU.csdata,"",@progbits
; Kernel info:
; codeLenInByte = 3408
; TotalNumSgprs: 41
; NumVgprs: 131
; ScratchSize: 0
; MemoryBound: 1
; FloatMode: 240
; IeeeMode: 1
; LDSByteSize: 8192 bytes/workgroup (compile time only)
; SGPRBlocks: 0
; VGPRBlocks: 16
; NumSGPRsForWavesPerEU: 41
; NumVGPRsForWavesPerEU: 131
; Occupancy: 10
; WaveLimiterHint : 0
; COMPUTE_PGM_RSRC2:SCRATCH_EN: 0
; COMPUTE_PGM_RSRC2:USER_SGPR: 2
; COMPUTE_PGM_RSRC2:TRAP_HANDLER: 0
; COMPUTE_PGM_RSRC2:TGID_X_EN: 1
; COMPUTE_PGM_RSRC2:TGID_Y_EN: 1
; COMPUTE_PGM_RSRC2:TGID_Z_EN: 1
; COMPUTE_PGM_RSRC2:TIDIG_COMP_CNT: 1
	.section	.text._ZL29rocblas_internal_gemmt_kernelIiLi16ELi32ELi8ELc67ELc67ELc76ELb1ELb1E19rocblas_complex_numIdES1_PKS1_PS1_EviT_T9_T10_S5_lS7_S5_lS6_T11_S5_li,"axG",@progbits,_ZL29rocblas_internal_gemmt_kernelIiLi16ELi32ELi8ELc67ELc67ELc76ELb1ELb1E19rocblas_complex_numIdES1_PKS1_PS1_EviT_T9_T10_S5_lS7_S5_lS6_T11_S5_li,comdat
	.globl	_ZL29rocblas_internal_gemmt_kernelIiLi16ELi32ELi8ELc67ELc67ELc76ELb1ELb1E19rocblas_complex_numIdES1_PKS1_PS1_EviT_T9_T10_S5_lS7_S5_lS6_T11_S5_li ; -- Begin function _ZL29rocblas_internal_gemmt_kernelIiLi16ELi32ELi8ELc67ELc67ELc76ELb1ELb1E19rocblas_complex_numIdES1_PKS1_PS1_EviT_T9_T10_S5_lS7_S5_lS6_T11_S5_li
	.p2align	8
	.type	_ZL29rocblas_internal_gemmt_kernelIiLi16ELi32ELi8ELc67ELc67ELc76ELb1ELb1E19rocblas_complex_numIdES1_PKS1_PS1_EviT_T9_T10_S5_lS7_S5_lS6_T11_S5_li,@function
_ZL29rocblas_internal_gemmt_kernelIiLi16ELi32ELi8ELc67ELc67ELc76ELb1ELb1E19rocblas_complex_numIdES1_PKS1_PS1_EviT_T9_T10_S5_lS7_S5_lS6_T11_S5_li: ; @_ZL29rocblas_internal_gemmt_kernelIiLi16ELi32ELi8ELc67ELc67ELc76ELb1ELb1E19rocblas_complex_numIdES1_PKS1_PS1_EviT_T9_T10_S5_lS7_S5_lS6_T11_S5_li
; %bb.0:
	s_clause 0x2
	s_load_b256 s[8:15], s[0:1], 0x40
	s_load_b64 s[6:7], s[0:1], 0x0
	s_load_b128 s[16:19], s[0:1], 0x8
	s_wait_kmcnt 0x0
	v_cmp_eq_f64_e64 s2, s[10:11], 1.0
	v_cmp_eq_f64_e64 s5, s[12:13], 0
	s_and_b32 s2, s2, s5
	s_delay_alu instid0(SALU_CYCLE_1)
	s_and_not1_b32 vcc_lo, exec_lo, s2
	s_mov_b32 s2, -1
	s_cbranch_vccnz .LBB143_3
; %bb.1:
	s_cmp_lg_u32 s7, 0
	s_cbranch_scc0 .LBB143_34
; %bb.2:
	v_cmp_neq_f64_e64 s2, s[16:17], 0
	v_cmp_neq_f64_e64 s3, s[18:19], 0
	s_or_b32 s2, s2, s3
.LBB143_3:
	s_delay_alu instid0(SALU_CYCLE_1)
	s_and_b32 vcc_lo, exec_lo, s2
	s_cbranch_vccz .LBB143_35
; %bb.4:
	s_load_b32 s27, s[0:1], 0x70
	s_lshr_b32 s28, ttmp7, 16
	s_wait_kmcnt 0x0
	s_cmp_ge_u32 s28, s27
	s_cbranch_scc1 .LBB143_35
; %bb.5:
	v_cmp_neq_f64_e64 s33, s[16:17], 0
	v_cmp_neq_f64_e64 s36, s[18:19], 0
	v_and_b32_e32 v1, 0x3ff, v0
	v_bfe_u32 v2, v0, 10, 10
	s_clause 0x4
	s_load_b96 s[24:26], s[0:1], 0x18
	s_load_b128 s[20:23], s[0:1], 0x28
	s_load_b32 s34, s[0:1], 0x38
	s_load_b32 s38, s[0:1], 0x60
	s_load_b64 s[30:31], s[0:1], 0x68
	v_and_b32_e32 v40, 7, v0
	s_lshl_b32 s0, ttmp9, 5
	v_lshlrev_b32_e32 v41, 4, v1
	v_lshl_add_u32 v0, v2, 4, v1
	v_add_nc_u32_e32 v8, s0, v1
	s_lshl_b32 s1, ttmp7, 5
	v_lshlrev_b32_e32 v3, 4, v40
	v_cmp_neq_f64_e64 s37, s[10:11], 0
	v_and_b32_e32 v1, 31, v0
	v_lshrrev_b32_e32 v43, 5, v0
	v_lshrrev_b32_e32 v0, 3, v0
	s_wait_alu 0xfffe
	s_and_b32 s1, s1, 0x1fffe0
	v_lshl_add_u32 v42, v2, 7, 0x1000
	s_wait_alu 0xfffe
	v_add_nc_u32_e32 v4, s1, v2
	v_or_b32_e32 v2, s0, v1
	v_add_nc_u32_e32 v10, 16, v8
	v_add_nc_u32_e32 v12, s1, v0
	v_lshlrev_b32_e32 v1, 4, v1
	v_lshl_or_b32 v0, v0, 7, v3
	v_cmp_gt_i32_e64 s0, s6, v2
	s_wait_kmcnt 0x0
	v_mad_co_i64_i32 v[2:3], null, s26, v2, 0
	v_cmp_le_i32_e32 vcc_lo, v4, v8
	v_cmp_le_i32_e64 s3, v4, v10
	v_lshl_or_b32 v44, v43, 9, v1
	v_add_nc_u32_e32 v45, 0x1000, v0
	v_mad_co_i64_i32 v[0:1], null, v4, s38, 0
	v_add_nc_u32_e32 v6, 16, v4
	v_mad_co_i64_i32 v[4:5], null, s34, v40, 0
	v_cmp_gt_i32_e64 s2, s6, v8
	s_ashr_i32 s35, s34, 31
	v_lshlrev_b64_e32 v[2:3], 4, v[2:3]
	s_or_b32 s39, s33, s36
	s_cmp_gt_i32 s7, 0
	v_lshlrev_b32_e32 v13, 4, v43
	s_cselect_b32 s40, -1, 0
	s_and_b32 s33, vcc_lo, s2
	v_cmp_le_i32_e32 vcc_lo, v6, v8
	v_lshlrev_b64_e32 v[4:5], 4, v[4:5]
	v_cmp_gt_i32_e64 s1, s6, v12
	v_lshlrev_b32_e32 v12, 4, v12
	v_cmp_gt_i32_e64 s4, s6, v10
	s_and_b32 s26, vcc_lo, s2
	v_add_co_u32 v2, vcc_lo, v2, v13
	s_delay_alu instid0(VALU_DEP_1)
	v_add_co_ci_u32_e64 v3, null, 0, v3, vcc_lo
	v_add_co_u32 v4, vcc_lo, v4, v12
	s_wait_alu 0xfffd
	v_add_co_ci_u32_e64 v5, null, 0, v5, vcc_lo
	s_and_b32 s36, s3, s4
	v_cmp_le_i32_e64 s3, v6, v10
	v_mad_co_i64_i32 v[6:7], null, v6, s38, 0
	v_add_co_u32 v2, vcc_lo, s24, v2
	s_wait_alu 0xfffd
	v_add_co_ci_u32_e64 v3, null, s25, v3, vcc_lo
	v_add_co_u32 v4, vcc_lo, s22, v4
	s_wait_alu 0xfffd
	v_add_co_ci_u32_e64 v5, null, s23, v5, vcc_lo
	;; [unrolled: 3-line block ×3, first 2 shown]
	v_add_co_u32 v14, vcc_lo, v4, 8
	v_lshlrev_b64_e32 v[16:17], 4, v[0:1]
	v_lshlrev_b64_e32 v[18:19], 4, v[6:7]
	v_ashrrev_i32_e32 v9, 31, v8
	v_ashrrev_i32_e32 v11, 31, v10
	s_wait_alu 0xfffd
	v_add_co_ci_u32_e64 v15, null, 0, v5, vcc_lo
	s_xor_b32 s5, s5, -1
	s_mov_b32 s29, 0
	s_or_b32 s6, s37, s5
	s_and_b32 s37, s3, s4
	s_wait_alu 0xfffe
	s_and_b32 s22, s39, s40
	s_lshl_b64 s[2:3], s[20:21], 4
	s_lshl_b64 s[4:5], s[8:9], 4
	;; [unrolled: 1-line block ×3, first 2 shown]
	s_branch .LBB143_7
.LBB143_6:                              ;   in Loop: Header=BB143_7 Depth=1
	s_wait_alu 0xfffe
	s_or_b32 exec_lo, exec_lo, s20
	s_add_co_i32 s28, s28, 0x10000
	s_wait_alu 0xfffe
	s_cmp_lt_u32 s28, s27
	s_cbranch_scc0 .LBB143_35
.LBB143_7:                              ; =>This Loop Header: Depth=1
                                        ;     Child Loop BB143_10 Depth 2
	v_mov_b32_e32 v36, 0
	v_mov_b32_e32 v32, 0
	;; [unrolled: 1-line block ×3, first 2 shown]
	v_dual_mov_b32 v26, 0 :: v_dual_mov_b32 v37, 0
	v_dual_mov_b32 v38, 0 :: v_dual_mov_b32 v33, 0
	;; [unrolled: 1-line block ×5, first 2 shown]
	v_mov_b32_e32 v35, 0
	v_mov_b32_e32 v31, 0
	;; [unrolled: 1-line block ×3, first 2 shown]
	s_wait_alu 0xfffe
	s_and_not1_b32 vcc_lo, exec_lo, s22
	s_wait_alu 0xfffe
	s_cbranch_vccnz .LBB143_14
; %bb.8:                                ;   in Loop: Header=BB143_7 Depth=1
	v_mad_co_u64_u32 v[20:21], null, s2, s28, v[12:13]
	v_mad_co_u64_u32 v[22:23], null, s4, s28, v[14:15]
	v_mov_b32_e32 v24, 0
	v_mov_b32_e32 v26, 0
	;; [unrolled: 1-line block ×4, first 2 shown]
	v_dual_mov_b32 v0, v21 :: v_dual_mov_b32 v25, 0
	v_mov_b32_e32 v1, v23
	v_dual_mov_b32 v27, 0 :: v_dual_mov_b32 v30, 0
	v_dual_mov_b32 v29, 0 :: v_dual_mov_b32 v34, 0
	s_delay_alu instid0(VALU_DEP_3)
	v_mad_co_u64_u32 v[2:3], null, s3, s28, v[0:1]
	v_dual_mov_b32 v33, 0 :: v_dual_mov_b32 v38, 0
	v_dual_mov_b32 v36, 0 :: v_dual_mov_b32 v31, 0
	v_mov_b32_e32 v35, 0
	v_mov_b32_e32 v39, 0
	v_mad_co_u64_u32 v[0:1], null, s5, s28, v[1:2]
	v_mov_b32_e32 v37, 0
	v_mov_b32_e32 v21, v2
	s_mov_b32 s20, 0
	s_delay_alu instid0(VALU_DEP_3)
	v_mov_b32_e32 v23, v0
	s_branch .LBB143_10
.LBB143_9:                              ;   in Loop: Header=BB143_10 Depth=2
	s_wait_alu 0xfffe
	s_or_b32 exec_lo, exec_lo, s21
	ds_store_b128 v45, v[4:7]
	s_wait_dscnt 0x0
	s_barrier_signal -1
	s_barrier_wait -1
	global_inv scope:SCOPE_SE
	ds_load_b128 v[0:3], v42
	ds_load_b128 v[4:7], v41
	ds_load_b128 v[46:49], v41 offset:256
	ds_load_b128 v[50:53], v42 offset:2048
	;; [unrolled: 1-line block ×10, first 2 shown]
	v_add_co_u32 v20, vcc_lo, 0x80, v20
	s_wait_alu 0xfffd
	v_add_co_ci_u32_e64 v21, null, 0, v21, vcc_lo
	v_add_co_u32 v22, vcc_lo, v22, s8
	s_wait_alu 0xfffd
	v_add_co_ci_u32_e64 v23, null, s9, v23, vcc_lo
	s_add_co_i32 s20, s20, 8
	s_wait_alu 0xfffe
	s_cmp_lt_i32 s20, s7
	s_wait_dscnt 0xa
	v_mul_f64_e32 v[86:87], v[2:3], v[6:7]
	v_mul_f64_e32 v[88:89], v[0:1], v[6:7]
	s_wait_dscnt 0x9
	v_mul_f64_e32 v[90:91], v[2:3], v[48:49]
	v_mul_f64_e32 v[92:93], v[0:1], v[48:49]
	;; [unrolled: 3-line block ×3, first 2 shown]
	v_mul_f64_e32 v[96:97], v[52:53], v[48:49]
	v_mul_f64_e32 v[48:49], v[50:51], v[48:49]
	s_wait_dscnt 0x5
	v_mul_f64_e32 v[98:99], v[56:57], v[64:65]
	v_mul_f64_e32 v[100:101], v[54:55], v[64:65]
	s_wait_dscnt 0x4
	v_mul_f64_e32 v[102:103], v[56:57], v[68:69]
	v_mul_f64_e32 v[104:105], v[54:55], v[68:69]
	;; [unrolled: 1-line block ×6, first 2 shown]
	s_wait_dscnt 0x2
	v_mul_f64_e32 v[114:115], v[72:73], v[76:77]
	v_mul_f64_e32 v[116:117], v[70:71], v[76:77]
	s_wait_dscnt 0x1
	v_mul_f64_e32 v[118:119], v[72:73], v[80:81]
	v_mul_f64_e32 v[120:121], v[70:71], v[80:81]
	;; [unrolled: 3-line block ×3, first 2 shown]
	v_mul_f64_e32 v[124:125], v[84:85], v[80:81]
	v_mul_f64_e32 v[80:81], v[82:83], v[80:81]
	v_fma_f64 v[86:87], v[0:1], v[4:5], -v[86:87]
	v_fma_f64 v[88:89], v[2:3], v[4:5], v[88:89]
	v_fma_f64 v[90:91], v[0:1], v[46:47], -v[90:91]
	v_fma_f64 v[92:93], v[2:3], v[46:47], v[92:93]
	;; [unrolled: 2-line block ×8, first 2 shown]
	ds_load_b128 v[0:3], v42 offset:48
	ds_load_b128 v[4:7], v42 offset:2096
	;; [unrolled: 1-line block ×4, first 2 shown]
	v_fma_f64 v[114:115], v[70:71], v[74:75], -v[114:115]
	v_fma_f64 v[116:117], v[72:73], v[74:75], v[116:117]
	v_fma_f64 v[70:71], v[70:71], v[78:79], -v[118:119]
	v_fma_f64 v[72:73], v[72:73], v[78:79], v[120:121]
	;; [unrolled: 2-line block ×4, first 2 shown]
	s_wait_dscnt 0x1
	v_mul_f64_e32 v[104:105], v[0:1], v[48:49]
	s_wait_dscnt 0x0
	v_mul_f64_e32 v[106:107], v[2:3], v[52:53]
	v_mul_f64_e32 v[108:109], v[0:1], v[52:53]
	v_add_f64_e32 v[64:65], v[36:37], v[86:87]
	v_add_f64_e32 v[66:67], v[88:89], v[38:39]
	;; [unrolled: 1-line block ×8, first 2 shown]
	v_mul_f64_e32 v[96:97], v[2:3], v[48:49]
	v_mul_f64_e32 v[110:111], v[6:7], v[48:49]
	;; [unrolled: 1-line block ×5, first 2 shown]
	ds_load_b128 v[24:27], v42 offset:64
	ds_load_b128 v[28:31], v41 offset:2048
	;; [unrolled: 1-line block ×4, first 2 shown]
	s_wait_dscnt 0x0
	v_mul_f64_e32 v[120:121], v[38:39], v[30:31]
	v_mul_f64_e32 v[122:123], v[38:39], v[34:35]
	v_fma_f64 v[104:105], v[2:3], v[46:47], v[104:105]
	v_fma_f64 v[106:107], v[0:1], v[50:51], -v[106:107]
	v_fma_f64 v[108:109], v[2:3], v[50:51], v[108:109]
	v_add_f64_e32 v[80:81], v[64:65], v[98:99]
	v_add_f64_e32 v[82:83], v[100:101], v[66:67]
	;; [unrolled: 1-line block ×8, first 2 shown]
	v_mul_f64_e32 v[94:95], v[26:27], v[30:31]
	v_mul_f64_e32 v[98:99], v[24:25], v[30:31]
	;; [unrolled: 1-line block ×6, first 2 shown]
	v_fma_f64 v[96:97], v[0:1], v[46:47], -v[96:97]
	v_fma_f64 v[110:111], v[4:5], v[46:47], -v[110:111]
	v_fma_f64 v[124:125], v[6:7], v[46:47], v[48:49]
	v_fma_f64 v[112:113], v[4:5], v[50:51], -v[112:113]
	v_fma_f64 v[50:51], v[6:7], v[50:51], v[126:127]
	ds_load_b128 v[52:55], v42 offset:80
	ds_load_b128 v[56:59], v42 offset:2128
	;; [unrolled: 1-line block ×4, first 2 shown]
	v_fma_f64 v[120:121], v[36:37], v[28:29], -v[120:121]
	v_fma_f64 v[122:123], v[36:37], v[32:33], -v[122:123]
	v_add_f64_e32 v[80:81], v[80:81], v[114:115]
	v_add_f64_e32 v[82:83], v[116:117], v[82:83]
	;; [unrolled: 1-line block ×8, first 2 shown]
	s_wait_dscnt 0x1
	v_mul_f64_e32 v[86:87], v[54:55], v[62:63]
	v_mul_f64_e32 v[88:89], v[52:53], v[62:63]
	s_wait_dscnt 0x0
	v_mul_f64_e32 v[90:91], v[54:55], v[66:67]
	v_mul_f64_e32 v[92:93], v[52:53], v[66:67]
	;; [unrolled: 1-line block ×6, first 2 shown]
	v_fma_f64 v[94:95], v[24:25], v[28:29], -v[94:95]
	v_fma_f64 v[98:99], v[26:27], v[28:29], v[98:99]
	v_fma_f64 v[100:101], v[24:25], v[32:33], -v[100:101]
	v_fma_f64 v[102:103], v[26:27], v[32:33], v[102:103]
	v_fma_f64 v[126:127], v[38:39], v[28:29], v[30:31]
	;; [unrolled: 1-line block ×3, first 2 shown]
	ds_load_b128 v[0:3], v42 offset:96
	ds_load_b128 v[4:7], v41 offset:3072
	ds_load_b128 v[46:49], v41 offset:3328
	ds_load_b128 v[68:71], v42 offset:2144
	ds_load_b128 v[24:27], v42 offset:112
	ds_load_b128 v[28:31], v42 offset:2160
	ds_load_b128 v[32:35], v41 offset:3584
	ds_load_b128 v[36:39], v41 offset:3840
	s_wait_loadcnt_dscnt 0x0
	s_barrier_signal -1
	s_barrier_wait -1
	global_inv scope:SCOPE_SE
	v_add_f64_e32 v[80:81], v[80:81], v[96:97]
	v_add_f64_e32 v[82:83], v[104:105], v[82:83]
	;; [unrolled: 1-line block ×8, first 2 shown]
	v_mul_f64_e32 v[78:79], v[2:3], v[6:7]
	v_mul_f64_e32 v[104:105], v[0:1], v[6:7]
	;; [unrolled: 1-line block ×8, first 2 shown]
	v_fma_f64 v[86:87], v[52:53], v[60:61], -v[86:87]
	v_fma_f64 v[88:89], v[54:55], v[60:61], v[88:89]
	v_fma_f64 v[52:53], v[52:53], v[64:65], -v[90:91]
	v_fma_f64 v[54:55], v[54:55], v[64:65], v[92:93]
	;; [unrolled: 2-line block ×4, first 2 shown]
	v_mul_f64_e32 v[92:93], v[26:27], v[38:39]
	v_add_f64_e32 v[62:63], v[80:81], v[94:95]
	v_add_f64_e32 v[64:65], v[98:99], v[82:83]
	;; [unrolled: 1-line block ×8, first 2 shown]
	v_mul_f64_e32 v[82:83], v[26:27], v[34:35]
	v_mul_f64_e32 v[84:85], v[24:25], v[34:35]
	;; [unrolled: 1-line block ×7, first 2 shown]
	v_fma_f64 v[78:79], v[0:1], v[4:5], -v[78:79]
	v_fma_f64 v[100:101], v[2:3], v[4:5], v[104:105]
	v_fma_f64 v[0:1], v[0:1], v[46:47], -v[106:107]
	v_fma_f64 v[2:3], v[2:3], v[46:47], v[108:109]
	;; [unrolled: 2-line block ×4, first 2 shown]
	v_add_f64_e32 v[48:49], v[62:63], v[86:87]
	v_add_f64_e32 v[62:63], v[88:89], v[64:65]
	;; [unrolled: 1-line block ×8, first 2 shown]
	v_fma_f64 v[58:59], v[24:25], v[32:33], -v[82:83]
	v_fma_f64 v[66:67], v[26:27], v[32:33], v[84:85]
	v_fma_f64 v[24:25], v[24:25], v[36:37], -v[92:93]
	v_fma_f64 v[26:27], v[26:27], v[36:37], v[94:95]
	;; [unrolled: 2-line block ×4, first 2 shown]
	v_add_f64_e32 v[28:29], v[48:49], v[78:79]
	v_add_f64_e32 v[30:31], v[100:101], v[62:63]
	;; [unrolled: 1-line block ×16, first 2 shown]
	s_cbranch_scc0 .LBB143_14
.LBB143_10:                             ;   Parent Loop BB143_7 Depth=1
                                        ; =>  This Inner Loop Header: Depth=2
	s_wait_alu 0xfffe
	v_add_nc_u32_e32 v0, s20, v43
	v_mov_b32_e32 v2, 0
	v_mov_b32_e32 v3, 0
	s_delay_alu instid0(VALU_DEP_3)
	v_cmp_gt_i32_e32 vcc_lo, s7, v0
	v_mov_b32_e32 v0, 0
	v_mov_b32_e32 v1, 0
	s_and_b32 s23, s0, vcc_lo
	s_wait_alu 0xfffe
	s_and_saveexec_b32 s21, s23
	s_cbranch_execz .LBB143_12
; %bb.11:                               ;   in Loop: Header=BB143_10 Depth=2
	global_load_b128 v[0:3], v[20:21], off offset:-8
	s_wait_loadcnt 0x0
	v_xor_b32_e32 v3, 0x80000000, v3
.LBB143_12:                             ;   in Loop: Header=BB143_10 Depth=2
	s_wait_alu 0xfffe
	s_or_b32 exec_lo, exec_lo, s21
	v_add_nc_u32_e32 v4, s20, v40
	v_mov_b32_e32 v6, 0
	v_mov_b32_e32 v7, 0
	ds_store_b128 v44, v[0:3]
	v_cmp_gt_i32_e32 vcc_lo, s7, v4
	v_mov_b32_e32 v4, 0
	v_mov_b32_e32 v5, 0
	s_and_b32 s23, vcc_lo, s1
	s_wait_alu 0xfffe
	s_and_saveexec_b32 s21, s23
	s_cbranch_execz .LBB143_9
; %bb.13:                               ;   in Loop: Header=BB143_10 Depth=2
	global_load_b128 v[4:7], v[22:23], off offset:-8
	s_wait_loadcnt 0x0
	v_xor_b32_e32 v7, 0x80000000, v7
	s_branch .LBB143_9
.LBB143_14:                             ;   in Loop: Header=BB143_7 Depth=1
	s_mul_u64 s[20:21], s[30:31], s[28:29]
	s_wait_alu 0xfffe
	s_lshl_b64 s[20:21], s[20:21], 4
	s_wait_alu 0xfffe
	s_add_nc_u64 s[20:21], s[14:15], s[20:21]
	s_wait_alu 0xfffe
	v_add_co_u32 v4, vcc_lo, s20, v16
	s_wait_alu 0xfffd
	v_add_co_ci_u32_e64 v5, null, s21, v17, vcc_lo
	s_and_saveexec_b32 s23, s33
	s_cbranch_execz .LBB143_19
; %bb.15:                               ;   in Loop: Header=BB143_7 Depth=1
	v_mul_f64_e32 v[0:1], s[18:19], v[38:39]
	v_mul_f64_e32 v[2:3], s[16:17], v[38:39]
	s_and_b32 vcc_lo, exec_lo, s6
	s_mov_b32 s24, -1
	s_delay_alu instid0(VALU_DEP_2) | instskip(NEXT) | instid1(VALU_DEP_2)
	v_fma_f64 v[0:1], s[16:17], v[36:37], -v[0:1]
	v_fma_f64 v[2:3], s[18:19], v[36:37], v[2:3]
	s_wait_alu 0xfffe
	s_cbranch_vccz .LBB143_17
; %bb.16:                               ;   in Loop: Header=BB143_7 Depth=1
	v_lshlrev_b64_e32 v[6:7], 4, v[8:9]
	s_mov_b32 s24, 0
	s_delay_alu instid0(VALU_DEP_1) | instskip(SKIP_1) | instid1(VALU_DEP_2)
	v_add_co_u32 v6, vcc_lo, v4, v6
	s_wait_alu 0xfffd
	v_add_co_ci_u32_e64 v7, null, v5, v7, vcc_lo
	global_load_b128 v[20:23], v[6:7], off
	s_wait_loadcnt 0x0
	v_mul_f64_e32 v[36:37], s[12:13], v[22:23]
	v_mul_f64_e32 v[22:23], s[10:11], v[22:23]
	s_delay_alu instid0(VALU_DEP_2) | instskip(NEXT) | instid1(VALU_DEP_2)
	v_fma_f64 v[36:37], s[10:11], v[20:21], -v[36:37]
	v_fma_f64 v[22:23], s[12:13], v[20:21], v[22:23]
	s_delay_alu instid0(VALU_DEP_2) | instskip(NEXT) | instid1(VALU_DEP_2)
	v_add_f64_e32 v[20:21], v[0:1], v[36:37]
	v_add_f64_e32 v[22:23], v[2:3], v[22:23]
	global_store_b128 v[6:7], v[20:23], off
.LBB143_17:                             ;   in Loop: Header=BB143_7 Depth=1
	s_wait_alu 0xfffe
	s_and_not1_b32 vcc_lo, exec_lo, s24
	s_wait_alu 0xfffe
	s_cbranch_vccnz .LBB143_19
; %bb.18:                               ;   in Loop: Header=BB143_7 Depth=1
	v_lshlrev_b64_e32 v[6:7], 4, v[8:9]
	s_delay_alu instid0(VALU_DEP_1) | instskip(SKIP_1) | instid1(VALU_DEP_2)
	v_add_co_u32 v6, vcc_lo, v4, v6
	s_wait_alu 0xfffd
	v_add_co_ci_u32_e64 v7, null, v5, v7, vcc_lo
	global_store_b128 v[6:7], v[0:3], off
.LBB143_19:                             ;   in Loop: Header=BB143_7 Depth=1
	s_wait_alu 0xfffe
	s_or_b32 exec_lo, exec_lo, s23
	s_and_saveexec_b32 s23, s36
	s_cbranch_execz .LBB143_24
; %bb.20:                               ;   in Loop: Header=BB143_7 Depth=1
	v_mul_f64_e32 v[0:1], s[18:19], v[34:35]
	v_mul_f64_e32 v[2:3], s[16:17], v[34:35]
	s_and_not1_b32 vcc_lo, exec_lo, s6
	s_mov_b32 s24, -1
	s_delay_alu instid0(VALU_DEP_2) | instskip(NEXT) | instid1(VALU_DEP_2)
	v_fma_f64 v[0:1], s[16:17], v[32:33], -v[0:1]
	v_fma_f64 v[2:3], s[18:19], v[32:33], v[2:3]
	s_wait_alu 0xfffe
	s_cbranch_vccnz .LBB143_22
; %bb.21:                               ;   in Loop: Header=BB143_7 Depth=1
	v_lshlrev_b64_e32 v[6:7], 4, v[10:11]
	s_mov_b32 s24, 0
	s_delay_alu instid0(VALU_DEP_1) | instskip(SKIP_1) | instid1(VALU_DEP_2)
	v_add_co_u32 v6, vcc_lo, v4, v6
	s_wait_alu 0xfffd
	v_add_co_ci_u32_e64 v7, null, v5, v7, vcc_lo
	global_load_b128 v[20:23], v[6:7], off
	s_wait_loadcnt 0x0
	v_mul_f64_e32 v[32:33], s[12:13], v[22:23]
	v_mul_f64_e32 v[22:23], s[10:11], v[22:23]
	s_delay_alu instid0(VALU_DEP_2) | instskip(NEXT) | instid1(VALU_DEP_2)
	v_fma_f64 v[32:33], s[10:11], v[20:21], -v[32:33]
	v_fma_f64 v[22:23], s[12:13], v[20:21], v[22:23]
	s_delay_alu instid0(VALU_DEP_2) | instskip(NEXT) | instid1(VALU_DEP_2)
	v_add_f64_e32 v[20:21], v[0:1], v[32:33]
	v_add_f64_e32 v[22:23], v[2:3], v[22:23]
	global_store_b128 v[6:7], v[20:23], off
.LBB143_22:                             ;   in Loop: Header=BB143_7 Depth=1
	s_wait_alu 0xfffe
	s_and_not1_b32 vcc_lo, exec_lo, s24
	s_wait_alu 0xfffe
	s_cbranch_vccnz .LBB143_24
; %bb.23:                               ;   in Loop: Header=BB143_7 Depth=1
	v_lshlrev_b64_e32 v[6:7], 4, v[10:11]
	s_delay_alu instid0(VALU_DEP_1) | instskip(SKIP_1) | instid1(VALU_DEP_2)
	v_add_co_u32 v4, vcc_lo, v4, v6
	s_wait_alu 0xfffd
	v_add_co_ci_u32_e64 v5, null, v5, v7, vcc_lo
	global_store_b128 v[4:5], v[0:3], off
.LBB143_24:                             ;   in Loop: Header=BB143_7 Depth=1
	s_wait_alu 0xfffe
	s_or_b32 exec_lo, exec_lo, s23
	v_add_co_u32 v6, vcc_lo, s20, v18
	s_wait_alu 0xfffd
	v_add_co_ci_u32_e64 v7, null, s21, v19, vcc_lo
	s_and_saveexec_b32 s20, s26
	s_cbranch_execz .LBB143_29
; %bb.25:                               ;   in Loop: Header=BB143_7 Depth=1
	v_mul_f64_e32 v[0:1], s[18:19], v[30:31]
	v_mul_f64_e32 v[2:3], s[16:17], v[30:31]
	v_lshlrev_b64_e32 v[4:5], 4, v[8:9]
	s_and_not1_b32 vcc_lo, exec_lo, s6
	s_mov_b32 s21, -1
	s_delay_alu instid0(VALU_DEP_3) | instskip(NEXT) | instid1(VALU_DEP_3)
	v_fma_f64 v[0:1], s[16:17], v[28:29], -v[0:1]
	v_fma_f64 v[2:3], s[18:19], v[28:29], v[2:3]
	s_wait_alu 0xfffe
	s_cbranch_vccnz .LBB143_27
; %bb.26:                               ;   in Loop: Header=BB143_7 Depth=1
	v_add_co_u32 v28, vcc_lo, v6, v4
	s_wait_alu 0xfffd
	v_add_co_ci_u32_e64 v29, null, v7, v5, vcc_lo
	s_mov_b32 s21, 0
	global_load_b128 v[20:23], v[28:29], off
	s_wait_loadcnt 0x0
	v_mul_f64_e32 v[30:31], s[12:13], v[22:23]
	v_mul_f64_e32 v[22:23], s[10:11], v[22:23]
	s_delay_alu instid0(VALU_DEP_2) | instskip(NEXT) | instid1(VALU_DEP_2)
	v_fma_f64 v[30:31], s[10:11], v[20:21], -v[30:31]
	v_fma_f64 v[22:23], s[12:13], v[20:21], v[22:23]
	s_delay_alu instid0(VALU_DEP_2) | instskip(NEXT) | instid1(VALU_DEP_2)
	v_add_f64_e32 v[20:21], v[0:1], v[30:31]
	v_add_f64_e32 v[22:23], v[2:3], v[22:23]
	global_store_b128 v[28:29], v[20:23], off
.LBB143_27:                             ;   in Loop: Header=BB143_7 Depth=1
	s_wait_alu 0xfffe
	s_and_not1_b32 vcc_lo, exec_lo, s21
	s_wait_alu 0xfffe
	s_cbranch_vccnz .LBB143_29
; %bb.28:                               ;   in Loop: Header=BB143_7 Depth=1
	v_add_co_u32 v4, vcc_lo, v6, v4
	s_wait_alu 0xfffd
	v_add_co_ci_u32_e64 v5, null, v7, v5, vcc_lo
	global_store_b128 v[4:5], v[0:3], off
.LBB143_29:                             ;   in Loop: Header=BB143_7 Depth=1
	s_wait_alu 0xfffe
	s_or_b32 exec_lo, exec_lo, s20
	s_and_saveexec_b32 s20, s37
	s_cbranch_execz .LBB143_6
; %bb.30:                               ;   in Loop: Header=BB143_7 Depth=1
	v_mul_f64_e32 v[0:1], s[18:19], v[24:25]
	v_mul_f64_e32 v[2:3], s[16:17], v[24:25]
	v_lshlrev_b64_e32 v[4:5], 4, v[10:11]
	s_and_not1_b32 vcc_lo, exec_lo, s6
	s_mov_b32 s21, -1
	s_delay_alu instid0(VALU_DEP_3) | instskip(NEXT) | instid1(VALU_DEP_3)
	v_fma_f64 v[0:1], s[16:17], v[26:27], -v[0:1]
	v_fma_f64 v[2:3], s[18:19], v[26:27], v[2:3]
	s_wait_alu 0xfffe
	s_cbranch_vccnz .LBB143_32
; %bb.31:                               ;   in Loop: Header=BB143_7 Depth=1
	v_add_co_u32 v24, vcc_lo, v6, v4
	s_wait_alu 0xfffd
	v_add_co_ci_u32_e64 v25, null, v7, v5, vcc_lo
	s_mov_b32 s21, 0
	global_load_b128 v[20:23], v[24:25], off
	s_wait_loadcnt 0x0
	v_mul_f64_e32 v[26:27], s[12:13], v[22:23]
	v_mul_f64_e32 v[22:23], s[10:11], v[22:23]
	s_delay_alu instid0(VALU_DEP_2) | instskip(NEXT) | instid1(VALU_DEP_2)
	v_fma_f64 v[26:27], s[10:11], v[20:21], -v[26:27]
	v_fma_f64 v[22:23], s[12:13], v[20:21], v[22:23]
	s_delay_alu instid0(VALU_DEP_2) | instskip(NEXT) | instid1(VALU_DEP_2)
	v_add_f64_e32 v[20:21], v[0:1], v[26:27]
	v_add_f64_e32 v[22:23], v[2:3], v[22:23]
	global_store_b128 v[24:25], v[20:23], off
.LBB143_32:                             ;   in Loop: Header=BB143_7 Depth=1
	s_wait_alu 0xfffe
	s_and_not1_b32 vcc_lo, exec_lo, s21
	s_wait_alu 0xfffe
	s_cbranch_vccnz .LBB143_6
; %bb.33:                               ;   in Loop: Header=BB143_7 Depth=1
	v_add_co_u32 v4, vcc_lo, v6, v4
	s_wait_alu 0xfffd
	v_add_co_ci_u32_e64 v5, null, v7, v5, vcc_lo
	global_store_b128 v[4:5], v[0:3], off
	s_branch .LBB143_6
.LBB143_34:
.LBB143_35:
	s_nop 0
	s_sendmsg sendmsg(MSG_DEALLOC_VGPRS)
	s_endpgm
	.section	.rodata,"a",@progbits
	.p2align	6, 0x0
	.amdhsa_kernel _ZL29rocblas_internal_gemmt_kernelIiLi16ELi32ELi8ELc67ELc67ELc76ELb1ELb1E19rocblas_complex_numIdES1_PKS1_PS1_EviT_T9_T10_S5_lS7_S5_lS6_T11_S5_li
		.amdhsa_group_segment_fixed_size 8192
		.amdhsa_private_segment_fixed_size 0
		.amdhsa_kernarg_size 116
		.amdhsa_user_sgpr_count 2
		.amdhsa_user_sgpr_dispatch_ptr 0
		.amdhsa_user_sgpr_queue_ptr 0
		.amdhsa_user_sgpr_kernarg_segment_ptr 1
		.amdhsa_user_sgpr_dispatch_id 0
		.amdhsa_user_sgpr_private_segment_size 0
		.amdhsa_wavefront_size32 1
		.amdhsa_uses_dynamic_stack 0
		.amdhsa_enable_private_segment 0
		.amdhsa_system_sgpr_workgroup_id_x 1
		.amdhsa_system_sgpr_workgroup_id_y 1
		.amdhsa_system_sgpr_workgroup_id_z 1
		.amdhsa_system_sgpr_workgroup_info 0
		.amdhsa_system_vgpr_workitem_id 1
		.amdhsa_next_free_vgpr 130
		.amdhsa_next_free_sgpr 41
		.amdhsa_reserve_vcc 1
		.amdhsa_float_round_mode_32 0
		.amdhsa_float_round_mode_16_64 0
		.amdhsa_float_denorm_mode_32 3
		.amdhsa_float_denorm_mode_16_64 3
		.amdhsa_fp16_overflow 0
		.amdhsa_workgroup_processor_mode 1
		.amdhsa_memory_ordered 1
		.amdhsa_forward_progress 1
		.amdhsa_inst_pref_size 27
		.amdhsa_round_robin_scheduling 0
		.amdhsa_exception_fp_ieee_invalid_op 0
		.amdhsa_exception_fp_denorm_src 0
		.amdhsa_exception_fp_ieee_div_zero 0
		.amdhsa_exception_fp_ieee_overflow 0
		.amdhsa_exception_fp_ieee_underflow 0
		.amdhsa_exception_fp_ieee_inexact 0
		.amdhsa_exception_int_div_zero 0
	.end_amdhsa_kernel
	.section	.text._ZL29rocblas_internal_gemmt_kernelIiLi16ELi32ELi8ELc67ELc67ELc76ELb1ELb1E19rocblas_complex_numIdES1_PKS1_PS1_EviT_T9_T10_S5_lS7_S5_lS6_T11_S5_li,"axG",@progbits,_ZL29rocblas_internal_gemmt_kernelIiLi16ELi32ELi8ELc67ELc67ELc76ELb1ELb1E19rocblas_complex_numIdES1_PKS1_PS1_EviT_T9_T10_S5_lS7_S5_lS6_T11_S5_li,comdat
.Lfunc_end143:
	.size	_ZL29rocblas_internal_gemmt_kernelIiLi16ELi32ELi8ELc67ELc67ELc76ELb1ELb1E19rocblas_complex_numIdES1_PKS1_PS1_EviT_T9_T10_S5_lS7_S5_lS6_T11_S5_li, .Lfunc_end143-_ZL29rocblas_internal_gemmt_kernelIiLi16ELi32ELi8ELc67ELc67ELc76ELb1ELb1E19rocblas_complex_numIdES1_PKS1_PS1_EviT_T9_T10_S5_lS7_S5_lS6_T11_S5_li
                                        ; -- End function
	.set _ZL29rocblas_internal_gemmt_kernelIiLi16ELi32ELi8ELc67ELc67ELc76ELb1ELb1E19rocblas_complex_numIdES1_PKS1_PS1_EviT_T9_T10_S5_lS7_S5_lS6_T11_S5_li.num_vgpr, 130
	.set _ZL29rocblas_internal_gemmt_kernelIiLi16ELi32ELi8ELc67ELc67ELc76ELb1ELb1E19rocblas_complex_numIdES1_PKS1_PS1_EviT_T9_T10_S5_lS7_S5_lS6_T11_S5_li.num_agpr, 0
	.set _ZL29rocblas_internal_gemmt_kernelIiLi16ELi32ELi8ELc67ELc67ELc76ELb1ELb1E19rocblas_complex_numIdES1_PKS1_PS1_EviT_T9_T10_S5_lS7_S5_lS6_T11_S5_li.numbered_sgpr, 41
	.set _ZL29rocblas_internal_gemmt_kernelIiLi16ELi32ELi8ELc67ELc67ELc76ELb1ELb1E19rocblas_complex_numIdES1_PKS1_PS1_EviT_T9_T10_S5_lS7_S5_lS6_T11_S5_li.num_named_barrier, 0
	.set _ZL29rocblas_internal_gemmt_kernelIiLi16ELi32ELi8ELc67ELc67ELc76ELb1ELb1E19rocblas_complex_numIdES1_PKS1_PS1_EviT_T9_T10_S5_lS7_S5_lS6_T11_S5_li.private_seg_size, 0
	.set _ZL29rocblas_internal_gemmt_kernelIiLi16ELi32ELi8ELc67ELc67ELc76ELb1ELb1E19rocblas_complex_numIdES1_PKS1_PS1_EviT_T9_T10_S5_lS7_S5_lS6_T11_S5_li.uses_vcc, 1
	.set _ZL29rocblas_internal_gemmt_kernelIiLi16ELi32ELi8ELc67ELc67ELc76ELb1ELb1E19rocblas_complex_numIdES1_PKS1_PS1_EviT_T9_T10_S5_lS7_S5_lS6_T11_S5_li.uses_flat_scratch, 0
	.set _ZL29rocblas_internal_gemmt_kernelIiLi16ELi32ELi8ELc67ELc67ELc76ELb1ELb1E19rocblas_complex_numIdES1_PKS1_PS1_EviT_T9_T10_S5_lS7_S5_lS6_T11_S5_li.has_dyn_sized_stack, 0
	.set _ZL29rocblas_internal_gemmt_kernelIiLi16ELi32ELi8ELc67ELc67ELc76ELb1ELb1E19rocblas_complex_numIdES1_PKS1_PS1_EviT_T9_T10_S5_lS7_S5_lS6_T11_S5_li.has_recursion, 0
	.set _ZL29rocblas_internal_gemmt_kernelIiLi16ELi32ELi8ELc67ELc67ELc76ELb1ELb1E19rocblas_complex_numIdES1_PKS1_PS1_EviT_T9_T10_S5_lS7_S5_lS6_T11_S5_li.has_indirect_call, 0
	.section	.AMDGPU.csdata,"",@progbits
; Kernel info:
; codeLenInByte = 3408
; TotalNumSgprs: 43
; NumVgprs: 130
; ScratchSize: 0
; MemoryBound: 1
; FloatMode: 240
; IeeeMode: 1
; LDSByteSize: 8192 bytes/workgroup (compile time only)
; SGPRBlocks: 0
; VGPRBlocks: 16
; NumSGPRsForWavesPerEU: 43
; NumVGPRsForWavesPerEU: 130
; Occupancy: 10
; WaveLimiterHint : 0
; COMPUTE_PGM_RSRC2:SCRATCH_EN: 0
; COMPUTE_PGM_RSRC2:USER_SGPR: 2
; COMPUTE_PGM_RSRC2:TRAP_HANDLER: 0
; COMPUTE_PGM_RSRC2:TGID_X_EN: 1
; COMPUTE_PGM_RSRC2:TGID_Y_EN: 1
; COMPUTE_PGM_RSRC2:TGID_Z_EN: 1
; COMPUTE_PGM_RSRC2:TIDIG_COMP_CNT: 1
	.section	.text._ZL29rocblas_internal_gemmt_kernelIlLi16ELi32ELi8ELc78ELc78ELc85ELb0ELb0EfPKfS1_PfEviT_T9_T10_S3_lS5_S3_lS4_T11_S3_li,"axG",@progbits,_ZL29rocblas_internal_gemmt_kernelIlLi16ELi32ELi8ELc78ELc78ELc85ELb0ELb0EfPKfS1_PfEviT_T9_T10_S3_lS5_S3_lS4_T11_S3_li,comdat
	.globl	_ZL29rocblas_internal_gemmt_kernelIlLi16ELi32ELi8ELc78ELc78ELc85ELb0ELb0EfPKfS1_PfEviT_T9_T10_S3_lS5_S3_lS4_T11_S3_li ; -- Begin function _ZL29rocblas_internal_gemmt_kernelIlLi16ELi32ELi8ELc78ELc78ELc85ELb0ELb0EfPKfS1_PfEviT_T9_T10_S3_lS5_S3_lS4_T11_S3_li
	.p2align	8
	.type	_ZL29rocblas_internal_gemmt_kernelIlLi16ELi32ELi8ELc78ELc78ELc85ELb0ELb0EfPKfS1_PfEviT_T9_T10_S3_lS5_S3_lS4_T11_S3_li,@function
_ZL29rocblas_internal_gemmt_kernelIlLi16ELi32ELi8ELc78ELc78ELc85ELb0ELb0EfPKfS1_PfEviT_T9_T10_S3_lS5_S3_lS4_T11_S3_li: ; @_ZL29rocblas_internal_gemmt_kernelIlLi16ELi32ELi8ELc78ELc78ELc85ELb0ELb0EfPKfS1_PfEviT_T9_T10_S3_lS5_S3_lS4_T11_S3_li
; %bb.0:
	s_clause 0x1
	s_load_b256 s[24:31], s[0:1], 0x48
	s_load_b512 s[8:23], s[0:1], 0x8
	s_wait_kmcnt 0x0
	s_load_b32 s24, s[24:25], 0x0
	s_load_b32 s10, s[10:11], 0x0
	s_wait_kmcnt 0x0
	s_cmp_neq_f32 s24, 1.0
	s_cselect_b32 s2, -1, 0
	s_delay_alu instid0(SALU_CYCLE_1)
	s_and_b32 vcc_lo, exec_lo, s2
	s_cbranch_vccnz .LBB144_2
; %bb.1:
	s_cmp_lg_u64 s[8:9], 0
	s_cselect_b32 s2, -1, 0
	s_cmp_neq_f32 s10, 0
	s_cselect_b32 s3, -1, 0
	s_delay_alu instid0(SALU_CYCLE_1)
	s_and_b32 s2, s2, s3
.LBB144_2:
	s_delay_alu instid0(SALU_CYCLE_1)
	s_and_not1_b32 vcc_lo, exec_lo, s2
	s_cbranch_vccnz .LBB144_35
; %bb.3:
	s_load_b32 s11, s[0:1], 0x68
	s_lshr_b32 s6, ttmp7, 16
	s_wait_kmcnt 0x0
	s_cmp_ge_u32 s6, s11
	s_cbranch_scc1 .LBB144_35
; %bb.4:
	v_and_b32_e32 v3, 0x3ff, v0
	v_bfe_u32 v4, v0, 10, 10
	s_load_b32 s3, s[0:1], 0x0
	s_lshl_b32 s1, ttmp7, 5
	s_lshl_b32 s0, ttmp9, 5
	s_and_b32 s1, s1, 0x1fffe0
	v_lshl_add_u32 v5, v4, 4, v3
	v_lshl_add_u32 v14, v4, 5, 0x400
	v_add_nc_u32_e32 v22, s1, v4
	v_lshlrev_b32_e32 v13, 2, v3
	s_cmp_neq_f32 s10, 0
	v_lshrrev_b32_e32 v10, 3, v5
	v_and_b32_e32 v4, 31, v5
	v_mad_co_u64_u32 v[6:7], null, s28, v22, 0
	v_and_b32_e32 v12, 7, v0
	s_delay_alu instid0(VALU_DEP_4)
	v_add_nc_u32_e32 v11, s1, v10
	v_add_nc_u32_e32 v0, s0, v3
	v_or_b32_e32 v3, s0, v4
	v_lshrrev_b32_e32 v15, 5, v5
	v_add_nc_u32_e32 v23, 16, v22
	v_mad_co_u64_u32 v[1:2], null, s20, v11, 0
	v_dual_mov_b32 v5, v7 :: v_dual_lshlrev_b32 v16, 2, v12
	v_lshlrev_b32_e32 v17, 2, v4
	v_ashrrev_i32_e32 v4, 31, v3
	s_wait_kmcnt 0x0
	v_cmp_gt_i32_e64 s0, s3, v3
	s_cselect_b32 s20, -1, 0
	v_mad_co_u64_u32 v[8:9], null, s21, v11, v[2:3]
	v_lshl_or_b32 v18, v10, 5, v16
	v_mad_co_u64_u32 v[9:10], null, s28, v23, 0
	v_lshlrev_b64_e32 v[3:4], 2, v[3:4]
	v_lshl_or_b32 v16, v15, 7, v17
	s_delay_alu instid0(VALU_DEP_4) | instskip(SKIP_2) | instid1(VALU_DEP_4)
	v_dual_mov_b32 v2, v8 :: v_dual_add_nc_u32 v17, 0x400, v18
	s_cmp_neq_f32 s24, 0
	v_cmp_gt_i64_e64 s25, s[8:9], 0
	v_add_co_u32 v18, vcc_lo, s12, v3
	s_delay_alu instid0(VALU_DEP_3)
	v_lshlrev_b64_e32 v[1:2], 2, v[1:2]
	v_mov_b32_e32 v3, v10
	v_add_co_ci_u32_e64 v19, null, s13, v4, vcc_lo
	s_cselect_b32 s12, -1, 0
	s_mov_b32 s7, 0
	v_add_co_u32 v20, vcc_lo, s18, v1
	s_wait_alu 0xfffd
	v_add_co_ci_u32_e64 v21, null, s19, v2, vcc_lo
	v_mad_co_u64_u32 v[1:2], null, s29, v22, v[5:6]
	v_mad_co_u64_u32 v[4:5], null, s29, v23, v[3:4]
	v_mov_b32_e32 v5, 0
	v_cmp_gt_i32_e32 vcc_lo, s3, v22
	s_wait_alu 0xfffe
	s_and_b32 s18, s20, s25
	s_delay_alu instid0(VALU_DEP_4)
	v_mov_b32_e32 v7, v1
	v_cmp_le_i32_e64 s2, v0, v22
	v_add_nc_u32_e32 v2, 16, v0
	v_mov_b32_e32 v10, v4
	v_cmp_gt_i32_e64 s1, s3, v11
	v_cmp_gt_i32_e64 s3, s3, v23
	s_and_b32 s13, vcc_lo, s2
	v_cmp_le_i32_e64 s2, v2, v22
	v_cmp_le_i32_e64 s4, v0, v23
	;; [unrolled: 1-line block ×3, first 2 shown]
	v_lshlrev_b64_e32 v[6:7], 2, v[6:7]
	v_lshlrev_b64_e32 v[8:9], 2, v[9:10]
	v_ashrrev_i32_e32 v1, 31, v0
	v_ashrrev_i32_e32 v3, 31, v2
	s_and_b32 s19, vcc_lo, s2
	s_and_b32 s4, s3, s4
	s_and_b32 s5, s3, s5
	s_branch .LBB144_6
.LBB144_5:                              ;   in Loop: Header=BB144_6 Depth=1
	s_wait_alu 0xfffe
	s_or_b32 exec_lo, exec_lo, s2
	s_add_co_i32 s6, s6, 0x10000
	s_delay_alu instid0(SALU_CYCLE_1)
	s_cmp_lt_u32 s6, s11
	s_cbranch_scc0 .LBB144_35
.LBB144_6:                              ; =>This Loop Header: Depth=1
                                        ;     Child Loop BB144_9 Depth 2
	v_dual_mov_b32 v11, v5 :: v_dual_mov_b32 v10, v5
	v_dual_mov_b32 v23, v5 :: v_dual_mov_b32 v22, v5
	s_wait_alu 0xfffe
	s_and_not1_b32 vcc_lo, exec_lo, s18
	s_wait_alu 0xfffe
	s_cbranch_vccnz .LBB144_15
; %bb.7:                                ;   in Loop: Header=BB144_6 Depth=1
	s_mul_u64 s[2:3], s[16:17], s[6:7]
	s_mul_u64 s[20:21], s[22:23], s[6:7]
	s_wait_alu 0xfffe
	s_lshl_b64 s[2:3], s[2:3], 2
	v_dual_mov_b32 v22, 0 :: v_dual_mov_b32 v23, 0
	s_wait_alu 0xfffe
	v_add_co_u32 v24, vcc_lo, v18, s2
	s_wait_alu 0xfffd
	v_add_co_ci_u32_e64 v25, null, s3, v19, vcc_lo
	s_lshl_b64 s[2:3], s[20:21], 2
	v_dual_mov_b32 v10, 0 :: v_dual_mov_b32 v11, 0
	s_wait_alu 0xfffe
	v_add_co_u32 v26, vcc_lo, v20, s2
	s_wait_alu 0xfffd
	v_add_co_ci_u32_e64 v27, null, s3, v21, vcc_lo
	s_mov_b64 s[2:3], 0
	s_branch .LBB144_9
.LBB144_8:                              ;   in Loop: Header=BB144_9 Depth=2
	s_wait_alu 0xfffe
	s_or_b32 exec_lo, exec_lo, s20
	s_wait_loadcnt 0x0
	ds_store_b32 v17, v29
	s_wait_dscnt 0x0
	s_barrier_signal -1
	s_barrier_wait -1
	global_inv scope:SCOPE_SE
	ds_load_b128 v[28:31], v14
	ds_load_2addr_b32 v[44:45], v13 offset1:16
	ds_load_b128 v[32:35], v14 offset:512
	ds_load_2addr_b32 v[46:47], v13 offset0:32 offset1:48
	ds_load_2addr_b32 v[48:49], v13 offset0:64 offset1:80
	;; [unrolled: 1-line block ×3, first 2 shown]
	ds_load_b128 v[36:39], v14 offset:16
	ds_load_2addr_b32 v[52:53], v13 offset0:128 offset1:144
	ds_load_b128 v[40:43], v14 offset:528
	ds_load_2addr_b32 v[54:55], v13 offset0:160 offset1:176
	s_add_nc_u64 s[2:3], s[2:3], 8
	s_wait_alu 0xfffe
	v_cmp_gt_i64_e64 s20, s[8:9], s[2:3]
	s_and_b32 vcc_lo, exec_lo, s20
	s_wait_dscnt 0x8
	v_fmac_f32_e32 v10, v45, v28
	v_fmac_f32_e32 v11, v44, v28
	s_wait_dscnt 0x7
	v_fmac_f32_e32 v22, v45, v32
	v_fmac_f32_e32 v23, v44, v32
	ds_load_2addr_b32 v[44:45], v13 offset0:192 offset1:208
	s_wait_dscnt 0x7
	v_fmac_f32_e32 v10, v47, v29
	v_fmac_f32_e32 v11, v46, v29
	;; [unrolled: 1-line block ×4, first 2 shown]
	ds_load_2addr_b32 v[28:29], v13 offset0:224 offset1:240
	s_wait_dscnt 0x7
	v_fmac_f32_e32 v10, v49, v30
	v_fmac_f32_e32 v11, v48, v30
	;; [unrolled: 1-line block ×4, first 2 shown]
	s_wait_loadcnt_dscnt 0x0
	v_fmac_f32_e32 v10, v51, v31
	v_fmac_f32_e32 v11, v50, v31
	;; [unrolled: 1-line block ×4, first 2 shown]
	s_barrier_signal -1
	v_fmac_f32_e32 v10, v53, v36
	v_fmac_f32_e32 v11, v52, v36
	;; [unrolled: 1-line block ×4, first 2 shown]
	s_barrier_wait -1
	v_fmac_f32_e32 v10, v55, v37
	v_fmac_f32_e32 v11, v54, v37
	;; [unrolled: 1-line block ×4, first 2 shown]
	global_inv scope:SCOPE_SE
	v_fmac_f32_e32 v10, v45, v38
	v_fmac_f32_e32 v11, v44, v38
	;; [unrolled: 1-line block ×3, first 2 shown]
	s_delay_alu instid0(VALU_DEP_3) | instskip(NEXT) | instid1(VALU_DEP_3)
	v_dual_fmac_f32 v23, v44, v42 :: v_dual_fmac_f32 v10, v29, v39
	v_fmac_f32_e32 v11, v28, v39
	s_delay_alu instid0(VALU_DEP_3) | instskip(NEXT) | instid1(VALU_DEP_3)
	v_fmac_f32_e32 v22, v29, v43
	v_fmac_f32_e32 v23, v28, v43
	s_wait_alu 0xfffe
	s_cbranch_vccz .LBB144_15
.LBB144_9:                              ;   Parent Loop BB144_6 Depth=1
                                        ; =>  This Inner Loop Header: Depth=2
	v_mov_b32_e32 v28, 0
	s_and_saveexec_b32 s20, s0
	s_cbranch_execz .LBB144_13
; %bb.10:                               ;   in Loop: Header=BB144_9 Depth=2
	s_wait_alu 0xfffe
	v_add_nc_u32_e32 v4, s2, v15
	v_mov_b32_e32 v28, 0
	s_mov_b32 s21, exec_lo
	s_delay_alu instid0(VALU_DEP_2)
	v_cmpx_gt_u64_e64 s[8:9], v[4:5]
	s_cbranch_execz .LBB144_12
; %bb.11:                               ;   in Loop: Header=BB144_9 Depth=2
	v_mad_co_u64_u32 v[28:29], null, s14, v4, 0
	s_delay_alu instid0(VALU_DEP_1) | instskip(NEXT) | instid1(VALU_DEP_1)
	v_mad_co_u64_u32 v[29:30], null, s15, v4, v[29:30]
	v_lshlrev_b64_e32 v[28:29], 2, v[28:29]
	s_delay_alu instid0(VALU_DEP_1) | instskip(SKIP_1) | instid1(VALU_DEP_2)
	v_add_co_u32 v28, vcc_lo, v24, v28
	s_wait_alu 0xfffd
	v_add_co_ci_u32_e64 v29, null, v25, v29, vcc_lo
	global_load_b32 v28, v[28:29], off
.LBB144_12:                             ;   in Loop: Header=BB144_9 Depth=2
	s_wait_alu 0xfffe
	s_or_b32 exec_lo, exec_lo, s21
.LBB144_13:                             ;   in Loop: Header=BB144_9 Depth=2
	s_wait_alu 0xfffe
	s_or_b32 exec_lo, exec_lo, s20
	v_dual_mov_b32 v29, 0 :: v_dual_add_nc_u32 v4, s2, v12
	s_wait_loadcnt 0x0
	ds_store_b32 v16, v28
	v_cmp_gt_u64_e32 vcc_lo, s[8:9], v[4:5]
	s_and_b32 s21, vcc_lo, s1
	s_wait_alu 0xfffe
	s_and_saveexec_b32 s20, s21
	s_cbranch_execz .LBB144_8
; %bb.14:                               ;   in Loop: Header=BB144_9 Depth=2
	v_lshlrev_b64_e32 v[28:29], 2, v[4:5]
	s_delay_alu instid0(VALU_DEP_1) | instskip(SKIP_1) | instid1(VALU_DEP_2)
	v_add_co_u32 v28, vcc_lo, v26, v28
	s_wait_alu 0xfffd
	v_add_co_ci_u32_e64 v29, null, v27, v29, vcc_lo
	global_load_b32 v29, v[28:29], off
	s_branch .LBB144_8
.LBB144_15:                             ;   in Loop: Header=BB144_6 Depth=1
	s_mul_u64 s[2:3], s[30:31], s[6:7]
	s_wait_alu 0xfffe
	s_lshl_b64 s[2:3], s[2:3], 2
	s_wait_alu 0xfffe
	s_add_nc_u64 s[2:3], s[26:27], s[2:3]
	s_wait_alu 0xfffe
	v_add_co_u32 v4, vcc_lo, s2, v6
	s_wait_alu 0xfffd
	v_add_co_ci_u32_e64 v24, null, s3, v7, vcc_lo
	s_and_saveexec_b32 s20, s13
	s_cbranch_execz .LBB144_19
; %bb.16:                               ;   in Loop: Header=BB144_6 Depth=1
	v_mul_f32_e32 v11, s10, v11
	s_and_b32 vcc_lo, exec_lo, s12
	s_wait_alu 0xfffe
	s_cbranch_vccz .LBB144_30
; %bb.17:                               ;   in Loop: Header=BB144_6 Depth=1
	v_lshlrev_b64_e32 v[25:26], 2, v[0:1]
	s_delay_alu instid0(VALU_DEP_1) | instskip(SKIP_1) | instid1(VALU_DEP_2)
	v_add_co_u32 v25, vcc_lo, v4, v25
	s_wait_alu 0xfffd
	v_add_co_ci_u32_e64 v26, null, v24, v26, vcc_lo
	global_load_b32 v27, v[25:26], off
	s_wait_loadcnt 0x0
	v_fma_f32 v27, s24, v27, v11
	global_store_b32 v[25:26], v27, off
	s_cbranch_execnz .LBB144_19
.LBB144_18:                             ;   in Loop: Header=BB144_6 Depth=1
	v_lshlrev_b64_e32 v[25:26], 2, v[0:1]
	s_delay_alu instid0(VALU_DEP_1) | instskip(SKIP_1) | instid1(VALU_DEP_2)
	v_add_co_u32 v25, vcc_lo, v4, v25
	s_wait_alu 0xfffd
	v_add_co_ci_u32_e64 v26, null, v24, v26, vcc_lo
	global_store_b32 v[25:26], v11, off
.LBB144_19:                             ;   in Loop: Header=BB144_6 Depth=1
	s_wait_alu 0xfffe
	s_or_b32 exec_lo, exec_lo, s20
	s_and_saveexec_b32 s20, s19
	s_cbranch_execz .LBB144_23
; %bb.20:                               ;   in Loop: Header=BB144_6 Depth=1
	v_mul_f32_e32 v10, s10, v10
	s_and_not1_b32 vcc_lo, exec_lo, s12
	s_wait_alu 0xfffe
	s_cbranch_vccnz .LBB144_31
; %bb.21:                               ;   in Loop: Header=BB144_6 Depth=1
	v_lshlrev_b64_e32 v[25:26], 2, v[2:3]
	s_delay_alu instid0(VALU_DEP_1) | instskip(SKIP_1) | instid1(VALU_DEP_2)
	v_add_co_u32 v25, vcc_lo, v4, v25
	s_wait_alu 0xfffd
	v_add_co_ci_u32_e64 v26, null, v24, v26, vcc_lo
	global_load_b32 v11, v[25:26], off
	s_wait_loadcnt 0x0
	v_fma_f32 v11, s24, v11, v10
	global_store_b32 v[25:26], v11, off
	s_cbranch_execnz .LBB144_23
.LBB144_22:                             ;   in Loop: Header=BB144_6 Depth=1
	v_lshlrev_b64_e32 v[25:26], 2, v[2:3]
	s_delay_alu instid0(VALU_DEP_1) | instskip(SKIP_1) | instid1(VALU_DEP_2)
	v_add_co_u32 v25, vcc_lo, v4, v25
	s_wait_alu 0xfffd
	v_add_co_ci_u32_e64 v26, null, v24, v26, vcc_lo
	global_store_b32 v[25:26], v10, off
.LBB144_23:                             ;   in Loop: Header=BB144_6 Depth=1
	s_wait_alu 0xfffe
	s_or_b32 exec_lo, exec_lo, s20
	v_add_co_u32 v4, vcc_lo, s2, v8
	s_wait_alu 0xfffd
	v_add_co_ci_u32_e64 v24, null, s3, v9, vcc_lo
	s_and_saveexec_b32 s2, s4
	s_cbranch_execz .LBB144_27
; %bb.24:                               ;   in Loop: Header=BB144_6 Depth=1
	v_lshlrev_b64_e32 v[10:11], 2, v[0:1]
	v_mul_f32_e32 v23, s10, v23
	s_and_not1_b32 vcc_lo, exec_lo, s12
	s_wait_alu 0xfffe
	s_cbranch_vccnz .LBB144_32
; %bb.25:                               ;   in Loop: Header=BB144_6 Depth=1
	s_delay_alu instid0(VALU_DEP_2)
	v_add_co_u32 v25, vcc_lo, v4, v10
	s_wait_alu 0xfffd
	v_add_co_ci_u32_e64 v26, null, v24, v11, vcc_lo
	global_load_b32 v27, v[25:26], off
	s_wait_loadcnt 0x0
	v_fma_f32 v27, s24, v27, v23
	global_store_b32 v[25:26], v27, off
	s_cbranch_execnz .LBB144_27
.LBB144_26:                             ;   in Loop: Header=BB144_6 Depth=1
	v_add_co_u32 v10, vcc_lo, v4, v10
	s_wait_alu 0xfffd
	v_add_co_ci_u32_e64 v11, null, v24, v11, vcc_lo
	global_store_b32 v[10:11], v23, off
.LBB144_27:                             ;   in Loop: Header=BB144_6 Depth=1
	s_wait_alu 0xfffe
	s_or_b32 exec_lo, exec_lo, s2
	s_and_saveexec_b32 s2, s5
	s_cbranch_execz .LBB144_5
; %bb.28:                               ;   in Loop: Header=BB144_6 Depth=1
	v_lshlrev_b64_e32 v[10:11], 2, v[2:3]
	v_mul_f32_e32 v22, s10, v22
	s_and_not1_b32 vcc_lo, exec_lo, s12
	s_wait_alu 0xfffe
	s_cbranch_vccnz .LBB144_33
; %bb.29:                               ;   in Loop: Header=BB144_6 Depth=1
	s_delay_alu instid0(VALU_DEP_2)
	v_add_co_u32 v25, vcc_lo, v4, v10
	s_wait_alu 0xfffd
	v_add_co_ci_u32_e64 v26, null, v24, v11, vcc_lo
	global_load_b32 v23, v[25:26], off
	s_wait_loadcnt 0x0
	v_fma_f32 v23, s24, v23, v22
	global_store_b32 v[25:26], v23, off
	s_cbranch_execnz .LBB144_5
	s_branch .LBB144_34
.LBB144_30:                             ;   in Loop: Header=BB144_6 Depth=1
	s_branch .LBB144_18
.LBB144_31:                             ;   in Loop: Header=BB144_6 Depth=1
	s_branch .LBB144_22
.LBB144_32:                             ;   in Loop: Header=BB144_6 Depth=1
	s_branch .LBB144_26
.LBB144_33:                             ;   in Loop: Header=BB144_6 Depth=1
.LBB144_34:                             ;   in Loop: Header=BB144_6 Depth=1
	s_delay_alu instid0(VALU_DEP_2)
	v_add_co_u32 v10, vcc_lo, v4, v10
	s_wait_alu 0xfffd
	v_add_co_ci_u32_e64 v11, null, v24, v11, vcc_lo
	global_store_b32 v[10:11], v22, off
	s_branch .LBB144_5
.LBB144_35:
	s_endpgm
	.section	.rodata,"a",@progbits
	.p2align	6, 0x0
	.amdhsa_kernel _ZL29rocblas_internal_gemmt_kernelIlLi16ELi32ELi8ELc78ELc78ELc85ELb0ELb0EfPKfS1_PfEviT_T9_T10_S3_lS5_S3_lS4_T11_S3_li
		.amdhsa_group_segment_fixed_size 2048
		.amdhsa_private_segment_fixed_size 0
		.amdhsa_kernarg_size 108
		.amdhsa_user_sgpr_count 2
		.amdhsa_user_sgpr_dispatch_ptr 0
		.amdhsa_user_sgpr_queue_ptr 0
		.amdhsa_user_sgpr_kernarg_segment_ptr 1
		.amdhsa_user_sgpr_dispatch_id 0
		.amdhsa_user_sgpr_private_segment_size 0
		.amdhsa_wavefront_size32 1
		.amdhsa_uses_dynamic_stack 0
		.amdhsa_enable_private_segment 0
		.amdhsa_system_sgpr_workgroup_id_x 1
		.amdhsa_system_sgpr_workgroup_id_y 1
		.amdhsa_system_sgpr_workgroup_id_z 1
		.amdhsa_system_sgpr_workgroup_info 0
		.amdhsa_system_vgpr_workitem_id 1
		.amdhsa_next_free_vgpr 56
		.amdhsa_next_free_sgpr 32
		.amdhsa_reserve_vcc 1
		.amdhsa_float_round_mode_32 0
		.amdhsa_float_round_mode_16_64 0
		.amdhsa_float_denorm_mode_32 3
		.amdhsa_float_denorm_mode_16_64 3
		.amdhsa_fp16_overflow 0
		.amdhsa_workgroup_processor_mode 1
		.amdhsa_memory_ordered 1
		.amdhsa_forward_progress 1
		.amdhsa_inst_pref_size 15
		.amdhsa_round_robin_scheduling 0
		.amdhsa_exception_fp_ieee_invalid_op 0
		.amdhsa_exception_fp_denorm_src 0
		.amdhsa_exception_fp_ieee_div_zero 0
		.amdhsa_exception_fp_ieee_overflow 0
		.amdhsa_exception_fp_ieee_underflow 0
		.amdhsa_exception_fp_ieee_inexact 0
		.amdhsa_exception_int_div_zero 0
	.end_amdhsa_kernel
	.section	.text._ZL29rocblas_internal_gemmt_kernelIlLi16ELi32ELi8ELc78ELc78ELc85ELb0ELb0EfPKfS1_PfEviT_T9_T10_S3_lS5_S3_lS4_T11_S3_li,"axG",@progbits,_ZL29rocblas_internal_gemmt_kernelIlLi16ELi32ELi8ELc78ELc78ELc85ELb0ELb0EfPKfS1_PfEviT_T9_T10_S3_lS5_S3_lS4_T11_S3_li,comdat
.Lfunc_end144:
	.size	_ZL29rocblas_internal_gemmt_kernelIlLi16ELi32ELi8ELc78ELc78ELc85ELb0ELb0EfPKfS1_PfEviT_T9_T10_S3_lS5_S3_lS4_T11_S3_li, .Lfunc_end144-_ZL29rocblas_internal_gemmt_kernelIlLi16ELi32ELi8ELc78ELc78ELc85ELb0ELb0EfPKfS1_PfEviT_T9_T10_S3_lS5_S3_lS4_T11_S3_li
                                        ; -- End function
	.set _ZL29rocblas_internal_gemmt_kernelIlLi16ELi32ELi8ELc78ELc78ELc85ELb0ELb0EfPKfS1_PfEviT_T9_T10_S3_lS5_S3_lS4_T11_S3_li.num_vgpr, 56
	.set _ZL29rocblas_internal_gemmt_kernelIlLi16ELi32ELi8ELc78ELc78ELc85ELb0ELb0EfPKfS1_PfEviT_T9_T10_S3_lS5_S3_lS4_T11_S3_li.num_agpr, 0
	.set _ZL29rocblas_internal_gemmt_kernelIlLi16ELi32ELi8ELc78ELc78ELc85ELb0ELb0EfPKfS1_PfEviT_T9_T10_S3_lS5_S3_lS4_T11_S3_li.numbered_sgpr, 32
	.set _ZL29rocblas_internal_gemmt_kernelIlLi16ELi32ELi8ELc78ELc78ELc85ELb0ELb0EfPKfS1_PfEviT_T9_T10_S3_lS5_S3_lS4_T11_S3_li.num_named_barrier, 0
	.set _ZL29rocblas_internal_gemmt_kernelIlLi16ELi32ELi8ELc78ELc78ELc85ELb0ELb0EfPKfS1_PfEviT_T9_T10_S3_lS5_S3_lS4_T11_S3_li.private_seg_size, 0
	.set _ZL29rocblas_internal_gemmt_kernelIlLi16ELi32ELi8ELc78ELc78ELc85ELb0ELb0EfPKfS1_PfEviT_T9_T10_S3_lS5_S3_lS4_T11_S3_li.uses_vcc, 1
	.set _ZL29rocblas_internal_gemmt_kernelIlLi16ELi32ELi8ELc78ELc78ELc85ELb0ELb0EfPKfS1_PfEviT_T9_T10_S3_lS5_S3_lS4_T11_S3_li.uses_flat_scratch, 0
	.set _ZL29rocblas_internal_gemmt_kernelIlLi16ELi32ELi8ELc78ELc78ELc85ELb0ELb0EfPKfS1_PfEviT_T9_T10_S3_lS5_S3_lS4_T11_S3_li.has_dyn_sized_stack, 0
	.set _ZL29rocblas_internal_gemmt_kernelIlLi16ELi32ELi8ELc78ELc78ELc85ELb0ELb0EfPKfS1_PfEviT_T9_T10_S3_lS5_S3_lS4_T11_S3_li.has_recursion, 0
	.set _ZL29rocblas_internal_gemmt_kernelIlLi16ELi32ELi8ELc78ELc78ELc85ELb0ELb0EfPKfS1_PfEviT_T9_T10_S3_lS5_S3_lS4_T11_S3_li.has_indirect_call, 0
	.section	.AMDGPU.csdata,"",@progbits
; Kernel info:
; codeLenInByte = 1860
; TotalNumSgprs: 34
; NumVgprs: 56
; ScratchSize: 0
; MemoryBound: 0
; FloatMode: 240
; IeeeMode: 1
; LDSByteSize: 2048 bytes/workgroup (compile time only)
; SGPRBlocks: 0
; VGPRBlocks: 6
; NumSGPRsForWavesPerEU: 34
; NumVGPRsForWavesPerEU: 56
; Occupancy: 16
; WaveLimiterHint : 0
; COMPUTE_PGM_RSRC2:SCRATCH_EN: 0
; COMPUTE_PGM_RSRC2:USER_SGPR: 2
; COMPUTE_PGM_RSRC2:TRAP_HANDLER: 0
; COMPUTE_PGM_RSRC2:TGID_X_EN: 1
; COMPUTE_PGM_RSRC2:TGID_Y_EN: 1
; COMPUTE_PGM_RSRC2:TGID_Z_EN: 1
; COMPUTE_PGM_RSRC2:TIDIG_COMP_CNT: 1
	.section	.text._ZL29rocblas_internal_gemmt_kernelIlLi16ELi32ELi8ELc78ELc84ELc85ELb0ELb0EfPKfS1_PfEviT_T9_T10_S3_lS5_S3_lS4_T11_S3_li,"axG",@progbits,_ZL29rocblas_internal_gemmt_kernelIlLi16ELi32ELi8ELc78ELc84ELc85ELb0ELb0EfPKfS1_PfEviT_T9_T10_S3_lS5_S3_lS4_T11_S3_li,comdat
	.globl	_ZL29rocblas_internal_gemmt_kernelIlLi16ELi32ELi8ELc78ELc84ELc85ELb0ELb0EfPKfS1_PfEviT_T9_T10_S3_lS5_S3_lS4_T11_S3_li ; -- Begin function _ZL29rocblas_internal_gemmt_kernelIlLi16ELi32ELi8ELc78ELc84ELc85ELb0ELb0EfPKfS1_PfEviT_T9_T10_S3_lS5_S3_lS4_T11_S3_li
	.p2align	8
	.type	_ZL29rocblas_internal_gemmt_kernelIlLi16ELi32ELi8ELc78ELc84ELc85ELb0ELb0EfPKfS1_PfEviT_T9_T10_S3_lS5_S3_lS4_T11_S3_li,@function
_ZL29rocblas_internal_gemmt_kernelIlLi16ELi32ELi8ELc78ELc84ELc85ELb0ELb0EfPKfS1_PfEviT_T9_T10_S3_lS5_S3_lS4_T11_S3_li: ; @_ZL29rocblas_internal_gemmt_kernelIlLi16ELi32ELi8ELc78ELc84ELc85ELb0ELb0EfPKfS1_PfEviT_T9_T10_S3_lS5_S3_lS4_T11_S3_li
; %bb.0:
	s_clause 0x1
	s_load_b256 s[24:31], s[0:1], 0x48
	s_load_b512 s[8:23], s[0:1], 0x8
	s_wait_kmcnt 0x0
	s_load_b32 s24, s[24:25], 0x0
	s_load_b32 s10, s[10:11], 0x0
	s_wait_kmcnt 0x0
	s_cmp_neq_f32 s24, 1.0
	s_cselect_b32 s2, -1, 0
	s_delay_alu instid0(SALU_CYCLE_1)
	s_and_b32 vcc_lo, exec_lo, s2
	s_cbranch_vccnz .LBB145_2
; %bb.1:
	s_cmp_lg_u64 s[8:9], 0
	s_cselect_b32 s2, -1, 0
	s_cmp_neq_f32 s10, 0
	s_cselect_b32 s3, -1, 0
	s_delay_alu instid0(SALU_CYCLE_1)
	s_and_b32 s2, s2, s3
.LBB145_2:
	s_delay_alu instid0(SALU_CYCLE_1)
	s_and_not1_b32 vcc_lo, exec_lo, s2
	s_cbranch_vccnz .LBB145_35
; %bb.3:
	s_load_b32 s11, s[0:1], 0x68
	s_lshr_b32 s6, ttmp7, 16
	s_wait_kmcnt 0x0
	s_cmp_ge_u32 s6, s11
	s_cbranch_scc1 .LBB145_35
; %bb.4:
	v_and_b32_e32 v2, 0x3ff, v0
	v_bfe_u32 v3, v0, 10, 10
	s_load_b32 s3, s[0:1], 0x0
	s_lshl_b32 s2, ttmp9, 5
	v_and_b32_e32 v12, 7, v0
	s_lshl_b32 s0, ttmp7, 5
	v_lshl_add_u32 v1, v3, 4, v2
	s_and_b32 s0, s0, 0x1fffe0
	v_lshl_add_u32 v21, v3, 5, 0x400
	v_lshlrev_b32_e32 v5, 2, v12
	v_add_nc_u32_e32 v11, s0, v3
	v_and_b32_e32 v4, 31, v1
	v_lshrrev_b32_e32 v6, 3, v1
	v_lshrrev_b32_e32 v13, 5, v1
	s_cmp_neq_f32 s10, 0
	v_add_nc_u32_e32 v22, 16, v11
	v_or_b32_e32 v0, s2, v4
	v_lshlrev_b32_e32 v4, 2, v4
	v_add_nc_u32_e32 v7, s0, v6
	v_lshl_or_b32 v5, v6, 5, v5
	v_mad_co_u64_u32 v[8:9], null, s28, v22, 0
	v_ashrrev_i32_e32 v1, 31, v0
	s_wait_kmcnt 0x0
	v_cmp_gt_i32_e64 s0, s3, v0
	v_lshl_or_b32 v14, v13, 7, v4
	v_cmp_gt_i32_e64 s1, s3, v7
	v_lshlrev_b32_e32 v4, 2, v7
	v_lshlrev_b64_e32 v[0:1], 2, v[0:1]
	v_mad_co_u64_u32 v[6:7], null, s28, v11, 0
	s_cselect_b32 s33, -1, 0
	v_add_co_u32 v18, s4, s18, v4
	v_add_co_u32 v16, vcc_lo, s12, v0
	s_delay_alu instid0(VALU_DEP_1)
	v_add_co_ci_u32_e64 v17, null, s13, v1, vcc_lo
	v_dual_mov_b32 v1, 0 :: v_dual_mov_b32 v0, v7
	v_lshlrev_b32_e32 v20, 2, v2
	v_add_nc_u32_e32 v2, s2, v2
	s_cmp_neq_f32 s24, 0
	v_cmp_gt_i64_e64 s25, s[8:9], 0
	v_mad_co_u64_u32 v[3:4], null, s29, v11, v[0:1]
	v_mov_b32_e32 v0, v9
	v_cmp_gt_i32_e32 vcc_lo, s3, v11
	v_cmp_le_i32_e64 s2, v2, v11
	v_add_nc_u32_e32 v4, 16, v2
	v_add_co_ci_u32_e64 v19, null, s19, 0, s4
	v_mad_co_u64_u32 v[9:10], null, s29, v22, v[0:1]
	v_mov_b32_e32 v7, v3
	s_cselect_b32 s12, -1, 0
	s_and_b32 s13, vcc_lo, s2
	v_cmp_le_i32_e64 s2, v4, v11
	v_cmp_gt_i32_e64 s3, s3, v22
	v_cmp_le_i32_e64 s4, v2, v22
	v_cmp_le_i32_e64 s5, v4, v22
	v_lshlrev_b64_e32 v[6:7], 2, v[6:7]
	v_lshlrev_b64_e32 v[8:9], 2, v[8:9]
	v_add_nc_u32_e32 v15, 0x400, v5
	v_ashrrev_i32_e32 v3, 31, v2
	v_ashrrev_i32_e32 v5, 31, v4
	s_mov_b32 s7, 0
	s_and_b32 s18, s33, s25
	s_and_b32 s19, vcc_lo, s2
	s_and_b32 s4, s3, s4
	s_and_b32 s5, s3, s5
	s_branch .LBB145_6
.LBB145_5:                              ;   in Loop: Header=BB145_6 Depth=1
	s_wait_alu 0xfffe
	s_or_b32 exec_lo, exec_lo, s2
	s_add_co_i32 s6, s6, 0x10000
	s_delay_alu instid0(SALU_CYCLE_1)
	s_cmp_lt_u32 s6, s11
	s_cbranch_scc0 .LBB145_35
.LBB145_6:                              ; =>This Loop Header: Depth=1
                                        ;     Child Loop BB145_9 Depth 2
	v_dual_mov_b32 v11, v1 :: v_dual_mov_b32 v10, v1
	v_dual_mov_b32 v23, v1 :: v_dual_mov_b32 v22, v1
	s_wait_alu 0xfffe
	s_and_not1_b32 vcc_lo, exec_lo, s18
	s_wait_alu 0xfffe
	s_cbranch_vccnz .LBB145_15
; %bb.7:                                ;   in Loop: Header=BB145_6 Depth=1
	s_mul_u64 s[2:3], s[16:17], s[6:7]
	s_mul_u64 s[28:29], s[22:23], s[6:7]
	s_wait_alu 0xfffe
	s_lshl_b64 s[2:3], s[2:3], 2
	v_dual_mov_b32 v22, 0 :: v_dual_mov_b32 v23, 0
	s_wait_alu 0xfffe
	v_add_co_u32 v24, vcc_lo, v16, s2
	s_wait_alu 0xfffd
	v_add_co_ci_u32_e64 v25, null, s3, v17, vcc_lo
	s_lshl_b64 s[2:3], s[28:29], 2
	v_dual_mov_b32 v10, 0 :: v_dual_mov_b32 v11, 0
	s_wait_alu 0xfffe
	v_add_co_u32 v26, vcc_lo, v18, s2
	s_wait_alu 0xfffd
	v_add_co_ci_u32_e64 v27, null, s3, v19, vcc_lo
	s_mov_b64 s[2:3], 0
	s_branch .LBB145_9
.LBB145_8:                              ;   in Loop: Header=BB145_9 Depth=2
	s_wait_alu 0xfffe
	s_or_b32 exec_lo, exec_lo, s25
	s_wait_loadcnt 0x0
	ds_store_b32 v15, v29
	s_wait_dscnt 0x0
	s_barrier_signal -1
	s_barrier_wait -1
	global_inv scope:SCOPE_SE
	ds_load_b128 v[28:31], v21
	ds_load_2addr_b32 v[44:45], v20 offset1:16
	ds_load_b128 v[32:35], v21 offset:512
	ds_load_2addr_b32 v[46:47], v20 offset0:32 offset1:48
	ds_load_2addr_b32 v[48:49], v20 offset0:64 offset1:80
	;; [unrolled: 1-line block ×3, first 2 shown]
	ds_load_b128 v[36:39], v21 offset:16
	ds_load_2addr_b32 v[52:53], v20 offset0:128 offset1:144
	ds_load_b128 v[40:43], v21 offset:528
	ds_load_2addr_b32 v[54:55], v20 offset0:160 offset1:176
	s_add_nc_u64 s[2:3], s[2:3], 8
	s_wait_alu 0xfffe
	v_cmp_gt_i64_e64 s25, s[8:9], s[2:3]
	s_and_b32 vcc_lo, exec_lo, s25
	s_wait_dscnt 0x8
	v_fmac_f32_e32 v10, v45, v28
	v_fmac_f32_e32 v11, v44, v28
	s_wait_dscnt 0x7
	v_fmac_f32_e32 v22, v45, v32
	v_fmac_f32_e32 v23, v44, v32
	ds_load_2addr_b32 v[44:45], v20 offset0:192 offset1:208
	s_wait_dscnt 0x7
	v_fmac_f32_e32 v10, v47, v29
	v_fmac_f32_e32 v11, v46, v29
	;; [unrolled: 1-line block ×4, first 2 shown]
	ds_load_2addr_b32 v[28:29], v20 offset0:224 offset1:240
	s_wait_dscnt 0x7
	v_fmac_f32_e32 v10, v49, v30
	v_fmac_f32_e32 v11, v48, v30
	;; [unrolled: 1-line block ×4, first 2 shown]
	s_wait_loadcnt_dscnt 0x0
	v_fmac_f32_e32 v10, v51, v31
	v_fmac_f32_e32 v11, v50, v31
	;; [unrolled: 1-line block ×4, first 2 shown]
	s_barrier_signal -1
	v_fmac_f32_e32 v10, v53, v36
	v_fmac_f32_e32 v11, v52, v36
	;; [unrolled: 1-line block ×4, first 2 shown]
	s_barrier_wait -1
	v_fmac_f32_e32 v10, v55, v37
	v_fmac_f32_e32 v11, v54, v37
	;; [unrolled: 1-line block ×4, first 2 shown]
	global_inv scope:SCOPE_SE
	v_fmac_f32_e32 v10, v45, v38
	v_fmac_f32_e32 v11, v44, v38
	;; [unrolled: 1-line block ×3, first 2 shown]
	s_delay_alu instid0(VALU_DEP_3) | instskip(NEXT) | instid1(VALU_DEP_3)
	v_dual_fmac_f32 v23, v44, v42 :: v_dual_fmac_f32 v10, v29, v39
	v_fmac_f32_e32 v11, v28, v39
	s_delay_alu instid0(VALU_DEP_3) | instskip(NEXT) | instid1(VALU_DEP_3)
	v_fmac_f32_e32 v22, v29, v43
	v_fmac_f32_e32 v23, v28, v43
	s_wait_alu 0xfffe
	s_cbranch_vccz .LBB145_15
.LBB145_9:                              ;   Parent Loop BB145_6 Depth=1
                                        ; =>  This Inner Loop Header: Depth=2
	v_mov_b32_e32 v28, 0
	s_and_saveexec_b32 s25, s0
	s_cbranch_execz .LBB145_13
; %bb.10:                               ;   in Loop: Header=BB145_9 Depth=2
	s_wait_alu 0xfffe
	v_add_nc_u32_e32 v0, s2, v13
	v_mov_b32_e32 v28, 0
	s_mov_b32 s28, exec_lo
	s_delay_alu instid0(VALU_DEP_2)
	v_cmpx_gt_u64_e64 s[8:9], v[0:1]
	s_cbranch_execz .LBB145_12
; %bb.11:                               ;   in Loop: Header=BB145_9 Depth=2
	v_mad_co_u64_u32 v[28:29], null, s14, v0, 0
	s_delay_alu instid0(VALU_DEP_1) | instskip(NEXT) | instid1(VALU_DEP_1)
	v_mad_co_u64_u32 v[29:30], null, s15, v0, v[29:30]
	v_lshlrev_b64_e32 v[28:29], 2, v[28:29]
	s_delay_alu instid0(VALU_DEP_1) | instskip(SKIP_1) | instid1(VALU_DEP_2)
	v_add_co_u32 v28, vcc_lo, v24, v28
	s_wait_alu 0xfffd
	v_add_co_ci_u32_e64 v29, null, v25, v29, vcc_lo
	global_load_b32 v28, v[28:29], off
.LBB145_12:                             ;   in Loop: Header=BB145_9 Depth=2
	s_wait_alu 0xfffe
	s_or_b32 exec_lo, exec_lo, s28
.LBB145_13:                             ;   in Loop: Header=BB145_9 Depth=2
	s_wait_alu 0xfffe
	s_or_b32 exec_lo, exec_lo, s25
	v_dual_mov_b32 v29, 0 :: v_dual_add_nc_u32 v0, s2, v12
	s_wait_loadcnt 0x0
	ds_store_b32 v14, v28
	v_cmp_gt_u64_e32 vcc_lo, s[8:9], v[0:1]
	s_and_b32 s28, vcc_lo, s1
	s_wait_alu 0xfffe
	s_and_saveexec_b32 s25, s28
	s_cbranch_execz .LBB145_8
; %bb.14:                               ;   in Loop: Header=BB145_9 Depth=2
	v_mad_co_u64_u32 v[28:29], null, s20, v0, 0
	s_delay_alu instid0(VALU_DEP_1) | instskip(NEXT) | instid1(VALU_DEP_1)
	v_mad_co_u64_u32 v[29:30], null, s21, v0, v[29:30]
	v_lshlrev_b64_e32 v[28:29], 2, v[28:29]
	s_delay_alu instid0(VALU_DEP_1) | instskip(SKIP_1) | instid1(VALU_DEP_2)
	v_add_co_u32 v28, vcc_lo, v26, v28
	s_wait_alu 0xfffd
	v_add_co_ci_u32_e64 v29, null, v27, v29, vcc_lo
	global_load_b32 v29, v[28:29], off
	s_branch .LBB145_8
.LBB145_15:                             ;   in Loop: Header=BB145_6 Depth=1
	s_mul_u64 s[2:3], s[30:31], s[6:7]
	s_wait_alu 0xfffe
	s_lshl_b64 s[2:3], s[2:3], 2
	s_wait_alu 0xfffe
	s_add_nc_u64 s[2:3], s[26:27], s[2:3]
	s_wait_alu 0xfffe
	v_add_co_u32 v0, vcc_lo, s2, v6
	s_wait_alu 0xfffd
	v_add_co_ci_u32_e64 v24, null, s3, v7, vcc_lo
	s_and_saveexec_b32 s25, s13
	s_cbranch_execz .LBB145_19
; %bb.16:                               ;   in Loop: Header=BB145_6 Depth=1
	v_mul_f32_e32 v11, s10, v11
	s_and_b32 vcc_lo, exec_lo, s12
	s_wait_alu 0xfffe
	s_cbranch_vccz .LBB145_30
; %bb.17:                               ;   in Loop: Header=BB145_6 Depth=1
	v_lshlrev_b64_e32 v[25:26], 2, v[2:3]
	s_delay_alu instid0(VALU_DEP_1) | instskip(SKIP_1) | instid1(VALU_DEP_2)
	v_add_co_u32 v25, vcc_lo, v0, v25
	s_wait_alu 0xfffd
	v_add_co_ci_u32_e64 v26, null, v24, v26, vcc_lo
	global_load_b32 v27, v[25:26], off
	s_wait_loadcnt 0x0
	v_fma_f32 v27, s24, v27, v11
	global_store_b32 v[25:26], v27, off
	s_cbranch_execnz .LBB145_19
.LBB145_18:                             ;   in Loop: Header=BB145_6 Depth=1
	v_lshlrev_b64_e32 v[25:26], 2, v[2:3]
	s_delay_alu instid0(VALU_DEP_1) | instskip(SKIP_1) | instid1(VALU_DEP_2)
	v_add_co_u32 v25, vcc_lo, v0, v25
	s_wait_alu 0xfffd
	v_add_co_ci_u32_e64 v26, null, v24, v26, vcc_lo
	global_store_b32 v[25:26], v11, off
.LBB145_19:                             ;   in Loop: Header=BB145_6 Depth=1
	s_wait_alu 0xfffe
	s_or_b32 exec_lo, exec_lo, s25
	s_and_saveexec_b32 s25, s19
	s_cbranch_execz .LBB145_23
; %bb.20:                               ;   in Loop: Header=BB145_6 Depth=1
	v_mul_f32_e32 v10, s10, v10
	s_and_not1_b32 vcc_lo, exec_lo, s12
	s_wait_alu 0xfffe
	s_cbranch_vccnz .LBB145_31
; %bb.21:                               ;   in Loop: Header=BB145_6 Depth=1
	v_lshlrev_b64_e32 v[25:26], 2, v[4:5]
	s_delay_alu instid0(VALU_DEP_1) | instskip(SKIP_1) | instid1(VALU_DEP_2)
	v_add_co_u32 v25, vcc_lo, v0, v25
	s_wait_alu 0xfffd
	v_add_co_ci_u32_e64 v26, null, v24, v26, vcc_lo
	global_load_b32 v11, v[25:26], off
	s_wait_loadcnt 0x0
	v_fma_f32 v11, s24, v11, v10
	global_store_b32 v[25:26], v11, off
	s_cbranch_execnz .LBB145_23
.LBB145_22:                             ;   in Loop: Header=BB145_6 Depth=1
	v_lshlrev_b64_e32 v[25:26], 2, v[4:5]
	s_delay_alu instid0(VALU_DEP_1) | instskip(SKIP_1) | instid1(VALU_DEP_2)
	v_add_co_u32 v25, vcc_lo, v0, v25
	s_wait_alu 0xfffd
	v_add_co_ci_u32_e64 v26, null, v24, v26, vcc_lo
	global_store_b32 v[25:26], v10, off
.LBB145_23:                             ;   in Loop: Header=BB145_6 Depth=1
	s_wait_alu 0xfffe
	s_or_b32 exec_lo, exec_lo, s25
	v_add_co_u32 v0, vcc_lo, s2, v8
	s_wait_alu 0xfffd
	v_add_co_ci_u32_e64 v24, null, s3, v9, vcc_lo
	s_and_saveexec_b32 s2, s4
	s_cbranch_execz .LBB145_27
; %bb.24:                               ;   in Loop: Header=BB145_6 Depth=1
	v_lshlrev_b64_e32 v[10:11], 2, v[2:3]
	v_mul_f32_e32 v23, s10, v23
	s_and_not1_b32 vcc_lo, exec_lo, s12
	s_wait_alu 0xfffe
	s_cbranch_vccnz .LBB145_32
; %bb.25:                               ;   in Loop: Header=BB145_6 Depth=1
	s_delay_alu instid0(VALU_DEP_2)
	v_add_co_u32 v25, vcc_lo, v0, v10
	s_wait_alu 0xfffd
	v_add_co_ci_u32_e64 v26, null, v24, v11, vcc_lo
	global_load_b32 v27, v[25:26], off
	s_wait_loadcnt 0x0
	v_fma_f32 v27, s24, v27, v23
	global_store_b32 v[25:26], v27, off
	s_cbranch_execnz .LBB145_27
.LBB145_26:                             ;   in Loop: Header=BB145_6 Depth=1
	v_add_co_u32 v10, vcc_lo, v0, v10
	s_wait_alu 0xfffd
	v_add_co_ci_u32_e64 v11, null, v24, v11, vcc_lo
	global_store_b32 v[10:11], v23, off
.LBB145_27:                             ;   in Loop: Header=BB145_6 Depth=1
	s_wait_alu 0xfffe
	s_or_b32 exec_lo, exec_lo, s2
	s_and_saveexec_b32 s2, s5
	s_cbranch_execz .LBB145_5
; %bb.28:                               ;   in Loop: Header=BB145_6 Depth=1
	v_lshlrev_b64_e32 v[10:11], 2, v[4:5]
	v_mul_f32_e32 v22, s10, v22
	s_and_not1_b32 vcc_lo, exec_lo, s12
	s_wait_alu 0xfffe
	s_cbranch_vccnz .LBB145_33
; %bb.29:                               ;   in Loop: Header=BB145_6 Depth=1
	s_delay_alu instid0(VALU_DEP_2)
	v_add_co_u32 v25, vcc_lo, v0, v10
	s_wait_alu 0xfffd
	v_add_co_ci_u32_e64 v26, null, v24, v11, vcc_lo
	global_load_b32 v23, v[25:26], off
	s_wait_loadcnt 0x0
	v_fma_f32 v23, s24, v23, v22
	global_store_b32 v[25:26], v23, off
	s_cbranch_execnz .LBB145_5
	s_branch .LBB145_34
.LBB145_30:                             ;   in Loop: Header=BB145_6 Depth=1
	s_branch .LBB145_18
.LBB145_31:                             ;   in Loop: Header=BB145_6 Depth=1
	s_branch .LBB145_22
.LBB145_32:                             ;   in Loop: Header=BB145_6 Depth=1
	s_branch .LBB145_26
.LBB145_33:                             ;   in Loop: Header=BB145_6 Depth=1
.LBB145_34:                             ;   in Loop: Header=BB145_6 Depth=1
	s_delay_alu instid0(VALU_DEP_2)
	v_add_co_u32 v10, vcc_lo, v0, v10
	s_wait_alu 0xfffd
	v_add_co_ci_u32_e64 v11, null, v24, v11, vcc_lo
	global_store_b32 v[10:11], v22, off
	s_branch .LBB145_5
.LBB145_35:
	s_endpgm
	.section	.rodata,"a",@progbits
	.p2align	6, 0x0
	.amdhsa_kernel _ZL29rocblas_internal_gemmt_kernelIlLi16ELi32ELi8ELc78ELc84ELc85ELb0ELb0EfPKfS1_PfEviT_T9_T10_S3_lS5_S3_lS4_T11_S3_li
		.amdhsa_group_segment_fixed_size 2048
		.amdhsa_private_segment_fixed_size 0
		.amdhsa_kernarg_size 108
		.amdhsa_user_sgpr_count 2
		.amdhsa_user_sgpr_dispatch_ptr 0
		.amdhsa_user_sgpr_queue_ptr 0
		.amdhsa_user_sgpr_kernarg_segment_ptr 1
		.amdhsa_user_sgpr_dispatch_id 0
		.amdhsa_user_sgpr_private_segment_size 0
		.amdhsa_wavefront_size32 1
		.amdhsa_uses_dynamic_stack 0
		.amdhsa_enable_private_segment 0
		.amdhsa_system_sgpr_workgroup_id_x 1
		.amdhsa_system_sgpr_workgroup_id_y 1
		.amdhsa_system_sgpr_workgroup_id_z 1
		.amdhsa_system_sgpr_workgroup_info 0
		.amdhsa_system_vgpr_workitem_id 1
		.amdhsa_next_free_vgpr 56
		.amdhsa_next_free_sgpr 34
		.amdhsa_reserve_vcc 1
		.amdhsa_float_round_mode_32 0
		.amdhsa_float_round_mode_16_64 0
		.amdhsa_float_denorm_mode_32 3
		.amdhsa_float_denorm_mode_16_64 3
		.amdhsa_fp16_overflow 0
		.amdhsa_workgroup_processor_mode 1
		.amdhsa_memory_ordered 1
		.amdhsa_forward_progress 1
		.amdhsa_inst_pref_size 15
		.amdhsa_round_robin_scheduling 0
		.amdhsa_exception_fp_ieee_invalid_op 0
		.amdhsa_exception_fp_denorm_src 0
		.amdhsa_exception_fp_ieee_div_zero 0
		.amdhsa_exception_fp_ieee_overflow 0
		.amdhsa_exception_fp_ieee_underflow 0
		.amdhsa_exception_fp_ieee_inexact 0
		.amdhsa_exception_int_div_zero 0
	.end_amdhsa_kernel
	.section	.text._ZL29rocblas_internal_gemmt_kernelIlLi16ELi32ELi8ELc78ELc84ELc85ELb0ELb0EfPKfS1_PfEviT_T9_T10_S3_lS5_S3_lS4_T11_S3_li,"axG",@progbits,_ZL29rocblas_internal_gemmt_kernelIlLi16ELi32ELi8ELc78ELc84ELc85ELb0ELb0EfPKfS1_PfEviT_T9_T10_S3_lS5_S3_lS4_T11_S3_li,comdat
.Lfunc_end145:
	.size	_ZL29rocblas_internal_gemmt_kernelIlLi16ELi32ELi8ELc78ELc84ELc85ELb0ELb0EfPKfS1_PfEviT_T9_T10_S3_lS5_S3_lS4_T11_S3_li, .Lfunc_end145-_ZL29rocblas_internal_gemmt_kernelIlLi16ELi32ELi8ELc78ELc84ELc85ELb0ELb0EfPKfS1_PfEviT_T9_T10_S3_lS5_S3_lS4_T11_S3_li
                                        ; -- End function
	.set _ZL29rocblas_internal_gemmt_kernelIlLi16ELi32ELi8ELc78ELc84ELc85ELb0ELb0EfPKfS1_PfEviT_T9_T10_S3_lS5_S3_lS4_T11_S3_li.num_vgpr, 56
	.set _ZL29rocblas_internal_gemmt_kernelIlLi16ELi32ELi8ELc78ELc84ELc85ELb0ELb0EfPKfS1_PfEviT_T9_T10_S3_lS5_S3_lS4_T11_S3_li.num_agpr, 0
	.set _ZL29rocblas_internal_gemmt_kernelIlLi16ELi32ELi8ELc78ELc84ELc85ELb0ELb0EfPKfS1_PfEviT_T9_T10_S3_lS5_S3_lS4_T11_S3_li.numbered_sgpr, 34
	.set _ZL29rocblas_internal_gemmt_kernelIlLi16ELi32ELi8ELc78ELc84ELc85ELb0ELb0EfPKfS1_PfEviT_T9_T10_S3_lS5_S3_lS4_T11_S3_li.num_named_barrier, 0
	.set _ZL29rocblas_internal_gemmt_kernelIlLi16ELi32ELi8ELc78ELc84ELc85ELb0ELb0EfPKfS1_PfEviT_T9_T10_S3_lS5_S3_lS4_T11_S3_li.private_seg_size, 0
	.set _ZL29rocblas_internal_gemmt_kernelIlLi16ELi32ELi8ELc78ELc84ELc85ELb0ELb0EfPKfS1_PfEviT_T9_T10_S3_lS5_S3_lS4_T11_S3_li.uses_vcc, 1
	.set _ZL29rocblas_internal_gemmt_kernelIlLi16ELi32ELi8ELc78ELc84ELc85ELb0ELb0EfPKfS1_PfEviT_T9_T10_S3_lS5_S3_lS4_T11_S3_li.uses_flat_scratch, 0
	.set _ZL29rocblas_internal_gemmt_kernelIlLi16ELi32ELi8ELc78ELc84ELc85ELb0ELb0EfPKfS1_PfEviT_T9_T10_S3_lS5_S3_lS4_T11_S3_li.has_dyn_sized_stack, 0
	.set _ZL29rocblas_internal_gemmt_kernelIlLi16ELi32ELi8ELc78ELc84ELc85ELb0ELb0EfPKfS1_PfEviT_T9_T10_S3_lS5_S3_lS4_T11_S3_li.has_recursion, 0
	.set _ZL29rocblas_internal_gemmt_kernelIlLi16ELi32ELi8ELc78ELc84ELc85ELb0ELb0EfPKfS1_PfEviT_T9_T10_S3_lS5_S3_lS4_T11_S3_li.has_indirect_call, 0
	.section	.AMDGPU.csdata,"",@progbits
; Kernel info:
; codeLenInByte = 1836
; TotalNumSgprs: 36
; NumVgprs: 56
; ScratchSize: 0
; MemoryBound: 0
; FloatMode: 240
; IeeeMode: 1
; LDSByteSize: 2048 bytes/workgroup (compile time only)
; SGPRBlocks: 0
; VGPRBlocks: 6
; NumSGPRsForWavesPerEU: 36
; NumVGPRsForWavesPerEU: 56
; Occupancy: 16
; WaveLimiterHint : 0
; COMPUTE_PGM_RSRC2:SCRATCH_EN: 0
; COMPUTE_PGM_RSRC2:USER_SGPR: 2
; COMPUTE_PGM_RSRC2:TRAP_HANDLER: 0
; COMPUTE_PGM_RSRC2:TGID_X_EN: 1
; COMPUTE_PGM_RSRC2:TGID_Y_EN: 1
; COMPUTE_PGM_RSRC2:TGID_Z_EN: 1
; COMPUTE_PGM_RSRC2:TIDIG_COMP_CNT: 1
	.section	.text._ZL29rocblas_internal_gemmt_kernelIlLi16ELi32ELi8ELc78ELc67ELc85ELb0ELb0EfPKfS1_PfEviT_T9_T10_S3_lS5_S3_lS4_T11_S3_li,"axG",@progbits,_ZL29rocblas_internal_gemmt_kernelIlLi16ELi32ELi8ELc78ELc67ELc85ELb0ELb0EfPKfS1_PfEviT_T9_T10_S3_lS5_S3_lS4_T11_S3_li,comdat
	.globl	_ZL29rocblas_internal_gemmt_kernelIlLi16ELi32ELi8ELc78ELc67ELc85ELb0ELb0EfPKfS1_PfEviT_T9_T10_S3_lS5_S3_lS4_T11_S3_li ; -- Begin function _ZL29rocblas_internal_gemmt_kernelIlLi16ELi32ELi8ELc78ELc67ELc85ELb0ELb0EfPKfS1_PfEviT_T9_T10_S3_lS5_S3_lS4_T11_S3_li
	.p2align	8
	.type	_ZL29rocblas_internal_gemmt_kernelIlLi16ELi32ELi8ELc78ELc67ELc85ELb0ELb0EfPKfS1_PfEviT_T9_T10_S3_lS5_S3_lS4_T11_S3_li,@function
_ZL29rocblas_internal_gemmt_kernelIlLi16ELi32ELi8ELc78ELc67ELc85ELb0ELb0EfPKfS1_PfEviT_T9_T10_S3_lS5_S3_lS4_T11_S3_li: ; @_ZL29rocblas_internal_gemmt_kernelIlLi16ELi32ELi8ELc78ELc67ELc85ELb0ELb0EfPKfS1_PfEviT_T9_T10_S3_lS5_S3_lS4_T11_S3_li
; %bb.0:
	s_clause 0x1
	s_load_b256 s[24:31], s[0:1], 0x48
	s_load_b512 s[8:23], s[0:1], 0x8
	s_wait_kmcnt 0x0
	s_load_b32 s24, s[24:25], 0x0
	s_load_b32 s10, s[10:11], 0x0
	s_wait_kmcnt 0x0
	s_cmp_neq_f32 s24, 1.0
	s_cselect_b32 s2, -1, 0
	s_delay_alu instid0(SALU_CYCLE_1)
	s_and_b32 vcc_lo, exec_lo, s2
	s_cbranch_vccnz .LBB146_2
; %bb.1:
	s_cmp_lg_u64 s[8:9], 0
	s_cselect_b32 s2, -1, 0
	s_cmp_neq_f32 s10, 0
	s_cselect_b32 s3, -1, 0
	s_delay_alu instid0(SALU_CYCLE_1)
	s_and_b32 s2, s2, s3
.LBB146_2:
	s_delay_alu instid0(SALU_CYCLE_1)
	s_and_not1_b32 vcc_lo, exec_lo, s2
	s_cbranch_vccnz .LBB146_35
; %bb.3:
	s_load_b32 s11, s[0:1], 0x68
	s_lshr_b32 s6, ttmp7, 16
	s_wait_kmcnt 0x0
	s_cmp_ge_u32 s6, s11
	s_cbranch_scc1 .LBB146_35
; %bb.4:
	v_and_b32_e32 v2, 0x3ff, v0
	v_bfe_u32 v3, v0, 10, 10
	s_load_b32 s3, s[0:1], 0x0
	s_lshl_b32 s2, ttmp9, 5
	v_and_b32_e32 v12, 7, v0
	s_lshl_b32 s0, ttmp7, 5
	v_lshl_add_u32 v1, v3, 4, v2
	s_and_b32 s0, s0, 0x1fffe0
	v_lshl_add_u32 v21, v3, 5, 0x400
	v_lshlrev_b32_e32 v5, 2, v12
	v_add_nc_u32_e32 v11, s0, v3
	v_and_b32_e32 v4, 31, v1
	v_lshrrev_b32_e32 v6, 3, v1
	v_lshrrev_b32_e32 v13, 5, v1
	s_cmp_neq_f32 s10, 0
	v_add_nc_u32_e32 v22, 16, v11
	v_or_b32_e32 v0, s2, v4
	v_lshlrev_b32_e32 v4, 2, v4
	v_add_nc_u32_e32 v7, s0, v6
	v_lshl_or_b32 v5, v6, 5, v5
	v_mad_co_u64_u32 v[8:9], null, s28, v22, 0
	v_ashrrev_i32_e32 v1, 31, v0
	s_wait_kmcnt 0x0
	v_cmp_gt_i32_e64 s0, s3, v0
	v_lshl_or_b32 v14, v13, 7, v4
	v_cmp_gt_i32_e64 s1, s3, v7
	v_lshlrev_b32_e32 v4, 2, v7
	v_lshlrev_b64_e32 v[0:1], 2, v[0:1]
	v_mad_co_u64_u32 v[6:7], null, s28, v11, 0
	s_cselect_b32 s33, -1, 0
	v_add_co_u32 v18, s4, s18, v4
	v_add_co_u32 v16, vcc_lo, s12, v0
	s_delay_alu instid0(VALU_DEP_1)
	v_add_co_ci_u32_e64 v17, null, s13, v1, vcc_lo
	v_dual_mov_b32 v1, 0 :: v_dual_mov_b32 v0, v7
	v_lshlrev_b32_e32 v20, 2, v2
	v_add_nc_u32_e32 v2, s2, v2
	s_cmp_neq_f32 s24, 0
	v_cmp_gt_i64_e64 s25, s[8:9], 0
	v_mad_co_u64_u32 v[3:4], null, s29, v11, v[0:1]
	v_mov_b32_e32 v0, v9
	v_cmp_gt_i32_e32 vcc_lo, s3, v11
	v_cmp_le_i32_e64 s2, v2, v11
	v_add_nc_u32_e32 v4, 16, v2
	v_add_co_ci_u32_e64 v19, null, s19, 0, s4
	v_mad_co_u64_u32 v[9:10], null, s29, v22, v[0:1]
	v_mov_b32_e32 v7, v3
	s_cselect_b32 s12, -1, 0
	s_and_b32 s13, vcc_lo, s2
	v_cmp_le_i32_e64 s2, v4, v11
	v_cmp_gt_i32_e64 s3, s3, v22
	v_cmp_le_i32_e64 s4, v2, v22
	v_cmp_le_i32_e64 s5, v4, v22
	v_lshlrev_b64_e32 v[6:7], 2, v[6:7]
	v_lshlrev_b64_e32 v[8:9], 2, v[8:9]
	v_add_nc_u32_e32 v15, 0x400, v5
	v_ashrrev_i32_e32 v3, 31, v2
	v_ashrrev_i32_e32 v5, 31, v4
	s_mov_b32 s7, 0
	s_and_b32 s18, s33, s25
	s_and_b32 s19, vcc_lo, s2
	s_and_b32 s4, s3, s4
	s_and_b32 s5, s3, s5
	s_branch .LBB146_6
.LBB146_5:                              ;   in Loop: Header=BB146_6 Depth=1
	s_wait_alu 0xfffe
	s_or_b32 exec_lo, exec_lo, s2
	s_add_co_i32 s6, s6, 0x10000
	s_delay_alu instid0(SALU_CYCLE_1)
	s_cmp_lt_u32 s6, s11
	s_cbranch_scc0 .LBB146_35
.LBB146_6:                              ; =>This Loop Header: Depth=1
                                        ;     Child Loop BB146_9 Depth 2
	v_dual_mov_b32 v11, v1 :: v_dual_mov_b32 v10, v1
	v_dual_mov_b32 v23, v1 :: v_dual_mov_b32 v22, v1
	s_wait_alu 0xfffe
	s_and_not1_b32 vcc_lo, exec_lo, s18
	s_wait_alu 0xfffe
	s_cbranch_vccnz .LBB146_15
; %bb.7:                                ;   in Loop: Header=BB146_6 Depth=1
	s_mul_u64 s[2:3], s[16:17], s[6:7]
	s_mul_u64 s[28:29], s[22:23], s[6:7]
	s_wait_alu 0xfffe
	s_lshl_b64 s[2:3], s[2:3], 2
	v_dual_mov_b32 v22, 0 :: v_dual_mov_b32 v23, 0
	s_wait_alu 0xfffe
	v_add_co_u32 v24, vcc_lo, v16, s2
	s_wait_alu 0xfffd
	v_add_co_ci_u32_e64 v25, null, s3, v17, vcc_lo
	s_lshl_b64 s[2:3], s[28:29], 2
	v_dual_mov_b32 v10, 0 :: v_dual_mov_b32 v11, 0
	s_wait_alu 0xfffe
	v_add_co_u32 v26, vcc_lo, v18, s2
	s_wait_alu 0xfffd
	v_add_co_ci_u32_e64 v27, null, s3, v19, vcc_lo
	s_mov_b64 s[2:3], 0
	s_branch .LBB146_9
.LBB146_8:                              ;   in Loop: Header=BB146_9 Depth=2
	s_wait_alu 0xfffe
	s_or_b32 exec_lo, exec_lo, s25
	s_wait_loadcnt 0x0
	ds_store_b32 v15, v29
	s_wait_dscnt 0x0
	s_barrier_signal -1
	s_barrier_wait -1
	global_inv scope:SCOPE_SE
	ds_load_b128 v[28:31], v21
	ds_load_2addr_b32 v[44:45], v20 offset1:16
	ds_load_b128 v[32:35], v21 offset:512
	ds_load_2addr_b32 v[46:47], v20 offset0:32 offset1:48
	ds_load_2addr_b32 v[48:49], v20 offset0:64 offset1:80
	;; [unrolled: 1-line block ×3, first 2 shown]
	ds_load_b128 v[36:39], v21 offset:16
	ds_load_2addr_b32 v[52:53], v20 offset0:128 offset1:144
	ds_load_b128 v[40:43], v21 offset:528
	ds_load_2addr_b32 v[54:55], v20 offset0:160 offset1:176
	s_add_nc_u64 s[2:3], s[2:3], 8
	s_wait_alu 0xfffe
	v_cmp_gt_i64_e64 s25, s[8:9], s[2:3]
	s_and_b32 vcc_lo, exec_lo, s25
	s_wait_dscnt 0x8
	v_fmac_f32_e32 v10, v45, v28
	v_fmac_f32_e32 v11, v44, v28
	s_wait_dscnt 0x7
	v_fmac_f32_e32 v22, v45, v32
	v_fmac_f32_e32 v23, v44, v32
	ds_load_2addr_b32 v[44:45], v20 offset0:192 offset1:208
	s_wait_dscnt 0x7
	v_fmac_f32_e32 v10, v47, v29
	v_fmac_f32_e32 v11, v46, v29
	v_fmac_f32_e32 v22, v47, v33
	v_fmac_f32_e32 v23, v46, v33
	ds_load_2addr_b32 v[28:29], v20 offset0:224 offset1:240
	s_wait_dscnt 0x7
	v_fmac_f32_e32 v10, v49, v30
	v_fmac_f32_e32 v11, v48, v30
	v_fmac_f32_e32 v22, v49, v34
	v_fmac_f32_e32 v23, v48, v34
	s_wait_loadcnt_dscnt 0x0
	v_fmac_f32_e32 v10, v51, v31
	v_fmac_f32_e32 v11, v50, v31
	v_fmac_f32_e32 v22, v51, v35
	v_fmac_f32_e32 v23, v50, v35
	s_barrier_signal -1
	v_fmac_f32_e32 v10, v53, v36
	v_fmac_f32_e32 v11, v52, v36
	;; [unrolled: 1-line block ×4, first 2 shown]
	s_barrier_wait -1
	v_fmac_f32_e32 v10, v55, v37
	v_fmac_f32_e32 v11, v54, v37
	;; [unrolled: 1-line block ×4, first 2 shown]
	global_inv scope:SCOPE_SE
	v_fmac_f32_e32 v10, v45, v38
	v_fmac_f32_e32 v11, v44, v38
	;; [unrolled: 1-line block ×3, first 2 shown]
	s_delay_alu instid0(VALU_DEP_3) | instskip(NEXT) | instid1(VALU_DEP_3)
	v_dual_fmac_f32 v23, v44, v42 :: v_dual_fmac_f32 v10, v29, v39
	v_fmac_f32_e32 v11, v28, v39
	s_delay_alu instid0(VALU_DEP_3) | instskip(NEXT) | instid1(VALU_DEP_3)
	v_fmac_f32_e32 v22, v29, v43
	v_fmac_f32_e32 v23, v28, v43
	s_wait_alu 0xfffe
	s_cbranch_vccz .LBB146_15
.LBB146_9:                              ;   Parent Loop BB146_6 Depth=1
                                        ; =>  This Inner Loop Header: Depth=2
	v_mov_b32_e32 v28, 0
	s_and_saveexec_b32 s25, s0
	s_cbranch_execz .LBB146_13
; %bb.10:                               ;   in Loop: Header=BB146_9 Depth=2
	s_wait_alu 0xfffe
	v_add_nc_u32_e32 v0, s2, v13
	v_mov_b32_e32 v28, 0
	s_mov_b32 s28, exec_lo
	s_delay_alu instid0(VALU_DEP_2)
	v_cmpx_gt_u64_e64 s[8:9], v[0:1]
	s_cbranch_execz .LBB146_12
; %bb.11:                               ;   in Loop: Header=BB146_9 Depth=2
	v_mad_co_u64_u32 v[28:29], null, s14, v0, 0
	s_delay_alu instid0(VALU_DEP_1) | instskip(NEXT) | instid1(VALU_DEP_1)
	v_mad_co_u64_u32 v[29:30], null, s15, v0, v[29:30]
	v_lshlrev_b64_e32 v[28:29], 2, v[28:29]
	s_delay_alu instid0(VALU_DEP_1) | instskip(SKIP_1) | instid1(VALU_DEP_2)
	v_add_co_u32 v28, vcc_lo, v24, v28
	s_wait_alu 0xfffd
	v_add_co_ci_u32_e64 v29, null, v25, v29, vcc_lo
	global_load_b32 v28, v[28:29], off
.LBB146_12:                             ;   in Loop: Header=BB146_9 Depth=2
	s_wait_alu 0xfffe
	s_or_b32 exec_lo, exec_lo, s28
.LBB146_13:                             ;   in Loop: Header=BB146_9 Depth=2
	s_wait_alu 0xfffe
	s_or_b32 exec_lo, exec_lo, s25
	v_dual_mov_b32 v29, 0 :: v_dual_add_nc_u32 v0, s2, v12
	s_wait_loadcnt 0x0
	ds_store_b32 v14, v28
	v_cmp_gt_u64_e32 vcc_lo, s[8:9], v[0:1]
	s_and_b32 s28, vcc_lo, s1
	s_wait_alu 0xfffe
	s_and_saveexec_b32 s25, s28
	s_cbranch_execz .LBB146_8
; %bb.14:                               ;   in Loop: Header=BB146_9 Depth=2
	v_mad_co_u64_u32 v[28:29], null, s20, v0, 0
	s_delay_alu instid0(VALU_DEP_1) | instskip(NEXT) | instid1(VALU_DEP_1)
	v_mad_co_u64_u32 v[29:30], null, s21, v0, v[29:30]
	v_lshlrev_b64_e32 v[28:29], 2, v[28:29]
	s_delay_alu instid0(VALU_DEP_1) | instskip(SKIP_1) | instid1(VALU_DEP_2)
	v_add_co_u32 v28, vcc_lo, v26, v28
	s_wait_alu 0xfffd
	v_add_co_ci_u32_e64 v29, null, v27, v29, vcc_lo
	global_load_b32 v29, v[28:29], off
	s_branch .LBB146_8
.LBB146_15:                             ;   in Loop: Header=BB146_6 Depth=1
	s_mul_u64 s[2:3], s[30:31], s[6:7]
	s_wait_alu 0xfffe
	s_lshl_b64 s[2:3], s[2:3], 2
	s_wait_alu 0xfffe
	s_add_nc_u64 s[2:3], s[26:27], s[2:3]
	s_wait_alu 0xfffe
	v_add_co_u32 v0, vcc_lo, s2, v6
	s_wait_alu 0xfffd
	v_add_co_ci_u32_e64 v24, null, s3, v7, vcc_lo
	s_and_saveexec_b32 s25, s13
	s_cbranch_execz .LBB146_19
; %bb.16:                               ;   in Loop: Header=BB146_6 Depth=1
	v_mul_f32_e32 v11, s10, v11
	s_and_b32 vcc_lo, exec_lo, s12
	s_wait_alu 0xfffe
	s_cbranch_vccz .LBB146_30
; %bb.17:                               ;   in Loop: Header=BB146_6 Depth=1
	v_lshlrev_b64_e32 v[25:26], 2, v[2:3]
	s_delay_alu instid0(VALU_DEP_1) | instskip(SKIP_1) | instid1(VALU_DEP_2)
	v_add_co_u32 v25, vcc_lo, v0, v25
	s_wait_alu 0xfffd
	v_add_co_ci_u32_e64 v26, null, v24, v26, vcc_lo
	global_load_b32 v27, v[25:26], off
	s_wait_loadcnt 0x0
	v_fma_f32 v27, s24, v27, v11
	global_store_b32 v[25:26], v27, off
	s_cbranch_execnz .LBB146_19
.LBB146_18:                             ;   in Loop: Header=BB146_6 Depth=1
	v_lshlrev_b64_e32 v[25:26], 2, v[2:3]
	s_delay_alu instid0(VALU_DEP_1) | instskip(SKIP_1) | instid1(VALU_DEP_2)
	v_add_co_u32 v25, vcc_lo, v0, v25
	s_wait_alu 0xfffd
	v_add_co_ci_u32_e64 v26, null, v24, v26, vcc_lo
	global_store_b32 v[25:26], v11, off
.LBB146_19:                             ;   in Loop: Header=BB146_6 Depth=1
	s_wait_alu 0xfffe
	s_or_b32 exec_lo, exec_lo, s25
	s_and_saveexec_b32 s25, s19
	s_cbranch_execz .LBB146_23
; %bb.20:                               ;   in Loop: Header=BB146_6 Depth=1
	v_mul_f32_e32 v10, s10, v10
	s_and_not1_b32 vcc_lo, exec_lo, s12
	s_wait_alu 0xfffe
	s_cbranch_vccnz .LBB146_31
; %bb.21:                               ;   in Loop: Header=BB146_6 Depth=1
	v_lshlrev_b64_e32 v[25:26], 2, v[4:5]
	s_delay_alu instid0(VALU_DEP_1) | instskip(SKIP_1) | instid1(VALU_DEP_2)
	v_add_co_u32 v25, vcc_lo, v0, v25
	s_wait_alu 0xfffd
	v_add_co_ci_u32_e64 v26, null, v24, v26, vcc_lo
	global_load_b32 v11, v[25:26], off
	s_wait_loadcnt 0x0
	v_fma_f32 v11, s24, v11, v10
	global_store_b32 v[25:26], v11, off
	s_cbranch_execnz .LBB146_23
.LBB146_22:                             ;   in Loop: Header=BB146_6 Depth=1
	v_lshlrev_b64_e32 v[25:26], 2, v[4:5]
	s_delay_alu instid0(VALU_DEP_1) | instskip(SKIP_1) | instid1(VALU_DEP_2)
	v_add_co_u32 v25, vcc_lo, v0, v25
	s_wait_alu 0xfffd
	v_add_co_ci_u32_e64 v26, null, v24, v26, vcc_lo
	global_store_b32 v[25:26], v10, off
.LBB146_23:                             ;   in Loop: Header=BB146_6 Depth=1
	s_wait_alu 0xfffe
	s_or_b32 exec_lo, exec_lo, s25
	v_add_co_u32 v0, vcc_lo, s2, v8
	s_wait_alu 0xfffd
	v_add_co_ci_u32_e64 v24, null, s3, v9, vcc_lo
	s_and_saveexec_b32 s2, s4
	s_cbranch_execz .LBB146_27
; %bb.24:                               ;   in Loop: Header=BB146_6 Depth=1
	v_lshlrev_b64_e32 v[10:11], 2, v[2:3]
	v_mul_f32_e32 v23, s10, v23
	s_and_not1_b32 vcc_lo, exec_lo, s12
	s_wait_alu 0xfffe
	s_cbranch_vccnz .LBB146_32
; %bb.25:                               ;   in Loop: Header=BB146_6 Depth=1
	s_delay_alu instid0(VALU_DEP_2)
	v_add_co_u32 v25, vcc_lo, v0, v10
	s_wait_alu 0xfffd
	v_add_co_ci_u32_e64 v26, null, v24, v11, vcc_lo
	global_load_b32 v27, v[25:26], off
	s_wait_loadcnt 0x0
	v_fma_f32 v27, s24, v27, v23
	global_store_b32 v[25:26], v27, off
	s_cbranch_execnz .LBB146_27
.LBB146_26:                             ;   in Loop: Header=BB146_6 Depth=1
	v_add_co_u32 v10, vcc_lo, v0, v10
	s_wait_alu 0xfffd
	v_add_co_ci_u32_e64 v11, null, v24, v11, vcc_lo
	global_store_b32 v[10:11], v23, off
.LBB146_27:                             ;   in Loop: Header=BB146_6 Depth=1
	s_wait_alu 0xfffe
	s_or_b32 exec_lo, exec_lo, s2
	s_and_saveexec_b32 s2, s5
	s_cbranch_execz .LBB146_5
; %bb.28:                               ;   in Loop: Header=BB146_6 Depth=1
	v_lshlrev_b64_e32 v[10:11], 2, v[4:5]
	v_mul_f32_e32 v22, s10, v22
	s_and_not1_b32 vcc_lo, exec_lo, s12
	s_wait_alu 0xfffe
	s_cbranch_vccnz .LBB146_33
; %bb.29:                               ;   in Loop: Header=BB146_6 Depth=1
	s_delay_alu instid0(VALU_DEP_2)
	v_add_co_u32 v25, vcc_lo, v0, v10
	s_wait_alu 0xfffd
	v_add_co_ci_u32_e64 v26, null, v24, v11, vcc_lo
	global_load_b32 v23, v[25:26], off
	s_wait_loadcnt 0x0
	v_fma_f32 v23, s24, v23, v22
	global_store_b32 v[25:26], v23, off
	s_cbranch_execnz .LBB146_5
	s_branch .LBB146_34
.LBB146_30:                             ;   in Loop: Header=BB146_6 Depth=1
	s_branch .LBB146_18
.LBB146_31:                             ;   in Loop: Header=BB146_6 Depth=1
	s_branch .LBB146_22
.LBB146_32:                             ;   in Loop: Header=BB146_6 Depth=1
	s_branch .LBB146_26
.LBB146_33:                             ;   in Loop: Header=BB146_6 Depth=1
.LBB146_34:                             ;   in Loop: Header=BB146_6 Depth=1
	s_delay_alu instid0(VALU_DEP_2)
	v_add_co_u32 v10, vcc_lo, v0, v10
	s_wait_alu 0xfffd
	v_add_co_ci_u32_e64 v11, null, v24, v11, vcc_lo
	global_store_b32 v[10:11], v22, off
	s_branch .LBB146_5
.LBB146_35:
	s_endpgm
	.section	.rodata,"a",@progbits
	.p2align	6, 0x0
	.amdhsa_kernel _ZL29rocblas_internal_gemmt_kernelIlLi16ELi32ELi8ELc78ELc67ELc85ELb0ELb0EfPKfS1_PfEviT_T9_T10_S3_lS5_S3_lS4_T11_S3_li
		.amdhsa_group_segment_fixed_size 2048
		.amdhsa_private_segment_fixed_size 0
		.amdhsa_kernarg_size 108
		.amdhsa_user_sgpr_count 2
		.amdhsa_user_sgpr_dispatch_ptr 0
		.amdhsa_user_sgpr_queue_ptr 0
		.amdhsa_user_sgpr_kernarg_segment_ptr 1
		.amdhsa_user_sgpr_dispatch_id 0
		.amdhsa_user_sgpr_private_segment_size 0
		.amdhsa_wavefront_size32 1
		.amdhsa_uses_dynamic_stack 0
		.amdhsa_enable_private_segment 0
		.amdhsa_system_sgpr_workgroup_id_x 1
		.amdhsa_system_sgpr_workgroup_id_y 1
		.amdhsa_system_sgpr_workgroup_id_z 1
		.amdhsa_system_sgpr_workgroup_info 0
		.amdhsa_system_vgpr_workitem_id 1
		.amdhsa_next_free_vgpr 56
		.amdhsa_next_free_sgpr 34
		.amdhsa_reserve_vcc 1
		.amdhsa_float_round_mode_32 0
		.amdhsa_float_round_mode_16_64 0
		.amdhsa_float_denorm_mode_32 3
		.amdhsa_float_denorm_mode_16_64 3
		.amdhsa_fp16_overflow 0
		.amdhsa_workgroup_processor_mode 1
		.amdhsa_memory_ordered 1
		.amdhsa_forward_progress 1
		.amdhsa_inst_pref_size 15
		.amdhsa_round_robin_scheduling 0
		.amdhsa_exception_fp_ieee_invalid_op 0
		.amdhsa_exception_fp_denorm_src 0
		.amdhsa_exception_fp_ieee_div_zero 0
		.amdhsa_exception_fp_ieee_overflow 0
		.amdhsa_exception_fp_ieee_underflow 0
		.amdhsa_exception_fp_ieee_inexact 0
		.amdhsa_exception_int_div_zero 0
	.end_amdhsa_kernel
	.section	.text._ZL29rocblas_internal_gemmt_kernelIlLi16ELi32ELi8ELc78ELc67ELc85ELb0ELb0EfPKfS1_PfEviT_T9_T10_S3_lS5_S3_lS4_T11_S3_li,"axG",@progbits,_ZL29rocblas_internal_gemmt_kernelIlLi16ELi32ELi8ELc78ELc67ELc85ELb0ELb0EfPKfS1_PfEviT_T9_T10_S3_lS5_S3_lS4_T11_S3_li,comdat
.Lfunc_end146:
	.size	_ZL29rocblas_internal_gemmt_kernelIlLi16ELi32ELi8ELc78ELc67ELc85ELb0ELb0EfPKfS1_PfEviT_T9_T10_S3_lS5_S3_lS4_T11_S3_li, .Lfunc_end146-_ZL29rocblas_internal_gemmt_kernelIlLi16ELi32ELi8ELc78ELc67ELc85ELb0ELb0EfPKfS1_PfEviT_T9_T10_S3_lS5_S3_lS4_T11_S3_li
                                        ; -- End function
	.set _ZL29rocblas_internal_gemmt_kernelIlLi16ELi32ELi8ELc78ELc67ELc85ELb0ELb0EfPKfS1_PfEviT_T9_T10_S3_lS5_S3_lS4_T11_S3_li.num_vgpr, 56
	.set _ZL29rocblas_internal_gemmt_kernelIlLi16ELi32ELi8ELc78ELc67ELc85ELb0ELb0EfPKfS1_PfEviT_T9_T10_S3_lS5_S3_lS4_T11_S3_li.num_agpr, 0
	.set _ZL29rocblas_internal_gemmt_kernelIlLi16ELi32ELi8ELc78ELc67ELc85ELb0ELb0EfPKfS1_PfEviT_T9_T10_S3_lS5_S3_lS4_T11_S3_li.numbered_sgpr, 34
	.set _ZL29rocblas_internal_gemmt_kernelIlLi16ELi32ELi8ELc78ELc67ELc85ELb0ELb0EfPKfS1_PfEviT_T9_T10_S3_lS5_S3_lS4_T11_S3_li.num_named_barrier, 0
	.set _ZL29rocblas_internal_gemmt_kernelIlLi16ELi32ELi8ELc78ELc67ELc85ELb0ELb0EfPKfS1_PfEviT_T9_T10_S3_lS5_S3_lS4_T11_S3_li.private_seg_size, 0
	.set _ZL29rocblas_internal_gemmt_kernelIlLi16ELi32ELi8ELc78ELc67ELc85ELb0ELb0EfPKfS1_PfEviT_T9_T10_S3_lS5_S3_lS4_T11_S3_li.uses_vcc, 1
	.set _ZL29rocblas_internal_gemmt_kernelIlLi16ELi32ELi8ELc78ELc67ELc85ELb0ELb0EfPKfS1_PfEviT_T9_T10_S3_lS5_S3_lS4_T11_S3_li.uses_flat_scratch, 0
	.set _ZL29rocblas_internal_gemmt_kernelIlLi16ELi32ELi8ELc78ELc67ELc85ELb0ELb0EfPKfS1_PfEviT_T9_T10_S3_lS5_S3_lS4_T11_S3_li.has_dyn_sized_stack, 0
	.set _ZL29rocblas_internal_gemmt_kernelIlLi16ELi32ELi8ELc78ELc67ELc85ELb0ELb0EfPKfS1_PfEviT_T9_T10_S3_lS5_S3_lS4_T11_S3_li.has_recursion, 0
	.set _ZL29rocblas_internal_gemmt_kernelIlLi16ELi32ELi8ELc78ELc67ELc85ELb0ELb0EfPKfS1_PfEviT_T9_T10_S3_lS5_S3_lS4_T11_S3_li.has_indirect_call, 0
	.section	.AMDGPU.csdata,"",@progbits
; Kernel info:
; codeLenInByte = 1836
; TotalNumSgprs: 36
; NumVgprs: 56
; ScratchSize: 0
; MemoryBound: 0
; FloatMode: 240
; IeeeMode: 1
; LDSByteSize: 2048 bytes/workgroup (compile time only)
; SGPRBlocks: 0
; VGPRBlocks: 6
; NumSGPRsForWavesPerEU: 36
; NumVGPRsForWavesPerEU: 56
; Occupancy: 16
; WaveLimiterHint : 0
; COMPUTE_PGM_RSRC2:SCRATCH_EN: 0
; COMPUTE_PGM_RSRC2:USER_SGPR: 2
; COMPUTE_PGM_RSRC2:TRAP_HANDLER: 0
; COMPUTE_PGM_RSRC2:TGID_X_EN: 1
; COMPUTE_PGM_RSRC2:TGID_Y_EN: 1
; COMPUTE_PGM_RSRC2:TGID_Z_EN: 1
; COMPUTE_PGM_RSRC2:TIDIG_COMP_CNT: 1
	.section	.text._ZL29rocblas_internal_gemmt_kernelIlLi16ELi32ELi8ELc84ELc78ELc85ELb0ELb0EfPKfS1_PfEviT_T9_T10_S3_lS5_S3_lS4_T11_S3_li,"axG",@progbits,_ZL29rocblas_internal_gemmt_kernelIlLi16ELi32ELi8ELc84ELc78ELc85ELb0ELb0EfPKfS1_PfEviT_T9_T10_S3_lS5_S3_lS4_T11_S3_li,comdat
	.globl	_ZL29rocblas_internal_gemmt_kernelIlLi16ELi32ELi8ELc84ELc78ELc85ELb0ELb0EfPKfS1_PfEviT_T9_T10_S3_lS5_S3_lS4_T11_S3_li ; -- Begin function _ZL29rocblas_internal_gemmt_kernelIlLi16ELi32ELi8ELc84ELc78ELc85ELb0ELb0EfPKfS1_PfEviT_T9_T10_S3_lS5_S3_lS4_T11_S3_li
	.p2align	8
	.type	_ZL29rocblas_internal_gemmt_kernelIlLi16ELi32ELi8ELc84ELc78ELc85ELb0ELb0EfPKfS1_PfEviT_T9_T10_S3_lS5_S3_lS4_T11_S3_li,@function
_ZL29rocblas_internal_gemmt_kernelIlLi16ELi32ELi8ELc84ELc78ELc85ELb0ELb0EfPKfS1_PfEviT_T9_T10_S3_lS5_S3_lS4_T11_S3_li: ; @_ZL29rocblas_internal_gemmt_kernelIlLi16ELi32ELi8ELc84ELc78ELc85ELb0ELb0EfPKfS1_PfEviT_T9_T10_S3_lS5_S3_lS4_T11_S3_li
; %bb.0:
	s_clause 0x1
	s_load_b256 s[24:31], s[0:1], 0x48
	s_load_b512 s[8:23], s[0:1], 0x8
	s_wait_kmcnt 0x0
	s_load_b32 s24, s[24:25], 0x0
	s_load_b32 s10, s[10:11], 0x0
	s_wait_kmcnt 0x0
	s_cmp_neq_f32 s24, 1.0
	s_cselect_b32 s2, -1, 0
	s_delay_alu instid0(SALU_CYCLE_1)
	s_and_b32 vcc_lo, exec_lo, s2
	s_cbranch_vccnz .LBB147_2
; %bb.1:
	s_cmp_lg_u64 s[8:9], 0
	s_cselect_b32 s2, -1, 0
	s_cmp_neq_f32 s10, 0
	s_cselect_b32 s3, -1, 0
	s_delay_alu instid0(SALU_CYCLE_1)
	s_and_b32 s2, s2, s3
.LBB147_2:
	s_delay_alu instid0(SALU_CYCLE_1)
	s_and_not1_b32 vcc_lo, exec_lo, s2
	s_cbranch_vccnz .LBB147_35
; %bb.3:
	s_load_b32 s11, s[0:1], 0x68
	s_lshr_b32 s6, ttmp7, 16
	s_wait_kmcnt 0x0
	s_cmp_ge_u32 s6, s11
	s_cbranch_scc1 .LBB147_35
; %bb.4:
	v_and_b32_e32 v10, 0x3ff, v0
	v_bfe_u32 v11, v0, 10, 10
	s_load_b32 s3, s[0:1], 0x0
	s_lshl_b32 s0, ttmp7, 5
	s_lshl_b32 s2, ttmp9, 5
	s_and_b32 s0, s0, 0x1fffe0
	v_lshl_add_u32 v2, v11, 4, v10
	v_add_nc_u32_e32 v22, s0, v11
	s_cmp_neq_f32 s10, 0
	v_cmp_gt_i64_e64 s25, s[8:9], 0
	v_lshl_add_u32 v21, v11, 5, 0x400
	v_lshrrev_b32_e32 v8, 3, v2
	v_and_b32_e32 v15, 31, v2
	v_lshrrev_b32_e32 v14, 5, v2
	v_mad_co_u64_u32 v[6:7], null, s28, v22, 0
	s_delay_alu instid0(VALU_DEP_4) | instskip(NEXT) | instid1(VALU_DEP_4)
	v_add_nc_u32_e32 v16, s0, v8
	v_or_b32_e32 v17, s2, v15
	v_and_b32_e32 v12, 7, v0
	v_add_nc_u32_e32 v23, 16, v22
	s_mov_b32 s7, 0
	v_mad_co_u64_u32 v[0:1], null, s20, v16, 0
	v_mad_co_u64_u32 v[2:3], null, s14, v17, 0
	v_mul_lo_u32 v18, s15, v17
	s_cselect_b32 s20, -1, 0
	s_ashr_i32 s1, s2, 31
	v_lshlrev_b32_e32 v9, 2, v12
	s_wait_alu 0xfffe
	s_mul_i32 s0, s14, s1
	s_cmp_neq_f32 s24, 0
	v_mad_co_u64_u32 v[4:5], null, s21, v16, v[1:2]
	s_wait_alu 0xfffe
	v_add3_u32 v3, v3, s0, v18
	v_lshl_or_b32 v19, v8, 5, v9
	v_mad_co_u64_u32 v[8:9], null, s28, v23, 0
	s_wait_kmcnt 0x0
	v_cmp_gt_i32_e64 s0, s3, v17
	v_lshlrev_b64_e32 v[2:3], 2, v[2:3]
	v_mov_b32_e32 v1, v4
	v_lshlrev_b32_e32 v5, 2, v15
	v_lshlrev_b32_e32 v13, 2, v10
	s_delay_alu instid0(VALU_DEP_4) | instskip(NEXT) | instid1(VALU_DEP_4)
	v_add_co_u32 v17, vcc_lo, s12, v2
	v_lshlrev_b64_e32 v[0:1], 2, v[0:1]
	v_add_co_ci_u32_e64 v18, null, s13, v3, vcc_lo
	v_mov_b32_e32 v3, v9
	v_lshl_or_b32 v15, v14, 7, v5
	v_cmp_gt_i32_e64 s1, s3, v16
	s_cselect_b32 s12, -1, 0
	s_and_b32 s14, s20, s25
	v_mad_co_u64_u32 v[4:5], null, s29, v23, v[3:4]
	v_add_nc_u32_e32 v16, 0x400, v19
	v_add_co_u32 v19, vcc_lo, s18, v0
	s_wait_alu 0xfffd
	v_add_co_ci_u32_e64 v20, null, s19, v1, vcc_lo
	v_dual_mov_b32 v1, v7 :: v_dual_add_nc_u32 v0, s2, v10
	v_mov_b32_e32 v5, 0
	v_mov_b32_e32 v9, v4
	s_delay_alu instid0(VALU_DEP_3) | instskip(NEXT) | instid1(VALU_DEP_4)
	v_mad_co_u64_u32 v[1:2], null, s29, v22, v[1:2]
	v_add_nc_u32_e32 v2, 16, v0
	v_cmp_le_i32_e64 s4, v0, v23
	s_delay_alu instid0(VALU_DEP_4) | instskip(NEXT) | instid1(VALU_DEP_3)
	v_lshlrev_b64_e32 v[8:9], 2, v[8:9]
	v_cmp_le_i32_e64 s5, v2, v23
	v_mov_b32_e32 v7, v1
	v_cmp_gt_i32_e32 vcc_lo, s3, v22
	v_cmp_le_i32_e64 s2, v0, v22
	v_cmp_gt_i32_e64 s3, s3, v23
	v_ashrrev_i32_e32 v1, 31, v0
	v_lshlrev_b64_e32 v[6:7], 2, v[6:7]
	v_ashrrev_i32_e32 v3, 31, v2
	s_and_b32 s13, vcc_lo, s2
	v_cmp_le_i32_e64 s2, v2, v22
	s_and_b32 s4, s3, s4
	s_and_b32 s5, s3, s5
	s_and_b32 s15, vcc_lo, s2
	s_branch .LBB147_6
.LBB147_5:                              ;   in Loop: Header=BB147_6 Depth=1
	s_wait_alu 0xfffe
	s_or_b32 exec_lo, exec_lo, s2
	s_add_co_i32 s6, s6, 0x10000
	s_delay_alu instid0(SALU_CYCLE_1)
	s_cmp_lt_u32 s6, s11
	s_cbranch_scc0 .LBB147_35
.LBB147_6:                              ; =>This Loop Header: Depth=1
                                        ;     Child Loop BB147_9 Depth 2
	v_dual_mov_b32 v11, v5 :: v_dual_mov_b32 v10, v5
	v_dual_mov_b32 v23, v5 :: v_dual_mov_b32 v22, v5
	s_wait_alu 0xfffe
	s_and_not1_b32 vcc_lo, exec_lo, s14
	s_wait_alu 0xfffe
	s_cbranch_vccnz .LBB147_15
; %bb.7:                                ;   in Loop: Header=BB147_6 Depth=1
	s_mul_u64 s[2:3], s[16:17], s[6:7]
	s_mul_u64 s[18:19], s[22:23], s[6:7]
	s_wait_alu 0xfffe
	s_lshl_b64 s[2:3], s[2:3], 2
	v_dual_mov_b32 v22, 0 :: v_dual_mov_b32 v23, 0
	s_wait_alu 0xfffe
	v_add_co_u32 v24, vcc_lo, v17, s2
	s_wait_alu 0xfffd
	v_add_co_ci_u32_e64 v25, null, s3, v18, vcc_lo
	s_lshl_b64 s[2:3], s[18:19], 2
	v_dual_mov_b32 v10, 0 :: v_dual_mov_b32 v11, 0
	s_wait_alu 0xfffe
	v_add_co_u32 v26, vcc_lo, v19, s2
	s_wait_alu 0xfffd
	v_add_co_ci_u32_e64 v27, null, s3, v20, vcc_lo
	s_mov_b64 s[2:3], 0
	s_branch .LBB147_9
.LBB147_8:                              ;   in Loop: Header=BB147_9 Depth=2
	s_wait_alu 0xfffe
	s_or_b32 exec_lo, exec_lo, s18
	s_wait_loadcnt 0x0
	ds_store_b32 v16, v29
	s_wait_dscnt 0x0
	s_barrier_signal -1
	s_barrier_wait -1
	global_inv scope:SCOPE_SE
	ds_load_b128 v[28:31], v21
	ds_load_2addr_b32 v[44:45], v13 offset1:16
	ds_load_b128 v[32:35], v21 offset:512
	ds_load_2addr_b32 v[46:47], v13 offset0:32 offset1:48
	ds_load_2addr_b32 v[48:49], v13 offset0:64 offset1:80
	;; [unrolled: 1-line block ×3, first 2 shown]
	ds_load_b128 v[36:39], v21 offset:16
	ds_load_2addr_b32 v[52:53], v13 offset0:128 offset1:144
	ds_load_b128 v[40:43], v21 offset:528
	ds_load_2addr_b32 v[54:55], v13 offset0:160 offset1:176
	s_add_nc_u64 s[2:3], s[2:3], 8
	s_wait_alu 0xfffe
	v_cmp_gt_i64_e64 s18, s[8:9], s[2:3]
	s_and_b32 vcc_lo, exec_lo, s18
	s_wait_dscnt 0x8
	v_fmac_f32_e32 v10, v45, v28
	v_fmac_f32_e32 v11, v44, v28
	s_wait_dscnt 0x7
	v_fmac_f32_e32 v22, v45, v32
	v_fmac_f32_e32 v23, v44, v32
	ds_load_2addr_b32 v[44:45], v13 offset0:192 offset1:208
	s_wait_dscnt 0x7
	v_fmac_f32_e32 v10, v47, v29
	v_fmac_f32_e32 v11, v46, v29
	v_fmac_f32_e32 v22, v47, v33
	v_fmac_f32_e32 v23, v46, v33
	ds_load_2addr_b32 v[28:29], v13 offset0:224 offset1:240
	s_wait_dscnt 0x7
	v_fmac_f32_e32 v10, v49, v30
	v_fmac_f32_e32 v11, v48, v30
	;; [unrolled: 1-line block ×4, first 2 shown]
	s_wait_loadcnt_dscnt 0x0
	v_fmac_f32_e32 v10, v51, v31
	v_fmac_f32_e32 v11, v50, v31
	;; [unrolled: 1-line block ×4, first 2 shown]
	s_barrier_signal -1
	v_fmac_f32_e32 v10, v53, v36
	v_fmac_f32_e32 v11, v52, v36
	;; [unrolled: 1-line block ×4, first 2 shown]
	s_barrier_wait -1
	v_fmac_f32_e32 v10, v55, v37
	v_fmac_f32_e32 v11, v54, v37
	;; [unrolled: 1-line block ×4, first 2 shown]
	global_inv scope:SCOPE_SE
	v_fmac_f32_e32 v10, v45, v38
	v_fmac_f32_e32 v11, v44, v38
	;; [unrolled: 1-line block ×3, first 2 shown]
	s_delay_alu instid0(VALU_DEP_3) | instskip(NEXT) | instid1(VALU_DEP_3)
	v_dual_fmac_f32 v23, v44, v42 :: v_dual_fmac_f32 v10, v29, v39
	v_fmac_f32_e32 v11, v28, v39
	s_delay_alu instid0(VALU_DEP_3) | instskip(NEXT) | instid1(VALU_DEP_3)
	v_fmac_f32_e32 v22, v29, v43
	v_fmac_f32_e32 v23, v28, v43
	s_wait_alu 0xfffe
	s_cbranch_vccz .LBB147_15
.LBB147_9:                              ;   Parent Loop BB147_6 Depth=1
                                        ; =>  This Inner Loop Header: Depth=2
	v_mov_b32_e32 v28, 0
	s_and_saveexec_b32 s18, s0
	s_cbranch_execz .LBB147_13
; %bb.10:                               ;   in Loop: Header=BB147_9 Depth=2
	s_wait_alu 0xfffe
	v_add_nc_u32_e32 v4, s2, v14
	v_mov_b32_e32 v28, 0
	s_mov_b32 s19, exec_lo
	s_delay_alu instid0(VALU_DEP_2)
	v_cmpx_gt_u64_e64 s[8:9], v[4:5]
	s_cbranch_execz .LBB147_12
; %bb.11:                               ;   in Loop: Header=BB147_9 Depth=2
	v_lshlrev_b64_e32 v[28:29], 2, v[4:5]
	s_delay_alu instid0(VALU_DEP_1) | instskip(SKIP_1) | instid1(VALU_DEP_2)
	v_add_co_u32 v28, vcc_lo, v24, v28
	s_wait_alu 0xfffd
	v_add_co_ci_u32_e64 v29, null, v25, v29, vcc_lo
	global_load_b32 v28, v[28:29], off
.LBB147_12:                             ;   in Loop: Header=BB147_9 Depth=2
	s_wait_alu 0xfffe
	s_or_b32 exec_lo, exec_lo, s19
.LBB147_13:                             ;   in Loop: Header=BB147_9 Depth=2
	s_wait_alu 0xfffe
	s_or_b32 exec_lo, exec_lo, s18
	v_dual_mov_b32 v29, 0 :: v_dual_add_nc_u32 v4, s2, v12
	s_wait_loadcnt 0x0
	ds_store_b32 v15, v28
	v_cmp_gt_u64_e32 vcc_lo, s[8:9], v[4:5]
	s_and_b32 s19, vcc_lo, s1
	s_wait_alu 0xfffe
	s_and_saveexec_b32 s18, s19
	s_cbranch_execz .LBB147_8
; %bb.14:                               ;   in Loop: Header=BB147_9 Depth=2
	v_lshlrev_b64_e32 v[28:29], 2, v[4:5]
	s_delay_alu instid0(VALU_DEP_1) | instskip(SKIP_1) | instid1(VALU_DEP_2)
	v_add_co_u32 v28, vcc_lo, v26, v28
	s_wait_alu 0xfffd
	v_add_co_ci_u32_e64 v29, null, v27, v29, vcc_lo
	global_load_b32 v29, v[28:29], off
	s_branch .LBB147_8
.LBB147_15:                             ;   in Loop: Header=BB147_6 Depth=1
	s_mul_u64 s[2:3], s[30:31], s[6:7]
	s_wait_alu 0xfffe
	s_lshl_b64 s[2:3], s[2:3], 2
	s_wait_alu 0xfffe
	s_add_nc_u64 s[2:3], s[26:27], s[2:3]
	s_wait_alu 0xfffe
	v_add_co_u32 v4, vcc_lo, s2, v6
	s_wait_alu 0xfffd
	v_add_co_ci_u32_e64 v24, null, s3, v7, vcc_lo
	s_and_saveexec_b32 s18, s13
	s_cbranch_execz .LBB147_19
; %bb.16:                               ;   in Loop: Header=BB147_6 Depth=1
	v_mul_f32_e32 v11, s10, v11
	s_and_b32 vcc_lo, exec_lo, s12
	s_wait_alu 0xfffe
	s_cbranch_vccz .LBB147_30
; %bb.17:                               ;   in Loop: Header=BB147_6 Depth=1
	v_lshlrev_b64_e32 v[25:26], 2, v[0:1]
	s_delay_alu instid0(VALU_DEP_1) | instskip(SKIP_1) | instid1(VALU_DEP_2)
	v_add_co_u32 v25, vcc_lo, v4, v25
	s_wait_alu 0xfffd
	v_add_co_ci_u32_e64 v26, null, v24, v26, vcc_lo
	global_load_b32 v27, v[25:26], off
	s_wait_loadcnt 0x0
	v_fma_f32 v27, s24, v27, v11
	global_store_b32 v[25:26], v27, off
	s_cbranch_execnz .LBB147_19
.LBB147_18:                             ;   in Loop: Header=BB147_6 Depth=1
	v_lshlrev_b64_e32 v[25:26], 2, v[0:1]
	s_delay_alu instid0(VALU_DEP_1) | instskip(SKIP_1) | instid1(VALU_DEP_2)
	v_add_co_u32 v25, vcc_lo, v4, v25
	s_wait_alu 0xfffd
	v_add_co_ci_u32_e64 v26, null, v24, v26, vcc_lo
	global_store_b32 v[25:26], v11, off
.LBB147_19:                             ;   in Loop: Header=BB147_6 Depth=1
	s_wait_alu 0xfffe
	s_or_b32 exec_lo, exec_lo, s18
	s_and_saveexec_b32 s18, s15
	s_cbranch_execz .LBB147_23
; %bb.20:                               ;   in Loop: Header=BB147_6 Depth=1
	v_mul_f32_e32 v10, s10, v10
	s_and_not1_b32 vcc_lo, exec_lo, s12
	s_wait_alu 0xfffe
	s_cbranch_vccnz .LBB147_31
; %bb.21:                               ;   in Loop: Header=BB147_6 Depth=1
	v_lshlrev_b64_e32 v[25:26], 2, v[2:3]
	s_delay_alu instid0(VALU_DEP_1) | instskip(SKIP_1) | instid1(VALU_DEP_2)
	v_add_co_u32 v25, vcc_lo, v4, v25
	s_wait_alu 0xfffd
	v_add_co_ci_u32_e64 v26, null, v24, v26, vcc_lo
	global_load_b32 v11, v[25:26], off
	s_wait_loadcnt 0x0
	v_fma_f32 v11, s24, v11, v10
	global_store_b32 v[25:26], v11, off
	s_cbranch_execnz .LBB147_23
.LBB147_22:                             ;   in Loop: Header=BB147_6 Depth=1
	v_lshlrev_b64_e32 v[25:26], 2, v[2:3]
	s_delay_alu instid0(VALU_DEP_1) | instskip(SKIP_1) | instid1(VALU_DEP_2)
	v_add_co_u32 v25, vcc_lo, v4, v25
	s_wait_alu 0xfffd
	v_add_co_ci_u32_e64 v26, null, v24, v26, vcc_lo
	global_store_b32 v[25:26], v10, off
.LBB147_23:                             ;   in Loop: Header=BB147_6 Depth=1
	s_wait_alu 0xfffe
	s_or_b32 exec_lo, exec_lo, s18
	v_add_co_u32 v4, vcc_lo, s2, v8
	s_wait_alu 0xfffd
	v_add_co_ci_u32_e64 v24, null, s3, v9, vcc_lo
	s_and_saveexec_b32 s2, s4
	s_cbranch_execz .LBB147_27
; %bb.24:                               ;   in Loop: Header=BB147_6 Depth=1
	v_lshlrev_b64_e32 v[10:11], 2, v[0:1]
	v_mul_f32_e32 v23, s10, v23
	s_and_not1_b32 vcc_lo, exec_lo, s12
	s_wait_alu 0xfffe
	s_cbranch_vccnz .LBB147_32
; %bb.25:                               ;   in Loop: Header=BB147_6 Depth=1
	s_delay_alu instid0(VALU_DEP_2)
	v_add_co_u32 v25, vcc_lo, v4, v10
	s_wait_alu 0xfffd
	v_add_co_ci_u32_e64 v26, null, v24, v11, vcc_lo
	global_load_b32 v27, v[25:26], off
	s_wait_loadcnt 0x0
	v_fma_f32 v27, s24, v27, v23
	global_store_b32 v[25:26], v27, off
	s_cbranch_execnz .LBB147_27
.LBB147_26:                             ;   in Loop: Header=BB147_6 Depth=1
	v_add_co_u32 v10, vcc_lo, v4, v10
	s_wait_alu 0xfffd
	v_add_co_ci_u32_e64 v11, null, v24, v11, vcc_lo
	global_store_b32 v[10:11], v23, off
.LBB147_27:                             ;   in Loop: Header=BB147_6 Depth=1
	s_wait_alu 0xfffe
	s_or_b32 exec_lo, exec_lo, s2
	s_and_saveexec_b32 s2, s5
	s_cbranch_execz .LBB147_5
; %bb.28:                               ;   in Loop: Header=BB147_6 Depth=1
	v_lshlrev_b64_e32 v[10:11], 2, v[2:3]
	v_mul_f32_e32 v22, s10, v22
	s_and_not1_b32 vcc_lo, exec_lo, s12
	s_wait_alu 0xfffe
	s_cbranch_vccnz .LBB147_33
; %bb.29:                               ;   in Loop: Header=BB147_6 Depth=1
	s_delay_alu instid0(VALU_DEP_2)
	v_add_co_u32 v25, vcc_lo, v4, v10
	s_wait_alu 0xfffd
	v_add_co_ci_u32_e64 v26, null, v24, v11, vcc_lo
	global_load_b32 v23, v[25:26], off
	s_wait_loadcnt 0x0
	v_fma_f32 v23, s24, v23, v22
	global_store_b32 v[25:26], v23, off
	s_cbranch_execnz .LBB147_5
	s_branch .LBB147_34
.LBB147_30:                             ;   in Loop: Header=BB147_6 Depth=1
	s_branch .LBB147_18
.LBB147_31:                             ;   in Loop: Header=BB147_6 Depth=1
	s_branch .LBB147_22
.LBB147_32:                             ;   in Loop: Header=BB147_6 Depth=1
	s_branch .LBB147_26
.LBB147_33:                             ;   in Loop: Header=BB147_6 Depth=1
.LBB147_34:                             ;   in Loop: Header=BB147_6 Depth=1
	s_delay_alu instid0(VALU_DEP_2)
	v_add_co_u32 v10, vcc_lo, v4, v10
	s_wait_alu 0xfffd
	v_add_co_ci_u32_e64 v11, null, v24, v11, vcc_lo
	global_store_b32 v[10:11], v22, off
	s_branch .LBB147_5
.LBB147_35:
	s_endpgm
	.section	.rodata,"a",@progbits
	.p2align	6, 0x0
	.amdhsa_kernel _ZL29rocblas_internal_gemmt_kernelIlLi16ELi32ELi8ELc84ELc78ELc85ELb0ELb0EfPKfS1_PfEviT_T9_T10_S3_lS5_S3_lS4_T11_S3_li
		.amdhsa_group_segment_fixed_size 2048
		.amdhsa_private_segment_fixed_size 0
		.amdhsa_kernarg_size 108
		.amdhsa_user_sgpr_count 2
		.amdhsa_user_sgpr_dispatch_ptr 0
		.amdhsa_user_sgpr_queue_ptr 0
		.amdhsa_user_sgpr_kernarg_segment_ptr 1
		.amdhsa_user_sgpr_dispatch_id 0
		.amdhsa_user_sgpr_private_segment_size 0
		.amdhsa_wavefront_size32 1
		.amdhsa_uses_dynamic_stack 0
		.amdhsa_enable_private_segment 0
		.amdhsa_system_sgpr_workgroup_id_x 1
		.amdhsa_system_sgpr_workgroup_id_y 1
		.amdhsa_system_sgpr_workgroup_id_z 1
		.amdhsa_system_sgpr_workgroup_info 0
		.amdhsa_system_vgpr_workitem_id 1
		.amdhsa_next_free_vgpr 56
		.amdhsa_next_free_sgpr 32
		.amdhsa_reserve_vcc 1
		.amdhsa_float_round_mode_32 0
		.amdhsa_float_round_mode_16_64 0
		.amdhsa_float_denorm_mode_32 3
		.amdhsa_float_denorm_mode_16_64 3
		.amdhsa_fp16_overflow 0
		.amdhsa_workgroup_processor_mode 1
		.amdhsa_memory_ordered 1
		.amdhsa_forward_progress 1
		.amdhsa_inst_pref_size 15
		.amdhsa_round_robin_scheduling 0
		.amdhsa_exception_fp_ieee_invalid_op 0
		.amdhsa_exception_fp_denorm_src 0
		.amdhsa_exception_fp_ieee_div_zero 0
		.amdhsa_exception_fp_ieee_overflow 0
		.amdhsa_exception_fp_ieee_underflow 0
		.amdhsa_exception_fp_ieee_inexact 0
		.amdhsa_exception_int_div_zero 0
	.end_amdhsa_kernel
	.section	.text._ZL29rocblas_internal_gemmt_kernelIlLi16ELi32ELi8ELc84ELc78ELc85ELb0ELb0EfPKfS1_PfEviT_T9_T10_S3_lS5_S3_lS4_T11_S3_li,"axG",@progbits,_ZL29rocblas_internal_gemmt_kernelIlLi16ELi32ELi8ELc84ELc78ELc85ELb0ELb0EfPKfS1_PfEviT_T9_T10_S3_lS5_S3_lS4_T11_S3_li,comdat
.Lfunc_end147:
	.size	_ZL29rocblas_internal_gemmt_kernelIlLi16ELi32ELi8ELc84ELc78ELc85ELb0ELb0EfPKfS1_PfEviT_T9_T10_S3_lS5_S3_lS4_T11_S3_li, .Lfunc_end147-_ZL29rocblas_internal_gemmt_kernelIlLi16ELi32ELi8ELc84ELc78ELc85ELb0ELb0EfPKfS1_PfEviT_T9_T10_S3_lS5_S3_lS4_T11_S3_li
                                        ; -- End function
	.set _ZL29rocblas_internal_gemmt_kernelIlLi16ELi32ELi8ELc84ELc78ELc85ELb0ELb0EfPKfS1_PfEviT_T9_T10_S3_lS5_S3_lS4_T11_S3_li.num_vgpr, 56
	.set _ZL29rocblas_internal_gemmt_kernelIlLi16ELi32ELi8ELc84ELc78ELc85ELb0ELb0EfPKfS1_PfEviT_T9_T10_S3_lS5_S3_lS4_T11_S3_li.num_agpr, 0
	.set _ZL29rocblas_internal_gemmt_kernelIlLi16ELi32ELi8ELc84ELc78ELc85ELb0ELb0EfPKfS1_PfEviT_T9_T10_S3_lS5_S3_lS4_T11_S3_li.numbered_sgpr, 32
	.set _ZL29rocblas_internal_gemmt_kernelIlLi16ELi32ELi8ELc84ELc78ELc85ELb0ELb0EfPKfS1_PfEviT_T9_T10_S3_lS5_S3_lS4_T11_S3_li.num_named_barrier, 0
	.set _ZL29rocblas_internal_gemmt_kernelIlLi16ELi32ELi8ELc84ELc78ELc85ELb0ELb0EfPKfS1_PfEviT_T9_T10_S3_lS5_S3_lS4_T11_S3_li.private_seg_size, 0
	.set _ZL29rocblas_internal_gemmt_kernelIlLi16ELi32ELi8ELc84ELc78ELc85ELb0ELb0EfPKfS1_PfEviT_T9_T10_S3_lS5_S3_lS4_T11_S3_li.uses_vcc, 1
	.set _ZL29rocblas_internal_gemmt_kernelIlLi16ELi32ELi8ELc84ELc78ELc85ELb0ELb0EfPKfS1_PfEviT_T9_T10_S3_lS5_S3_lS4_T11_S3_li.uses_flat_scratch, 0
	.set _ZL29rocblas_internal_gemmt_kernelIlLi16ELi32ELi8ELc84ELc78ELc85ELb0ELb0EfPKfS1_PfEviT_T9_T10_S3_lS5_S3_lS4_T11_S3_li.has_dyn_sized_stack, 0
	.set _ZL29rocblas_internal_gemmt_kernelIlLi16ELi32ELi8ELc84ELc78ELc85ELb0ELb0EfPKfS1_PfEviT_T9_T10_S3_lS5_S3_lS4_T11_S3_li.has_recursion, 0
	.set _ZL29rocblas_internal_gemmt_kernelIlLi16ELi32ELi8ELc84ELc78ELc85ELb0ELb0EfPKfS1_PfEviT_T9_T10_S3_lS5_S3_lS4_T11_S3_li.has_indirect_call, 0
	.section	.AMDGPU.csdata,"",@progbits
; Kernel info:
; codeLenInByte = 1872
; TotalNumSgprs: 34
; NumVgprs: 56
; ScratchSize: 0
; MemoryBound: 0
; FloatMode: 240
; IeeeMode: 1
; LDSByteSize: 2048 bytes/workgroup (compile time only)
; SGPRBlocks: 0
; VGPRBlocks: 6
; NumSGPRsForWavesPerEU: 34
; NumVGPRsForWavesPerEU: 56
; Occupancy: 16
; WaveLimiterHint : 0
; COMPUTE_PGM_RSRC2:SCRATCH_EN: 0
; COMPUTE_PGM_RSRC2:USER_SGPR: 2
; COMPUTE_PGM_RSRC2:TRAP_HANDLER: 0
; COMPUTE_PGM_RSRC2:TGID_X_EN: 1
; COMPUTE_PGM_RSRC2:TGID_Y_EN: 1
; COMPUTE_PGM_RSRC2:TGID_Z_EN: 1
; COMPUTE_PGM_RSRC2:TIDIG_COMP_CNT: 1
	.section	.text._ZL29rocblas_internal_gemmt_kernelIlLi16ELi32ELi8ELc84ELc84ELc85ELb0ELb0EfPKfS1_PfEviT_T9_T10_S3_lS5_S3_lS4_T11_S3_li,"axG",@progbits,_ZL29rocblas_internal_gemmt_kernelIlLi16ELi32ELi8ELc84ELc84ELc85ELb0ELb0EfPKfS1_PfEviT_T9_T10_S3_lS5_S3_lS4_T11_S3_li,comdat
	.globl	_ZL29rocblas_internal_gemmt_kernelIlLi16ELi32ELi8ELc84ELc84ELc85ELb0ELb0EfPKfS1_PfEviT_T9_T10_S3_lS5_S3_lS4_T11_S3_li ; -- Begin function _ZL29rocblas_internal_gemmt_kernelIlLi16ELi32ELi8ELc84ELc84ELc85ELb0ELb0EfPKfS1_PfEviT_T9_T10_S3_lS5_S3_lS4_T11_S3_li
	.p2align	8
	.type	_ZL29rocblas_internal_gemmt_kernelIlLi16ELi32ELi8ELc84ELc84ELc85ELb0ELb0EfPKfS1_PfEviT_T9_T10_S3_lS5_S3_lS4_T11_S3_li,@function
_ZL29rocblas_internal_gemmt_kernelIlLi16ELi32ELi8ELc84ELc84ELc85ELb0ELb0EfPKfS1_PfEviT_T9_T10_S3_lS5_S3_lS4_T11_S3_li: ; @_ZL29rocblas_internal_gemmt_kernelIlLi16ELi32ELi8ELc84ELc84ELc85ELb0ELb0EfPKfS1_PfEviT_T9_T10_S3_lS5_S3_lS4_T11_S3_li
; %bb.0:
	s_clause 0x1
	s_load_b256 s[24:31], s[0:1], 0x48
	s_load_b512 s[8:23], s[0:1], 0x8
	s_wait_kmcnt 0x0
	s_load_b32 s24, s[24:25], 0x0
	s_load_b32 s10, s[10:11], 0x0
	s_wait_kmcnt 0x0
	s_cmp_neq_f32 s24, 1.0
	s_cselect_b32 s2, -1, 0
	s_delay_alu instid0(SALU_CYCLE_1)
	s_and_b32 vcc_lo, exec_lo, s2
	s_cbranch_vccnz .LBB148_2
; %bb.1:
	s_cmp_lg_u64 s[8:9], 0
	s_cselect_b32 s2, -1, 0
	s_cmp_neq_f32 s10, 0
	s_cselect_b32 s3, -1, 0
	s_delay_alu instid0(SALU_CYCLE_1)
	s_and_b32 s2, s2, s3
.LBB148_2:
	s_delay_alu instid0(SALU_CYCLE_1)
	s_and_not1_b32 vcc_lo, exec_lo, s2
	s_cbranch_vccnz .LBB148_35
; %bb.3:
	s_load_b32 s11, s[0:1], 0x68
	s_lshr_b32 s6, ttmp7, 16
	s_wait_kmcnt 0x0
	s_cmp_ge_u32 s6, s11
	s_cbranch_scc1 .LBB148_35
; %bb.4:
	v_and_b32_e32 v2, 0x3ff, v0
	v_bfe_u32 v3, v0, 10, 10
	s_load_b32 s3, s[0:1], 0x0
	s_lshl_b32 s0, ttmp7, 5
	s_lshl_b32 s2, ttmp9, 5
	s_and_b32 s0, s0, 0x1fffe0
	v_lshl_add_u32 v4, v3, 4, v2
	v_add_nc_u32_e32 v11, s0, v3
	v_and_b32_e32 v12, 7, v0
	s_cmp_neq_f32 s10, 0
	v_lshl_add_u32 v21, v3, 5, 0x400
	v_lshrrev_b32_e32 v13, 5, v4
	v_mad_co_u64_u32 v[6:7], null, s28, v11, 0
	v_and_b32_e32 v5, 31, v4
	s_cselect_b32 s33, -1, 0
	s_ashr_i32 s1, s2, 31
	v_lshlrev_b32_e32 v9, 2, v12
	s_wait_alu 0xfffe
	s_mul_i32 s1, s14, s1
	v_or_b32_e32 v8, s2, v5
	v_lshrrev_b32_e32 v4, 3, v4
	v_add_nc_u32_e32 v22, 16, v11
	s_cmp_neq_f32 s24, 0
	v_cmp_gt_i64_e64 s25, s[8:9], 0
	v_mul_lo_u32 v10, s15, v8
	v_mad_co_u64_u32 v[0:1], null, s14, v8, 0
	s_mov_b32 s7, 0
	s_wait_alu 0xfffe
	v_add3_u32 v1, v1, s1, v10
	v_add_nc_u32_e32 v10, s0, v4
	v_lshl_or_b32 v4, v4, 5, v9
	s_wait_kmcnt 0x0
	v_cmp_gt_i32_e64 s0, s3, v8
	v_mad_co_u64_u32 v[8:9], null, s28, v22, 0
	v_lshlrev_b64_e32 v[0:1], 2, v[0:1]
	v_add_nc_u32_e32 v15, 0x400, v4
	v_lshlrev_b32_e32 v4, 2, v10
	v_cmp_gt_i32_e64 s1, s3, v10
	s_delay_alu instid0(VALU_DEP_4) | instskip(NEXT) | instid1(VALU_DEP_1)
	v_add_co_u32 v16, vcc_lo, s12, v0
	v_add_co_ci_u32_e64 v17, null, s13, v1, vcc_lo
	v_dual_mov_b32 v1, 0 :: v_dual_mov_b32 v0, v7
	v_add_co_u32 v18, s4, s18, v4
	v_lshlrev_b32_e32 v20, 2, v2
	v_add_nc_u32_e32 v2, s2, v2
	s_delay_alu instid0(VALU_DEP_4) | instskip(SKIP_2) | instid1(VALU_DEP_4)
	v_mad_co_u64_u32 v[3:4], null, s29, v11, v[0:1]
	v_mov_b32_e32 v0, v9
	v_cmp_gt_i32_e32 vcc_lo, s3, v11
	v_cmp_le_i32_e64 s2, v2, v11
	v_add_nc_u32_e32 v4, 16, v2
	v_lshlrev_b32_e32 v5, 2, v5
	v_mad_co_u64_u32 v[9:10], null, s29, v22, v[0:1]
	v_mov_b32_e32 v7, v3
	v_add_co_ci_u32_e64 v19, null, s19, 0, s4
	s_cselect_b32 s12, -1, 0
	s_and_b32 s13, vcc_lo, s2
	v_cmp_le_i32_e64 s2, v4, v11
	v_cmp_gt_i32_e64 s3, s3, v22
	v_cmp_le_i32_e64 s4, v2, v22
	v_cmp_le_i32_e64 s5, v4, v22
	v_lshlrev_b64_e32 v[6:7], 2, v[6:7]
	v_lshlrev_b64_e32 v[8:9], 2, v[8:9]
	v_lshl_or_b32 v14, v13, 7, v5
	v_ashrrev_i32_e32 v3, 31, v2
	v_ashrrev_i32_e32 v5, 31, v4
	s_and_b32 s14, s33, s25
	s_and_b32 s15, vcc_lo, s2
	s_and_b32 s4, s3, s4
	s_and_b32 s5, s3, s5
	s_branch .LBB148_6
.LBB148_5:                              ;   in Loop: Header=BB148_6 Depth=1
	s_wait_alu 0xfffe
	s_or_b32 exec_lo, exec_lo, s2
	s_add_co_i32 s6, s6, 0x10000
	s_delay_alu instid0(SALU_CYCLE_1)
	s_cmp_lt_u32 s6, s11
	s_cbranch_scc0 .LBB148_35
.LBB148_6:                              ; =>This Loop Header: Depth=1
                                        ;     Child Loop BB148_9 Depth 2
	v_dual_mov_b32 v11, v1 :: v_dual_mov_b32 v10, v1
	v_dual_mov_b32 v23, v1 :: v_dual_mov_b32 v22, v1
	s_wait_alu 0xfffe
	s_and_not1_b32 vcc_lo, exec_lo, s14
	s_wait_alu 0xfffe
	s_cbranch_vccnz .LBB148_15
; %bb.7:                                ;   in Loop: Header=BB148_6 Depth=1
	s_mul_u64 s[2:3], s[16:17], s[6:7]
	s_mul_u64 s[18:19], s[22:23], s[6:7]
	s_wait_alu 0xfffe
	s_lshl_b64 s[2:3], s[2:3], 2
	v_dual_mov_b32 v22, 0 :: v_dual_mov_b32 v23, 0
	s_wait_alu 0xfffe
	v_add_co_u32 v24, vcc_lo, v16, s2
	s_wait_alu 0xfffd
	v_add_co_ci_u32_e64 v25, null, s3, v17, vcc_lo
	s_lshl_b64 s[2:3], s[18:19], 2
	v_dual_mov_b32 v10, 0 :: v_dual_mov_b32 v11, 0
	s_wait_alu 0xfffe
	v_add_co_u32 v26, vcc_lo, v18, s2
	s_wait_alu 0xfffd
	v_add_co_ci_u32_e64 v27, null, s3, v19, vcc_lo
	s_mov_b64 s[2:3], 0
	s_branch .LBB148_9
.LBB148_8:                              ;   in Loop: Header=BB148_9 Depth=2
	s_wait_alu 0xfffe
	s_or_b32 exec_lo, exec_lo, s18
	s_wait_loadcnt 0x0
	ds_store_b32 v15, v29
	s_wait_dscnt 0x0
	s_barrier_signal -1
	s_barrier_wait -1
	global_inv scope:SCOPE_SE
	ds_load_b128 v[28:31], v21
	ds_load_2addr_b32 v[44:45], v20 offset1:16
	ds_load_b128 v[32:35], v21 offset:512
	ds_load_2addr_b32 v[46:47], v20 offset0:32 offset1:48
	ds_load_2addr_b32 v[48:49], v20 offset0:64 offset1:80
	;; [unrolled: 1-line block ×3, first 2 shown]
	ds_load_b128 v[36:39], v21 offset:16
	ds_load_2addr_b32 v[52:53], v20 offset0:128 offset1:144
	ds_load_b128 v[40:43], v21 offset:528
	ds_load_2addr_b32 v[54:55], v20 offset0:160 offset1:176
	s_add_nc_u64 s[2:3], s[2:3], 8
	s_wait_alu 0xfffe
	v_cmp_gt_i64_e64 s18, s[8:9], s[2:3]
	s_and_b32 vcc_lo, exec_lo, s18
	s_wait_dscnt 0x8
	v_fmac_f32_e32 v10, v45, v28
	v_fmac_f32_e32 v11, v44, v28
	s_wait_dscnt 0x7
	v_fmac_f32_e32 v22, v45, v32
	v_fmac_f32_e32 v23, v44, v32
	ds_load_2addr_b32 v[44:45], v20 offset0:192 offset1:208
	s_wait_dscnt 0x7
	v_fmac_f32_e32 v10, v47, v29
	v_fmac_f32_e32 v11, v46, v29
	;; [unrolled: 1-line block ×4, first 2 shown]
	ds_load_2addr_b32 v[28:29], v20 offset0:224 offset1:240
	s_wait_dscnt 0x7
	v_fmac_f32_e32 v10, v49, v30
	v_fmac_f32_e32 v11, v48, v30
	;; [unrolled: 1-line block ×4, first 2 shown]
	s_wait_loadcnt_dscnt 0x0
	v_fmac_f32_e32 v10, v51, v31
	v_fmac_f32_e32 v11, v50, v31
	v_fmac_f32_e32 v22, v51, v35
	v_fmac_f32_e32 v23, v50, v35
	s_barrier_signal -1
	v_fmac_f32_e32 v10, v53, v36
	v_fmac_f32_e32 v11, v52, v36
	;; [unrolled: 1-line block ×4, first 2 shown]
	s_barrier_wait -1
	v_fmac_f32_e32 v10, v55, v37
	v_fmac_f32_e32 v11, v54, v37
	;; [unrolled: 1-line block ×4, first 2 shown]
	global_inv scope:SCOPE_SE
	v_fmac_f32_e32 v10, v45, v38
	v_fmac_f32_e32 v11, v44, v38
	;; [unrolled: 1-line block ×3, first 2 shown]
	s_delay_alu instid0(VALU_DEP_3) | instskip(NEXT) | instid1(VALU_DEP_3)
	v_dual_fmac_f32 v23, v44, v42 :: v_dual_fmac_f32 v10, v29, v39
	v_fmac_f32_e32 v11, v28, v39
	s_delay_alu instid0(VALU_DEP_3) | instskip(NEXT) | instid1(VALU_DEP_3)
	v_fmac_f32_e32 v22, v29, v43
	v_fmac_f32_e32 v23, v28, v43
	s_wait_alu 0xfffe
	s_cbranch_vccz .LBB148_15
.LBB148_9:                              ;   Parent Loop BB148_6 Depth=1
                                        ; =>  This Inner Loop Header: Depth=2
	v_mov_b32_e32 v28, 0
	s_and_saveexec_b32 s18, s0
	s_cbranch_execz .LBB148_13
; %bb.10:                               ;   in Loop: Header=BB148_9 Depth=2
	s_wait_alu 0xfffe
	v_add_nc_u32_e32 v0, s2, v13
	v_mov_b32_e32 v28, 0
	s_mov_b32 s19, exec_lo
	s_delay_alu instid0(VALU_DEP_2)
	v_cmpx_gt_u64_e64 s[8:9], v[0:1]
	s_cbranch_execz .LBB148_12
; %bb.11:                               ;   in Loop: Header=BB148_9 Depth=2
	v_lshlrev_b64_e32 v[28:29], 2, v[0:1]
	s_delay_alu instid0(VALU_DEP_1) | instskip(SKIP_1) | instid1(VALU_DEP_2)
	v_add_co_u32 v28, vcc_lo, v24, v28
	s_wait_alu 0xfffd
	v_add_co_ci_u32_e64 v29, null, v25, v29, vcc_lo
	global_load_b32 v28, v[28:29], off
.LBB148_12:                             ;   in Loop: Header=BB148_9 Depth=2
	s_wait_alu 0xfffe
	s_or_b32 exec_lo, exec_lo, s19
.LBB148_13:                             ;   in Loop: Header=BB148_9 Depth=2
	s_wait_alu 0xfffe
	s_or_b32 exec_lo, exec_lo, s18
	v_dual_mov_b32 v29, 0 :: v_dual_add_nc_u32 v0, s2, v12
	s_wait_loadcnt 0x0
	ds_store_b32 v14, v28
	v_cmp_gt_u64_e32 vcc_lo, s[8:9], v[0:1]
	s_and_b32 s19, vcc_lo, s1
	s_wait_alu 0xfffe
	s_and_saveexec_b32 s18, s19
	s_cbranch_execz .LBB148_8
; %bb.14:                               ;   in Loop: Header=BB148_9 Depth=2
	v_mad_co_u64_u32 v[28:29], null, s20, v0, 0
	s_delay_alu instid0(VALU_DEP_1) | instskip(NEXT) | instid1(VALU_DEP_1)
	v_mad_co_u64_u32 v[29:30], null, s21, v0, v[29:30]
	v_lshlrev_b64_e32 v[28:29], 2, v[28:29]
	s_delay_alu instid0(VALU_DEP_1) | instskip(SKIP_1) | instid1(VALU_DEP_2)
	v_add_co_u32 v28, vcc_lo, v26, v28
	s_wait_alu 0xfffd
	v_add_co_ci_u32_e64 v29, null, v27, v29, vcc_lo
	global_load_b32 v29, v[28:29], off
	s_branch .LBB148_8
.LBB148_15:                             ;   in Loop: Header=BB148_6 Depth=1
	s_mul_u64 s[2:3], s[30:31], s[6:7]
	s_wait_alu 0xfffe
	s_lshl_b64 s[2:3], s[2:3], 2
	s_wait_alu 0xfffe
	s_add_nc_u64 s[2:3], s[26:27], s[2:3]
	s_wait_alu 0xfffe
	v_add_co_u32 v0, vcc_lo, s2, v6
	s_wait_alu 0xfffd
	v_add_co_ci_u32_e64 v24, null, s3, v7, vcc_lo
	s_and_saveexec_b32 s18, s13
	s_cbranch_execz .LBB148_19
; %bb.16:                               ;   in Loop: Header=BB148_6 Depth=1
	v_mul_f32_e32 v11, s10, v11
	s_and_b32 vcc_lo, exec_lo, s12
	s_wait_alu 0xfffe
	s_cbranch_vccz .LBB148_30
; %bb.17:                               ;   in Loop: Header=BB148_6 Depth=1
	v_lshlrev_b64_e32 v[25:26], 2, v[2:3]
	s_delay_alu instid0(VALU_DEP_1) | instskip(SKIP_1) | instid1(VALU_DEP_2)
	v_add_co_u32 v25, vcc_lo, v0, v25
	s_wait_alu 0xfffd
	v_add_co_ci_u32_e64 v26, null, v24, v26, vcc_lo
	global_load_b32 v27, v[25:26], off
	s_wait_loadcnt 0x0
	v_fma_f32 v27, s24, v27, v11
	global_store_b32 v[25:26], v27, off
	s_cbranch_execnz .LBB148_19
.LBB148_18:                             ;   in Loop: Header=BB148_6 Depth=1
	v_lshlrev_b64_e32 v[25:26], 2, v[2:3]
	s_delay_alu instid0(VALU_DEP_1) | instskip(SKIP_1) | instid1(VALU_DEP_2)
	v_add_co_u32 v25, vcc_lo, v0, v25
	s_wait_alu 0xfffd
	v_add_co_ci_u32_e64 v26, null, v24, v26, vcc_lo
	global_store_b32 v[25:26], v11, off
.LBB148_19:                             ;   in Loop: Header=BB148_6 Depth=1
	s_wait_alu 0xfffe
	s_or_b32 exec_lo, exec_lo, s18
	s_and_saveexec_b32 s18, s15
	s_cbranch_execz .LBB148_23
; %bb.20:                               ;   in Loop: Header=BB148_6 Depth=1
	v_mul_f32_e32 v10, s10, v10
	s_and_not1_b32 vcc_lo, exec_lo, s12
	s_wait_alu 0xfffe
	s_cbranch_vccnz .LBB148_31
; %bb.21:                               ;   in Loop: Header=BB148_6 Depth=1
	v_lshlrev_b64_e32 v[25:26], 2, v[4:5]
	s_delay_alu instid0(VALU_DEP_1) | instskip(SKIP_1) | instid1(VALU_DEP_2)
	v_add_co_u32 v25, vcc_lo, v0, v25
	s_wait_alu 0xfffd
	v_add_co_ci_u32_e64 v26, null, v24, v26, vcc_lo
	global_load_b32 v11, v[25:26], off
	s_wait_loadcnt 0x0
	v_fma_f32 v11, s24, v11, v10
	global_store_b32 v[25:26], v11, off
	s_cbranch_execnz .LBB148_23
.LBB148_22:                             ;   in Loop: Header=BB148_6 Depth=1
	v_lshlrev_b64_e32 v[25:26], 2, v[4:5]
	s_delay_alu instid0(VALU_DEP_1) | instskip(SKIP_1) | instid1(VALU_DEP_2)
	v_add_co_u32 v25, vcc_lo, v0, v25
	s_wait_alu 0xfffd
	v_add_co_ci_u32_e64 v26, null, v24, v26, vcc_lo
	global_store_b32 v[25:26], v10, off
.LBB148_23:                             ;   in Loop: Header=BB148_6 Depth=1
	s_wait_alu 0xfffe
	s_or_b32 exec_lo, exec_lo, s18
	v_add_co_u32 v0, vcc_lo, s2, v8
	s_wait_alu 0xfffd
	v_add_co_ci_u32_e64 v24, null, s3, v9, vcc_lo
	s_and_saveexec_b32 s2, s4
	s_cbranch_execz .LBB148_27
; %bb.24:                               ;   in Loop: Header=BB148_6 Depth=1
	v_lshlrev_b64_e32 v[10:11], 2, v[2:3]
	v_mul_f32_e32 v23, s10, v23
	s_and_not1_b32 vcc_lo, exec_lo, s12
	s_wait_alu 0xfffe
	s_cbranch_vccnz .LBB148_32
; %bb.25:                               ;   in Loop: Header=BB148_6 Depth=1
	s_delay_alu instid0(VALU_DEP_2)
	v_add_co_u32 v25, vcc_lo, v0, v10
	s_wait_alu 0xfffd
	v_add_co_ci_u32_e64 v26, null, v24, v11, vcc_lo
	global_load_b32 v27, v[25:26], off
	s_wait_loadcnt 0x0
	v_fma_f32 v27, s24, v27, v23
	global_store_b32 v[25:26], v27, off
	s_cbranch_execnz .LBB148_27
.LBB148_26:                             ;   in Loop: Header=BB148_6 Depth=1
	v_add_co_u32 v10, vcc_lo, v0, v10
	s_wait_alu 0xfffd
	v_add_co_ci_u32_e64 v11, null, v24, v11, vcc_lo
	global_store_b32 v[10:11], v23, off
.LBB148_27:                             ;   in Loop: Header=BB148_6 Depth=1
	s_wait_alu 0xfffe
	s_or_b32 exec_lo, exec_lo, s2
	s_and_saveexec_b32 s2, s5
	s_cbranch_execz .LBB148_5
; %bb.28:                               ;   in Loop: Header=BB148_6 Depth=1
	v_lshlrev_b64_e32 v[10:11], 2, v[4:5]
	v_mul_f32_e32 v22, s10, v22
	s_and_not1_b32 vcc_lo, exec_lo, s12
	s_wait_alu 0xfffe
	s_cbranch_vccnz .LBB148_33
; %bb.29:                               ;   in Loop: Header=BB148_6 Depth=1
	s_delay_alu instid0(VALU_DEP_2)
	v_add_co_u32 v25, vcc_lo, v0, v10
	s_wait_alu 0xfffd
	v_add_co_ci_u32_e64 v26, null, v24, v11, vcc_lo
	global_load_b32 v23, v[25:26], off
	s_wait_loadcnt 0x0
	v_fma_f32 v23, s24, v23, v22
	global_store_b32 v[25:26], v23, off
	s_cbranch_execnz .LBB148_5
	s_branch .LBB148_34
.LBB148_30:                             ;   in Loop: Header=BB148_6 Depth=1
	s_branch .LBB148_18
.LBB148_31:                             ;   in Loop: Header=BB148_6 Depth=1
	s_branch .LBB148_22
.LBB148_32:                             ;   in Loop: Header=BB148_6 Depth=1
	s_branch .LBB148_26
.LBB148_33:                             ;   in Loop: Header=BB148_6 Depth=1
.LBB148_34:                             ;   in Loop: Header=BB148_6 Depth=1
	s_delay_alu instid0(VALU_DEP_2)
	v_add_co_u32 v10, vcc_lo, v0, v10
	s_wait_alu 0xfffd
	v_add_co_ci_u32_e64 v11, null, v24, v11, vcc_lo
	global_store_b32 v[10:11], v22, off
	s_branch .LBB148_5
.LBB148_35:
	s_endpgm
	.section	.rodata,"a",@progbits
	.p2align	6, 0x0
	.amdhsa_kernel _ZL29rocblas_internal_gemmt_kernelIlLi16ELi32ELi8ELc84ELc84ELc85ELb0ELb0EfPKfS1_PfEviT_T9_T10_S3_lS5_S3_lS4_T11_S3_li
		.amdhsa_group_segment_fixed_size 2048
		.amdhsa_private_segment_fixed_size 0
		.amdhsa_kernarg_size 108
		.amdhsa_user_sgpr_count 2
		.amdhsa_user_sgpr_dispatch_ptr 0
		.amdhsa_user_sgpr_queue_ptr 0
		.amdhsa_user_sgpr_kernarg_segment_ptr 1
		.amdhsa_user_sgpr_dispatch_id 0
		.amdhsa_user_sgpr_private_segment_size 0
		.amdhsa_wavefront_size32 1
		.amdhsa_uses_dynamic_stack 0
		.amdhsa_enable_private_segment 0
		.amdhsa_system_sgpr_workgroup_id_x 1
		.amdhsa_system_sgpr_workgroup_id_y 1
		.amdhsa_system_sgpr_workgroup_id_z 1
		.amdhsa_system_sgpr_workgroup_info 0
		.amdhsa_system_vgpr_workitem_id 1
		.amdhsa_next_free_vgpr 56
		.amdhsa_next_free_sgpr 34
		.amdhsa_reserve_vcc 1
		.amdhsa_float_round_mode_32 0
		.amdhsa_float_round_mode_16_64 0
		.amdhsa_float_denorm_mode_32 3
		.amdhsa_float_denorm_mode_16_64 3
		.amdhsa_fp16_overflow 0
		.amdhsa_workgroup_processor_mode 1
		.amdhsa_memory_ordered 1
		.amdhsa_forward_progress 1
		.amdhsa_inst_pref_size 15
		.amdhsa_round_robin_scheduling 0
		.amdhsa_exception_fp_ieee_invalid_op 0
		.amdhsa_exception_fp_denorm_src 0
		.amdhsa_exception_fp_ieee_div_zero 0
		.amdhsa_exception_fp_ieee_overflow 0
		.amdhsa_exception_fp_ieee_underflow 0
		.amdhsa_exception_fp_ieee_inexact 0
		.amdhsa_exception_int_div_zero 0
	.end_amdhsa_kernel
	.section	.text._ZL29rocblas_internal_gemmt_kernelIlLi16ELi32ELi8ELc84ELc84ELc85ELb0ELb0EfPKfS1_PfEviT_T9_T10_S3_lS5_S3_lS4_T11_S3_li,"axG",@progbits,_ZL29rocblas_internal_gemmt_kernelIlLi16ELi32ELi8ELc84ELc84ELc85ELb0ELb0EfPKfS1_PfEviT_T9_T10_S3_lS5_S3_lS4_T11_S3_li,comdat
.Lfunc_end148:
	.size	_ZL29rocblas_internal_gemmt_kernelIlLi16ELi32ELi8ELc84ELc84ELc85ELb0ELb0EfPKfS1_PfEviT_T9_T10_S3_lS5_S3_lS4_T11_S3_li, .Lfunc_end148-_ZL29rocblas_internal_gemmt_kernelIlLi16ELi32ELi8ELc84ELc84ELc85ELb0ELb0EfPKfS1_PfEviT_T9_T10_S3_lS5_S3_lS4_T11_S3_li
                                        ; -- End function
	.set _ZL29rocblas_internal_gemmt_kernelIlLi16ELi32ELi8ELc84ELc84ELc85ELb0ELb0EfPKfS1_PfEviT_T9_T10_S3_lS5_S3_lS4_T11_S3_li.num_vgpr, 56
	.set _ZL29rocblas_internal_gemmt_kernelIlLi16ELi32ELi8ELc84ELc84ELc85ELb0ELb0EfPKfS1_PfEviT_T9_T10_S3_lS5_S3_lS4_T11_S3_li.num_agpr, 0
	.set _ZL29rocblas_internal_gemmt_kernelIlLi16ELi32ELi8ELc84ELc84ELc85ELb0ELb0EfPKfS1_PfEviT_T9_T10_S3_lS5_S3_lS4_T11_S3_li.numbered_sgpr, 34
	.set _ZL29rocblas_internal_gemmt_kernelIlLi16ELi32ELi8ELc84ELc84ELc85ELb0ELb0EfPKfS1_PfEviT_T9_T10_S3_lS5_S3_lS4_T11_S3_li.num_named_barrier, 0
	.set _ZL29rocblas_internal_gemmt_kernelIlLi16ELi32ELi8ELc84ELc84ELc85ELb0ELb0EfPKfS1_PfEviT_T9_T10_S3_lS5_S3_lS4_T11_S3_li.private_seg_size, 0
	.set _ZL29rocblas_internal_gemmt_kernelIlLi16ELi32ELi8ELc84ELc84ELc85ELb0ELb0EfPKfS1_PfEviT_T9_T10_S3_lS5_S3_lS4_T11_S3_li.uses_vcc, 1
	.set _ZL29rocblas_internal_gemmt_kernelIlLi16ELi32ELi8ELc84ELc84ELc85ELb0ELb0EfPKfS1_PfEviT_T9_T10_S3_lS5_S3_lS4_T11_S3_li.uses_flat_scratch, 0
	.set _ZL29rocblas_internal_gemmt_kernelIlLi16ELi32ELi8ELc84ELc84ELc85ELb0ELb0EfPKfS1_PfEviT_T9_T10_S3_lS5_S3_lS4_T11_S3_li.has_dyn_sized_stack, 0
	.set _ZL29rocblas_internal_gemmt_kernelIlLi16ELi32ELi8ELc84ELc84ELc85ELb0ELb0EfPKfS1_PfEviT_T9_T10_S3_lS5_S3_lS4_T11_S3_li.has_recursion, 0
	.set _ZL29rocblas_internal_gemmt_kernelIlLi16ELi32ELi8ELc84ELc84ELc85ELb0ELb0EfPKfS1_PfEviT_T9_T10_S3_lS5_S3_lS4_T11_S3_li.has_indirect_call, 0
	.section	.AMDGPU.csdata,"",@progbits
; Kernel info:
; codeLenInByte = 1856
; TotalNumSgprs: 36
; NumVgprs: 56
; ScratchSize: 0
; MemoryBound: 0
; FloatMode: 240
; IeeeMode: 1
; LDSByteSize: 2048 bytes/workgroup (compile time only)
; SGPRBlocks: 0
; VGPRBlocks: 6
; NumSGPRsForWavesPerEU: 36
; NumVGPRsForWavesPerEU: 56
; Occupancy: 16
; WaveLimiterHint : 0
; COMPUTE_PGM_RSRC2:SCRATCH_EN: 0
; COMPUTE_PGM_RSRC2:USER_SGPR: 2
; COMPUTE_PGM_RSRC2:TRAP_HANDLER: 0
; COMPUTE_PGM_RSRC2:TGID_X_EN: 1
; COMPUTE_PGM_RSRC2:TGID_Y_EN: 1
; COMPUTE_PGM_RSRC2:TGID_Z_EN: 1
; COMPUTE_PGM_RSRC2:TIDIG_COMP_CNT: 1
	.section	.text._ZL29rocblas_internal_gemmt_kernelIlLi16ELi32ELi8ELc84ELc67ELc85ELb0ELb0EfPKfS1_PfEviT_T9_T10_S3_lS5_S3_lS4_T11_S3_li,"axG",@progbits,_ZL29rocblas_internal_gemmt_kernelIlLi16ELi32ELi8ELc84ELc67ELc85ELb0ELb0EfPKfS1_PfEviT_T9_T10_S3_lS5_S3_lS4_T11_S3_li,comdat
	.globl	_ZL29rocblas_internal_gemmt_kernelIlLi16ELi32ELi8ELc84ELc67ELc85ELb0ELb0EfPKfS1_PfEviT_T9_T10_S3_lS5_S3_lS4_T11_S3_li ; -- Begin function _ZL29rocblas_internal_gemmt_kernelIlLi16ELi32ELi8ELc84ELc67ELc85ELb0ELb0EfPKfS1_PfEviT_T9_T10_S3_lS5_S3_lS4_T11_S3_li
	.p2align	8
	.type	_ZL29rocblas_internal_gemmt_kernelIlLi16ELi32ELi8ELc84ELc67ELc85ELb0ELb0EfPKfS1_PfEviT_T9_T10_S3_lS5_S3_lS4_T11_S3_li,@function
_ZL29rocblas_internal_gemmt_kernelIlLi16ELi32ELi8ELc84ELc67ELc85ELb0ELb0EfPKfS1_PfEviT_T9_T10_S3_lS5_S3_lS4_T11_S3_li: ; @_ZL29rocblas_internal_gemmt_kernelIlLi16ELi32ELi8ELc84ELc67ELc85ELb0ELb0EfPKfS1_PfEviT_T9_T10_S3_lS5_S3_lS4_T11_S3_li
; %bb.0:
	s_clause 0x1
	s_load_b256 s[24:31], s[0:1], 0x48
	s_load_b512 s[8:23], s[0:1], 0x8
	s_wait_kmcnt 0x0
	s_load_b32 s24, s[24:25], 0x0
	s_load_b32 s10, s[10:11], 0x0
	s_wait_kmcnt 0x0
	s_cmp_neq_f32 s24, 1.0
	s_cselect_b32 s2, -1, 0
	s_delay_alu instid0(SALU_CYCLE_1)
	s_and_b32 vcc_lo, exec_lo, s2
	s_cbranch_vccnz .LBB149_2
; %bb.1:
	s_cmp_lg_u64 s[8:9], 0
	s_cselect_b32 s2, -1, 0
	s_cmp_neq_f32 s10, 0
	s_cselect_b32 s3, -1, 0
	s_delay_alu instid0(SALU_CYCLE_1)
	s_and_b32 s2, s2, s3
.LBB149_2:
	s_delay_alu instid0(SALU_CYCLE_1)
	s_and_not1_b32 vcc_lo, exec_lo, s2
	s_cbranch_vccnz .LBB149_35
; %bb.3:
	s_load_b32 s11, s[0:1], 0x68
	s_lshr_b32 s6, ttmp7, 16
	s_wait_kmcnt 0x0
	s_cmp_ge_u32 s6, s11
	s_cbranch_scc1 .LBB149_35
; %bb.4:
	v_and_b32_e32 v2, 0x3ff, v0
	v_bfe_u32 v3, v0, 10, 10
	s_load_b32 s3, s[0:1], 0x0
	s_lshl_b32 s0, ttmp7, 5
	s_lshl_b32 s2, ttmp9, 5
	s_and_b32 s0, s0, 0x1fffe0
	v_lshl_add_u32 v4, v3, 4, v2
	v_add_nc_u32_e32 v11, s0, v3
	v_and_b32_e32 v12, 7, v0
	s_cmp_neq_f32 s10, 0
	v_lshl_add_u32 v21, v3, 5, 0x400
	v_lshrrev_b32_e32 v13, 5, v4
	v_mad_co_u64_u32 v[6:7], null, s28, v11, 0
	v_and_b32_e32 v5, 31, v4
	s_cselect_b32 s33, -1, 0
	s_ashr_i32 s1, s2, 31
	v_lshlrev_b32_e32 v9, 2, v12
	s_wait_alu 0xfffe
	s_mul_i32 s1, s14, s1
	v_or_b32_e32 v8, s2, v5
	v_lshrrev_b32_e32 v4, 3, v4
	v_add_nc_u32_e32 v22, 16, v11
	s_cmp_neq_f32 s24, 0
	v_cmp_gt_i64_e64 s25, s[8:9], 0
	v_mul_lo_u32 v10, s15, v8
	v_mad_co_u64_u32 v[0:1], null, s14, v8, 0
	s_mov_b32 s7, 0
	s_wait_alu 0xfffe
	v_add3_u32 v1, v1, s1, v10
	v_add_nc_u32_e32 v10, s0, v4
	v_lshl_or_b32 v4, v4, 5, v9
	s_wait_kmcnt 0x0
	v_cmp_gt_i32_e64 s0, s3, v8
	v_mad_co_u64_u32 v[8:9], null, s28, v22, 0
	v_lshlrev_b64_e32 v[0:1], 2, v[0:1]
	v_add_nc_u32_e32 v15, 0x400, v4
	v_lshlrev_b32_e32 v4, 2, v10
	v_cmp_gt_i32_e64 s1, s3, v10
	s_delay_alu instid0(VALU_DEP_4) | instskip(NEXT) | instid1(VALU_DEP_1)
	v_add_co_u32 v16, vcc_lo, s12, v0
	v_add_co_ci_u32_e64 v17, null, s13, v1, vcc_lo
	v_dual_mov_b32 v1, 0 :: v_dual_mov_b32 v0, v7
	v_add_co_u32 v18, s4, s18, v4
	v_lshlrev_b32_e32 v20, 2, v2
	v_add_nc_u32_e32 v2, s2, v2
	s_delay_alu instid0(VALU_DEP_4) | instskip(SKIP_2) | instid1(VALU_DEP_4)
	v_mad_co_u64_u32 v[3:4], null, s29, v11, v[0:1]
	v_mov_b32_e32 v0, v9
	v_cmp_gt_i32_e32 vcc_lo, s3, v11
	v_cmp_le_i32_e64 s2, v2, v11
	v_add_nc_u32_e32 v4, 16, v2
	v_lshlrev_b32_e32 v5, 2, v5
	v_mad_co_u64_u32 v[9:10], null, s29, v22, v[0:1]
	v_mov_b32_e32 v7, v3
	v_add_co_ci_u32_e64 v19, null, s19, 0, s4
	s_cselect_b32 s12, -1, 0
	s_and_b32 s13, vcc_lo, s2
	v_cmp_le_i32_e64 s2, v4, v11
	v_cmp_gt_i32_e64 s3, s3, v22
	v_cmp_le_i32_e64 s4, v2, v22
	v_cmp_le_i32_e64 s5, v4, v22
	v_lshlrev_b64_e32 v[6:7], 2, v[6:7]
	v_lshlrev_b64_e32 v[8:9], 2, v[8:9]
	v_lshl_or_b32 v14, v13, 7, v5
	v_ashrrev_i32_e32 v3, 31, v2
	v_ashrrev_i32_e32 v5, 31, v4
	s_and_b32 s14, s33, s25
	s_and_b32 s15, vcc_lo, s2
	s_and_b32 s4, s3, s4
	s_and_b32 s5, s3, s5
	s_branch .LBB149_6
.LBB149_5:                              ;   in Loop: Header=BB149_6 Depth=1
	s_wait_alu 0xfffe
	s_or_b32 exec_lo, exec_lo, s2
	s_add_co_i32 s6, s6, 0x10000
	s_delay_alu instid0(SALU_CYCLE_1)
	s_cmp_lt_u32 s6, s11
	s_cbranch_scc0 .LBB149_35
.LBB149_6:                              ; =>This Loop Header: Depth=1
                                        ;     Child Loop BB149_9 Depth 2
	v_dual_mov_b32 v11, v1 :: v_dual_mov_b32 v10, v1
	v_dual_mov_b32 v23, v1 :: v_dual_mov_b32 v22, v1
	s_wait_alu 0xfffe
	s_and_not1_b32 vcc_lo, exec_lo, s14
	s_wait_alu 0xfffe
	s_cbranch_vccnz .LBB149_15
; %bb.7:                                ;   in Loop: Header=BB149_6 Depth=1
	s_mul_u64 s[2:3], s[16:17], s[6:7]
	s_mul_u64 s[18:19], s[22:23], s[6:7]
	s_wait_alu 0xfffe
	s_lshl_b64 s[2:3], s[2:3], 2
	v_dual_mov_b32 v22, 0 :: v_dual_mov_b32 v23, 0
	s_wait_alu 0xfffe
	v_add_co_u32 v24, vcc_lo, v16, s2
	s_wait_alu 0xfffd
	v_add_co_ci_u32_e64 v25, null, s3, v17, vcc_lo
	s_lshl_b64 s[2:3], s[18:19], 2
	v_dual_mov_b32 v10, 0 :: v_dual_mov_b32 v11, 0
	s_wait_alu 0xfffe
	v_add_co_u32 v26, vcc_lo, v18, s2
	s_wait_alu 0xfffd
	v_add_co_ci_u32_e64 v27, null, s3, v19, vcc_lo
	s_mov_b64 s[2:3], 0
	s_branch .LBB149_9
.LBB149_8:                              ;   in Loop: Header=BB149_9 Depth=2
	s_wait_alu 0xfffe
	s_or_b32 exec_lo, exec_lo, s18
	s_wait_loadcnt 0x0
	ds_store_b32 v15, v29
	s_wait_dscnt 0x0
	s_barrier_signal -1
	s_barrier_wait -1
	global_inv scope:SCOPE_SE
	ds_load_b128 v[28:31], v21
	ds_load_2addr_b32 v[44:45], v20 offset1:16
	ds_load_b128 v[32:35], v21 offset:512
	ds_load_2addr_b32 v[46:47], v20 offset0:32 offset1:48
	ds_load_2addr_b32 v[48:49], v20 offset0:64 offset1:80
	;; [unrolled: 1-line block ×3, first 2 shown]
	ds_load_b128 v[36:39], v21 offset:16
	ds_load_2addr_b32 v[52:53], v20 offset0:128 offset1:144
	ds_load_b128 v[40:43], v21 offset:528
	ds_load_2addr_b32 v[54:55], v20 offset0:160 offset1:176
	s_add_nc_u64 s[2:3], s[2:3], 8
	s_wait_alu 0xfffe
	v_cmp_gt_i64_e64 s18, s[8:9], s[2:3]
	s_and_b32 vcc_lo, exec_lo, s18
	s_wait_dscnt 0x8
	v_fmac_f32_e32 v10, v45, v28
	v_fmac_f32_e32 v11, v44, v28
	s_wait_dscnt 0x7
	v_fmac_f32_e32 v22, v45, v32
	v_fmac_f32_e32 v23, v44, v32
	ds_load_2addr_b32 v[44:45], v20 offset0:192 offset1:208
	s_wait_dscnt 0x7
	v_fmac_f32_e32 v10, v47, v29
	v_fmac_f32_e32 v11, v46, v29
	;; [unrolled: 1-line block ×4, first 2 shown]
	ds_load_2addr_b32 v[28:29], v20 offset0:224 offset1:240
	s_wait_dscnt 0x7
	v_fmac_f32_e32 v10, v49, v30
	v_fmac_f32_e32 v11, v48, v30
	;; [unrolled: 1-line block ×4, first 2 shown]
	s_wait_loadcnt_dscnt 0x0
	v_fmac_f32_e32 v10, v51, v31
	v_fmac_f32_e32 v11, v50, v31
	;; [unrolled: 1-line block ×4, first 2 shown]
	s_barrier_signal -1
	v_fmac_f32_e32 v10, v53, v36
	v_fmac_f32_e32 v11, v52, v36
	;; [unrolled: 1-line block ×4, first 2 shown]
	s_barrier_wait -1
	v_fmac_f32_e32 v10, v55, v37
	v_fmac_f32_e32 v11, v54, v37
	;; [unrolled: 1-line block ×4, first 2 shown]
	global_inv scope:SCOPE_SE
	v_fmac_f32_e32 v10, v45, v38
	v_fmac_f32_e32 v11, v44, v38
	;; [unrolled: 1-line block ×3, first 2 shown]
	s_delay_alu instid0(VALU_DEP_3) | instskip(NEXT) | instid1(VALU_DEP_3)
	v_dual_fmac_f32 v23, v44, v42 :: v_dual_fmac_f32 v10, v29, v39
	v_fmac_f32_e32 v11, v28, v39
	s_delay_alu instid0(VALU_DEP_3) | instskip(NEXT) | instid1(VALU_DEP_3)
	v_fmac_f32_e32 v22, v29, v43
	v_fmac_f32_e32 v23, v28, v43
	s_wait_alu 0xfffe
	s_cbranch_vccz .LBB149_15
.LBB149_9:                              ;   Parent Loop BB149_6 Depth=1
                                        ; =>  This Inner Loop Header: Depth=2
	v_mov_b32_e32 v28, 0
	s_and_saveexec_b32 s18, s0
	s_cbranch_execz .LBB149_13
; %bb.10:                               ;   in Loop: Header=BB149_9 Depth=2
	s_wait_alu 0xfffe
	v_add_nc_u32_e32 v0, s2, v13
	v_mov_b32_e32 v28, 0
	s_mov_b32 s19, exec_lo
	s_delay_alu instid0(VALU_DEP_2)
	v_cmpx_gt_u64_e64 s[8:9], v[0:1]
	s_cbranch_execz .LBB149_12
; %bb.11:                               ;   in Loop: Header=BB149_9 Depth=2
	v_lshlrev_b64_e32 v[28:29], 2, v[0:1]
	s_delay_alu instid0(VALU_DEP_1) | instskip(SKIP_1) | instid1(VALU_DEP_2)
	v_add_co_u32 v28, vcc_lo, v24, v28
	s_wait_alu 0xfffd
	v_add_co_ci_u32_e64 v29, null, v25, v29, vcc_lo
	global_load_b32 v28, v[28:29], off
.LBB149_12:                             ;   in Loop: Header=BB149_9 Depth=2
	s_wait_alu 0xfffe
	s_or_b32 exec_lo, exec_lo, s19
.LBB149_13:                             ;   in Loop: Header=BB149_9 Depth=2
	s_wait_alu 0xfffe
	s_or_b32 exec_lo, exec_lo, s18
	v_dual_mov_b32 v29, 0 :: v_dual_add_nc_u32 v0, s2, v12
	s_wait_loadcnt 0x0
	ds_store_b32 v14, v28
	v_cmp_gt_u64_e32 vcc_lo, s[8:9], v[0:1]
	s_and_b32 s19, vcc_lo, s1
	s_wait_alu 0xfffe
	s_and_saveexec_b32 s18, s19
	s_cbranch_execz .LBB149_8
; %bb.14:                               ;   in Loop: Header=BB149_9 Depth=2
	v_mad_co_u64_u32 v[28:29], null, s20, v0, 0
	s_delay_alu instid0(VALU_DEP_1) | instskip(NEXT) | instid1(VALU_DEP_1)
	v_mad_co_u64_u32 v[29:30], null, s21, v0, v[29:30]
	v_lshlrev_b64_e32 v[28:29], 2, v[28:29]
	s_delay_alu instid0(VALU_DEP_1) | instskip(SKIP_1) | instid1(VALU_DEP_2)
	v_add_co_u32 v28, vcc_lo, v26, v28
	s_wait_alu 0xfffd
	v_add_co_ci_u32_e64 v29, null, v27, v29, vcc_lo
	global_load_b32 v29, v[28:29], off
	s_branch .LBB149_8
.LBB149_15:                             ;   in Loop: Header=BB149_6 Depth=1
	s_mul_u64 s[2:3], s[30:31], s[6:7]
	s_wait_alu 0xfffe
	s_lshl_b64 s[2:3], s[2:3], 2
	s_wait_alu 0xfffe
	s_add_nc_u64 s[2:3], s[26:27], s[2:3]
	s_wait_alu 0xfffe
	v_add_co_u32 v0, vcc_lo, s2, v6
	s_wait_alu 0xfffd
	v_add_co_ci_u32_e64 v24, null, s3, v7, vcc_lo
	s_and_saveexec_b32 s18, s13
	s_cbranch_execz .LBB149_19
; %bb.16:                               ;   in Loop: Header=BB149_6 Depth=1
	v_mul_f32_e32 v11, s10, v11
	s_and_b32 vcc_lo, exec_lo, s12
	s_wait_alu 0xfffe
	s_cbranch_vccz .LBB149_30
; %bb.17:                               ;   in Loop: Header=BB149_6 Depth=1
	v_lshlrev_b64_e32 v[25:26], 2, v[2:3]
	s_delay_alu instid0(VALU_DEP_1) | instskip(SKIP_1) | instid1(VALU_DEP_2)
	v_add_co_u32 v25, vcc_lo, v0, v25
	s_wait_alu 0xfffd
	v_add_co_ci_u32_e64 v26, null, v24, v26, vcc_lo
	global_load_b32 v27, v[25:26], off
	s_wait_loadcnt 0x0
	v_fma_f32 v27, s24, v27, v11
	global_store_b32 v[25:26], v27, off
	s_cbranch_execnz .LBB149_19
.LBB149_18:                             ;   in Loop: Header=BB149_6 Depth=1
	v_lshlrev_b64_e32 v[25:26], 2, v[2:3]
	s_delay_alu instid0(VALU_DEP_1) | instskip(SKIP_1) | instid1(VALU_DEP_2)
	v_add_co_u32 v25, vcc_lo, v0, v25
	s_wait_alu 0xfffd
	v_add_co_ci_u32_e64 v26, null, v24, v26, vcc_lo
	global_store_b32 v[25:26], v11, off
.LBB149_19:                             ;   in Loop: Header=BB149_6 Depth=1
	s_wait_alu 0xfffe
	s_or_b32 exec_lo, exec_lo, s18
	s_and_saveexec_b32 s18, s15
	s_cbranch_execz .LBB149_23
; %bb.20:                               ;   in Loop: Header=BB149_6 Depth=1
	v_mul_f32_e32 v10, s10, v10
	s_and_not1_b32 vcc_lo, exec_lo, s12
	s_wait_alu 0xfffe
	s_cbranch_vccnz .LBB149_31
; %bb.21:                               ;   in Loop: Header=BB149_6 Depth=1
	v_lshlrev_b64_e32 v[25:26], 2, v[4:5]
	s_delay_alu instid0(VALU_DEP_1) | instskip(SKIP_1) | instid1(VALU_DEP_2)
	v_add_co_u32 v25, vcc_lo, v0, v25
	s_wait_alu 0xfffd
	v_add_co_ci_u32_e64 v26, null, v24, v26, vcc_lo
	global_load_b32 v11, v[25:26], off
	s_wait_loadcnt 0x0
	v_fma_f32 v11, s24, v11, v10
	global_store_b32 v[25:26], v11, off
	s_cbranch_execnz .LBB149_23
.LBB149_22:                             ;   in Loop: Header=BB149_6 Depth=1
	v_lshlrev_b64_e32 v[25:26], 2, v[4:5]
	s_delay_alu instid0(VALU_DEP_1) | instskip(SKIP_1) | instid1(VALU_DEP_2)
	v_add_co_u32 v25, vcc_lo, v0, v25
	s_wait_alu 0xfffd
	v_add_co_ci_u32_e64 v26, null, v24, v26, vcc_lo
	global_store_b32 v[25:26], v10, off
.LBB149_23:                             ;   in Loop: Header=BB149_6 Depth=1
	s_wait_alu 0xfffe
	s_or_b32 exec_lo, exec_lo, s18
	v_add_co_u32 v0, vcc_lo, s2, v8
	s_wait_alu 0xfffd
	v_add_co_ci_u32_e64 v24, null, s3, v9, vcc_lo
	s_and_saveexec_b32 s2, s4
	s_cbranch_execz .LBB149_27
; %bb.24:                               ;   in Loop: Header=BB149_6 Depth=1
	v_lshlrev_b64_e32 v[10:11], 2, v[2:3]
	v_mul_f32_e32 v23, s10, v23
	s_and_not1_b32 vcc_lo, exec_lo, s12
	s_wait_alu 0xfffe
	s_cbranch_vccnz .LBB149_32
; %bb.25:                               ;   in Loop: Header=BB149_6 Depth=1
	s_delay_alu instid0(VALU_DEP_2)
	v_add_co_u32 v25, vcc_lo, v0, v10
	s_wait_alu 0xfffd
	v_add_co_ci_u32_e64 v26, null, v24, v11, vcc_lo
	global_load_b32 v27, v[25:26], off
	s_wait_loadcnt 0x0
	v_fma_f32 v27, s24, v27, v23
	global_store_b32 v[25:26], v27, off
	s_cbranch_execnz .LBB149_27
.LBB149_26:                             ;   in Loop: Header=BB149_6 Depth=1
	v_add_co_u32 v10, vcc_lo, v0, v10
	s_wait_alu 0xfffd
	v_add_co_ci_u32_e64 v11, null, v24, v11, vcc_lo
	global_store_b32 v[10:11], v23, off
.LBB149_27:                             ;   in Loop: Header=BB149_6 Depth=1
	s_wait_alu 0xfffe
	s_or_b32 exec_lo, exec_lo, s2
	s_and_saveexec_b32 s2, s5
	s_cbranch_execz .LBB149_5
; %bb.28:                               ;   in Loop: Header=BB149_6 Depth=1
	v_lshlrev_b64_e32 v[10:11], 2, v[4:5]
	v_mul_f32_e32 v22, s10, v22
	s_and_not1_b32 vcc_lo, exec_lo, s12
	s_wait_alu 0xfffe
	s_cbranch_vccnz .LBB149_33
; %bb.29:                               ;   in Loop: Header=BB149_6 Depth=1
	s_delay_alu instid0(VALU_DEP_2)
	v_add_co_u32 v25, vcc_lo, v0, v10
	s_wait_alu 0xfffd
	v_add_co_ci_u32_e64 v26, null, v24, v11, vcc_lo
	global_load_b32 v23, v[25:26], off
	s_wait_loadcnt 0x0
	v_fma_f32 v23, s24, v23, v22
	global_store_b32 v[25:26], v23, off
	s_cbranch_execnz .LBB149_5
	s_branch .LBB149_34
.LBB149_30:                             ;   in Loop: Header=BB149_6 Depth=1
	s_branch .LBB149_18
.LBB149_31:                             ;   in Loop: Header=BB149_6 Depth=1
	s_branch .LBB149_22
.LBB149_32:                             ;   in Loop: Header=BB149_6 Depth=1
	s_branch .LBB149_26
.LBB149_33:                             ;   in Loop: Header=BB149_6 Depth=1
.LBB149_34:                             ;   in Loop: Header=BB149_6 Depth=1
	s_delay_alu instid0(VALU_DEP_2)
	v_add_co_u32 v10, vcc_lo, v0, v10
	s_wait_alu 0xfffd
	v_add_co_ci_u32_e64 v11, null, v24, v11, vcc_lo
	global_store_b32 v[10:11], v22, off
	s_branch .LBB149_5
.LBB149_35:
	s_endpgm
	.section	.rodata,"a",@progbits
	.p2align	6, 0x0
	.amdhsa_kernel _ZL29rocblas_internal_gemmt_kernelIlLi16ELi32ELi8ELc84ELc67ELc85ELb0ELb0EfPKfS1_PfEviT_T9_T10_S3_lS5_S3_lS4_T11_S3_li
		.amdhsa_group_segment_fixed_size 2048
		.amdhsa_private_segment_fixed_size 0
		.amdhsa_kernarg_size 108
		.amdhsa_user_sgpr_count 2
		.amdhsa_user_sgpr_dispatch_ptr 0
		.amdhsa_user_sgpr_queue_ptr 0
		.amdhsa_user_sgpr_kernarg_segment_ptr 1
		.amdhsa_user_sgpr_dispatch_id 0
		.amdhsa_user_sgpr_private_segment_size 0
		.amdhsa_wavefront_size32 1
		.amdhsa_uses_dynamic_stack 0
		.amdhsa_enable_private_segment 0
		.amdhsa_system_sgpr_workgroup_id_x 1
		.amdhsa_system_sgpr_workgroup_id_y 1
		.amdhsa_system_sgpr_workgroup_id_z 1
		.amdhsa_system_sgpr_workgroup_info 0
		.amdhsa_system_vgpr_workitem_id 1
		.amdhsa_next_free_vgpr 56
		.amdhsa_next_free_sgpr 34
		.amdhsa_reserve_vcc 1
		.amdhsa_float_round_mode_32 0
		.amdhsa_float_round_mode_16_64 0
		.amdhsa_float_denorm_mode_32 3
		.amdhsa_float_denorm_mode_16_64 3
		.amdhsa_fp16_overflow 0
		.amdhsa_workgroup_processor_mode 1
		.amdhsa_memory_ordered 1
		.amdhsa_forward_progress 1
		.amdhsa_inst_pref_size 15
		.amdhsa_round_robin_scheduling 0
		.amdhsa_exception_fp_ieee_invalid_op 0
		.amdhsa_exception_fp_denorm_src 0
		.amdhsa_exception_fp_ieee_div_zero 0
		.amdhsa_exception_fp_ieee_overflow 0
		.amdhsa_exception_fp_ieee_underflow 0
		.amdhsa_exception_fp_ieee_inexact 0
		.amdhsa_exception_int_div_zero 0
	.end_amdhsa_kernel
	.section	.text._ZL29rocblas_internal_gemmt_kernelIlLi16ELi32ELi8ELc84ELc67ELc85ELb0ELb0EfPKfS1_PfEviT_T9_T10_S3_lS5_S3_lS4_T11_S3_li,"axG",@progbits,_ZL29rocblas_internal_gemmt_kernelIlLi16ELi32ELi8ELc84ELc67ELc85ELb0ELb0EfPKfS1_PfEviT_T9_T10_S3_lS5_S3_lS4_T11_S3_li,comdat
.Lfunc_end149:
	.size	_ZL29rocblas_internal_gemmt_kernelIlLi16ELi32ELi8ELc84ELc67ELc85ELb0ELb0EfPKfS1_PfEviT_T9_T10_S3_lS5_S3_lS4_T11_S3_li, .Lfunc_end149-_ZL29rocblas_internal_gemmt_kernelIlLi16ELi32ELi8ELc84ELc67ELc85ELb0ELb0EfPKfS1_PfEviT_T9_T10_S3_lS5_S3_lS4_T11_S3_li
                                        ; -- End function
	.set _ZL29rocblas_internal_gemmt_kernelIlLi16ELi32ELi8ELc84ELc67ELc85ELb0ELb0EfPKfS1_PfEviT_T9_T10_S3_lS5_S3_lS4_T11_S3_li.num_vgpr, 56
	.set _ZL29rocblas_internal_gemmt_kernelIlLi16ELi32ELi8ELc84ELc67ELc85ELb0ELb0EfPKfS1_PfEviT_T9_T10_S3_lS5_S3_lS4_T11_S3_li.num_agpr, 0
	.set _ZL29rocblas_internal_gemmt_kernelIlLi16ELi32ELi8ELc84ELc67ELc85ELb0ELb0EfPKfS1_PfEviT_T9_T10_S3_lS5_S3_lS4_T11_S3_li.numbered_sgpr, 34
	.set _ZL29rocblas_internal_gemmt_kernelIlLi16ELi32ELi8ELc84ELc67ELc85ELb0ELb0EfPKfS1_PfEviT_T9_T10_S3_lS5_S3_lS4_T11_S3_li.num_named_barrier, 0
	.set _ZL29rocblas_internal_gemmt_kernelIlLi16ELi32ELi8ELc84ELc67ELc85ELb0ELb0EfPKfS1_PfEviT_T9_T10_S3_lS5_S3_lS4_T11_S3_li.private_seg_size, 0
	.set _ZL29rocblas_internal_gemmt_kernelIlLi16ELi32ELi8ELc84ELc67ELc85ELb0ELb0EfPKfS1_PfEviT_T9_T10_S3_lS5_S3_lS4_T11_S3_li.uses_vcc, 1
	.set _ZL29rocblas_internal_gemmt_kernelIlLi16ELi32ELi8ELc84ELc67ELc85ELb0ELb0EfPKfS1_PfEviT_T9_T10_S3_lS5_S3_lS4_T11_S3_li.uses_flat_scratch, 0
	.set _ZL29rocblas_internal_gemmt_kernelIlLi16ELi32ELi8ELc84ELc67ELc85ELb0ELb0EfPKfS1_PfEviT_T9_T10_S3_lS5_S3_lS4_T11_S3_li.has_dyn_sized_stack, 0
	.set _ZL29rocblas_internal_gemmt_kernelIlLi16ELi32ELi8ELc84ELc67ELc85ELb0ELb0EfPKfS1_PfEviT_T9_T10_S3_lS5_S3_lS4_T11_S3_li.has_recursion, 0
	.set _ZL29rocblas_internal_gemmt_kernelIlLi16ELi32ELi8ELc84ELc67ELc85ELb0ELb0EfPKfS1_PfEviT_T9_T10_S3_lS5_S3_lS4_T11_S3_li.has_indirect_call, 0
	.section	.AMDGPU.csdata,"",@progbits
; Kernel info:
; codeLenInByte = 1856
; TotalNumSgprs: 36
; NumVgprs: 56
; ScratchSize: 0
; MemoryBound: 0
; FloatMode: 240
; IeeeMode: 1
; LDSByteSize: 2048 bytes/workgroup (compile time only)
; SGPRBlocks: 0
; VGPRBlocks: 6
; NumSGPRsForWavesPerEU: 36
; NumVGPRsForWavesPerEU: 56
; Occupancy: 16
; WaveLimiterHint : 0
; COMPUTE_PGM_RSRC2:SCRATCH_EN: 0
; COMPUTE_PGM_RSRC2:USER_SGPR: 2
; COMPUTE_PGM_RSRC2:TRAP_HANDLER: 0
; COMPUTE_PGM_RSRC2:TGID_X_EN: 1
; COMPUTE_PGM_RSRC2:TGID_Y_EN: 1
; COMPUTE_PGM_RSRC2:TGID_Z_EN: 1
; COMPUTE_PGM_RSRC2:TIDIG_COMP_CNT: 1
	.section	.text._ZL29rocblas_internal_gemmt_kernelIlLi16ELi32ELi8ELc67ELc78ELc85ELb0ELb0EfPKfS1_PfEviT_T9_T10_S3_lS5_S3_lS4_T11_S3_li,"axG",@progbits,_ZL29rocblas_internal_gemmt_kernelIlLi16ELi32ELi8ELc67ELc78ELc85ELb0ELb0EfPKfS1_PfEviT_T9_T10_S3_lS5_S3_lS4_T11_S3_li,comdat
	.globl	_ZL29rocblas_internal_gemmt_kernelIlLi16ELi32ELi8ELc67ELc78ELc85ELb0ELb0EfPKfS1_PfEviT_T9_T10_S3_lS5_S3_lS4_T11_S3_li ; -- Begin function _ZL29rocblas_internal_gemmt_kernelIlLi16ELi32ELi8ELc67ELc78ELc85ELb0ELb0EfPKfS1_PfEviT_T9_T10_S3_lS5_S3_lS4_T11_S3_li
	.p2align	8
	.type	_ZL29rocblas_internal_gemmt_kernelIlLi16ELi32ELi8ELc67ELc78ELc85ELb0ELb0EfPKfS1_PfEviT_T9_T10_S3_lS5_S3_lS4_T11_S3_li,@function
_ZL29rocblas_internal_gemmt_kernelIlLi16ELi32ELi8ELc67ELc78ELc85ELb0ELb0EfPKfS1_PfEviT_T9_T10_S3_lS5_S3_lS4_T11_S3_li: ; @_ZL29rocblas_internal_gemmt_kernelIlLi16ELi32ELi8ELc67ELc78ELc85ELb0ELb0EfPKfS1_PfEviT_T9_T10_S3_lS5_S3_lS4_T11_S3_li
; %bb.0:
	s_clause 0x1
	s_load_b256 s[24:31], s[0:1], 0x48
	s_load_b512 s[8:23], s[0:1], 0x8
	s_wait_kmcnt 0x0
	s_load_b32 s24, s[24:25], 0x0
	s_load_b32 s10, s[10:11], 0x0
	s_wait_kmcnt 0x0
	s_cmp_neq_f32 s24, 1.0
	s_cselect_b32 s2, -1, 0
	s_delay_alu instid0(SALU_CYCLE_1)
	s_and_b32 vcc_lo, exec_lo, s2
	s_cbranch_vccnz .LBB150_2
; %bb.1:
	s_cmp_lg_u64 s[8:9], 0
	s_cselect_b32 s2, -1, 0
	s_cmp_neq_f32 s10, 0
	s_cselect_b32 s3, -1, 0
	s_delay_alu instid0(SALU_CYCLE_1)
	s_and_b32 s2, s2, s3
.LBB150_2:
	s_delay_alu instid0(SALU_CYCLE_1)
	s_and_not1_b32 vcc_lo, exec_lo, s2
	s_cbranch_vccnz .LBB150_35
; %bb.3:
	s_load_b32 s11, s[0:1], 0x68
	s_lshr_b32 s6, ttmp7, 16
	s_wait_kmcnt 0x0
	s_cmp_ge_u32 s6, s11
	s_cbranch_scc1 .LBB150_35
; %bb.4:
	v_and_b32_e32 v10, 0x3ff, v0
	v_bfe_u32 v11, v0, 10, 10
	s_load_b32 s3, s[0:1], 0x0
	s_lshl_b32 s0, ttmp7, 5
	s_lshl_b32 s2, ttmp9, 5
	s_and_b32 s0, s0, 0x1fffe0
	v_lshl_add_u32 v2, v11, 4, v10
	v_add_nc_u32_e32 v22, s0, v11
	s_cmp_neq_f32 s10, 0
	v_cmp_gt_i64_e64 s25, s[8:9], 0
	v_lshl_add_u32 v21, v11, 5, 0x400
	v_lshrrev_b32_e32 v8, 3, v2
	v_and_b32_e32 v15, 31, v2
	v_lshrrev_b32_e32 v14, 5, v2
	v_mad_co_u64_u32 v[6:7], null, s28, v22, 0
	s_delay_alu instid0(VALU_DEP_4) | instskip(NEXT) | instid1(VALU_DEP_4)
	v_add_nc_u32_e32 v16, s0, v8
	v_or_b32_e32 v17, s2, v15
	v_and_b32_e32 v12, 7, v0
	v_add_nc_u32_e32 v23, 16, v22
	s_mov_b32 s7, 0
	v_mad_co_u64_u32 v[0:1], null, s20, v16, 0
	v_mad_co_u64_u32 v[2:3], null, s14, v17, 0
	v_mul_lo_u32 v18, s15, v17
	s_cselect_b32 s20, -1, 0
	s_ashr_i32 s1, s2, 31
	v_lshlrev_b32_e32 v9, 2, v12
	s_wait_alu 0xfffe
	s_mul_i32 s0, s14, s1
	s_cmp_neq_f32 s24, 0
	v_mad_co_u64_u32 v[4:5], null, s21, v16, v[1:2]
	s_wait_alu 0xfffe
	v_add3_u32 v3, v3, s0, v18
	v_lshl_or_b32 v19, v8, 5, v9
	v_mad_co_u64_u32 v[8:9], null, s28, v23, 0
	s_wait_kmcnt 0x0
	v_cmp_gt_i32_e64 s0, s3, v17
	v_lshlrev_b64_e32 v[2:3], 2, v[2:3]
	v_mov_b32_e32 v1, v4
	v_lshlrev_b32_e32 v5, 2, v15
	v_lshlrev_b32_e32 v13, 2, v10
	s_delay_alu instid0(VALU_DEP_4) | instskip(NEXT) | instid1(VALU_DEP_4)
	v_add_co_u32 v17, vcc_lo, s12, v2
	v_lshlrev_b64_e32 v[0:1], 2, v[0:1]
	v_add_co_ci_u32_e64 v18, null, s13, v3, vcc_lo
	v_mov_b32_e32 v3, v9
	v_lshl_or_b32 v15, v14, 7, v5
	v_cmp_gt_i32_e64 s1, s3, v16
	s_cselect_b32 s12, -1, 0
	s_and_b32 s14, s20, s25
	v_mad_co_u64_u32 v[4:5], null, s29, v23, v[3:4]
	v_add_nc_u32_e32 v16, 0x400, v19
	v_add_co_u32 v19, vcc_lo, s18, v0
	s_wait_alu 0xfffd
	v_add_co_ci_u32_e64 v20, null, s19, v1, vcc_lo
	v_dual_mov_b32 v1, v7 :: v_dual_add_nc_u32 v0, s2, v10
	v_mov_b32_e32 v5, 0
	v_mov_b32_e32 v9, v4
	s_delay_alu instid0(VALU_DEP_3) | instskip(NEXT) | instid1(VALU_DEP_4)
	v_mad_co_u64_u32 v[1:2], null, s29, v22, v[1:2]
	v_add_nc_u32_e32 v2, 16, v0
	v_cmp_le_i32_e64 s4, v0, v23
	s_delay_alu instid0(VALU_DEP_4) | instskip(NEXT) | instid1(VALU_DEP_3)
	v_lshlrev_b64_e32 v[8:9], 2, v[8:9]
	v_cmp_le_i32_e64 s5, v2, v23
	v_mov_b32_e32 v7, v1
	v_cmp_gt_i32_e32 vcc_lo, s3, v22
	v_cmp_le_i32_e64 s2, v0, v22
	v_cmp_gt_i32_e64 s3, s3, v23
	v_ashrrev_i32_e32 v1, 31, v0
	v_lshlrev_b64_e32 v[6:7], 2, v[6:7]
	v_ashrrev_i32_e32 v3, 31, v2
	s_and_b32 s13, vcc_lo, s2
	v_cmp_le_i32_e64 s2, v2, v22
	s_and_b32 s4, s3, s4
	s_and_b32 s5, s3, s5
	s_and_b32 s15, vcc_lo, s2
	s_branch .LBB150_6
.LBB150_5:                              ;   in Loop: Header=BB150_6 Depth=1
	s_wait_alu 0xfffe
	s_or_b32 exec_lo, exec_lo, s2
	s_add_co_i32 s6, s6, 0x10000
	s_delay_alu instid0(SALU_CYCLE_1)
	s_cmp_lt_u32 s6, s11
	s_cbranch_scc0 .LBB150_35
.LBB150_6:                              ; =>This Loop Header: Depth=1
                                        ;     Child Loop BB150_9 Depth 2
	v_dual_mov_b32 v11, v5 :: v_dual_mov_b32 v10, v5
	v_dual_mov_b32 v23, v5 :: v_dual_mov_b32 v22, v5
	s_wait_alu 0xfffe
	s_and_not1_b32 vcc_lo, exec_lo, s14
	s_wait_alu 0xfffe
	s_cbranch_vccnz .LBB150_15
; %bb.7:                                ;   in Loop: Header=BB150_6 Depth=1
	s_mul_u64 s[2:3], s[16:17], s[6:7]
	s_mul_u64 s[18:19], s[22:23], s[6:7]
	s_wait_alu 0xfffe
	s_lshl_b64 s[2:3], s[2:3], 2
	v_dual_mov_b32 v22, 0 :: v_dual_mov_b32 v23, 0
	s_wait_alu 0xfffe
	v_add_co_u32 v24, vcc_lo, v17, s2
	s_wait_alu 0xfffd
	v_add_co_ci_u32_e64 v25, null, s3, v18, vcc_lo
	s_lshl_b64 s[2:3], s[18:19], 2
	v_dual_mov_b32 v10, 0 :: v_dual_mov_b32 v11, 0
	s_wait_alu 0xfffe
	v_add_co_u32 v26, vcc_lo, v19, s2
	s_wait_alu 0xfffd
	v_add_co_ci_u32_e64 v27, null, s3, v20, vcc_lo
	s_mov_b64 s[2:3], 0
	s_branch .LBB150_9
.LBB150_8:                              ;   in Loop: Header=BB150_9 Depth=2
	s_wait_alu 0xfffe
	s_or_b32 exec_lo, exec_lo, s18
	s_wait_loadcnt 0x0
	ds_store_b32 v16, v29
	s_wait_dscnt 0x0
	s_barrier_signal -1
	s_barrier_wait -1
	global_inv scope:SCOPE_SE
	ds_load_b128 v[28:31], v21
	ds_load_2addr_b32 v[44:45], v13 offset1:16
	ds_load_b128 v[32:35], v21 offset:512
	ds_load_2addr_b32 v[46:47], v13 offset0:32 offset1:48
	ds_load_2addr_b32 v[48:49], v13 offset0:64 offset1:80
	;; [unrolled: 1-line block ×3, first 2 shown]
	ds_load_b128 v[36:39], v21 offset:16
	ds_load_2addr_b32 v[52:53], v13 offset0:128 offset1:144
	ds_load_b128 v[40:43], v21 offset:528
	ds_load_2addr_b32 v[54:55], v13 offset0:160 offset1:176
	s_add_nc_u64 s[2:3], s[2:3], 8
	s_wait_alu 0xfffe
	v_cmp_gt_i64_e64 s18, s[8:9], s[2:3]
	s_and_b32 vcc_lo, exec_lo, s18
	s_wait_dscnt 0x8
	v_fmac_f32_e32 v10, v45, v28
	v_fmac_f32_e32 v11, v44, v28
	s_wait_dscnt 0x7
	v_fmac_f32_e32 v22, v45, v32
	v_fmac_f32_e32 v23, v44, v32
	ds_load_2addr_b32 v[44:45], v13 offset0:192 offset1:208
	s_wait_dscnt 0x7
	v_fmac_f32_e32 v10, v47, v29
	v_fmac_f32_e32 v11, v46, v29
	;; [unrolled: 1-line block ×4, first 2 shown]
	ds_load_2addr_b32 v[28:29], v13 offset0:224 offset1:240
	s_wait_dscnt 0x7
	v_fmac_f32_e32 v10, v49, v30
	v_fmac_f32_e32 v11, v48, v30
	v_fmac_f32_e32 v22, v49, v34
	v_fmac_f32_e32 v23, v48, v34
	s_wait_loadcnt_dscnt 0x0
	v_fmac_f32_e32 v10, v51, v31
	v_fmac_f32_e32 v11, v50, v31
	;; [unrolled: 1-line block ×4, first 2 shown]
	s_barrier_signal -1
	v_fmac_f32_e32 v10, v53, v36
	v_fmac_f32_e32 v11, v52, v36
	;; [unrolled: 1-line block ×4, first 2 shown]
	s_barrier_wait -1
	v_fmac_f32_e32 v10, v55, v37
	v_fmac_f32_e32 v11, v54, v37
	;; [unrolled: 1-line block ×4, first 2 shown]
	global_inv scope:SCOPE_SE
	v_fmac_f32_e32 v10, v45, v38
	v_fmac_f32_e32 v11, v44, v38
	;; [unrolled: 1-line block ×3, first 2 shown]
	s_delay_alu instid0(VALU_DEP_3) | instskip(NEXT) | instid1(VALU_DEP_3)
	v_dual_fmac_f32 v23, v44, v42 :: v_dual_fmac_f32 v10, v29, v39
	v_fmac_f32_e32 v11, v28, v39
	s_delay_alu instid0(VALU_DEP_3) | instskip(NEXT) | instid1(VALU_DEP_3)
	v_fmac_f32_e32 v22, v29, v43
	v_fmac_f32_e32 v23, v28, v43
	s_wait_alu 0xfffe
	s_cbranch_vccz .LBB150_15
.LBB150_9:                              ;   Parent Loop BB150_6 Depth=1
                                        ; =>  This Inner Loop Header: Depth=2
	v_mov_b32_e32 v28, 0
	s_and_saveexec_b32 s18, s0
	s_cbranch_execz .LBB150_13
; %bb.10:                               ;   in Loop: Header=BB150_9 Depth=2
	s_wait_alu 0xfffe
	v_add_nc_u32_e32 v4, s2, v14
	v_mov_b32_e32 v28, 0
	s_mov_b32 s19, exec_lo
	s_delay_alu instid0(VALU_DEP_2)
	v_cmpx_gt_u64_e64 s[8:9], v[4:5]
	s_cbranch_execz .LBB150_12
; %bb.11:                               ;   in Loop: Header=BB150_9 Depth=2
	v_lshlrev_b64_e32 v[28:29], 2, v[4:5]
	s_delay_alu instid0(VALU_DEP_1) | instskip(SKIP_1) | instid1(VALU_DEP_2)
	v_add_co_u32 v28, vcc_lo, v24, v28
	s_wait_alu 0xfffd
	v_add_co_ci_u32_e64 v29, null, v25, v29, vcc_lo
	global_load_b32 v28, v[28:29], off
.LBB150_12:                             ;   in Loop: Header=BB150_9 Depth=2
	s_wait_alu 0xfffe
	s_or_b32 exec_lo, exec_lo, s19
.LBB150_13:                             ;   in Loop: Header=BB150_9 Depth=2
	s_wait_alu 0xfffe
	s_or_b32 exec_lo, exec_lo, s18
	v_dual_mov_b32 v29, 0 :: v_dual_add_nc_u32 v4, s2, v12
	s_wait_loadcnt 0x0
	ds_store_b32 v15, v28
	v_cmp_gt_u64_e32 vcc_lo, s[8:9], v[4:5]
	s_and_b32 s19, vcc_lo, s1
	s_wait_alu 0xfffe
	s_and_saveexec_b32 s18, s19
	s_cbranch_execz .LBB150_8
; %bb.14:                               ;   in Loop: Header=BB150_9 Depth=2
	v_lshlrev_b64_e32 v[28:29], 2, v[4:5]
	s_delay_alu instid0(VALU_DEP_1) | instskip(SKIP_1) | instid1(VALU_DEP_2)
	v_add_co_u32 v28, vcc_lo, v26, v28
	s_wait_alu 0xfffd
	v_add_co_ci_u32_e64 v29, null, v27, v29, vcc_lo
	global_load_b32 v29, v[28:29], off
	s_branch .LBB150_8
.LBB150_15:                             ;   in Loop: Header=BB150_6 Depth=1
	s_mul_u64 s[2:3], s[30:31], s[6:7]
	s_wait_alu 0xfffe
	s_lshl_b64 s[2:3], s[2:3], 2
	s_wait_alu 0xfffe
	s_add_nc_u64 s[2:3], s[26:27], s[2:3]
	s_wait_alu 0xfffe
	v_add_co_u32 v4, vcc_lo, s2, v6
	s_wait_alu 0xfffd
	v_add_co_ci_u32_e64 v24, null, s3, v7, vcc_lo
	s_and_saveexec_b32 s18, s13
	s_cbranch_execz .LBB150_19
; %bb.16:                               ;   in Loop: Header=BB150_6 Depth=1
	v_mul_f32_e32 v11, s10, v11
	s_and_b32 vcc_lo, exec_lo, s12
	s_wait_alu 0xfffe
	s_cbranch_vccz .LBB150_30
; %bb.17:                               ;   in Loop: Header=BB150_6 Depth=1
	v_lshlrev_b64_e32 v[25:26], 2, v[0:1]
	s_delay_alu instid0(VALU_DEP_1) | instskip(SKIP_1) | instid1(VALU_DEP_2)
	v_add_co_u32 v25, vcc_lo, v4, v25
	s_wait_alu 0xfffd
	v_add_co_ci_u32_e64 v26, null, v24, v26, vcc_lo
	global_load_b32 v27, v[25:26], off
	s_wait_loadcnt 0x0
	v_fma_f32 v27, s24, v27, v11
	global_store_b32 v[25:26], v27, off
	s_cbranch_execnz .LBB150_19
.LBB150_18:                             ;   in Loop: Header=BB150_6 Depth=1
	v_lshlrev_b64_e32 v[25:26], 2, v[0:1]
	s_delay_alu instid0(VALU_DEP_1) | instskip(SKIP_1) | instid1(VALU_DEP_2)
	v_add_co_u32 v25, vcc_lo, v4, v25
	s_wait_alu 0xfffd
	v_add_co_ci_u32_e64 v26, null, v24, v26, vcc_lo
	global_store_b32 v[25:26], v11, off
.LBB150_19:                             ;   in Loop: Header=BB150_6 Depth=1
	s_wait_alu 0xfffe
	s_or_b32 exec_lo, exec_lo, s18
	s_and_saveexec_b32 s18, s15
	s_cbranch_execz .LBB150_23
; %bb.20:                               ;   in Loop: Header=BB150_6 Depth=1
	v_mul_f32_e32 v10, s10, v10
	s_and_not1_b32 vcc_lo, exec_lo, s12
	s_wait_alu 0xfffe
	s_cbranch_vccnz .LBB150_31
; %bb.21:                               ;   in Loop: Header=BB150_6 Depth=1
	v_lshlrev_b64_e32 v[25:26], 2, v[2:3]
	s_delay_alu instid0(VALU_DEP_1) | instskip(SKIP_1) | instid1(VALU_DEP_2)
	v_add_co_u32 v25, vcc_lo, v4, v25
	s_wait_alu 0xfffd
	v_add_co_ci_u32_e64 v26, null, v24, v26, vcc_lo
	global_load_b32 v11, v[25:26], off
	s_wait_loadcnt 0x0
	v_fma_f32 v11, s24, v11, v10
	global_store_b32 v[25:26], v11, off
	s_cbranch_execnz .LBB150_23
.LBB150_22:                             ;   in Loop: Header=BB150_6 Depth=1
	v_lshlrev_b64_e32 v[25:26], 2, v[2:3]
	s_delay_alu instid0(VALU_DEP_1) | instskip(SKIP_1) | instid1(VALU_DEP_2)
	v_add_co_u32 v25, vcc_lo, v4, v25
	s_wait_alu 0xfffd
	v_add_co_ci_u32_e64 v26, null, v24, v26, vcc_lo
	global_store_b32 v[25:26], v10, off
.LBB150_23:                             ;   in Loop: Header=BB150_6 Depth=1
	s_wait_alu 0xfffe
	s_or_b32 exec_lo, exec_lo, s18
	v_add_co_u32 v4, vcc_lo, s2, v8
	s_wait_alu 0xfffd
	v_add_co_ci_u32_e64 v24, null, s3, v9, vcc_lo
	s_and_saveexec_b32 s2, s4
	s_cbranch_execz .LBB150_27
; %bb.24:                               ;   in Loop: Header=BB150_6 Depth=1
	v_lshlrev_b64_e32 v[10:11], 2, v[0:1]
	v_mul_f32_e32 v23, s10, v23
	s_and_not1_b32 vcc_lo, exec_lo, s12
	s_wait_alu 0xfffe
	s_cbranch_vccnz .LBB150_32
; %bb.25:                               ;   in Loop: Header=BB150_6 Depth=1
	s_delay_alu instid0(VALU_DEP_2)
	v_add_co_u32 v25, vcc_lo, v4, v10
	s_wait_alu 0xfffd
	v_add_co_ci_u32_e64 v26, null, v24, v11, vcc_lo
	global_load_b32 v27, v[25:26], off
	s_wait_loadcnt 0x0
	v_fma_f32 v27, s24, v27, v23
	global_store_b32 v[25:26], v27, off
	s_cbranch_execnz .LBB150_27
.LBB150_26:                             ;   in Loop: Header=BB150_6 Depth=1
	v_add_co_u32 v10, vcc_lo, v4, v10
	s_wait_alu 0xfffd
	v_add_co_ci_u32_e64 v11, null, v24, v11, vcc_lo
	global_store_b32 v[10:11], v23, off
.LBB150_27:                             ;   in Loop: Header=BB150_6 Depth=1
	s_wait_alu 0xfffe
	s_or_b32 exec_lo, exec_lo, s2
	s_and_saveexec_b32 s2, s5
	s_cbranch_execz .LBB150_5
; %bb.28:                               ;   in Loop: Header=BB150_6 Depth=1
	v_lshlrev_b64_e32 v[10:11], 2, v[2:3]
	v_mul_f32_e32 v22, s10, v22
	s_and_not1_b32 vcc_lo, exec_lo, s12
	s_wait_alu 0xfffe
	s_cbranch_vccnz .LBB150_33
; %bb.29:                               ;   in Loop: Header=BB150_6 Depth=1
	s_delay_alu instid0(VALU_DEP_2)
	v_add_co_u32 v25, vcc_lo, v4, v10
	s_wait_alu 0xfffd
	v_add_co_ci_u32_e64 v26, null, v24, v11, vcc_lo
	global_load_b32 v23, v[25:26], off
	s_wait_loadcnt 0x0
	v_fma_f32 v23, s24, v23, v22
	global_store_b32 v[25:26], v23, off
	s_cbranch_execnz .LBB150_5
	s_branch .LBB150_34
.LBB150_30:                             ;   in Loop: Header=BB150_6 Depth=1
	s_branch .LBB150_18
.LBB150_31:                             ;   in Loop: Header=BB150_6 Depth=1
	s_branch .LBB150_22
.LBB150_32:                             ;   in Loop: Header=BB150_6 Depth=1
	s_branch .LBB150_26
.LBB150_33:                             ;   in Loop: Header=BB150_6 Depth=1
.LBB150_34:                             ;   in Loop: Header=BB150_6 Depth=1
	s_delay_alu instid0(VALU_DEP_2)
	v_add_co_u32 v10, vcc_lo, v4, v10
	s_wait_alu 0xfffd
	v_add_co_ci_u32_e64 v11, null, v24, v11, vcc_lo
	global_store_b32 v[10:11], v22, off
	s_branch .LBB150_5
.LBB150_35:
	s_endpgm
	.section	.rodata,"a",@progbits
	.p2align	6, 0x0
	.amdhsa_kernel _ZL29rocblas_internal_gemmt_kernelIlLi16ELi32ELi8ELc67ELc78ELc85ELb0ELb0EfPKfS1_PfEviT_T9_T10_S3_lS5_S3_lS4_T11_S3_li
		.amdhsa_group_segment_fixed_size 2048
		.amdhsa_private_segment_fixed_size 0
		.amdhsa_kernarg_size 108
		.amdhsa_user_sgpr_count 2
		.amdhsa_user_sgpr_dispatch_ptr 0
		.amdhsa_user_sgpr_queue_ptr 0
		.amdhsa_user_sgpr_kernarg_segment_ptr 1
		.amdhsa_user_sgpr_dispatch_id 0
		.amdhsa_user_sgpr_private_segment_size 0
		.amdhsa_wavefront_size32 1
		.amdhsa_uses_dynamic_stack 0
		.amdhsa_enable_private_segment 0
		.amdhsa_system_sgpr_workgroup_id_x 1
		.amdhsa_system_sgpr_workgroup_id_y 1
		.amdhsa_system_sgpr_workgroup_id_z 1
		.amdhsa_system_sgpr_workgroup_info 0
		.amdhsa_system_vgpr_workitem_id 1
		.amdhsa_next_free_vgpr 56
		.amdhsa_next_free_sgpr 32
		.amdhsa_reserve_vcc 1
		.amdhsa_float_round_mode_32 0
		.amdhsa_float_round_mode_16_64 0
		.amdhsa_float_denorm_mode_32 3
		.amdhsa_float_denorm_mode_16_64 3
		.amdhsa_fp16_overflow 0
		.amdhsa_workgroup_processor_mode 1
		.amdhsa_memory_ordered 1
		.amdhsa_forward_progress 1
		.amdhsa_inst_pref_size 15
		.amdhsa_round_robin_scheduling 0
		.amdhsa_exception_fp_ieee_invalid_op 0
		.amdhsa_exception_fp_denorm_src 0
		.amdhsa_exception_fp_ieee_div_zero 0
		.amdhsa_exception_fp_ieee_overflow 0
		.amdhsa_exception_fp_ieee_underflow 0
		.amdhsa_exception_fp_ieee_inexact 0
		.amdhsa_exception_int_div_zero 0
	.end_amdhsa_kernel
	.section	.text._ZL29rocblas_internal_gemmt_kernelIlLi16ELi32ELi8ELc67ELc78ELc85ELb0ELb0EfPKfS1_PfEviT_T9_T10_S3_lS5_S3_lS4_T11_S3_li,"axG",@progbits,_ZL29rocblas_internal_gemmt_kernelIlLi16ELi32ELi8ELc67ELc78ELc85ELb0ELb0EfPKfS1_PfEviT_T9_T10_S3_lS5_S3_lS4_T11_S3_li,comdat
.Lfunc_end150:
	.size	_ZL29rocblas_internal_gemmt_kernelIlLi16ELi32ELi8ELc67ELc78ELc85ELb0ELb0EfPKfS1_PfEviT_T9_T10_S3_lS5_S3_lS4_T11_S3_li, .Lfunc_end150-_ZL29rocblas_internal_gemmt_kernelIlLi16ELi32ELi8ELc67ELc78ELc85ELb0ELb0EfPKfS1_PfEviT_T9_T10_S3_lS5_S3_lS4_T11_S3_li
                                        ; -- End function
	.set _ZL29rocblas_internal_gemmt_kernelIlLi16ELi32ELi8ELc67ELc78ELc85ELb0ELb0EfPKfS1_PfEviT_T9_T10_S3_lS5_S3_lS4_T11_S3_li.num_vgpr, 56
	.set _ZL29rocblas_internal_gemmt_kernelIlLi16ELi32ELi8ELc67ELc78ELc85ELb0ELb0EfPKfS1_PfEviT_T9_T10_S3_lS5_S3_lS4_T11_S3_li.num_agpr, 0
	.set _ZL29rocblas_internal_gemmt_kernelIlLi16ELi32ELi8ELc67ELc78ELc85ELb0ELb0EfPKfS1_PfEviT_T9_T10_S3_lS5_S3_lS4_T11_S3_li.numbered_sgpr, 32
	.set _ZL29rocblas_internal_gemmt_kernelIlLi16ELi32ELi8ELc67ELc78ELc85ELb0ELb0EfPKfS1_PfEviT_T9_T10_S3_lS5_S3_lS4_T11_S3_li.num_named_barrier, 0
	.set _ZL29rocblas_internal_gemmt_kernelIlLi16ELi32ELi8ELc67ELc78ELc85ELb0ELb0EfPKfS1_PfEviT_T9_T10_S3_lS5_S3_lS4_T11_S3_li.private_seg_size, 0
	.set _ZL29rocblas_internal_gemmt_kernelIlLi16ELi32ELi8ELc67ELc78ELc85ELb0ELb0EfPKfS1_PfEviT_T9_T10_S3_lS5_S3_lS4_T11_S3_li.uses_vcc, 1
	.set _ZL29rocblas_internal_gemmt_kernelIlLi16ELi32ELi8ELc67ELc78ELc85ELb0ELb0EfPKfS1_PfEviT_T9_T10_S3_lS5_S3_lS4_T11_S3_li.uses_flat_scratch, 0
	.set _ZL29rocblas_internal_gemmt_kernelIlLi16ELi32ELi8ELc67ELc78ELc85ELb0ELb0EfPKfS1_PfEviT_T9_T10_S3_lS5_S3_lS4_T11_S3_li.has_dyn_sized_stack, 0
	.set _ZL29rocblas_internal_gemmt_kernelIlLi16ELi32ELi8ELc67ELc78ELc85ELb0ELb0EfPKfS1_PfEviT_T9_T10_S3_lS5_S3_lS4_T11_S3_li.has_recursion, 0
	.set _ZL29rocblas_internal_gemmt_kernelIlLi16ELi32ELi8ELc67ELc78ELc85ELb0ELb0EfPKfS1_PfEviT_T9_T10_S3_lS5_S3_lS4_T11_S3_li.has_indirect_call, 0
	.section	.AMDGPU.csdata,"",@progbits
; Kernel info:
; codeLenInByte = 1872
; TotalNumSgprs: 34
; NumVgprs: 56
; ScratchSize: 0
; MemoryBound: 0
; FloatMode: 240
; IeeeMode: 1
; LDSByteSize: 2048 bytes/workgroup (compile time only)
; SGPRBlocks: 0
; VGPRBlocks: 6
; NumSGPRsForWavesPerEU: 34
; NumVGPRsForWavesPerEU: 56
; Occupancy: 16
; WaveLimiterHint : 0
; COMPUTE_PGM_RSRC2:SCRATCH_EN: 0
; COMPUTE_PGM_RSRC2:USER_SGPR: 2
; COMPUTE_PGM_RSRC2:TRAP_HANDLER: 0
; COMPUTE_PGM_RSRC2:TGID_X_EN: 1
; COMPUTE_PGM_RSRC2:TGID_Y_EN: 1
; COMPUTE_PGM_RSRC2:TGID_Z_EN: 1
; COMPUTE_PGM_RSRC2:TIDIG_COMP_CNT: 1
	.section	.text._ZL29rocblas_internal_gemmt_kernelIlLi16ELi32ELi8ELc67ELc84ELc85ELb0ELb0EfPKfS1_PfEviT_T9_T10_S3_lS5_S3_lS4_T11_S3_li,"axG",@progbits,_ZL29rocblas_internal_gemmt_kernelIlLi16ELi32ELi8ELc67ELc84ELc85ELb0ELb0EfPKfS1_PfEviT_T9_T10_S3_lS5_S3_lS4_T11_S3_li,comdat
	.globl	_ZL29rocblas_internal_gemmt_kernelIlLi16ELi32ELi8ELc67ELc84ELc85ELb0ELb0EfPKfS1_PfEviT_T9_T10_S3_lS5_S3_lS4_T11_S3_li ; -- Begin function _ZL29rocblas_internal_gemmt_kernelIlLi16ELi32ELi8ELc67ELc84ELc85ELb0ELb0EfPKfS1_PfEviT_T9_T10_S3_lS5_S3_lS4_T11_S3_li
	.p2align	8
	.type	_ZL29rocblas_internal_gemmt_kernelIlLi16ELi32ELi8ELc67ELc84ELc85ELb0ELb0EfPKfS1_PfEviT_T9_T10_S3_lS5_S3_lS4_T11_S3_li,@function
_ZL29rocblas_internal_gemmt_kernelIlLi16ELi32ELi8ELc67ELc84ELc85ELb0ELb0EfPKfS1_PfEviT_T9_T10_S3_lS5_S3_lS4_T11_S3_li: ; @_ZL29rocblas_internal_gemmt_kernelIlLi16ELi32ELi8ELc67ELc84ELc85ELb0ELb0EfPKfS1_PfEviT_T9_T10_S3_lS5_S3_lS4_T11_S3_li
; %bb.0:
	s_clause 0x1
	s_load_b256 s[24:31], s[0:1], 0x48
	s_load_b512 s[8:23], s[0:1], 0x8
	s_wait_kmcnt 0x0
	s_load_b32 s24, s[24:25], 0x0
	s_load_b32 s10, s[10:11], 0x0
	s_wait_kmcnt 0x0
	s_cmp_neq_f32 s24, 1.0
	s_cselect_b32 s2, -1, 0
	s_delay_alu instid0(SALU_CYCLE_1)
	s_and_b32 vcc_lo, exec_lo, s2
	s_cbranch_vccnz .LBB151_2
; %bb.1:
	s_cmp_lg_u64 s[8:9], 0
	s_cselect_b32 s2, -1, 0
	s_cmp_neq_f32 s10, 0
	s_cselect_b32 s3, -1, 0
	s_delay_alu instid0(SALU_CYCLE_1)
	s_and_b32 s2, s2, s3
.LBB151_2:
	s_delay_alu instid0(SALU_CYCLE_1)
	s_and_not1_b32 vcc_lo, exec_lo, s2
	s_cbranch_vccnz .LBB151_35
; %bb.3:
	s_load_b32 s11, s[0:1], 0x68
	s_lshr_b32 s6, ttmp7, 16
	s_wait_kmcnt 0x0
	s_cmp_ge_u32 s6, s11
	s_cbranch_scc1 .LBB151_35
; %bb.4:
	v_and_b32_e32 v2, 0x3ff, v0
	v_bfe_u32 v3, v0, 10, 10
	s_load_b32 s3, s[0:1], 0x0
	s_lshl_b32 s0, ttmp7, 5
	s_lshl_b32 s2, ttmp9, 5
	s_and_b32 s0, s0, 0x1fffe0
	v_lshl_add_u32 v4, v3, 4, v2
	v_add_nc_u32_e32 v11, s0, v3
	v_and_b32_e32 v12, 7, v0
	s_cmp_neq_f32 s10, 0
	v_lshl_add_u32 v21, v3, 5, 0x400
	v_lshrrev_b32_e32 v13, 5, v4
	v_mad_co_u64_u32 v[6:7], null, s28, v11, 0
	v_and_b32_e32 v5, 31, v4
	s_cselect_b32 s33, -1, 0
	s_ashr_i32 s1, s2, 31
	v_lshlrev_b32_e32 v9, 2, v12
	s_wait_alu 0xfffe
	s_mul_i32 s1, s14, s1
	v_or_b32_e32 v8, s2, v5
	v_lshrrev_b32_e32 v4, 3, v4
	v_add_nc_u32_e32 v22, 16, v11
	s_cmp_neq_f32 s24, 0
	v_cmp_gt_i64_e64 s25, s[8:9], 0
	v_mul_lo_u32 v10, s15, v8
	v_mad_co_u64_u32 v[0:1], null, s14, v8, 0
	s_mov_b32 s7, 0
	s_wait_alu 0xfffe
	v_add3_u32 v1, v1, s1, v10
	v_add_nc_u32_e32 v10, s0, v4
	v_lshl_or_b32 v4, v4, 5, v9
	s_wait_kmcnt 0x0
	v_cmp_gt_i32_e64 s0, s3, v8
	v_mad_co_u64_u32 v[8:9], null, s28, v22, 0
	v_lshlrev_b64_e32 v[0:1], 2, v[0:1]
	v_add_nc_u32_e32 v15, 0x400, v4
	v_lshlrev_b32_e32 v4, 2, v10
	v_cmp_gt_i32_e64 s1, s3, v10
	s_delay_alu instid0(VALU_DEP_4) | instskip(NEXT) | instid1(VALU_DEP_1)
	v_add_co_u32 v16, vcc_lo, s12, v0
	v_add_co_ci_u32_e64 v17, null, s13, v1, vcc_lo
	v_dual_mov_b32 v1, 0 :: v_dual_mov_b32 v0, v7
	v_add_co_u32 v18, s4, s18, v4
	v_lshlrev_b32_e32 v20, 2, v2
	v_add_nc_u32_e32 v2, s2, v2
	s_delay_alu instid0(VALU_DEP_4) | instskip(SKIP_2) | instid1(VALU_DEP_4)
	v_mad_co_u64_u32 v[3:4], null, s29, v11, v[0:1]
	v_mov_b32_e32 v0, v9
	v_cmp_gt_i32_e32 vcc_lo, s3, v11
	v_cmp_le_i32_e64 s2, v2, v11
	v_add_nc_u32_e32 v4, 16, v2
	v_lshlrev_b32_e32 v5, 2, v5
	v_mad_co_u64_u32 v[9:10], null, s29, v22, v[0:1]
	v_mov_b32_e32 v7, v3
	v_add_co_ci_u32_e64 v19, null, s19, 0, s4
	s_cselect_b32 s12, -1, 0
	s_and_b32 s13, vcc_lo, s2
	v_cmp_le_i32_e64 s2, v4, v11
	v_cmp_gt_i32_e64 s3, s3, v22
	v_cmp_le_i32_e64 s4, v2, v22
	v_cmp_le_i32_e64 s5, v4, v22
	v_lshlrev_b64_e32 v[6:7], 2, v[6:7]
	v_lshlrev_b64_e32 v[8:9], 2, v[8:9]
	v_lshl_or_b32 v14, v13, 7, v5
	v_ashrrev_i32_e32 v3, 31, v2
	v_ashrrev_i32_e32 v5, 31, v4
	s_and_b32 s14, s33, s25
	s_and_b32 s15, vcc_lo, s2
	s_and_b32 s4, s3, s4
	s_and_b32 s5, s3, s5
	s_branch .LBB151_6
.LBB151_5:                              ;   in Loop: Header=BB151_6 Depth=1
	s_wait_alu 0xfffe
	s_or_b32 exec_lo, exec_lo, s2
	s_add_co_i32 s6, s6, 0x10000
	s_delay_alu instid0(SALU_CYCLE_1)
	s_cmp_lt_u32 s6, s11
	s_cbranch_scc0 .LBB151_35
.LBB151_6:                              ; =>This Loop Header: Depth=1
                                        ;     Child Loop BB151_9 Depth 2
	v_dual_mov_b32 v11, v1 :: v_dual_mov_b32 v10, v1
	v_dual_mov_b32 v23, v1 :: v_dual_mov_b32 v22, v1
	s_wait_alu 0xfffe
	s_and_not1_b32 vcc_lo, exec_lo, s14
	s_wait_alu 0xfffe
	s_cbranch_vccnz .LBB151_15
; %bb.7:                                ;   in Loop: Header=BB151_6 Depth=1
	s_mul_u64 s[2:3], s[16:17], s[6:7]
	s_mul_u64 s[18:19], s[22:23], s[6:7]
	s_wait_alu 0xfffe
	s_lshl_b64 s[2:3], s[2:3], 2
	v_dual_mov_b32 v22, 0 :: v_dual_mov_b32 v23, 0
	s_wait_alu 0xfffe
	v_add_co_u32 v24, vcc_lo, v16, s2
	s_wait_alu 0xfffd
	v_add_co_ci_u32_e64 v25, null, s3, v17, vcc_lo
	s_lshl_b64 s[2:3], s[18:19], 2
	v_dual_mov_b32 v10, 0 :: v_dual_mov_b32 v11, 0
	s_wait_alu 0xfffe
	v_add_co_u32 v26, vcc_lo, v18, s2
	s_wait_alu 0xfffd
	v_add_co_ci_u32_e64 v27, null, s3, v19, vcc_lo
	s_mov_b64 s[2:3], 0
	s_branch .LBB151_9
.LBB151_8:                              ;   in Loop: Header=BB151_9 Depth=2
	s_wait_alu 0xfffe
	s_or_b32 exec_lo, exec_lo, s18
	s_wait_loadcnt 0x0
	ds_store_b32 v15, v29
	s_wait_dscnt 0x0
	s_barrier_signal -1
	s_barrier_wait -1
	global_inv scope:SCOPE_SE
	ds_load_b128 v[28:31], v21
	ds_load_2addr_b32 v[44:45], v20 offset1:16
	ds_load_b128 v[32:35], v21 offset:512
	ds_load_2addr_b32 v[46:47], v20 offset0:32 offset1:48
	ds_load_2addr_b32 v[48:49], v20 offset0:64 offset1:80
	;; [unrolled: 1-line block ×3, first 2 shown]
	ds_load_b128 v[36:39], v21 offset:16
	ds_load_2addr_b32 v[52:53], v20 offset0:128 offset1:144
	ds_load_b128 v[40:43], v21 offset:528
	ds_load_2addr_b32 v[54:55], v20 offset0:160 offset1:176
	s_add_nc_u64 s[2:3], s[2:3], 8
	s_wait_alu 0xfffe
	v_cmp_gt_i64_e64 s18, s[8:9], s[2:3]
	s_and_b32 vcc_lo, exec_lo, s18
	s_wait_dscnt 0x8
	v_fmac_f32_e32 v10, v45, v28
	v_fmac_f32_e32 v11, v44, v28
	s_wait_dscnt 0x7
	v_fmac_f32_e32 v22, v45, v32
	v_fmac_f32_e32 v23, v44, v32
	ds_load_2addr_b32 v[44:45], v20 offset0:192 offset1:208
	s_wait_dscnt 0x7
	v_fmac_f32_e32 v10, v47, v29
	v_fmac_f32_e32 v11, v46, v29
	;; [unrolled: 1-line block ×4, first 2 shown]
	ds_load_2addr_b32 v[28:29], v20 offset0:224 offset1:240
	s_wait_dscnt 0x7
	v_fmac_f32_e32 v10, v49, v30
	v_fmac_f32_e32 v11, v48, v30
	;; [unrolled: 1-line block ×4, first 2 shown]
	s_wait_loadcnt_dscnt 0x0
	v_fmac_f32_e32 v10, v51, v31
	v_fmac_f32_e32 v11, v50, v31
	;; [unrolled: 1-line block ×4, first 2 shown]
	s_barrier_signal -1
	v_fmac_f32_e32 v10, v53, v36
	v_fmac_f32_e32 v11, v52, v36
	;; [unrolled: 1-line block ×4, first 2 shown]
	s_barrier_wait -1
	v_fmac_f32_e32 v10, v55, v37
	v_fmac_f32_e32 v11, v54, v37
	;; [unrolled: 1-line block ×4, first 2 shown]
	global_inv scope:SCOPE_SE
	v_fmac_f32_e32 v10, v45, v38
	v_fmac_f32_e32 v11, v44, v38
	;; [unrolled: 1-line block ×3, first 2 shown]
	s_delay_alu instid0(VALU_DEP_3) | instskip(NEXT) | instid1(VALU_DEP_3)
	v_dual_fmac_f32 v23, v44, v42 :: v_dual_fmac_f32 v10, v29, v39
	v_fmac_f32_e32 v11, v28, v39
	s_delay_alu instid0(VALU_DEP_3) | instskip(NEXT) | instid1(VALU_DEP_3)
	v_fmac_f32_e32 v22, v29, v43
	v_fmac_f32_e32 v23, v28, v43
	s_wait_alu 0xfffe
	s_cbranch_vccz .LBB151_15
.LBB151_9:                              ;   Parent Loop BB151_6 Depth=1
                                        ; =>  This Inner Loop Header: Depth=2
	v_mov_b32_e32 v28, 0
	s_and_saveexec_b32 s18, s0
	s_cbranch_execz .LBB151_13
; %bb.10:                               ;   in Loop: Header=BB151_9 Depth=2
	s_wait_alu 0xfffe
	v_add_nc_u32_e32 v0, s2, v13
	v_mov_b32_e32 v28, 0
	s_mov_b32 s19, exec_lo
	s_delay_alu instid0(VALU_DEP_2)
	v_cmpx_gt_u64_e64 s[8:9], v[0:1]
	s_cbranch_execz .LBB151_12
; %bb.11:                               ;   in Loop: Header=BB151_9 Depth=2
	v_lshlrev_b64_e32 v[28:29], 2, v[0:1]
	s_delay_alu instid0(VALU_DEP_1) | instskip(SKIP_1) | instid1(VALU_DEP_2)
	v_add_co_u32 v28, vcc_lo, v24, v28
	s_wait_alu 0xfffd
	v_add_co_ci_u32_e64 v29, null, v25, v29, vcc_lo
	global_load_b32 v28, v[28:29], off
.LBB151_12:                             ;   in Loop: Header=BB151_9 Depth=2
	s_wait_alu 0xfffe
	s_or_b32 exec_lo, exec_lo, s19
.LBB151_13:                             ;   in Loop: Header=BB151_9 Depth=2
	s_wait_alu 0xfffe
	s_or_b32 exec_lo, exec_lo, s18
	v_dual_mov_b32 v29, 0 :: v_dual_add_nc_u32 v0, s2, v12
	s_wait_loadcnt 0x0
	ds_store_b32 v14, v28
	v_cmp_gt_u64_e32 vcc_lo, s[8:9], v[0:1]
	s_and_b32 s19, vcc_lo, s1
	s_wait_alu 0xfffe
	s_and_saveexec_b32 s18, s19
	s_cbranch_execz .LBB151_8
; %bb.14:                               ;   in Loop: Header=BB151_9 Depth=2
	v_mad_co_u64_u32 v[28:29], null, s20, v0, 0
	s_delay_alu instid0(VALU_DEP_1) | instskip(NEXT) | instid1(VALU_DEP_1)
	v_mad_co_u64_u32 v[29:30], null, s21, v0, v[29:30]
	v_lshlrev_b64_e32 v[28:29], 2, v[28:29]
	s_delay_alu instid0(VALU_DEP_1) | instskip(SKIP_1) | instid1(VALU_DEP_2)
	v_add_co_u32 v28, vcc_lo, v26, v28
	s_wait_alu 0xfffd
	v_add_co_ci_u32_e64 v29, null, v27, v29, vcc_lo
	global_load_b32 v29, v[28:29], off
	s_branch .LBB151_8
.LBB151_15:                             ;   in Loop: Header=BB151_6 Depth=1
	s_mul_u64 s[2:3], s[30:31], s[6:7]
	s_wait_alu 0xfffe
	s_lshl_b64 s[2:3], s[2:3], 2
	s_wait_alu 0xfffe
	s_add_nc_u64 s[2:3], s[26:27], s[2:3]
	s_wait_alu 0xfffe
	v_add_co_u32 v0, vcc_lo, s2, v6
	s_wait_alu 0xfffd
	v_add_co_ci_u32_e64 v24, null, s3, v7, vcc_lo
	s_and_saveexec_b32 s18, s13
	s_cbranch_execz .LBB151_19
; %bb.16:                               ;   in Loop: Header=BB151_6 Depth=1
	v_mul_f32_e32 v11, s10, v11
	s_and_b32 vcc_lo, exec_lo, s12
	s_wait_alu 0xfffe
	s_cbranch_vccz .LBB151_30
; %bb.17:                               ;   in Loop: Header=BB151_6 Depth=1
	v_lshlrev_b64_e32 v[25:26], 2, v[2:3]
	s_delay_alu instid0(VALU_DEP_1) | instskip(SKIP_1) | instid1(VALU_DEP_2)
	v_add_co_u32 v25, vcc_lo, v0, v25
	s_wait_alu 0xfffd
	v_add_co_ci_u32_e64 v26, null, v24, v26, vcc_lo
	global_load_b32 v27, v[25:26], off
	s_wait_loadcnt 0x0
	v_fma_f32 v27, s24, v27, v11
	global_store_b32 v[25:26], v27, off
	s_cbranch_execnz .LBB151_19
.LBB151_18:                             ;   in Loop: Header=BB151_6 Depth=1
	v_lshlrev_b64_e32 v[25:26], 2, v[2:3]
	s_delay_alu instid0(VALU_DEP_1) | instskip(SKIP_1) | instid1(VALU_DEP_2)
	v_add_co_u32 v25, vcc_lo, v0, v25
	s_wait_alu 0xfffd
	v_add_co_ci_u32_e64 v26, null, v24, v26, vcc_lo
	global_store_b32 v[25:26], v11, off
.LBB151_19:                             ;   in Loop: Header=BB151_6 Depth=1
	s_wait_alu 0xfffe
	s_or_b32 exec_lo, exec_lo, s18
	s_and_saveexec_b32 s18, s15
	s_cbranch_execz .LBB151_23
; %bb.20:                               ;   in Loop: Header=BB151_6 Depth=1
	v_mul_f32_e32 v10, s10, v10
	s_and_not1_b32 vcc_lo, exec_lo, s12
	s_wait_alu 0xfffe
	s_cbranch_vccnz .LBB151_31
; %bb.21:                               ;   in Loop: Header=BB151_6 Depth=1
	v_lshlrev_b64_e32 v[25:26], 2, v[4:5]
	s_delay_alu instid0(VALU_DEP_1) | instskip(SKIP_1) | instid1(VALU_DEP_2)
	v_add_co_u32 v25, vcc_lo, v0, v25
	s_wait_alu 0xfffd
	v_add_co_ci_u32_e64 v26, null, v24, v26, vcc_lo
	global_load_b32 v11, v[25:26], off
	s_wait_loadcnt 0x0
	v_fma_f32 v11, s24, v11, v10
	global_store_b32 v[25:26], v11, off
	s_cbranch_execnz .LBB151_23
.LBB151_22:                             ;   in Loop: Header=BB151_6 Depth=1
	v_lshlrev_b64_e32 v[25:26], 2, v[4:5]
	s_delay_alu instid0(VALU_DEP_1) | instskip(SKIP_1) | instid1(VALU_DEP_2)
	v_add_co_u32 v25, vcc_lo, v0, v25
	s_wait_alu 0xfffd
	v_add_co_ci_u32_e64 v26, null, v24, v26, vcc_lo
	global_store_b32 v[25:26], v10, off
.LBB151_23:                             ;   in Loop: Header=BB151_6 Depth=1
	s_wait_alu 0xfffe
	s_or_b32 exec_lo, exec_lo, s18
	v_add_co_u32 v0, vcc_lo, s2, v8
	s_wait_alu 0xfffd
	v_add_co_ci_u32_e64 v24, null, s3, v9, vcc_lo
	s_and_saveexec_b32 s2, s4
	s_cbranch_execz .LBB151_27
; %bb.24:                               ;   in Loop: Header=BB151_6 Depth=1
	v_lshlrev_b64_e32 v[10:11], 2, v[2:3]
	v_mul_f32_e32 v23, s10, v23
	s_and_not1_b32 vcc_lo, exec_lo, s12
	s_wait_alu 0xfffe
	s_cbranch_vccnz .LBB151_32
; %bb.25:                               ;   in Loop: Header=BB151_6 Depth=1
	s_delay_alu instid0(VALU_DEP_2)
	v_add_co_u32 v25, vcc_lo, v0, v10
	s_wait_alu 0xfffd
	v_add_co_ci_u32_e64 v26, null, v24, v11, vcc_lo
	global_load_b32 v27, v[25:26], off
	s_wait_loadcnt 0x0
	v_fma_f32 v27, s24, v27, v23
	global_store_b32 v[25:26], v27, off
	s_cbranch_execnz .LBB151_27
.LBB151_26:                             ;   in Loop: Header=BB151_6 Depth=1
	v_add_co_u32 v10, vcc_lo, v0, v10
	s_wait_alu 0xfffd
	v_add_co_ci_u32_e64 v11, null, v24, v11, vcc_lo
	global_store_b32 v[10:11], v23, off
.LBB151_27:                             ;   in Loop: Header=BB151_6 Depth=1
	s_wait_alu 0xfffe
	s_or_b32 exec_lo, exec_lo, s2
	s_and_saveexec_b32 s2, s5
	s_cbranch_execz .LBB151_5
; %bb.28:                               ;   in Loop: Header=BB151_6 Depth=1
	v_lshlrev_b64_e32 v[10:11], 2, v[4:5]
	v_mul_f32_e32 v22, s10, v22
	s_and_not1_b32 vcc_lo, exec_lo, s12
	s_wait_alu 0xfffe
	s_cbranch_vccnz .LBB151_33
; %bb.29:                               ;   in Loop: Header=BB151_6 Depth=1
	s_delay_alu instid0(VALU_DEP_2)
	v_add_co_u32 v25, vcc_lo, v0, v10
	s_wait_alu 0xfffd
	v_add_co_ci_u32_e64 v26, null, v24, v11, vcc_lo
	global_load_b32 v23, v[25:26], off
	s_wait_loadcnt 0x0
	v_fma_f32 v23, s24, v23, v22
	global_store_b32 v[25:26], v23, off
	s_cbranch_execnz .LBB151_5
	s_branch .LBB151_34
.LBB151_30:                             ;   in Loop: Header=BB151_6 Depth=1
	s_branch .LBB151_18
.LBB151_31:                             ;   in Loop: Header=BB151_6 Depth=1
	s_branch .LBB151_22
.LBB151_32:                             ;   in Loop: Header=BB151_6 Depth=1
	s_branch .LBB151_26
.LBB151_33:                             ;   in Loop: Header=BB151_6 Depth=1
.LBB151_34:                             ;   in Loop: Header=BB151_6 Depth=1
	s_delay_alu instid0(VALU_DEP_2)
	v_add_co_u32 v10, vcc_lo, v0, v10
	s_wait_alu 0xfffd
	v_add_co_ci_u32_e64 v11, null, v24, v11, vcc_lo
	global_store_b32 v[10:11], v22, off
	s_branch .LBB151_5
.LBB151_35:
	s_endpgm
	.section	.rodata,"a",@progbits
	.p2align	6, 0x0
	.amdhsa_kernel _ZL29rocblas_internal_gemmt_kernelIlLi16ELi32ELi8ELc67ELc84ELc85ELb0ELb0EfPKfS1_PfEviT_T9_T10_S3_lS5_S3_lS4_T11_S3_li
		.amdhsa_group_segment_fixed_size 2048
		.amdhsa_private_segment_fixed_size 0
		.amdhsa_kernarg_size 108
		.amdhsa_user_sgpr_count 2
		.amdhsa_user_sgpr_dispatch_ptr 0
		.amdhsa_user_sgpr_queue_ptr 0
		.amdhsa_user_sgpr_kernarg_segment_ptr 1
		.amdhsa_user_sgpr_dispatch_id 0
		.amdhsa_user_sgpr_private_segment_size 0
		.amdhsa_wavefront_size32 1
		.amdhsa_uses_dynamic_stack 0
		.amdhsa_enable_private_segment 0
		.amdhsa_system_sgpr_workgroup_id_x 1
		.amdhsa_system_sgpr_workgroup_id_y 1
		.amdhsa_system_sgpr_workgroup_id_z 1
		.amdhsa_system_sgpr_workgroup_info 0
		.amdhsa_system_vgpr_workitem_id 1
		.amdhsa_next_free_vgpr 56
		.amdhsa_next_free_sgpr 34
		.amdhsa_reserve_vcc 1
		.amdhsa_float_round_mode_32 0
		.amdhsa_float_round_mode_16_64 0
		.amdhsa_float_denorm_mode_32 3
		.amdhsa_float_denorm_mode_16_64 3
		.amdhsa_fp16_overflow 0
		.amdhsa_workgroup_processor_mode 1
		.amdhsa_memory_ordered 1
		.amdhsa_forward_progress 1
		.amdhsa_inst_pref_size 15
		.amdhsa_round_robin_scheduling 0
		.amdhsa_exception_fp_ieee_invalid_op 0
		.amdhsa_exception_fp_denorm_src 0
		.amdhsa_exception_fp_ieee_div_zero 0
		.amdhsa_exception_fp_ieee_overflow 0
		.amdhsa_exception_fp_ieee_underflow 0
		.amdhsa_exception_fp_ieee_inexact 0
		.amdhsa_exception_int_div_zero 0
	.end_amdhsa_kernel
	.section	.text._ZL29rocblas_internal_gemmt_kernelIlLi16ELi32ELi8ELc67ELc84ELc85ELb0ELb0EfPKfS1_PfEviT_T9_T10_S3_lS5_S3_lS4_T11_S3_li,"axG",@progbits,_ZL29rocblas_internal_gemmt_kernelIlLi16ELi32ELi8ELc67ELc84ELc85ELb0ELb0EfPKfS1_PfEviT_T9_T10_S3_lS5_S3_lS4_T11_S3_li,comdat
.Lfunc_end151:
	.size	_ZL29rocblas_internal_gemmt_kernelIlLi16ELi32ELi8ELc67ELc84ELc85ELb0ELb0EfPKfS1_PfEviT_T9_T10_S3_lS5_S3_lS4_T11_S3_li, .Lfunc_end151-_ZL29rocblas_internal_gemmt_kernelIlLi16ELi32ELi8ELc67ELc84ELc85ELb0ELb0EfPKfS1_PfEviT_T9_T10_S3_lS5_S3_lS4_T11_S3_li
                                        ; -- End function
	.set _ZL29rocblas_internal_gemmt_kernelIlLi16ELi32ELi8ELc67ELc84ELc85ELb0ELb0EfPKfS1_PfEviT_T9_T10_S3_lS5_S3_lS4_T11_S3_li.num_vgpr, 56
	.set _ZL29rocblas_internal_gemmt_kernelIlLi16ELi32ELi8ELc67ELc84ELc85ELb0ELb0EfPKfS1_PfEviT_T9_T10_S3_lS5_S3_lS4_T11_S3_li.num_agpr, 0
	.set _ZL29rocblas_internal_gemmt_kernelIlLi16ELi32ELi8ELc67ELc84ELc85ELb0ELb0EfPKfS1_PfEviT_T9_T10_S3_lS5_S3_lS4_T11_S3_li.numbered_sgpr, 34
	.set _ZL29rocblas_internal_gemmt_kernelIlLi16ELi32ELi8ELc67ELc84ELc85ELb0ELb0EfPKfS1_PfEviT_T9_T10_S3_lS5_S3_lS4_T11_S3_li.num_named_barrier, 0
	.set _ZL29rocblas_internal_gemmt_kernelIlLi16ELi32ELi8ELc67ELc84ELc85ELb0ELb0EfPKfS1_PfEviT_T9_T10_S3_lS5_S3_lS4_T11_S3_li.private_seg_size, 0
	.set _ZL29rocblas_internal_gemmt_kernelIlLi16ELi32ELi8ELc67ELc84ELc85ELb0ELb0EfPKfS1_PfEviT_T9_T10_S3_lS5_S3_lS4_T11_S3_li.uses_vcc, 1
	.set _ZL29rocblas_internal_gemmt_kernelIlLi16ELi32ELi8ELc67ELc84ELc85ELb0ELb0EfPKfS1_PfEviT_T9_T10_S3_lS5_S3_lS4_T11_S3_li.uses_flat_scratch, 0
	.set _ZL29rocblas_internal_gemmt_kernelIlLi16ELi32ELi8ELc67ELc84ELc85ELb0ELb0EfPKfS1_PfEviT_T9_T10_S3_lS5_S3_lS4_T11_S3_li.has_dyn_sized_stack, 0
	.set _ZL29rocblas_internal_gemmt_kernelIlLi16ELi32ELi8ELc67ELc84ELc85ELb0ELb0EfPKfS1_PfEviT_T9_T10_S3_lS5_S3_lS4_T11_S3_li.has_recursion, 0
	.set _ZL29rocblas_internal_gemmt_kernelIlLi16ELi32ELi8ELc67ELc84ELc85ELb0ELb0EfPKfS1_PfEviT_T9_T10_S3_lS5_S3_lS4_T11_S3_li.has_indirect_call, 0
	.section	.AMDGPU.csdata,"",@progbits
; Kernel info:
; codeLenInByte = 1856
; TotalNumSgprs: 36
; NumVgprs: 56
; ScratchSize: 0
; MemoryBound: 0
; FloatMode: 240
; IeeeMode: 1
; LDSByteSize: 2048 bytes/workgroup (compile time only)
; SGPRBlocks: 0
; VGPRBlocks: 6
; NumSGPRsForWavesPerEU: 36
; NumVGPRsForWavesPerEU: 56
; Occupancy: 16
; WaveLimiterHint : 0
; COMPUTE_PGM_RSRC2:SCRATCH_EN: 0
; COMPUTE_PGM_RSRC2:USER_SGPR: 2
; COMPUTE_PGM_RSRC2:TRAP_HANDLER: 0
; COMPUTE_PGM_RSRC2:TGID_X_EN: 1
; COMPUTE_PGM_RSRC2:TGID_Y_EN: 1
; COMPUTE_PGM_RSRC2:TGID_Z_EN: 1
; COMPUTE_PGM_RSRC2:TIDIG_COMP_CNT: 1
	.section	.text._ZL29rocblas_internal_gemmt_kernelIlLi16ELi32ELi8ELc67ELc67ELc85ELb0ELb0EfPKfS1_PfEviT_T9_T10_S3_lS5_S3_lS4_T11_S3_li,"axG",@progbits,_ZL29rocblas_internal_gemmt_kernelIlLi16ELi32ELi8ELc67ELc67ELc85ELb0ELb0EfPKfS1_PfEviT_T9_T10_S3_lS5_S3_lS4_T11_S3_li,comdat
	.globl	_ZL29rocblas_internal_gemmt_kernelIlLi16ELi32ELi8ELc67ELc67ELc85ELb0ELb0EfPKfS1_PfEviT_T9_T10_S3_lS5_S3_lS4_T11_S3_li ; -- Begin function _ZL29rocblas_internal_gemmt_kernelIlLi16ELi32ELi8ELc67ELc67ELc85ELb0ELb0EfPKfS1_PfEviT_T9_T10_S3_lS5_S3_lS4_T11_S3_li
	.p2align	8
	.type	_ZL29rocblas_internal_gemmt_kernelIlLi16ELi32ELi8ELc67ELc67ELc85ELb0ELb0EfPKfS1_PfEviT_T9_T10_S3_lS5_S3_lS4_T11_S3_li,@function
_ZL29rocblas_internal_gemmt_kernelIlLi16ELi32ELi8ELc67ELc67ELc85ELb0ELb0EfPKfS1_PfEviT_T9_T10_S3_lS5_S3_lS4_T11_S3_li: ; @_ZL29rocblas_internal_gemmt_kernelIlLi16ELi32ELi8ELc67ELc67ELc85ELb0ELb0EfPKfS1_PfEviT_T9_T10_S3_lS5_S3_lS4_T11_S3_li
; %bb.0:
	s_clause 0x1
	s_load_b256 s[24:31], s[0:1], 0x48
	s_load_b512 s[8:23], s[0:1], 0x8
	s_wait_kmcnt 0x0
	s_load_b32 s24, s[24:25], 0x0
	s_load_b32 s10, s[10:11], 0x0
	s_wait_kmcnt 0x0
	s_cmp_neq_f32 s24, 1.0
	s_cselect_b32 s2, -1, 0
	s_delay_alu instid0(SALU_CYCLE_1)
	s_and_b32 vcc_lo, exec_lo, s2
	s_cbranch_vccnz .LBB152_2
; %bb.1:
	s_cmp_lg_u64 s[8:9], 0
	s_cselect_b32 s2, -1, 0
	s_cmp_neq_f32 s10, 0
	s_cselect_b32 s3, -1, 0
	s_delay_alu instid0(SALU_CYCLE_1)
	s_and_b32 s2, s2, s3
.LBB152_2:
	s_delay_alu instid0(SALU_CYCLE_1)
	s_and_not1_b32 vcc_lo, exec_lo, s2
	s_cbranch_vccnz .LBB152_35
; %bb.3:
	s_load_b32 s11, s[0:1], 0x68
	s_lshr_b32 s6, ttmp7, 16
	s_wait_kmcnt 0x0
	s_cmp_ge_u32 s6, s11
	s_cbranch_scc1 .LBB152_35
; %bb.4:
	v_and_b32_e32 v2, 0x3ff, v0
	v_bfe_u32 v3, v0, 10, 10
	s_load_b32 s3, s[0:1], 0x0
	s_lshl_b32 s0, ttmp7, 5
	s_lshl_b32 s2, ttmp9, 5
	s_and_b32 s0, s0, 0x1fffe0
	v_lshl_add_u32 v4, v3, 4, v2
	v_add_nc_u32_e32 v11, s0, v3
	v_and_b32_e32 v12, 7, v0
	s_cmp_neq_f32 s10, 0
	v_lshl_add_u32 v21, v3, 5, 0x400
	v_lshrrev_b32_e32 v13, 5, v4
	v_mad_co_u64_u32 v[6:7], null, s28, v11, 0
	v_and_b32_e32 v5, 31, v4
	s_cselect_b32 s33, -1, 0
	s_ashr_i32 s1, s2, 31
	v_lshlrev_b32_e32 v9, 2, v12
	s_wait_alu 0xfffe
	s_mul_i32 s1, s14, s1
	v_or_b32_e32 v8, s2, v5
	v_lshrrev_b32_e32 v4, 3, v4
	v_add_nc_u32_e32 v22, 16, v11
	s_cmp_neq_f32 s24, 0
	v_cmp_gt_i64_e64 s25, s[8:9], 0
	v_mul_lo_u32 v10, s15, v8
	v_mad_co_u64_u32 v[0:1], null, s14, v8, 0
	s_mov_b32 s7, 0
	s_wait_alu 0xfffe
	v_add3_u32 v1, v1, s1, v10
	v_add_nc_u32_e32 v10, s0, v4
	v_lshl_or_b32 v4, v4, 5, v9
	s_wait_kmcnt 0x0
	v_cmp_gt_i32_e64 s0, s3, v8
	v_mad_co_u64_u32 v[8:9], null, s28, v22, 0
	v_lshlrev_b64_e32 v[0:1], 2, v[0:1]
	v_add_nc_u32_e32 v15, 0x400, v4
	v_lshlrev_b32_e32 v4, 2, v10
	v_cmp_gt_i32_e64 s1, s3, v10
	s_delay_alu instid0(VALU_DEP_4) | instskip(NEXT) | instid1(VALU_DEP_1)
	v_add_co_u32 v16, vcc_lo, s12, v0
	v_add_co_ci_u32_e64 v17, null, s13, v1, vcc_lo
	v_dual_mov_b32 v1, 0 :: v_dual_mov_b32 v0, v7
	v_add_co_u32 v18, s4, s18, v4
	v_lshlrev_b32_e32 v20, 2, v2
	v_add_nc_u32_e32 v2, s2, v2
	s_delay_alu instid0(VALU_DEP_4) | instskip(SKIP_2) | instid1(VALU_DEP_4)
	v_mad_co_u64_u32 v[3:4], null, s29, v11, v[0:1]
	v_mov_b32_e32 v0, v9
	v_cmp_gt_i32_e32 vcc_lo, s3, v11
	v_cmp_le_i32_e64 s2, v2, v11
	v_add_nc_u32_e32 v4, 16, v2
	v_lshlrev_b32_e32 v5, 2, v5
	v_mad_co_u64_u32 v[9:10], null, s29, v22, v[0:1]
	v_mov_b32_e32 v7, v3
	v_add_co_ci_u32_e64 v19, null, s19, 0, s4
	s_cselect_b32 s12, -1, 0
	s_and_b32 s13, vcc_lo, s2
	v_cmp_le_i32_e64 s2, v4, v11
	v_cmp_gt_i32_e64 s3, s3, v22
	v_cmp_le_i32_e64 s4, v2, v22
	v_cmp_le_i32_e64 s5, v4, v22
	v_lshlrev_b64_e32 v[6:7], 2, v[6:7]
	v_lshlrev_b64_e32 v[8:9], 2, v[8:9]
	v_lshl_or_b32 v14, v13, 7, v5
	v_ashrrev_i32_e32 v3, 31, v2
	v_ashrrev_i32_e32 v5, 31, v4
	s_and_b32 s14, s33, s25
	s_and_b32 s15, vcc_lo, s2
	s_and_b32 s4, s3, s4
	s_and_b32 s5, s3, s5
	s_branch .LBB152_6
.LBB152_5:                              ;   in Loop: Header=BB152_6 Depth=1
	s_wait_alu 0xfffe
	s_or_b32 exec_lo, exec_lo, s2
	s_add_co_i32 s6, s6, 0x10000
	s_delay_alu instid0(SALU_CYCLE_1)
	s_cmp_lt_u32 s6, s11
	s_cbranch_scc0 .LBB152_35
.LBB152_6:                              ; =>This Loop Header: Depth=1
                                        ;     Child Loop BB152_9 Depth 2
	v_dual_mov_b32 v11, v1 :: v_dual_mov_b32 v10, v1
	v_dual_mov_b32 v23, v1 :: v_dual_mov_b32 v22, v1
	s_wait_alu 0xfffe
	s_and_not1_b32 vcc_lo, exec_lo, s14
	s_wait_alu 0xfffe
	s_cbranch_vccnz .LBB152_15
; %bb.7:                                ;   in Loop: Header=BB152_6 Depth=1
	s_mul_u64 s[2:3], s[16:17], s[6:7]
	s_mul_u64 s[18:19], s[22:23], s[6:7]
	s_wait_alu 0xfffe
	s_lshl_b64 s[2:3], s[2:3], 2
	v_dual_mov_b32 v22, 0 :: v_dual_mov_b32 v23, 0
	s_wait_alu 0xfffe
	v_add_co_u32 v24, vcc_lo, v16, s2
	s_wait_alu 0xfffd
	v_add_co_ci_u32_e64 v25, null, s3, v17, vcc_lo
	s_lshl_b64 s[2:3], s[18:19], 2
	v_dual_mov_b32 v10, 0 :: v_dual_mov_b32 v11, 0
	s_wait_alu 0xfffe
	v_add_co_u32 v26, vcc_lo, v18, s2
	s_wait_alu 0xfffd
	v_add_co_ci_u32_e64 v27, null, s3, v19, vcc_lo
	s_mov_b64 s[2:3], 0
	s_branch .LBB152_9
.LBB152_8:                              ;   in Loop: Header=BB152_9 Depth=2
	s_wait_alu 0xfffe
	s_or_b32 exec_lo, exec_lo, s18
	s_wait_loadcnt 0x0
	ds_store_b32 v15, v29
	s_wait_dscnt 0x0
	s_barrier_signal -1
	s_barrier_wait -1
	global_inv scope:SCOPE_SE
	ds_load_b128 v[28:31], v21
	ds_load_2addr_b32 v[44:45], v20 offset1:16
	ds_load_b128 v[32:35], v21 offset:512
	ds_load_2addr_b32 v[46:47], v20 offset0:32 offset1:48
	ds_load_2addr_b32 v[48:49], v20 offset0:64 offset1:80
	;; [unrolled: 1-line block ×3, first 2 shown]
	ds_load_b128 v[36:39], v21 offset:16
	ds_load_2addr_b32 v[52:53], v20 offset0:128 offset1:144
	ds_load_b128 v[40:43], v21 offset:528
	ds_load_2addr_b32 v[54:55], v20 offset0:160 offset1:176
	s_add_nc_u64 s[2:3], s[2:3], 8
	s_wait_alu 0xfffe
	v_cmp_gt_i64_e64 s18, s[8:9], s[2:3]
	s_and_b32 vcc_lo, exec_lo, s18
	s_wait_dscnt 0x8
	v_fmac_f32_e32 v10, v45, v28
	v_fmac_f32_e32 v11, v44, v28
	s_wait_dscnt 0x7
	v_fmac_f32_e32 v22, v45, v32
	v_fmac_f32_e32 v23, v44, v32
	ds_load_2addr_b32 v[44:45], v20 offset0:192 offset1:208
	s_wait_dscnt 0x7
	v_fmac_f32_e32 v10, v47, v29
	v_fmac_f32_e32 v11, v46, v29
	;; [unrolled: 1-line block ×4, first 2 shown]
	ds_load_2addr_b32 v[28:29], v20 offset0:224 offset1:240
	s_wait_dscnt 0x7
	v_fmac_f32_e32 v10, v49, v30
	v_fmac_f32_e32 v11, v48, v30
	;; [unrolled: 1-line block ×4, first 2 shown]
	s_wait_loadcnt_dscnt 0x0
	v_fmac_f32_e32 v10, v51, v31
	v_fmac_f32_e32 v11, v50, v31
	;; [unrolled: 1-line block ×4, first 2 shown]
	s_barrier_signal -1
	v_fmac_f32_e32 v10, v53, v36
	v_fmac_f32_e32 v11, v52, v36
	;; [unrolled: 1-line block ×4, first 2 shown]
	s_barrier_wait -1
	v_fmac_f32_e32 v10, v55, v37
	v_fmac_f32_e32 v11, v54, v37
	;; [unrolled: 1-line block ×4, first 2 shown]
	global_inv scope:SCOPE_SE
	v_fmac_f32_e32 v10, v45, v38
	v_fmac_f32_e32 v11, v44, v38
	;; [unrolled: 1-line block ×3, first 2 shown]
	s_delay_alu instid0(VALU_DEP_3) | instskip(NEXT) | instid1(VALU_DEP_3)
	v_dual_fmac_f32 v23, v44, v42 :: v_dual_fmac_f32 v10, v29, v39
	v_fmac_f32_e32 v11, v28, v39
	s_delay_alu instid0(VALU_DEP_3) | instskip(NEXT) | instid1(VALU_DEP_3)
	v_fmac_f32_e32 v22, v29, v43
	v_fmac_f32_e32 v23, v28, v43
	s_wait_alu 0xfffe
	s_cbranch_vccz .LBB152_15
.LBB152_9:                              ;   Parent Loop BB152_6 Depth=1
                                        ; =>  This Inner Loop Header: Depth=2
	v_mov_b32_e32 v28, 0
	s_and_saveexec_b32 s18, s0
	s_cbranch_execz .LBB152_13
; %bb.10:                               ;   in Loop: Header=BB152_9 Depth=2
	s_wait_alu 0xfffe
	v_add_nc_u32_e32 v0, s2, v13
	v_mov_b32_e32 v28, 0
	s_mov_b32 s19, exec_lo
	s_delay_alu instid0(VALU_DEP_2)
	v_cmpx_gt_u64_e64 s[8:9], v[0:1]
	s_cbranch_execz .LBB152_12
; %bb.11:                               ;   in Loop: Header=BB152_9 Depth=2
	v_lshlrev_b64_e32 v[28:29], 2, v[0:1]
	s_delay_alu instid0(VALU_DEP_1) | instskip(SKIP_1) | instid1(VALU_DEP_2)
	v_add_co_u32 v28, vcc_lo, v24, v28
	s_wait_alu 0xfffd
	v_add_co_ci_u32_e64 v29, null, v25, v29, vcc_lo
	global_load_b32 v28, v[28:29], off
.LBB152_12:                             ;   in Loop: Header=BB152_9 Depth=2
	s_wait_alu 0xfffe
	s_or_b32 exec_lo, exec_lo, s19
.LBB152_13:                             ;   in Loop: Header=BB152_9 Depth=2
	s_wait_alu 0xfffe
	s_or_b32 exec_lo, exec_lo, s18
	v_dual_mov_b32 v29, 0 :: v_dual_add_nc_u32 v0, s2, v12
	s_wait_loadcnt 0x0
	ds_store_b32 v14, v28
	v_cmp_gt_u64_e32 vcc_lo, s[8:9], v[0:1]
	s_and_b32 s19, vcc_lo, s1
	s_wait_alu 0xfffe
	s_and_saveexec_b32 s18, s19
	s_cbranch_execz .LBB152_8
; %bb.14:                               ;   in Loop: Header=BB152_9 Depth=2
	v_mad_co_u64_u32 v[28:29], null, s20, v0, 0
	s_delay_alu instid0(VALU_DEP_1) | instskip(NEXT) | instid1(VALU_DEP_1)
	v_mad_co_u64_u32 v[29:30], null, s21, v0, v[29:30]
	v_lshlrev_b64_e32 v[28:29], 2, v[28:29]
	s_delay_alu instid0(VALU_DEP_1) | instskip(SKIP_1) | instid1(VALU_DEP_2)
	v_add_co_u32 v28, vcc_lo, v26, v28
	s_wait_alu 0xfffd
	v_add_co_ci_u32_e64 v29, null, v27, v29, vcc_lo
	global_load_b32 v29, v[28:29], off
	s_branch .LBB152_8
.LBB152_15:                             ;   in Loop: Header=BB152_6 Depth=1
	s_mul_u64 s[2:3], s[30:31], s[6:7]
	s_wait_alu 0xfffe
	s_lshl_b64 s[2:3], s[2:3], 2
	s_wait_alu 0xfffe
	s_add_nc_u64 s[2:3], s[26:27], s[2:3]
	s_wait_alu 0xfffe
	v_add_co_u32 v0, vcc_lo, s2, v6
	s_wait_alu 0xfffd
	v_add_co_ci_u32_e64 v24, null, s3, v7, vcc_lo
	s_and_saveexec_b32 s18, s13
	s_cbranch_execz .LBB152_19
; %bb.16:                               ;   in Loop: Header=BB152_6 Depth=1
	v_mul_f32_e32 v11, s10, v11
	s_and_b32 vcc_lo, exec_lo, s12
	s_wait_alu 0xfffe
	s_cbranch_vccz .LBB152_30
; %bb.17:                               ;   in Loop: Header=BB152_6 Depth=1
	v_lshlrev_b64_e32 v[25:26], 2, v[2:3]
	s_delay_alu instid0(VALU_DEP_1) | instskip(SKIP_1) | instid1(VALU_DEP_2)
	v_add_co_u32 v25, vcc_lo, v0, v25
	s_wait_alu 0xfffd
	v_add_co_ci_u32_e64 v26, null, v24, v26, vcc_lo
	global_load_b32 v27, v[25:26], off
	s_wait_loadcnt 0x0
	v_fma_f32 v27, s24, v27, v11
	global_store_b32 v[25:26], v27, off
	s_cbranch_execnz .LBB152_19
.LBB152_18:                             ;   in Loop: Header=BB152_6 Depth=1
	v_lshlrev_b64_e32 v[25:26], 2, v[2:3]
	s_delay_alu instid0(VALU_DEP_1) | instskip(SKIP_1) | instid1(VALU_DEP_2)
	v_add_co_u32 v25, vcc_lo, v0, v25
	s_wait_alu 0xfffd
	v_add_co_ci_u32_e64 v26, null, v24, v26, vcc_lo
	global_store_b32 v[25:26], v11, off
.LBB152_19:                             ;   in Loop: Header=BB152_6 Depth=1
	s_wait_alu 0xfffe
	s_or_b32 exec_lo, exec_lo, s18
	s_and_saveexec_b32 s18, s15
	s_cbranch_execz .LBB152_23
; %bb.20:                               ;   in Loop: Header=BB152_6 Depth=1
	v_mul_f32_e32 v10, s10, v10
	s_and_not1_b32 vcc_lo, exec_lo, s12
	s_wait_alu 0xfffe
	s_cbranch_vccnz .LBB152_31
; %bb.21:                               ;   in Loop: Header=BB152_6 Depth=1
	v_lshlrev_b64_e32 v[25:26], 2, v[4:5]
	s_delay_alu instid0(VALU_DEP_1) | instskip(SKIP_1) | instid1(VALU_DEP_2)
	v_add_co_u32 v25, vcc_lo, v0, v25
	s_wait_alu 0xfffd
	v_add_co_ci_u32_e64 v26, null, v24, v26, vcc_lo
	global_load_b32 v11, v[25:26], off
	s_wait_loadcnt 0x0
	v_fma_f32 v11, s24, v11, v10
	global_store_b32 v[25:26], v11, off
	s_cbranch_execnz .LBB152_23
.LBB152_22:                             ;   in Loop: Header=BB152_6 Depth=1
	v_lshlrev_b64_e32 v[25:26], 2, v[4:5]
	s_delay_alu instid0(VALU_DEP_1) | instskip(SKIP_1) | instid1(VALU_DEP_2)
	v_add_co_u32 v25, vcc_lo, v0, v25
	s_wait_alu 0xfffd
	v_add_co_ci_u32_e64 v26, null, v24, v26, vcc_lo
	global_store_b32 v[25:26], v10, off
.LBB152_23:                             ;   in Loop: Header=BB152_6 Depth=1
	s_wait_alu 0xfffe
	s_or_b32 exec_lo, exec_lo, s18
	v_add_co_u32 v0, vcc_lo, s2, v8
	s_wait_alu 0xfffd
	v_add_co_ci_u32_e64 v24, null, s3, v9, vcc_lo
	s_and_saveexec_b32 s2, s4
	s_cbranch_execz .LBB152_27
; %bb.24:                               ;   in Loop: Header=BB152_6 Depth=1
	v_lshlrev_b64_e32 v[10:11], 2, v[2:3]
	v_mul_f32_e32 v23, s10, v23
	s_and_not1_b32 vcc_lo, exec_lo, s12
	s_wait_alu 0xfffe
	s_cbranch_vccnz .LBB152_32
; %bb.25:                               ;   in Loop: Header=BB152_6 Depth=1
	s_delay_alu instid0(VALU_DEP_2)
	v_add_co_u32 v25, vcc_lo, v0, v10
	s_wait_alu 0xfffd
	v_add_co_ci_u32_e64 v26, null, v24, v11, vcc_lo
	global_load_b32 v27, v[25:26], off
	s_wait_loadcnt 0x0
	v_fma_f32 v27, s24, v27, v23
	global_store_b32 v[25:26], v27, off
	s_cbranch_execnz .LBB152_27
.LBB152_26:                             ;   in Loop: Header=BB152_6 Depth=1
	v_add_co_u32 v10, vcc_lo, v0, v10
	s_wait_alu 0xfffd
	v_add_co_ci_u32_e64 v11, null, v24, v11, vcc_lo
	global_store_b32 v[10:11], v23, off
.LBB152_27:                             ;   in Loop: Header=BB152_6 Depth=1
	s_wait_alu 0xfffe
	s_or_b32 exec_lo, exec_lo, s2
	s_and_saveexec_b32 s2, s5
	s_cbranch_execz .LBB152_5
; %bb.28:                               ;   in Loop: Header=BB152_6 Depth=1
	v_lshlrev_b64_e32 v[10:11], 2, v[4:5]
	v_mul_f32_e32 v22, s10, v22
	s_and_not1_b32 vcc_lo, exec_lo, s12
	s_wait_alu 0xfffe
	s_cbranch_vccnz .LBB152_33
; %bb.29:                               ;   in Loop: Header=BB152_6 Depth=1
	s_delay_alu instid0(VALU_DEP_2)
	v_add_co_u32 v25, vcc_lo, v0, v10
	s_wait_alu 0xfffd
	v_add_co_ci_u32_e64 v26, null, v24, v11, vcc_lo
	global_load_b32 v23, v[25:26], off
	s_wait_loadcnt 0x0
	v_fma_f32 v23, s24, v23, v22
	global_store_b32 v[25:26], v23, off
	s_cbranch_execnz .LBB152_5
	s_branch .LBB152_34
.LBB152_30:                             ;   in Loop: Header=BB152_6 Depth=1
	s_branch .LBB152_18
.LBB152_31:                             ;   in Loop: Header=BB152_6 Depth=1
	s_branch .LBB152_22
.LBB152_32:                             ;   in Loop: Header=BB152_6 Depth=1
	s_branch .LBB152_26
.LBB152_33:                             ;   in Loop: Header=BB152_6 Depth=1
.LBB152_34:                             ;   in Loop: Header=BB152_6 Depth=1
	s_delay_alu instid0(VALU_DEP_2)
	v_add_co_u32 v10, vcc_lo, v0, v10
	s_wait_alu 0xfffd
	v_add_co_ci_u32_e64 v11, null, v24, v11, vcc_lo
	global_store_b32 v[10:11], v22, off
	s_branch .LBB152_5
.LBB152_35:
	s_endpgm
	.section	.rodata,"a",@progbits
	.p2align	6, 0x0
	.amdhsa_kernel _ZL29rocblas_internal_gemmt_kernelIlLi16ELi32ELi8ELc67ELc67ELc85ELb0ELb0EfPKfS1_PfEviT_T9_T10_S3_lS5_S3_lS4_T11_S3_li
		.amdhsa_group_segment_fixed_size 2048
		.amdhsa_private_segment_fixed_size 0
		.amdhsa_kernarg_size 108
		.amdhsa_user_sgpr_count 2
		.amdhsa_user_sgpr_dispatch_ptr 0
		.amdhsa_user_sgpr_queue_ptr 0
		.amdhsa_user_sgpr_kernarg_segment_ptr 1
		.amdhsa_user_sgpr_dispatch_id 0
		.amdhsa_user_sgpr_private_segment_size 0
		.amdhsa_wavefront_size32 1
		.amdhsa_uses_dynamic_stack 0
		.amdhsa_enable_private_segment 0
		.amdhsa_system_sgpr_workgroup_id_x 1
		.amdhsa_system_sgpr_workgroup_id_y 1
		.amdhsa_system_sgpr_workgroup_id_z 1
		.amdhsa_system_sgpr_workgroup_info 0
		.amdhsa_system_vgpr_workitem_id 1
		.amdhsa_next_free_vgpr 56
		.amdhsa_next_free_sgpr 34
		.amdhsa_reserve_vcc 1
		.amdhsa_float_round_mode_32 0
		.amdhsa_float_round_mode_16_64 0
		.amdhsa_float_denorm_mode_32 3
		.amdhsa_float_denorm_mode_16_64 3
		.amdhsa_fp16_overflow 0
		.amdhsa_workgroup_processor_mode 1
		.amdhsa_memory_ordered 1
		.amdhsa_forward_progress 1
		.amdhsa_inst_pref_size 15
		.amdhsa_round_robin_scheduling 0
		.amdhsa_exception_fp_ieee_invalid_op 0
		.amdhsa_exception_fp_denorm_src 0
		.amdhsa_exception_fp_ieee_div_zero 0
		.amdhsa_exception_fp_ieee_overflow 0
		.amdhsa_exception_fp_ieee_underflow 0
		.amdhsa_exception_fp_ieee_inexact 0
		.amdhsa_exception_int_div_zero 0
	.end_amdhsa_kernel
	.section	.text._ZL29rocblas_internal_gemmt_kernelIlLi16ELi32ELi8ELc67ELc67ELc85ELb0ELb0EfPKfS1_PfEviT_T9_T10_S3_lS5_S3_lS4_T11_S3_li,"axG",@progbits,_ZL29rocblas_internal_gemmt_kernelIlLi16ELi32ELi8ELc67ELc67ELc85ELb0ELb0EfPKfS1_PfEviT_T9_T10_S3_lS5_S3_lS4_T11_S3_li,comdat
.Lfunc_end152:
	.size	_ZL29rocblas_internal_gemmt_kernelIlLi16ELi32ELi8ELc67ELc67ELc85ELb0ELb0EfPKfS1_PfEviT_T9_T10_S3_lS5_S3_lS4_T11_S3_li, .Lfunc_end152-_ZL29rocblas_internal_gemmt_kernelIlLi16ELi32ELi8ELc67ELc67ELc85ELb0ELb0EfPKfS1_PfEviT_T9_T10_S3_lS5_S3_lS4_T11_S3_li
                                        ; -- End function
	.set _ZL29rocblas_internal_gemmt_kernelIlLi16ELi32ELi8ELc67ELc67ELc85ELb0ELb0EfPKfS1_PfEviT_T9_T10_S3_lS5_S3_lS4_T11_S3_li.num_vgpr, 56
	.set _ZL29rocblas_internal_gemmt_kernelIlLi16ELi32ELi8ELc67ELc67ELc85ELb0ELb0EfPKfS1_PfEviT_T9_T10_S3_lS5_S3_lS4_T11_S3_li.num_agpr, 0
	.set _ZL29rocblas_internal_gemmt_kernelIlLi16ELi32ELi8ELc67ELc67ELc85ELb0ELb0EfPKfS1_PfEviT_T9_T10_S3_lS5_S3_lS4_T11_S3_li.numbered_sgpr, 34
	.set _ZL29rocblas_internal_gemmt_kernelIlLi16ELi32ELi8ELc67ELc67ELc85ELb0ELb0EfPKfS1_PfEviT_T9_T10_S3_lS5_S3_lS4_T11_S3_li.num_named_barrier, 0
	.set _ZL29rocblas_internal_gemmt_kernelIlLi16ELi32ELi8ELc67ELc67ELc85ELb0ELb0EfPKfS1_PfEviT_T9_T10_S3_lS5_S3_lS4_T11_S3_li.private_seg_size, 0
	.set _ZL29rocblas_internal_gemmt_kernelIlLi16ELi32ELi8ELc67ELc67ELc85ELb0ELb0EfPKfS1_PfEviT_T9_T10_S3_lS5_S3_lS4_T11_S3_li.uses_vcc, 1
	.set _ZL29rocblas_internal_gemmt_kernelIlLi16ELi32ELi8ELc67ELc67ELc85ELb0ELb0EfPKfS1_PfEviT_T9_T10_S3_lS5_S3_lS4_T11_S3_li.uses_flat_scratch, 0
	.set _ZL29rocblas_internal_gemmt_kernelIlLi16ELi32ELi8ELc67ELc67ELc85ELb0ELb0EfPKfS1_PfEviT_T9_T10_S3_lS5_S3_lS4_T11_S3_li.has_dyn_sized_stack, 0
	.set _ZL29rocblas_internal_gemmt_kernelIlLi16ELi32ELi8ELc67ELc67ELc85ELb0ELb0EfPKfS1_PfEviT_T9_T10_S3_lS5_S3_lS4_T11_S3_li.has_recursion, 0
	.set _ZL29rocblas_internal_gemmt_kernelIlLi16ELi32ELi8ELc67ELc67ELc85ELb0ELb0EfPKfS1_PfEviT_T9_T10_S3_lS5_S3_lS4_T11_S3_li.has_indirect_call, 0
	.section	.AMDGPU.csdata,"",@progbits
; Kernel info:
; codeLenInByte = 1856
; TotalNumSgprs: 36
; NumVgprs: 56
; ScratchSize: 0
; MemoryBound: 0
; FloatMode: 240
; IeeeMode: 1
; LDSByteSize: 2048 bytes/workgroup (compile time only)
; SGPRBlocks: 0
; VGPRBlocks: 6
; NumSGPRsForWavesPerEU: 36
; NumVGPRsForWavesPerEU: 56
; Occupancy: 16
; WaveLimiterHint : 0
; COMPUTE_PGM_RSRC2:SCRATCH_EN: 0
; COMPUTE_PGM_RSRC2:USER_SGPR: 2
; COMPUTE_PGM_RSRC2:TRAP_HANDLER: 0
; COMPUTE_PGM_RSRC2:TGID_X_EN: 1
; COMPUTE_PGM_RSRC2:TGID_Y_EN: 1
; COMPUTE_PGM_RSRC2:TGID_Z_EN: 1
; COMPUTE_PGM_RSRC2:TIDIG_COMP_CNT: 1
	.section	.text._ZL29rocblas_internal_gemmt_kernelIlLi16ELi32ELi8ELc78ELc78ELc76ELb0ELb0EfPKfS1_PfEviT_T9_T10_S3_lS5_S3_lS4_T11_S3_li,"axG",@progbits,_ZL29rocblas_internal_gemmt_kernelIlLi16ELi32ELi8ELc78ELc78ELc76ELb0ELb0EfPKfS1_PfEviT_T9_T10_S3_lS5_S3_lS4_T11_S3_li,comdat
	.globl	_ZL29rocblas_internal_gemmt_kernelIlLi16ELi32ELi8ELc78ELc78ELc76ELb0ELb0EfPKfS1_PfEviT_T9_T10_S3_lS5_S3_lS4_T11_S3_li ; -- Begin function _ZL29rocblas_internal_gemmt_kernelIlLi16ELi32ELi8ELc78ELc78ELc76ELb0ELb0EfPKfS1_PfEviT_T9_T10_S3_lS5_S3_lS4_T11_S3_li
	.p2align	8
	.type	_ZL29rocblas_internal_gemmt_kernelIlLi16ELi32ELi8ELc78ELc78ELc76ELb0ELb0EfPKfS1_PfEviT_T9_T10_S3_lS5_S3_lS4_T11_S3_li,@function
_ZL29rocblas_internal_gemmt_kernelIlLi16ELi32ELi8ELc78ELc78ELc76ELb0ELb0EfPKfS1_PfEviT_T9_T10_S3_lS5_S3_lS4_T11_S3_li: ; @_ZL29rocblas_internal_gemmt_kernelIlLi16ELi32ELi8ELc78ELc78ELc76ELb0ELb0EfPKfS1_PfEviT_T9_T10_S3_lS5_S3_lS4_T11_S3_li
; %bb.0:
	s_clause 0x1
	s_load_b256 s[24:31], s[0:1], 0x48
	s_load_b512 s[8:23], s[0:1], 0x8
	s_wait_kmcnt 0x0
	s_load_b32 s24, s[24:25], 0x0
	s_load_b32 s10, s[10:11], 0x0
	s_wait_kmcnt 0x0
	s_cmp_neq_f32 s24, 1.0
	s_cselect_b32 s2, -1, 0
	s_delay_alu instid0(SALU_CYCLE_1)
	s_and_b32 vcc_lo, exec_lo, s2
	s_cbranch_vccnz .LBB153_2
; %bb.1:
	s_cmp_lg_u64 s[8:9], 0
	s_cselect_b32 s2, -1, 0
	s_cmp_neq_f32 s10, 0
	s_cselect_b32 s3, -1, 0
	s_delay_alu instid0(SALU_CYCLE_1)
	s_and_b32 s2, s2, s3
.LBB153_2:
	s_delay_alu instid0(SALU_CYCLE_1)
	s_and_not1_b32 vcc_lo, exec_lo, s2
	s_cbranch_vccnz .LBB153_35
; %bb.3:
	s_load_b32 s11, s[0:1], 0x68
	s_lshr_b32 s6, ttmp7, 16
	s_wait_kmcnt 0x0
	s_cmp_ge_u32 s6, s11
	s_cbranch_scc1 .LBB153_35
; %bb.4:
	v_and_b32_e32 v3, 0x3ff, v0
	v_bfe_u32 v4, v0, 10, 10
	s_load_b32 s3, s[0:1], 0x0
	s_lshl_b32 s1, ttmp7, 5
	s_lshl_b32 s0, ttmp9, 5
	s_and_b32 s1, s1, 0x1fffe0
	v_lshl_add_u32 v5, v4, 4, v3
	v_lshl_add_u32 v14, v4, 5, 0x400
	v_add_nc_u32_e32 v22, s1, v4
	v_lshlrev_b32_e32 v13, 2, v3
	s_cmp_neq_f32 s10, 0
	v_lshrrev_b32_e32 v10, 3, v5
	v_and_b32_e32 v4, 31, v5
	v_mad_co_u64_u32 v[6:7], null, s28, v22, 0
	v_and_b32_e32 v12, 7, v0
	s_delay_alu instid0(VALU_DEP_4)
	v_add_nc_u32_e32 v11, s1, v10
	v_add_nc_u32_e32 v0, s0, v3
	v_or_b32_e32 v3, s0, v4
	v_lshrrev_b32_e32 v15, 5, v5
	v_add_nc_u32_e32 v23, 16, v22
	v_mad_co_u64_u32 v[1:2], null, s20, v11, 0
	v_dual_mov_b32 v5, v7 :: v_dual_lshlrev_b32 v16, 2, v12
	v_lshlrev_b32_e32 v17, 2, v4
	v_ashrrev_i32_e32 v4, 31, v3
	s_wait_kmcnt 0x0
	v_cmp_gt_i32_e64 s0, s3, v3
	s_cselect_b32 s20, -1, 0
	v_mad_co_u64_u32 v[8:9], null, s21, v11, v[2:3]
	v_lshl_or_b32 v18, v10, 5, v16
	v_mad_co_u64_u32 v[9:10], null, s28, v23, 0
	v_lshlrev_b64_e32 v[3:4], 2, v[3:4]
	v_lshl_or_b32 v16, v15, 7, v17
	s_delay_alu instid0(VALU_DEP_4) | instskip(SKIP_2) | instid1(VALU_DEP_4)
	v_dual_mov_b32 v2, v8 :: v_dual_add_nc_u32 v17, 0x400, v18
	s_cmp_neq_f32 s24, 0
	v_cmp_gt_i64_e64 s25, s[8:9], 0
	v_add_co_u32 v18, vcc_lo, s12, v3
	s_delay_alu instid0(VALU_DEP_3)
	v_lshlrev_b64_e32 v[1:2], 2, v[1:2]
	v_mov_b32_e32 v3, v10
	v_add_co_ci_u32_e64 v19, null, s13, v4, vcc_lo
	s_cselect_b32 s12, -1, 0
	s_mov_b32 s7, 0
	v_add_co_u32 v20, vcc_lo, s18, v1
	s_wait_alu 0xfffd
	v_add_co_ci_u32_e64 v21, null, s19, v2, vcc_lo
	v_mad_co_u64_u32 v[1:2], null, s29, v22, v[5:6]
	v_mad_co_u64_u32 v[4:5], null, s29, v23, v[3:4]
	v_mov_b32_e32 v5, 0
	s_wait_alu 0xfffe
	s_and_b32 s18, s20, s25
	s_delay_alu instid0(VALU_DEP_3)
	v_mov_b32_e32 v7, v1
	v_cmp_le_i32_e32 vcc_lo, v22, v0
	v_cmp_gt_i32_e64 s2, s3, v0
	v_add_nc_u32_e32 v2, 16, v0
	v_mov_b32_e32 v10, v4
	v_cmp_gt_i32_e64 s1, s3, v11
	v_cmp_le_i32_e64 s4, v23, v0
	s_and_b32 s13, vcc_lo, s2
	v_cmp_le_i32_e32 vcc_lo, v22, v2
	v_cmp_gt_i32_e64 s3, s3, v2
	v_cmp_le_i32_e64 s5, v23, v2
	v_lshlrev_b64_e32 v[6:7], 2, v[6:7]
	v_lshlrev_b64_e32 v[8:9], 2, v[9:10]
	v_ashrrev_i32_e32 v1, 31, v0
	v_ashrrev_i32_e32 v3, 31, v2
	s_and_b32 s19, vcc_lo, s3
	s_and_b32 s4, s4, s2
	s_and_b32 s5, s5, s3
	s_branch .LBB153_6
.LBB153_5:                              ;   in Loop: Header=BB153_6 Depth=1
	s_wait_alu 0xfffe
	s_or_b32 exec_lo, exec_lo, s2
	s_add_co_i32 s6, s6, 0x10000
	s_delay_alu instid0(SALU_CYCLE_1)
	s_cmp_lt_u32 s6, s11
	s_cbranch_scc0 .LBB153_35
.LBB153_6:                              ; =>This Loop Header: Depth=1
                                        ;     Child Loop BB153_9 Depth 2
	v_dual_mov_b32 v11, v5 :: v_dual_mov_b32 v10, v5
	v_dual_mov_b32 v23, v5 :: v_dual_mov_b32 v22, v5
	s_wait_alu 0xfffe
	s_and_not1_b32 vcc_lo, exec_lo, s18
	s_wait_alu 0xfffe
	s_cbranch_vccnz .LBB153_15
; %bb.7:                                ;   in Loop: Header=BB153_6 Depth=1
	s_mul_u64 s[2:3], s[16:17], s[6:7]
	s_mul_u64 s[20:21], s[22:23], s[6:7]
	s_wait_alu 0xfffe
	s_lshl_b64 s[2:3], s[2:3], 2
	v_dual_mov_b32 v22, 0 :: v_dual_mov_b32 v23, 0
	s_wait_alu 0xfffe
	v_add_co_u32 v24, vcc_lo, v18, s2
	s_wait_alu 0xfffd
	v_add_co_ci_u32_e64 v25, null, s3, v19, vcc_lo
	s_lshl_b64 s[2:3], s[20:21], 2
	v_dual_mov_b32 v10, 0 :: v_dual_mov_b32 v11, 0
	s_wait_alu 0xfffe
	v_add_co_u32 v26, vcc_lo, v20, s2
	s_wait_alu 0xfffd
	v_add_co_ci_u32_e64 v27, null, s3, v21, vcc_lo
	s_mov_b64 s[2:3], 0
	s_branch .LBB153_9
.LBB153_8:                              ;   in Loop: Header=BB153_9 Depth=2
	s_wait_alu 0xfffe
	s_or_b32 exec_lo, exec_lo, s20
	s_wait_loadcnt 0x0
	ds_store_b32 v17, v29
	s_wait_dscnt 0x0
	s_barrier_signal -1
	s_barrier_wait -1
	global_inv scope:SCOPE_SE
	ds_load_b128 v[28:31], v14
	ds_load_2addr_b32 v[44:45], v13 offset1:16
	ds_load_b128 v[32:35], v14 offset:512
	ds_load_2addr_b32 v[46:47], v13 offset0:32 offset1:48
	ds_load_2addr_b32 v[48:49], v13 offset0:64 offset1:80
	;; [unrolled: 1-line block ×3, first 2 shown]
	ds_load_b128 v[36:39], v14 offset:16
	ds_load_2addr_b32 v[52:53], v13 offset0:128 offset1:144
	ds_load_b128 v[40:43], v14 offset:528
	ds_load_2addr_b32 v[54:55], v13 offset0:160 offset1:176
	s_add_nc_u64 s[2:3], s[2:3], 8
	s_wait_alu 0xfffe
	v_cmp_gt_i64_e64 s20, s[8:9], s[2:3]
	s_and_b32 vcc_lo, exec_lo, s20
	s_wait_dscnt 0x8
	v_fmac_f32_e32 v10, v45, v28
	v_fmac_f32_e32 v11, v44, v28
	s_wait_dscnt 0x7
	v_fmac_f32_e32 v22, v45, v32
	v_fmac_f32_e32 v23, v44, v32
	ds_load_2addr_b32 v[44:45], v13 offset0:192 offset1:208
	s_wait_dscnt 0x7
	v_fmac_f32_e32 v10, v47, v29
	v_fmac_f32_e32 v11, v46, v29
	v_fmac_f32_e32 v22, v47, v33
	v_fmac_f32_e32 v23, v46, v33
	ds_load_2addr_b32 v[28:29], v13 offset0:224 offset1:240
	s_wait_dscnt 0x7
	v_fmac_f32_e32 v10, v49, v30
	v_fmac_f32_e32 v11, v48, v30
	;; [unrolled: 1-line block ×4, first 2 shown]
	s_wait_loadcnt_dscnt 0x0
	v_fmac_f32_e32 v10, v51, v31
	v_fmac_f32_e32 v11, v50, v31
	;; [unrolled: 1-line block ×4, first 2 shown]
	s_barrier_signal -1
	v_fmac_f32_e32 v10, v53, v36
	v_fmac_f32_e32 v11, v52, v36
	;; [unrolled: 1-line block ×4, first 2 shown]
	s_barrier_wait -1
	v_fmac_f32_e32 v10, v55, v37
	v_fmac_f32_e32 v11, v54, v37
	;; [unrolled: 1-line block ×4, first 2 shown]
	global_inv scope:SCOPE_SE
	v_fmac_f32_e32 v10, v45, v38
	v_fmac_f32_e32 v11, v44, v38
	v_fmac_f32_e32 v22, v45, v42
	s_delay_alu instid0(VALU_DEP_3) | instskip(NEXT) | instid1(VALU_DEP_3)
	v_dual_fmac_f32 v23, v44, v42 :: v_dual_fmac_f32 v10, v29, v39
	v_fmac_f32_e32 v11, v28, v39
	s_delay_alu instid0(VALU_DEP_3) | instskip(NEXT) | instid1(VALU_DEP_3)
	v_fmac_f32_e32 v22, v29, v43
	v_fmac_f32_e32 v23, v28, v43
	s_wait_alu 0xfffe
	s_cbranch_vccz .LBB153_15
.LBB153_9:                              ;   Parent Loop BB153_6 Depth=1
                                        ; =>  This Inner Loop Header: Depth=2
	v_mov_b32_e32 v28, 0
	s_and_saveexec_b32 s20, s0
	s_cbranch_execz .LBB153_13
; %bb.10:                               ;   in Loop: Header=BB153_9 Depth=2
	s_wait_alu 0xfffe
	v_add_nc_u32_e32 v4, s2, v15
	v_mov_b32_e32 v28, 0
	s_mov_b32 s21, exec_lo
	s_delay_alu instid0(VALU_DEP_2)
	v_cmpx_gt_u64_e64 s[8:9], v[4:5]
	s_cbranch_execz .LBB153_12
; %bb.11:                               ;   in Loop: Header=BB153_9 Depth=2
	v_mad_co_u64_u32 v[28:29], null, s14, v4, 0
	s_delay_alu instid0(VALU_DEP_1) | instskip(NEXT) | instid1(VALU_DEP_1)
	v_mad_co_u64_u32 v[29:30], null, s15, v4, v[29:30]
	v_lshlrev_b64_e32 v[28:29], 2, v[28:29]
	s_delay_alu instid0(VALU_DEP_1) | instskip(SKIP_1) | instid1(VALU_DEP_2)
	v_add_co_u32 v28, vcc_lo, v24, v28
	s_wait_alu 0xfffd
	v_add_co_ci_u32_e64 v29, null, v25, v29, vcc_lo
	global_load_b32 v28, v[28:29], off
.LBB153_12:                             ;   in Loop: Header=BB153_9 Depth=2
	s_wait_alu 0xfffe
	s_or_b32 exec_lo, exec_lo, s21
.LBB153_13:                             ;   in Loop: Header=BB153_9 Depth=2
	s_wait_alu 0xfffe
	s_or_b32 exec_lo, exec_lo, s20
	v_dual_mov_b32 v29, 0 :: v_dual_add_nc_u32 v4, s2, v12
	s_wait_loadcnt 0x0
	ds_store_b32 v16, v28
	v_cmp_gt_u64_e32 vcc_lo, s[8:9], v[4:5]
	s_and_b32 s21, vcc_lo, s1
	s_wait_alu 0xfffe
	s_and_saveexec_b32 s20, s21
	s_cbranch_execz .LBB153_8
; %bb.14:                               ;   in Loop: Header=BB153_9 Depth=2
	v_lshlrev_b64_e32 v[28:29], 2, v[4:5]
	s_delay_alu instid0(VALU_DEP_1) | instskip(SKIP_1) | instid1(VALU_DEP_2)
	v_add_co_u32 v28, vcc_lo, v26, v28
	s_wait_alu 0xfffd
	v_add_co_ci_u32_e64 v29, null, v27, v29, vcc_lo
	global_load_b32 v29, v[28:29], off
	s_branch .LBB153_8
.LBB153_15:                             ;   in Loop: Header=BB153_6 Depth=1
	s_mul_u64 s[2:3], s[30:31], s[6:7]
	s_wait_alu 0xfffe
	s_lshl_b64 s[2:3], s[2:3], 2
	s_wait_alu 0xfffe
	s_add_nc_u64 s[2:3], s[26:27], s[2:3]
	s_wait_alu 0xfffe
	v_add_co_u32 v4, vcc_lo, s2, v6
	s_wait_alu 0xfffd
	v_add_co_ci_u32_e64 v24, null, s3, v7, vcc_lo
	s_and_saveexec_b32 s20, s13
	s_cbranch_execz .LBB153_19
; %bb.16:                               ;   in Loop: Header=BB153_6 Depth=1
	v_mul_f32_e32 v11, s10, v11
	s_and_b32 vcc_lo, exec_lo, s12
	s_wait_alu 0xfffe
	s_cbranch_vccz .LBB153_30
; %bb.17:                               ;   in Loop: Header=BB153_6 Depth=1
	v_lshlrev_b64_e32 v[25:26], 2, v[0:1]
	s_delay_alu instid0(VALU_DEP_1) | instskip(SKIP_1) | instid1(VALU_DEP_2)
	v_add_co_u32 v25, vcc_lo, v4, v25
	s_wait_alu 0xfffd
	v_add_co_ci_u32_e64 v26, null, v24, v26, vcc_lo
	global_load_b32 v27, v[25:26], off
	s_wait_loadcnt 0x0
	v_fma_f32 v27, s24, v27, v11
	global_store_b32 v[25:26], v27, off
	s_cbranch_execnz .LBB153_19
.LBB153_18:                             ;   in Loop: Header=BB153_6 Depth=1
	v_lshlrev_b64_e32 v[25:26], 2, v[0:1]
	s_delay_alu instid0(VALU_DEP_1) | instskip(SKIP_1) | instid1(VALU_DEP_2)
	v_add_co_u32 v25, vcc_lo, v4, v25
	s_wait_alu 0xfffd
	v_add_co_ci_u32_e64 v26, null, v24, v26, vcc_lo
	global_store_b32 v[25:26], v11, off
.LBB153_19:                             ;   in Loop: Header=BB153_6 Depth=1
	s_wait_alu 0xfffe
	s_or_b32 exec_lo, exec_lo, s20
	s_and_saveexec_b32 s20, s19
	s_cbranch_execz .LBB153_23
; %bb.20:                               ;   in Loop: Header=BB153_6 Depth=1
	v_mul_f32_e32 v10, s10, v10
	s_and_not1_b32 vcc_lo, exec_lo, s12
	s_wait_alu 0xfffe
	s_cbranch_vccnz .LBB153_31
; %bb.21:                               ;   in Loop: Header=BB153_6 Depth=1
	v_lshlrev_b64_e32 v[25:26], 2, v[2:3]
	s_delay_alu instid0(VALU_DEP_1) | instskip(SKIP_1) | instid1(VALU_DEP_2)
	v_add_co_u32 v25, vcc_lo, v4, v25
	s_wait_alu 0xfffd
	v_add_co_ci_u32_e64 v26, null, v24, v26, vcc_lo
	global_load_b32 v11, v[25:26], off
	s_wait_loadcnt 0x0
	v_fma_f32 v11, s24, v11, v10
	global_store_b32 v[25:26], v11, off
	s_cbranch_execnz .LBB153_23
.LBB153_22:                             ;   in Loop: Header=BB153_6 Depth=1
	v_lshlrev_b64_e32 v[25:26], 2, v[2:3]
	s_delay_alu instid0(VALU_DEP_1) | instskip(SKIP_1) | instid1(VALU_DEP_2)
	v_add_co_u32 v25, vcc_lo, v4, v25
	s_wait_alu 0xfffd
	v_add_co_ci_u32_e64 v26, null, v24, v26, vcc_lo
	global_store_b32 v[25:26], v10, off
.LBB153_23:                             ;   in Loop: Header=BB153_6 Depth=1
	s_wait_alu 0xfffe
	s_or_b32 exec_lo, exec_lo, s20
	v_add_co_u32 v4, vcc_lo, s2, v8
	s_wait_alu 0xfffd
	v_add_co_ci_u32_e64 v24, null, s3, v9, vcc_lo
	s_and_saveexec_b32 s2, s4
	s_cbranch_execz .LBB153_27
; %bb.24:                               ;   in Loop: Header=BB153_6 Depth=1
	v_lshlrev_b64_e32 v[10:11], 2, v[0:1]
	v_mul_f32_e32 v23, s10, v23
	s_and_not1_b32 vcc_lo, exec_lo, s12
	s_wait_alu 0xfffe
	s_cbranch_vccnz .LBB153_32
; %bb.25:                               ;   in Loop: Header=BB153_6 Depth=1
	s_delay_alu instid0(VALU_DEP_2)
	v_add_co_u32 v25, vcc_lo, v4, v10
	s_wait_alu 0xfffd
	v_add_co_ci_u32_e64 v26, null, v24, v11, vcc_lo
	global_load_b32 v27, v[25:26], off
	s_wait_loadcnt 0x0
	v_fma_f32 v27, s24, v27, v23
	global_store_b32 v[25:26], v27, off
	s_cbranch_execnz .LBB153_27
.LBB153_26:                             ;   in Loop: Header=BB153_6 Depth=1
	v_add_co_u32 v10, vcc_lo, v4, v10
	s_wait_alu 0xfffd
	v_add_co_ci_u32_e64 v11, null, v24, v11, vcc_lo
	global_store_b32 v[10:11], v23, off
.LBB153_27:                             ;   in Loop: Header=BB153_6 Depth=1
	s_wait_alu 0xfffe
	s_or_b32 exec_lo, exec_lo, s2
	s_and_saveexec_b32 s2, s5
	s_cbranch_execz .LBB153_5
; %bb.28:                               ;   in Loop: Header=BB153_6 Depth=1
	v_lshlrev_b64_e32 v[10:11], 2, v[2:3]
	v_mul_f32_e32 v22, s10, v22
	s_and_not1_b32 vcc_lo, exec_lo, s12
	s_wait_alu 0xfffe
	s_cbranch_vccnz .LBB153_33
; %bb.29:                               ;   in Loop: Header=BB153_6 Depth=1
	s_delay_alu instid0(VALU_DEP_2)
	v_add_co_u32 v25, vcc_lo, v4, v10
	s_wait_alu 0xfffd
	v_add_co_ci_u32_e64 v26, null, v24, v11, vcc_lo
	global_load_b32 v23, v[25:26], off
	s_wait_loadcnt 0x0
	v_fma_f32 v23, s24, v23, v22
	global_store_b32 v[25:26], v23, off
	s_cbranch_execnz .LBB153_5
	s_branch .LBB153_34
.LBB153_30:                             ;   in Loop: Header=BB153_6 Depth=1
	s_branch .LBB153_18
.LBB153_31:                             ;   in Loop: Header=BB153_6 Depth=1
	s_branch .LBB153_22
.LBB153_32:                             ;   in Loop: Header=BB153_6 Depth=1
	s_branch .LBB153_26
.LBB153_33:                             ;   in Loop: Header=BB153_6 Depth=1
.LBB153_34:                             ;   in Loop: Header=BB153_6 Depth=1
	s_delay_alu instid0(VALU_DEP_2)
	v_add_co_u32 v10, vcc_lo, v4, v10
	s_wait_alu 0xfffd
	v_add_co_ci_u32_e64 v11, null, v24, v11, vcc_lo
	global_store_b32 v[10:11], v22, off
	s_branch .LBB153_5
.LBB153_35:
	s_endpgm
	.section	.rodata,"a",@progbits
	.p2align	6, 0x0
	.amdhsa_kernel _ZL29rocblas_internal_gemmt_kernelIlLi16ELi32ELi8ELc78ELc78ELc76ELb0ELb0EfPKfS1_PfEviT_T9_T10_S3_lS5_S3_lS4_T11_S3_li
		.amdhsa_group_segment_fixed_size 2048
		.amdhsa_private_segment_fixed_size 0
		.amdhsa_kernarg_size 108
		.amdhsa_user_sgpr_count 2
		.amdhsa_user_sgpr_dispatch_ptr 0
		.amdhsa_user_sgpr_queue_ptr 0
		.amdhsa_user_sgpr_kernarg_segment_ptr 1
		.amdhsa_user_sgpr_dispatch_id 0
		.amdhsa_user_sgpr_private_segment_size 0
		.amdhsa_wavefront_size32 1
		.amdhsa_uses_dynamic_stack 0
		.amdhsa_enable_private_segment 0
		.amdhsa_system_sgpr_workgroup_id_x 1
		.amdhsa_system_sgpr_workgroup_id_y 1
		.amdhsa_system_sgpr_workgroup_id_z 1
		.amdhsa_system_sgpr_workgroup_info 0
		.amdhsa_system_vgpr_workitem_id 1
		.amdhsa_next_free_vgpr 56
		.amdhsa_next_free_sgpr 32
		.amdhsa_reserve_vcc 1
		.amdhsa_float_round_mode_32 0
		.amdhsa_float_round_mode_16_64 0
		.amdhsa_float_denorm_mode_32 3
		.amdhsa_float_denorm_mode_16_64 3
		.amdhsa_fp16_overflow 0
		.amdhsa_workgroup_processor_mode 1
		.amdhsa_memory_ordered 1
		.amdhsa_forward_progress 1
		.amdhsa_inst_pref_size 15
		.amdhsa_round_robin_scheduling 0
		.amdhsa_exception_fp_ieee_invalid_op 0
		.amdhsa_exception_fp_denorm_src 0
		.amdhsa_exception_fp_ieee_div_zero 0
		.amdhsa_exception_fp_ieee_overflow 0
		.amdhsa_exception_fp_ieee_underflow 0
		.amdhsa_exception_fp_ieee_inexact 0
		.amdhsa_exception_int_div_zero 0
	.end_amdhsa_kernel
	.section	.text._ZL29rocblas_internal_gemmt_kernelIlLi16ELi32ELi8ELc78ELc78ELc76ELb0ELb0EfPKfS1_PfEviT_T9_T10_S3_lS5_S3_lS4_T11_S3_li,"axG",@progbits,_ZL29rocblas_internal_gemmt_kernelIlLi16ELi32ELi8ELc78ELc78ELc76ELb0ELb0EfPKfS1_PfEviT_T9_T10_S3_lS5_S3_lS4_T11_S3_li,comdat
.Lfunc_end153:
	.size	_ZL29rocblas_internal_gemmt_kernelIlLi16ELi32ELi8ELc78ELc78ELc76ELb0ELb0EfPKfS1_PfEviT_T9_T10_S3_lS5_S3_lS4_T11_S3_li, .Lfunc_end153-_ZL29rocblas_internal_gemmt_kernelIlLi16ELi32ELi8ELc78ELc78ELc76ELb0ELb0EfPKfS1_PfEviT_T9_T10_S3_lS5_S3_lS4_T11_S3_li
                                        ; -- End function
	.set _ZL29rocblas_internal_gemmt_kernelIlLi16ELi32ELi8ELc78ELc78ELc76ELb0ELb0EfPKfS1_PfEviT_T9_T10_S3_lS5_S3_lS4_T11_S3_li.num_vgpr, 56
	.set _ZL29rocblas_internal_gemmt_kernelIlLi16ELi32ELi8ELc78ELc78ELc76ELb0ELb0EfPKfS1_PfEviT_T9_T10_S3_lS5_S3_lS4_T11_S3_li.num_agpr, 0
	.set _ZL29rocblas_internal_gemmt_kernelIlLi16ELi32ELi8ELc78ELc78ELc76ELb0ELb0EfPKfS1_PfEviT_T9_T10_S3_lS5_S3_lS4_T11_S3_li.numbered_sgpr, 32
	.set _ZL29rocblas_internal_gemmt_kernelIlLi16ELi32ELi8ELc78ELc78ELc76ELb0ELb0EfPKfS1_PfEviT_T9_T10_S3_lS5_S3_lS4_T11_S3_li.num_named_barrier, 0
	.set _ZL29rocblas_internal_gemmt_kernelIlLi16ELi32ELi8ELc78ELc78ELc76ELb0ELb0EfPKfS1_PfEviT_T9_T10_S3_lS5_S3_lS4_T11_S3_li.private_seg_size, 0
	.set _ZL29rocblas_internal_gemmt_kernelIlLi16ELi32ELi8ELc78ELc78ELc76ELb0ELb0EfPKfS1_PfEviT_T9_T10_S3_lS5_S3_lS4_T11_S3_li.uses_vcc, 1
	.set _ZL29rocblas_internal_gemmt_kernelIlLi16ELi32ELi8ELc78ELc78ELc76ELb0ELb0EfPKfS1_PfEviT_T9_T10_S3_lS5_S3_lS4_T11_S3_li.uses_flat_scratch, 0
	.set _ZL29rocblas_internal_gemmt_kernelIlLi16ELi32ELi8ELc78ELc78ELc76ELb0ELb0EfPKfS1_PfEviT_T9_T10_S3_lS5_S3_lS4_T11_S3_li.has_dyn_sized_stack, 0
	.set _ZL29rocblas_internal_gemmt_kernelIlLi16ELi32ELi8ELc78ELc78ELc76ELb0ELb0EfPKfS1_PfEviT_T9_T10_S3_lS5_S3_lS4_T11_S3_li.has_recursion, 0
	.set _ZL29rocblas_internal_gemmt_kernelIlLi16ELi32ELi8ELc78ELc78ELc76ELb0ELb0EfPKfS1_PfEviT_T9_T10_S3_lS5_S3_lS4_T11_S3_li.has_indirect_call, 0
	.section	.AMDGPU.csdata,"",@progbits
; Kernel info:
; codeLenInByte = 1856
; TotalNumSgprs: 34
; NumVgprs: 56
; ScratchSize: 0
; MemoryBound: 0
; FloatMode: 240
; IeeeMode: 1
; LDSByteSize: 2048 bytes/workgroup (compile time only)
; SGPRBlocks: 0
; VGPRBlocks: 6
; NumSGPRsForWavesPerEU: 34
; NumVGPRsForWavesPerEU: 56
; Occupancy: 16
; WaveLimiterHint : 0
; COMPUTE_PGM_RSRC2:SCRATCH_EN: 0
; COMPUTE_PGM_RSRC2:USER_SGPR: 2
; COMPUTE_PGM_RSRC2:TRAP_HANDLER: 0
; COMPUTE_PGM_RSRC2:TGID_X_EN: 1
; COMPUTE_PGM_RSRC2:TGID_Y_EN: 1
; COMPUTE_PGM_RSRC2:TGID_Z_EN: 1
; COMPUTE_PGM_RSRC2:TIDIG_COMP_CNT: 1
	.section	.text._ZL29rocblas_internal_gemmt_kernelIlLi16ELi32ELi8ELc78ELc84ELc76ELb0ELb0EfPKfS1_PfEviT_T9_T10_S3_lS5_S3_lS4_T11_S3_li,"axG",@progbits,_ZL29rocblas_internal_gemmt_kernelIlLi16ELi32ELi8ELc78ELc84ELc76ELb0ELb0EfPKfS1_PfEviT_T9_T10_S3_lS5_S3_lS4_T11_S3_li,comdat
	.globl	_ZL29rocblas_internal_gemmt_kernelIlLi16ELi32ELi8ELc78ELc84ELc76ELb0ELb0EfPKfS1_PfEviT_T9_T10_S3_lS5_S3_lS4_T11_S3_li ; -- Begin function _ZL29rocblas_internal_gemmt_kernelIlLi16ELi32ELi8ELc78ELc84ELc76ELb0ELb0EfPKfS1_PfEviT_T9_T10_S3_lS5_S3_lS4_T11_S3_li
	.p2align	8
	.type	_ZL29rocblas_internal_gemmt_kernelIlLi16ELi32ELi8ELc78ELc84ELc76ELb0ELb0EfPKfS1_PfEviT_T9_T10_S3_lS5_S3_lS4_T11_S3_li,@function
_ZL29rocblas_internal_gemmt_kernelIlLi16ELi32ELi8ELc78ELc84ELc76ELb0ELb0EfPKfS1_PfEviT_T9_T10_S3_lS5_S3_lS4_T11_S3_li: ; @_ZL29rocblas_internal_gemmt_kernelIlLi16ELi32ELi8ELc78ELc84ELc76ELb0ELb0EfPKfS1_PfEviT_T9_T10_S3_lS5_S3_lS4_T11_S3_li
; %bb.0:
	s_clause 0x1
	s_load_b256 s[24:31], s[0:1], 0x48
	s_load_b512 s[8:23], s[0:1], 0x8
	s_wait_kmcnt 0x0
	s_load_b32 s24, s[24:25], 0x0
	s_load_b32 s10, s[10:11], 0x0
	s_wait_kmcnt 0x0
	s_cmp_neq_f32 s24, 1.0
	s_cselect_b32 s2, -1, 0
	s_delay_alu instid0(SALU_CYCLE_1)
	s_and_b32 vcc_lo, exec_lo, s2
	s_cbranch_vccnz .LBB154_2
; %bb.1:
	s_cmp_lg_u64 s[8:9], 0
	s_cselect_b32 s2, -1, 0
	s_cmp_neq_f32 s10, 0
	s_cselect_b32 s3, -1, 0
	s_delay_alu instid0(SALU_CYCLE_1)
	s_and_b32 s2, s2, s3
.LBB154_2:
	s_delay_alu instid0(SALU_CYCLE_1)
	s_and_not1_b32 vcc_lo, exec_lo, s2
	s_cbranch_vccnz .LBB154_35
; %bb.3:
	s_load_b32 s11, s[0:1], 0x68
	s_lshr_b32 s6, ttmp7, 16
	s_wait_kmcnt 0x0
	s_cmp_ge_u32 s6, s11
	s_cbranch_scc1 .LBB154_35
; %bb.4:
	v_and_b32_e32 v2, 0x3ff, v0
	v_bfe_u32 v3, v0, 10, 10
	s_load_b32 s3, s[0:1], 0x0
	s_lshl_b32 s2, ttmp9, 5
	v_and_b32_e32 v12, 7, v0
	s_lshl_b32 s0, ttmp7, 5
	v_lshl_add_u32 v1, v3, 4, v2
	s_and_b32 s0, s0, 0x1fffe0
	v_lshl_add_u32 v21, v3, 5, 0x400
	v_lshlrev_b32_e32 v5, 2, v12
	v_add_nc_u32_e32 v11, s0, v3
	v_and_b32_e32 v4, 31, v1
	v_lshrrev_b32_e32 v6, 3, v1
	v_lshrrev_b32_e32 v13, 5, v1
	s_cmp_neq_f32 s10, 0
	v_add_nc_u32_e32 v22, 16, v11
	v_or_b32_e32 v0, s2, v4
	v_lshlrev_b32_e32 v4, 2, v4
	v_add_nc_u32_e32 v7, s0, v6
	v_lshl_or_b32 v5, v6, 5, v5
	v_mad_co_u64_u32 v[8:9], null, s28, v22, 0
	v_ashrrev_i32_e32 v1, 31, v0
	s_wait_kmcnt 0x0
	v_cmp_gt_i32_e64 s0, s3, v0
	v_lshl_or_b32 v14, v13, 7, v4
	v_cmp_gt_i32_e64 s1, s3, v7
	v_lshlrev_b32_e32 v4, 2, v7
	v_lshlrev_b64_e32 v[0:1], 2, v[0:1]
	v_mad_co_u64_u32 v[6:7], null, s28, v11, 0
	s_cselect_b32 s33, -1, 0
	v_add_co_u32 v18, s4, s18, v4
	v_add_co_u32 v16, vcc_lo, s12, v0
	s_delay_alu instid0(VALU_DEP_1)
	v_add_co_ci_u32_e64 v17, null, s13, v1, vcc_lo
	v_dual_mov_b32 v1, 0 :: v_dual_mov_b32 v0, v7
	v_lshlrev_b32_e32 v20, 2, v2
	v_add_nc_u32_e32 v2, s2, v2
	s_cmp_neq_f32 s24, 0
	v_cmp_gt_i64_e64 s25, s[8:9], 0
	v_mad_co_u64_u32 v[3:4], null, s29, v11, v[0:1]
	v_mov_b32_e32 v0, v9
	v_cmp_le_i32_e32 vcc_lo, v11, v2
	v_cmp_gt_i32_e64 s2, s3, v2
	v_add_nc_u32_e32 v4, 16, v2
	v_add_co_ci_u32_e64 v19, null, s19, 0, s4
	v_mad_co_u64_u32 v[9:10], null, s29, v22, v[0:1]
	v_mov_b32_e32 v7, v3
	s_cselect_b32 s12, -1, 0
	s_and_b32 s13, vcc_lo, s2
	v_cmp_le_i32_e32 vcc_lo, v11, v4
	v_cmp_gt_i32_e64 s3, s3, v4
	v_cmp_le_i32_e64 s4, v22, v2
	v_cmp_le_i32_e64 s5, v22, v4
	v_lshlrev_b64_e32 v[6:7], 2, v[6:7]
	v_lshlrev_b64_e32 v[8:9], 2, v[8:9]
	v_add_nc_u32_e32 v15, 0x400, v5
	v_ashrrev_i32_e32 v3, 31, v2
	v_ashrrev_i32_e32 v5, 31, v4
	s_mov_b32 s7, 0
	s_and_b32 s18, s33, s25
	s_and_b32 s19, vcc_lo, s3
	s_and_b32 s4, s4, s2
	s_and_b32 s5, s5, s3
	s_branch .LBB154_6
.LBB154_5:                              ;   in Loop: Header=BB154_6 Depth=1
	s_wait_alu 0xfffe
	s_or_b32 exec_lo, exec_lo, s2
	s_add_co_i32 s6, s6, 0x10000
	s_delay_alu instid0(SALU_CYCLE_1)
	s_cmp_lt_u32 s6, s11
	s_cbranch_scc0 .LBB154_35
.LBB154_6:                              ; =>This Loop Header: Depth=1
                                        ;     Child Loop BB154_9 Depth 2
	v_dual_mov_b32 v11, v1 :: v_dual_mov_b32 v10, v1
	v_dual_mov_b32 v23, v1 :: v_dual_mov_b32 v22, v1
	s_wait_alu 0xfffe
	s_and_not1_b32 vcc_lo, exec_lo, s18
	s_wait_alu 0xfffe
	s_cbranch_vccnz .LBB154_15
; %bb.7:                                ;   in Loop: Header=BB154_6 Depth=1
	s_mul_u64 s[2:3], s[16:17], s[6:7]
	s_mul_u64 s[28:29], s[22:23], s[6:7]
	s_wait_alu 0xfffe
	s_lshl_b64 s[2:3], s[2:3], 2
	v_dual_mov_b32 v22, 0 :: v_dual_mov_b32 v23, 0
	s_wait_alu 0xfffe
	v_add_co_u32 v24, vcc_lo, v16, s2
	s_wait_alu 0xfffd
	v_add_co_ci_u32_e64 v25, null, s3, v17, vcc_lo
	s_lshl_b64 s[2:3], s[28:29], 2
	v_dual_mov_b32 v10, 0 :: v_dual_mov_b32 v11, 0
	s_wait_alu 0xfffe
	v_add_co_u32 v26, vcc_lo, v18, s2
	s_wait_alu 0xfffd
	v_add_co_ci_u32_e64 v27, null, s3, v19, vcc_lo
	s_mov_b64 s[2:3], 0
	s_branch .LBB154_9
.LBB154_8:                              ;   in Loop: Header=BB154_9 Depth=2
	s_wait_alu 0xfffe
	s_or_b32 exec_lo, exec_lo, s25
	s_wait_loadcnt 0x0
	ds_store_b32 v15, v29
	s_wait_dscnt 0x0
	s_barrier_signal -1
	s_barrier_wait -1
	global_inv scope:SCOPE_SE
	ds_load_b128 v[28:31], v21
	ds_load_2addr_b32 v[44:45], v20 offset1:16
	ds_load_b128 v[32:35], v21 offset:512
	ds_load_2addr_b32 v[46:47], v20 offset0:32 offset1:48
	ds_load_2addr_b32 v[48:49], v20 offset0:64 offset1:80
	;; [unrolled: 1-line block ×3, first 2 shown]
	ds_load_b128 v[36:39], v21 offset:16
	ds_load_2addr_b32 v[52:53], v20 offset0:128 offset1:144
	ds_load_b128 v[40:43], v21 offset:528
	ds_load_2addr_b32 v[54:55], v20 offset0:160 offset1:176
	s_add_nc_u64 s[2:3], s[2:3], 8
	s_wait_alu 0xfffe
	v_cmp_gt_i64_e64 s25, s[8:9], s[2:3]
	s_and_b32 vcc_lo, exec_lo, s25
	s_wait_dscnt 0x8
	v_fmac_f32_e32 v10, v45, v28
	v_fmac_f32_e32 v11, v44, v28
	s_wait_dscnt 0x7
	v_fmac_f32_e32 v22, v45, v32
	v_fmac_f32_e32 v23, v44, v32
	ds_load_2addr_b32 v[44:45], v20 offset0:192 offset1:208
	s_wait_dscnt 0x7
	v_fmac_f32_e32 v10, v47, v29
	v_fmac_f32_e32 v11, v46, v29
	;; [unrolled: 1-line block ×4, first 2 shown]
	ds_load_2addr_b32 v[28:29], v20 offset0:224 offset1:240
	s_wait_dscnt 0x7
	v_fmac_f32_e32 v10, v49, v30
	v_fmac_f32_e32 v11, v48, v30
	;; [unrolled: 1-line block ×4, first 2 shown]
	s_wait_loadcnt_dscnt 0x0
	v_fmac_f32_e32 v10, v51, v31
	v_fmac_f32_e32 v11, v50, v31
	;; [unrolled: 1-line block ×4, first 2 shown]
	s_barrier_signal -1
	v_fmac_f32_e32 v10, v53, v36
	v_fmac_f32_e32 v11, v52, v36
	;; [unrolled: 1-line block ×4, first 2 shown]
	s_barrier_wait -1
	v_fmac_f32_e32 v10, v55, v37
	v_fmac_f32_e32 v11, v54, v37
	;; [unrolled: 1-line block ×4, first 2 shown]
	global_inv scope:SCOPE_SE
	v_fmac_f32_e32 v10, v45, v38
	v_fmac_f32_e32 v11, v44, v38
	;; [unrolled: 1-line block ×3, first 2 shown]
	s_delay_alu instid0(VALU_DEP_3) | instskip(NEXT) | instid1(VALU_DEP_3)
	v_dual_fmac_f32 v23, v44, v42 :: v_dual_fmac_f32 v10, v29, v39
	v_fmac_f32_e32 v11, v28, v39
	s_delay_alu instid0(VALU_DEP_3) | instskip(NEXT) | instid1(VALU_DEP_3)
	v_fmac_f32_e32 v22, v29, v43
	v_fmac_f32_e32 v23, v28, v43
	s_wait_alu 0xfffe
	s_cbranch_vccz .LBB154_15
.LBB154_9:                              ;   Parent Loop BB154_6 Depth=1
                                        ; =>  This Inner Loop Header: Depth=2
	v_mov_b32_e32 v28, 0
	s_and_saveexec_b32 s25, s0
	s_cbranch_execz .LBB154_13
; %bb.10:                               ;   in Loop: Header=BB154_9 Depth=2
	s_wait_alu 0xfffe
	v_add_nc_u32_e32 v0, s2, v13
	v_mov_b32_e32 v28, 0
	s_mov_b32 s28, exec_lo
	s_delay_alu instid0(VALU_DEP_2)
	v_cmpx_gt_u64_e64 s[8:9], v[0:1]
	s_cbranch_execz .LBB154_12
; %bb.11:                               ;   in Loop: Header=BB154_9 Depth=2
	v_mad_co_u64_u32 v[28:29], null, s14, v0, 0
	s_delay_alu instid0(VALU_DEP_1) | instskip(NEXT) | instid1(VALU_DEP_1)
	v_mad_co_u64_u32 v[29:30], null, s15, v0, v[29:30]
	v_lshlrev_b64_e32 v[28:29], 2, v[28:29]
	s_delay_alu instid0(VALU_DEP_1) | instskip(SKIP_1) | instid1(VALU_DEP_2)
	v_add_co_u32 v28, vcc_lo, v24, v28
	s_wait_alu 0xfffd
	v_add_co_ci_u32_e64 v29, null, v25, v29, vcc_lo
	global_load_b32 v28, v[28:29], off
.LBB154_12:                             ;   in Loop: Header=BB154_9 Depth=2
	s_wait_alu 0xfffe
	s_or_b32 exec_lo, exec_lo, s28
.LBB154_13:                             ;   in Loop: Header=BB154_9 Depth=2
	s_wait_alu 0xfffe
	s_or_b32 exec_lo, exec_lo, s25
	v_dual_mov_b32 v29, 0 :: v_dual_add_nc_u32 v0, s2, v12
	s_wait_loadcnt 0x0
	ds_store_b32 v14, v28
	v_cmp_gt_u64_e32 vcc_lo, s[8:9], v[0:1]
	s_and_b32 s28, vcc_lo, s1
	s_wait_alu 0xfffe
	s_and_saveexec_b32 s25, s28
	s_cbranch_execz .LBB154_8
; %bb.14:                               ;   in Loop: Header=BB154_9 Depth=2
	v_mad_co_u64_u32 v[28:29], null, s20, v0, 0
	s_delay_alu instid0(VALU_DEP_1) | instskip(NEXT) | instid1(VALU_DEP_1)
	v_mad_co_u64_u32 v[29:30], null, s21, v0, v[29:30]
	v_lshlrev_b64_e32 v[28:29], 2, v[28:29]
	s_delay_alu instid0(VALU_DEP_1) | instskip(SKIP_1) | instid1(VALU_DEP_2)
	v_add_co_u32 v28, vcc_lo, v26, v28
	s_wait_alu 0xfffd
	v_add_co_ci_u32_e64 v29, null, v27, v29, vcc_lo
	global_load_b32 v29, v[28:29], off
	s_branch .LBB154_8
.LBB154_15:                             ;   in Loop: Header=BB154_6 Depth=1
	s_mul_u64 s[2:3], s[30:31], s[6:7]
	s_wait_alu 0xfffe
	s_lshl_b64 s[2:3], s[2:3], 2
	s_wait_alu 0xfffe
	s_add_nc_u64 s[2:3], s[26:27], s[2:3]
	s_wait_alu 0xfffe
	v_add_co_u32 v0, vcc_lo, s2, v6
	s_wait_alu 0xfffd
	v_add_co_ci_u32_e64 v24, null, s3, v7, vcc_lo
	s_and_saveexec_b32 s25, s13
	s_cbranch_execz .LBB154_19
; %bb.16:                               ;   in Loop: Header=BB154_6 Depth=1
	v_mul_f32_e32 v11, s10, v11
	s_and_b32 vcc_lo, exec_lo, s12
	s_wait_alu 0xfffe
	s_cbranch_vccz .LBB154_30
; %bb.17:                               ;   in Loop: Header=BB154_6 Depth=1
	v_lshlrev_b64_e32 v[25:26], 2, v[2:3]
	s_delay_alu instid0(VALU_DEP_1) | instskip(SKIP_1) | instid1(VALU_DEP_2)
	v_add_co_u32 v25, vcc_lo, v0, v25
	s_wait_alu 0xfffd
	v_add_co_ci_u32_e64 v26, null, v24, v26, vcc_lo
	global_load_b32 v27, v[25:26], off
	s_wait_loadcnt 0x0
	v_fma_f32 v27, s24, v27, v11
	global_store_b32 v[25:26], v27, off
	s_cbranch_execnz .LBB154_19
.LBB154_18:                             ;   in Loop: Header=BB154_6 Depth=1
	v_lshlrev_b64_e32 v[25:26], 2, v[2:3]
	s_delay_alu instid0(VALU_DEP_1) | instskip(SKIP_1) | instid1(VALU_DEP_2)
	v_add_co_u32 v25, vcc_lo, v0, v25
	s_wait_alu 0xfffd
	v_add_co_ci_u32_e64 v26, null, v24, v26, vcc_lo
	global_store_b32 v[25:26], v11, off
.LBB154_19:                             ;   in Loop: Header=BB154_6 Depth=1
	s_wait_alu 0xfffe
	s_or_b32 exec_lo, exec_lo, s25
	s_and_saveexec_b32 s25, s19
	s_cbranch_execz .LBB154_23
; %bb.20:                               ;   in Loop: Header=BB154_6 Depth=1
	v_mul_f32_e32 v10, s10, v10
	s_and_not1_b32 vcc_lo, exec_lo, s12
	s_wait_alu 0xfffe
	s_cbranch_vccnz .LBB154_31
; %bb.21:                               ;   in Loop: Header=BB154_6 Depth=1
	v_lshlrev_b64_e32 v[25:26], 2, v[4:5]
	s_delay_alu instid0(VALU_DEP_1) | instskip(SKIP_1) | instid1(VALU_DEP_2)
	v_add_co_u32 v25, vcc_lo, v0, v25
	s_wait_alu 0xfffd
	v_add_co_ci_u32_e64 v26, null, v24, v26, vcc_lo
	global_load_b32 v11, v[25:26], off
	s_wait_loadcnt 0x0
	v_fma_f32 v11, s24, v11, v10
	global_store_b32 v[25:26], v11, off
	s_cbranch_execnz .LBB154_23
.LBB154_22:                             ;   in Loop: Header=BB154_6 Depth=1
	v_lshlrev_b64_e32 v[25:26], 2, v[4:5]
	s_delay_alu instid0(VALU_DEP_1) | instskip(SKIP_1) | instid1(VALU_DEP_2)
	v_add_co_u32 v25, vcc_lo, v0, v25
	s_wait_alu 0xfffd
	v_add_co_ci_u32_e64 v26, null, v24, v26, vcc_lo
	global_store_b32 v[25:26], v10, off
.LBB154_23:                             ;   in Loop: Header=BB154_6 Depth=1
	s_wait_alu 0xfffe
	s_or_b32 exec_lo, exec_lo, s25
	v_add_co_u32 v0, vcc_lo, s2, v8
	s_wait_alu 0xfffd
	v_add_co_ci_u32_e64 v24, null, s3, v9, vcc_lo
	s_and_saveexec_b32 s2, s4
	s_cbranch_execz .LBB154_27
; %bb.24:                               ;   in Loop: Header=BB154_6 Depth=1
	v_lshlrev_b64_e32 v[10:11], 2, v[2:3]
	v_mul_f32_e32 v23, s10, v23
	s_and_not1_b32 vcc_lo, exec_lo, s12
	s_wait_alu 0xfffe
	s_cbranch_vccnz .LBB154_32
; %bb.25:                               ;   in Loop: Header=BB154_6 Depth=1
	s_delay_alu instid0(VALU_DEP_2)
	v_add_co_u32 v25, vcc_lo, v0, v10
	s_wait_alu 0xfffd
	v_add_co_ci_u32_e64 v26, null, v24, v11, vcc_lo
	global_load_b32 v27, v[25:26], off
	s_wait_loadcnt 0x0
	v_fma_f32 v27, s24, v27, v23
	global_store_b32 v[25:26], v27, off
	s_cbranch_execnz .LBB154_27
.LBB154_26:                             ;   in Loop: Header=BB154_6 Depth=1
	v_add_co_u32 v10, vcc_lo, v0, v10
	s_wait_alu 0xfffd
	v_add_co_ci_u32_e64 v11, null, v24, v11, vcc_lo
	global_store_b32 v[10:11], v23, off
.LBB154_27:                             ;   in Loop: Header=BB154_6 Depth=1
	s_wait_alu 0xfffe
	s_or_b32 exec_lo, exec_lo, s2
	s_and_saveexec_b32 s2, s5
	s_cbranch_execz .LBB154_5
; %bb.28:                               ;   in Loop: Header=BB154_6 Depth=1
	v_lshlrev_b64_e32 v[10:11], 2, v[4:5]
	v_mul_f32_e32 v22, s10, v22
	s_and_not1_b32 vcc_lo, exec_lo, s12
	s_wait_alu 0xfffe
	s_cbranch_vccnz .LBB154_33
; %bb.29:                               ;   in Loop: Header=BB154_6 Depth=1
	s_delay_alu instid0(VALU_DEP_2)
	v_add_co_u32 v25, vcc_lo, v0, v10
	s_wait_alu 0xfffd
	v_add_co_ci_u32_e64 v26, null, v24, v11, vcc_lo
	global_load_b32 v23, v[25:26], off
	s_wait_loadcnt 0x0
	v_fma_f32 v23, s24, v23, v22
	global_store_b32 v[25:26], v23, off
	s_cbranch_execnz .LBB154_5
	s_branch .LBB154_34
.LBB154_30:                             ;   in Loop: Header=BB154_6 Depth=1
	s_branch .LBB154_18
.LBB154_31:                             ;   in Loop: Header=BB154_6 Depth=1
	s_branch .LBB154_22
.LBB154_32:                             ;   in Loop: Header=BB154_6 Depth=1
	s_branch .LBB154_26
.LBB154_33:                             ;   in Loop: Header=BB154_6 Depth=1
.LBB154_34:                             ;   in Loop: Header=BB154_6 Depth=1
	s_delay_alu instid0(VALU_DEP_2)
	v_add_co_u32 v10, vcc_lo, v0, v10
	s_wait_alu 0xfffd
	v_add_co_ci_u32_e64 v11, null, v24, v11, vcc_lo
	global_store_b32 v[10:11], v22, off
	s_branch .LBB154_5
.LBB154_35:
	s_endpgm
	.section	.rodata,"a",@progbits
	.p2align	6, 0x0
	.amdhsa_kernel _ZL29rocblas_internal_gemmt_kernelIlLi16ELi32ELi8ELc78ELc84ELc76ELb0ELb0EfPKfS1_PfEviT_T9_T10_S3_lS5_S3_lS4_T11_S3_li
		.amdhsa_group_segment_fixed_size 2048
		.amdhsa_private_segment_fixed_size 0
		.amdhsa_kernarg_size 108
		.amdhsa_user_sgpr_count 2
		.amdhsa_user_sgpr_dispatch_ptr 0
		.amdhsa_user_sgpr_queue_ptr 0
		.amdhsa_user_sgpr_kernarg_segment_ptr 1
		.amdhsa_user_sgpr_dispatch_id 0
		.amdhsa_user_sgpr_private_segment_size 0
		.amdhsa_wavefront_size32 1
		.amdhsa_uses_dynamic_stack 0
		.amdhsa_enable_private_segment 0
		.amdhsa_system_sgpr_workgroup_id_x 1
		.amdhsa_system_sgpr_workgroup_id_y 1
		.amdhsa_system_sgpr_workgroup_id_z 1
		.amdhsa_system_sgpr_workgroup_info 0
		.amdhsa_system_vgpr_workitem_id 1
		.amdhsa_next_free_vgpr 56
		.amdhsa_next_free_sgpr 34
		.amdhsa_reserve_vcc 1
		.amdhsa_float_round_mode_32 0
		.amdhsa_float_round_mode_16_64 0
		.amdhsa_float_denorm_mode_32 3
		.amdhsa_float_denorm_mode_16_64 3
		.amdhsa_fp16_overflow 0
		.amdhsa_workgroup_processor_mode 1
		.amdhsa_memory_ordered 1
		.amdhsa_forward_progress 1
		.amdhsa_inst_pref_size 15
		.amdhsa_round_robin_scheduling 0
		.amdhsa_exception_fp_ieee_invalid_op 0
		.amdhsa_exception_fp_denorm_src 0
		.amdhsa_exception_fp_ieee_div_zero 0
		.amdhsa_exception_fp_ieee_overflow 0
		.amdhsa_exception_fp_ieee_underflow 0
		.amdhsa_exception_fp_ieee_inexact 0
		.amdhsa_exception_int_div_zero 0
	.end_amdhsa_kernel
	.section	.text._ZL29rocblas_internal_gemmt_kernelIlLi16ELi32ELi8ELc78ELc84ELc76ELb0ELb0EfPKfS1_PfEviT_T9_T10_S3_lS5_S3_lS4_T11_S3_li,"axG",@progbits,_ZL29rocblas_internal_gemmt_kernelIlLi16ELi32ELi8ELc78ELc84ELc76ELb0ELb0EfPKfS1_PfEviT_T9_T10_S3_lS5_S3_lS4_T11_S3_li,comdat
.Lfunc_end154:
	.size	_ZL29rocblas_internal_gemmt_kernelIlLi16ELi32ELi8ELc78ELc84ELc76ELb0ELb0EfPKfS1_PfEviT_T9_T10_S3_lS5_S3_lS4_T11_S3_li, .Lfunc_end154-_ZL29rocblas_internal_gemmt_kernelIlLi16ELi32ELi8ELc78ELc84ELc76ELb0ELb0EfPKfS1_PfEviT_T9_T10_S3_lS5_S3_lS4_T11_S3_li
                                        ; -- End function
	.set _ZL29rocblas_internal_gemmt_kernelIlLi16ELi32ELi8ELc78ELc84ELc76ELb0ELb0EfPKfS1_PfEviT_T9_T10_S3_lS5_S3_lS4_T11_S3_li.num_vgpr, 56
	.set _ZL29rocblas_internal_gemmt_kernelIlLi16ELi32ELi8ELc78ELc84ELc76ELb0ELb0EfPKfS1_PfEviT_T9_T10_S3_lS5_S3_lS4_T11_S3_li.num_agpr, 0
	.set _ZL29rocblas_internal_gemmt_kernelIlLi16ELi32ELi8ELc78ELc84ELc76ELb0ELb0EfPKfS1_PfEviT_T9_T10_S3_lS5_S3_lS4_T11_S3_li.numbered_sgpr, 34
	.set _ZL29rocblas_internal_gemmt_kernelIlLi16ELi32ELi8ELc78ELc84ELc76ELb0ELb0EfPKfS1_PfEviT_T9_T10_S3_lS5_S3_lS4_T11_S3_li.num_named_barrier, 0
	.set _ZL29rocblas_internal_gemmt_kernelIlLi16ELi32ELi8ELc78ELc84ELc76ELb0ELb0EfPKfS1_PfEviT_T9_T10_S3_lS5_S3_lS4_T11_S3_li.private_seg_size, 0
	.set _ZL29rocblas_internal_gemmt_kernelIlLi16ELi32ELi8ELc78ELc84ELc76ELb0ELb0EfPKfS1_PfEviT_T9_T10_S3_lS5_S3_lS4_T11_S3_li.uses_vcc, 1
	.set _ZL29rocblas_internal_gemmt_kernelIlLi16ELi32ELi8ELc78ELc84ELc76ELb0ELb0EfPKfS1_PfEviT_T9_T10_S3_lS5_S3_lS4_T11_S3_li.uses_flat_scratch, 0
	.set _ZL29rocblas_internal_gemmt_kernelIlLi16ELi32ELi8ELc78ELc84ELc76ELb0ELb0EfPKfS1_PfEviT_T9_T10_S3_lS5_S3_lS4_T11_S3_li.has_dyn_sized_stack, 0
	.set _ZL29rocblas_internal_gemmt_kernelIlLi16ELi32ELi8ELc78ELc84ELc76ELb0ELb0EfPKfS1_PfEviT_T9_T10_S3_lS5_S3_lS4_T11_S3_li.has_recursion, 0
	.set _ZL29rocblas_internal_gemmt_kernelIlLi16ELi32ELi8ELc78ELc84ELc76ELb0ELb0EfPKfS1_PfEviT_T9_T10_S3_lS5_S3_lS4_T11_S3_li.has_indirect_call, 0
	.section	.AMDGPU.csdata,"",@progbits
; Kernel info:
; codeLenInByte = 1832
; TotalNumSgprs: 36
; NumVgprs: 56
; ScratchSize: 0
; MemoryBound: 0
; FloatMode: 240
; IeeeMode: 1
; LDSByteSize: 2048 bytes/workgroup (compile time only)
; SGPRBlocks: 0
; VGPRBlocks: 6
; NumSGPRsForWavesPerEU: 36
; NumVGPRsForWavesPerEU: 56
; Occupancy: 16
; WaveLimiterHint : 0
; COMPUTE_PGM_RSRC2:SCRATCH_EN: 0
; COMPUTE_PGM_RSRC2:USER_SGPR: 2
; COMPUTE_PGM_RSRC2:TRAP_HANDLER: 0
; COMPUTE_PGM_RSRC2:TGID_X_EN: 1
; COMPUTE_PGM_RSRC2:TGID_Y_EN: 1
; COMPUTE_PGM_RSRC2:TGID_Z_EN: 1
; COMPUTE_PGM_RSRC2:TIDIG_COMP_CNT: 1
	.section	.text._ZL29rocblas_internal_gemmt_kernelIlLi16ELi32ELi8ELc78ELc67ELc76ELb0ELb0EfPKfS1_PfEviT_T9_T10_S3_lS5_S3_lS4_T11_S3_li,"axG",@progbits,_ZL29rocblas_internal_gemmt_kernelIlLi16ELi32ELi8ELc78ELc67ELc76ELb0ELb0EfPKfS1_PfEviT_T9_T10_S3_lS5_S3_lS4_T11_S3_li,comdat
	.globl	_ZL29rocblas_internal_gemmt_kernelIlLi16ELi32ELi8ELc78ELc67ELc76ELb0ELb0EfPKfS1_PfEviT_T9_T10_S3_lS5_S3_lS4_T11_S3_li ; -- Begin function _ZL29rocblas_internal_gemmt_kernelIlLi16ELi32ELi8ELc78ELc67ELc76ELb0ELb0EfPKfS1_PfEviT_T9_T10_S3_lS5_S3_lS4_T11_S3_li
	.p2align	8
	.type	_ZL29rocblas_internal_gemmt_kernelIlLi16ELi32ELi8ELc78ELc67ELc76ELb0ELb0EfPKfS1_PfEviT_T9_T10_S3_lS5_S3_lS4_T11_S3_li,@function
_ZL29rocblas_internal_gemmt_kernelIlLi16ELi32ELi8ELc78ELc67ELc76ELb0ELb0EfPKfS1_PfEviT_T9_T10_S3_lS5_S3_lS4_T11_S3_li: ; @_ZL29rocblas_internal_gemmt_kernelIlLi16ELi32ELi8ELc78ELc67ELc76ELb0ELb0EfPKfS1_PfEviT_T9_T10_S3_lS5_S3_lS4_T11_S3_li
; %bb.0:
	s_clause 0x1
	s_load_b256 s[24:31], s[0:1], 0x48
	s_load_b512 s[8:23], s[0:1], 0x8
	s_wait_kmcnt 0x0
	s_load_b32 s24, s[24:25], 0x0
	s_load_b32 s10, s[10:11], 0x0
	s_wait_kmcnt 0x0
	s_cmp_neq_f32 s24, 1.0
	s_cselect_b32 s2, -1, 0
	s_delay_alu instid0(SALU_CYCLE_1)
	s_and_b32 vcc_lo, exec_lo, s2
	s_cbranch_vccnz .LBB155_2
; %bb.1:
	s_cmp_lg_u64 s[8:9], 0
	s_cselect_b32 s2, -1, 0
	s_cmp_neq_f32 s10, 0
	s_cselect_b32 s3, -1, 0
	s_delay_alu instid0(SALU_CYCLE_1)
	s_and_b32 s2, s2, s3
.LBB155_2:
	s_delay_alu instid0(SALU_CYCLE_1)
	s_and_not1_b32 vcc_lo, exec_lo, s2
	s_cbranch_vccnz .LBB155_35
; %bb.3:
	s_load_b32 s11, s[0:1], 0x68
	s_lshr_b32 s6, ttmp7, 16
	s_wait_kmcnt 0x0
	s_cmp_ge_u32 s6, s11
	s_cbranch_scc1 .LBB155_35
; %bb.4:
	v_and_b32_e32 v2, 0x3ff, v0
	v_bfe_u32 v3, v0, 10, 10
	s_load_b32 s3, s[0:1], 0x0
	s_lshl_b32 s2, ttmp9, 5
	v_and_b32_e32 v12, 7, v0
	s_lshl_b32 s0, ttmp7, 5
	v_lshl_add_u32 v1, v3, 4, v2
	s_and_b32 s0, s0, 0x1fffe0
	v_lshl_add_u32 v21, v3, 5, 0x400
	v_lshlrev_b32_e32 v5, 2, v12
	v_add_nc_u32_e32 v11, s0, v3
	v_and_b32_e32 v4, 31, v1
	v_lshrrev_b32_e32 v6, 3, v1
	v_lshrrev_b32_e32 v13, 5, v1
	s_cmp_neq_f32 s10, 0
	v_add_nc_u32_e32 v22, 16, v11
	v_or_b32_e32 v0, s2, v4
	v_lshlrev_b32_e32 v4, 2, v4
	v_add_nc_u32_e32 v7, s0, v6
	v_lshl_or_b32 v5, v6, 5, v5
	v_mad_co_u64_u32 v[8:9], null, s28, v22, 0
	v_ashrrev_i32_e32 v1, 31, v0
	s_wait_kmcnt 0x0
	v_cmp_gt_i32_e64 s0, s3, v0
	v_lshl_or_b32 v14, v13, 7, v4
	v_cmp_gt_i32_e64 s1, s3, v7
	v_lshlrev_b32_e32 v4, 2, v7
	v_lshlrev_b64_e32 v[0:1], 2, v[0:1]
	v_mad_co_u64_u32 v[6:7], null, s28, v11, 0
	s_cselect_b32 s33, -1, 0
	v_add_co_u32 v18, s4, s18, v4
	v_add_co_u32 v16, vcc_lo, s12, v0
	s_delay_alu instid0(VALU_DEP_1)
	v_add_co_ci_u32_e64 v17, null, s13, v1, vcc_lo
	v_dual_mov_b32 v1, 0 :: v_dual_mov_b32 v0, v7
	v_lshlrev_b32_e32 v20, 2, v2
	v_add_nc_u32_e32 v2, s2, v2
	s_cmp_neq_f32 s24, 0
	v_cmp_gt_i64_e64 s25, s[8:9], 0
	v_mad_co_u64_u32 v[3:4], null, s29, v11, v[0:1]
	v_mov_b32_e32 v0, v9
	v_cmp_le_i32_e32 vcc_lo, v11, v2
	v_cmp_gt_i32_e64 s2, s3, v2
	v_add_nc_u32_e32 v4, 16, v2
	v_add_co_ci_u32_e64 v19, null, s19, 0, s4
	v_mad_co_u64_u32 v[9:10], null, s29, v22, v[0:1]
	v_mov_b32_e32 v7, v3
	s_cselect_b32 s12, -1, 0
	s_and_b32 s13, vcc_lo, s2
	v_cmp_le_i32_e32 vcc_lo, v11, v4
	v_cmp_gt_i32_e64 s3, s3, v4
	v_cmp_le_i32_e64 s4, v22, v2
	v_cmp_le_i32_e64 s5, v22, v4
	v_lshlrev_b64_e32 v[6:7], 2, v[6:7]
	v_lshlrev_b64_e32 v[8:9], 2, v[8:9]
	v_add_nc_u32_e32 v15, 0x400, v5
	v_ashrrev_i32_e32 v3, 31, v2
	v_ashrrev_i32_e32 v5, 31, v4
	s_mov_b32 s7, 0
	s_and_b32 s18, s33, s25
	s_and_b32 s19, vcc_lo, s3
	s_and_b32 s4, s4, s2
	s_and_b32 s5, s5, s3
	s_branch .LBB155_6
.LBB155_5:                              ;   in Loop: Header=BB155_6 Depth=1
	s_wait_alu 0xfffe
	s_or_b32 exec_lo, exec_lo, s2
	s_add_co_i32 s6, s6, 0x10000
	s_delay_alu instid0(SALU_CYCLE_1)
	s_cmp_lt_u32 s6, s11
	s_cbranch_scc0 .LBB155_35
.LBB155_6:                              ; =>This Loop Header: Depth=1
                                        ;     Child Loop BB155_9 Depth 2
	v_dual_mov_b32 v11, v1 :: v_dual_mov_b32 v10, v1
	v_dual_mov_b32 v23, v1 :: v_dual_mov_b32 v22, v1
	s_wait_alu 0xfffe
	s_and_not1_b32 vcc_lo, exec_lo, s18
	s_wait_alu 0xfffe
	s_cbranch_vccnz .LBB155_15
; %bb.7:                                ;   in Loop: Header=BB155_6 Depth=1
	s_mul_u64 s[2:3], s[16:17], s[6:7]
	s_mul_u64 s[28:29], s[22:23], s[6:7]
	s_wait_alu 0xfffe
	s_lshl_b64 s[2:3], s[2:3], 2
	v_dual_mov_b32 v22, 0 :: v_dual_mov_b32 v23, 0
	s_wait_alu 0xfffe
	v_add_co_u32 v24, vcc_lo, v16, s2
	s_wait_alu 0xfffd
	v_add_co_ci_u32_e64 v25, null, s3, v17, vcc_lo
	s_lshl_b64 s[2:3], s[28:29], 2
	v_dual_mov_b32 v10, 0 :: v_dual_mov_b32 v11, 0
	s_wait_alu 0xfffe
	v_add_co_u32 v26, vcc_lo, v18, s2
	s_wait_alu 0xfffd
	v_add_co_ci_u32_e64 v27, null, s3, v19, vcc_lo
	s_mov_b64 s[2:3], 0
	s_branch .LBB155_9
.LBB155_8:                              ;   in Loop: Header=BB155_9 Depth=2
	s_wait_alu 0xfffe
	s_or_b32 exec_lo, exec_lo, s25
	s_wait_loadcnt 0x0
	ds_store_b32 v15, v29
	s_wait_dscnt 0x0
	s_barrier_signal -1
	s_barrier_wait -1
	global_inv scope:SCOPE_SE
	ds_load_b128 v[28:31], v21
	ds_load_2addr_b32 v[44:45], v20 offset1:16
	ds_load_b128 v[32:35], v21 offset:512
	ds_load_2addr_b32 v[46:47], v20 offset0:32 offset1:48
	ds_load_2addr_b32 v[48:49], v20 offset0:64 offset1:80
	;; [unrolled: 1-line block ×3, first 2 shown]
	ds_load_b128 v[36:39], v21 offset:16
	ds_load_2addr_b32 v[52:53], v20 offset0:128 offset1:144
	ds_load_b128 v[40:43], v21 offset:528
	ds_load_2addr_b32 v[54:55], v20 offset0:160 offset1:176
	s_add_nc_u64 s[2:3], s[2:3], 8
	s_wait_alu 0xfffe
	v_cmp_gt_i64_e64 s25, s[8:9], s[2:3]
	s_and_b32 vcc_lo, exec_lo, s25
	s_wait_dscnt 0x8
	v_fmac_f32_e32 v10, v45, v28
	v_fmac_f32_e32 v11, v44, v28
	s_wait_dscnt 0x7
	v_fmac_f32_e32 v22, v45, v32
	v_fmac_f32_e32 v23, v44, v32
	ds_load_2addr_b32 v[44:45], v20 offset0:192 offset1:208
	s_wait_dscnt 0x7
	v_fmac_f32_e32 v10, v47, v29
	v_fmac_f32_e32 v11, v46, v29
	;; [unrolled: 1-line block ×4, first 2 shown]
	ds_load_2addr_b32 v[28:29], v20 offset0:224 offset1:240
	s_wait_dscnt 0x7
	v_fmac_f32_e32 v10, v49, v30
	v_fmac_f32_e32 v11, v48, v30
	;; [unrolled: 1-line block ×4, first 2 shown]
	s_wait_loadcnt_dscnt 0x0
	v_fmac_f32_e32 v10, v51, v31
	v_fmac_f32_e32 v11, v50, v31
	;; [unrolled: 1-line block ×4, first 2 shown]
	s_barrier_signal -1
	v_fmac_f32_e32 v10, v53, v36
	v_fmac_f32_e32 v11, v52, v36
	;; [unrolled: 1-line block ×4, first 2 shown]
	s_barrier_wait -1
	v_fmac_f32_e32 v10, v55, v37
	v_fmac_f32_e32 v11, v54, v37
	;; [unrolled: 1-line block ×4, first 2 shown]
	global_inv scope:SCOPE_SE
	v_fmac_f32_e32 v10, v45, v38
	v_fmac_f32_e32 v11, v44, v38
	;; [unrolled: 1-line block ×3, first 2 shown]
	s_delay_alu instid0(VALU_DEP_3) | instskip(NEXT) | instid1(VALU_DEP_3)
	v_dual_fmac_f32 v23, v44, v42 :: v_dual_fmac_f32 v10, v29, v39
	v_fmac_f32_e32 v11, v28, v39
	s_delay_alu instid0(VALU_DEP_3) | instskip(NEXT) | instid1(VALU_DEP_3)
	v_fmac_f32_e32 v22, v29, v43
	v_fmac_f32_e32 v23, v28, v43
	s_wait_alu 0xfffe
	s_cbranch_vccz .LBB155_15
.LBB155_9:                              ;   Parent Loop BB155_6 Depth=1
                                        ; =>  This Inner Loop Header: Depth=2
	v_mov_b32_e32 v28, 0
	s_and_saveexec_b32 s25, s0
	s_cbranch_execz .LBB155_13
; %bb.10:                               ;   in Loop: Header=BB155_9 Depth=2
	s_wait_alu 0xfffe
	v_add_nc_u32_e32 v0, s2, v13
	v_mov_b32_e32 v28, 0
	s_mov_b32 s28, exec_lo
	s_delay_alu instid0(VALU_DEP_2)
	v_cmpx_gt_u64_e64 s[8:9], v[0:1]
	s_cbranch_execz .LBB155_12
; %bb.11:                               ;   in Loop: Header=BB155_9 Depth=2
	v_mad_co_u64_u32 v[28:29], null, s14, v0, 0
	s_delay_alu instid0(VALU_DEP_1) | instskip(NEXT) | instid1(VALU_DEP_1)
	v_mad_co_u64_u32 v[29:30], null, s15, v0, v[29:30]
	v_lshlrev_b64_e32 v[28:29], 2, v[28:29]
	s_delay_alu instid0(VALU_DEP_1) | instskip(SKIP_1) | instid1(VALU_DEP_2)
	v_add_co_u32 v28, vcc_lo, v24, v28
	s_wait_alu 0xfffd
	v_add_co_ci_u32_e64 v29, null, v25, v29, vcc_lo
	global_load_b32 v28, v[28:29], off
.LBB155_12:                             ;   in Loop: Header=BB155_9 Depth=2
	s_wait_alu 0xfffe
	s_or_b32 exec_lo, exec_lo, s28
.LBB155_13:                             ;   in Loop: Header=BB155_9 Depth=2
	s_wait_alu 0xfffe
	s_or_b32 exec_lo, exec_lo, s25
	v_dual_mov_b32 v29, 0 :: v_dual_add_nc_u32 v0, s2, v12
	s_wait_loadcnt 0x0
	ds_store_b32 v14, v28
	v_cmp_gt_u64_e32 vcc_lo, s[8:9], v[0:1]
	s_and_b32 s28, vcc_lo, s1
	s_wait_alu 0xfffe
	s_and_saveexec_b32 s25, s28
	s_cbranch_execz .LBB155_8
; %bb.14:                               ;   in Loop: Header=BB155_9 Depth=2
	v_mad_co_u64_u32 v[28:29], null, s20, v0, 0
	s_delay_alu instid0(VALU_DEP_1) | instskip(NEXT) | instid1(VALU_DEP_1)
	v_mad_co_u64_u32 v[29:30], null, s21, v0, v[29:30]
	v_lshlrev_b64_e32 v[28:29], 2, v[28:29]
	s_delay_alu instid0(VALU_DEP_1) | instskip(SKIP_1) | instid1(VALU_DEP_2)
	v_add_co_u32 v28, vcc_lo, v26, v28
	s_wait_alu 0xfffd
	v_add_co_ci_u32_e64 v29, null, v27, v29, vcc_lo
	global_load_b32 v29, v[28:29], off
	s_branch .LBB155_8
.LBB155_15:                             ;   in Loop: Header=BB155_6 Depth=1
	s_mul_u64 s[2:3], s[30:31], s[6:7]
	s_wait_alu 0xfffe
	s_lshl_b64 s[2:3], s[2:3], 2
	s_wait_alu 0xfffe
	s_add_nc_u64 s[2:3], s[26:27], s[2:3]
	s_wait_alu 0xfffe
	v_add_co_u32 v0, vcc_lo, s2, v6
	s_wait_alu 0xfffd
	v_add_co_ci_u32_e64 v24, null, s3, v7, vcc_lo
	s_and_saveexec_b32 s25, s13
	s_cbranch_execz .LBB155_19
; %bb.16:                               ;   in Loop: Header=BB155_6 Depth=1
	v_mul_f32_e32 v11, s10, v11
	s_and_b32 vcc_lo, exec_lo, s12
	s_wait_alu 0xfffe
	s_cbranch_vccz .LBB155_30
; %bb.17:                               ;   in Loop: Header=BB155_6 Depth=1
	v_lshlrev_b64_e32 v[25:26], 2, v[2:3]
	s_delay_alu instid0(VALU_DEP_1) | instskip(SKIP_1) | instid1(VALU_DEP_2)
	v_add_co_u32 v25, vcc_lo, v0, v25
	s_wait_alu 0xfffd
	v_add_co_ci_u32_e64 v26, null, v24, v26, vcc_lo
	global_load_b32 v27, v[25:26], off
	s_wait_loadcnt 0x0
	v_fma_f32 v27, s24, v27, v11
	global_store_b32 v[25:26], v27, off
	s_cbranch_execnz .LBB155_19
.LBB155_18:                             ;   in Loop: Header=BB155_6 Depth=1
	v_lshlrev_b64_e32 v[25:26], 2, v[2:3]
	s_delay_alu instid0(VALU_DEP_1) | instskip(SKIP_1) | instid1(VALU_DEP_2)
	v_add_co_u32 v25, vcc_lo, v0, v25
	s_wait_alu 0xfffd
	v_add_co_ci_u32_e64 v26, null, v24, v26, vcc_lo
	global_store_b32 v[25:26], v11, off
.LBB155_19:                             ;   in Loop: Header=BB155_6 Depth=1
	s_wait_alu 0xfffe
	s_or_b32 exec_lo, exec_lo, s25
	s_and_saveexec_b32 s25, s19
	s_cbranch_execz .LBB155_23
; %bb.20:                               ;   in Loop: Header=BB155_6 Depth=1
	v_mul_f32_e32 v10, s10, v10
	s_and_not1_b32 vcc_lo, exec_lo, s12
	s_wait_alu 0xfffe
	s_cbranch_vccnz .LBB155_31
; %bb.21:                               ;   in Loop: Header=BB155_6 Depth=1
	v_lshlrev_b64_e32 v[25:26], 2, v[4:5]
	s_delay_alu instid0(VALU_DEP_1) | instskip(SKIP_1) | instid1(VALU_DEP_2)
	v_add_co_u32 v25, vcc_lo, v0, v25
	s_wait_alu 0xfffd
	v_add_co_ci_u32_e64 v26, null, v24, v26, vcc_lo
	global_load_b32 v11, v[25:26], off
	s_wait_loadcnt 0x0
	v_fma_f32 v11, s24, v11, v10
	global_store_b32 v[25:26], v11, off
	s_cbranch_execnz .LBB155_23
.LBB155_22:                             ;   in Loop: Header=BB155_6 Depth=1
	v_lshlrev_b64_e32 v[25:26], 2, v[4:5]
	s_delay_alu instid0(VALU_DEP_1) | instskip(SKIP_1) | instid1(VALU_DEP_2)
	v_add_co_u32 v25, vcc_lo, v0, v25
	s_wait_alu 0xfffd
	v_add_co_ci_u32_e64 v26, null, v24, v26, vcc_lo
	global_store_b32 v[25:26], v10, off
.LBB155_23:                             ;   in Loop: Header=BB155_6 Depth=1
	s_wait_alu 0xfffe
	s_or_b32 exec_lo, exec_lo, s25
	v_add_co_u32 v0, vcc_lo, s2, v8
	s_wait_alu 0xfffd
	v_add_co_ci_u32_e64 v24, null, s3, v9, vcc_lo
	s_and_saveexec_b32 s2, s4
	s_cbranch_execz .LBB155_27
; %bb.24:                               ;   in Loop: Header=BB155_6 Depth=1
	v_lshlrev_b64_e32 v[10:11], 2, v[2:3]
	v_mul_f32_e32 v23, s10, v23
	s_and_not1_b32 vcc_lo, exec_lo, s12
	s_wait_alu 0xfffe
	s_cbranch_vccnz .LBB155_32
; %bb.25:                               ;   in Loop: Header=BB155_6 Depth=1
	s_delay_alu instid0(VALU_DEP_2)
	v_add_co_u32 v25, vcc_lo, v0, v10
	s_wait_alu 0xfffd
	v_add_co_ci_u32_e64 v26, null, v24, v11, vcc_lo
	global_load_b32 v27, v[25:26], off
	s_wait_loadcnt 0x0
	v_fma_f32 v27, s24, v27, v23
	global_store_b32 v[25:26], v27, off
	s_cbranch_execnz .LBB155_27
.LBB155_26:                             ;   in Loop: Header=BB155_6 Depth=1
	v_add_co_u32 v10, vcc_lo, v0, v10
	s_wait_alu 0xfffd
	v_add_co_ci_u32_e64 v11, null, v24, v11, vcc_lo
	global_store_b32 v[10:11], v23, off
.LBB155_27:                             ;   in Loop: Header=BB155_6 Depth=1
	s_wait_alu 0xfffe
	s_or_b32 exec_lo, exec_lo, s2
	s_and_saveexec_b32 s2, s5
	s_cbranch_execz .LBB155_5
; %bb.28:                               ;   in Loop: Header=BB155_6 Depth=1
	v_lshlrev_b64_e32 v[10:11], 2, v[4:5]
	v_mul_f32_e32 v22, s10, v22
	s_and_not1_b32 vcc_lo, exec_lo, s12
	s_wait_alu 0xfffe
	s_cbranch_vccnz .LBB155_33
; %bb.29:                               ;   in Loop: Header=BB155_6 Depth=1
	s_delay_alu instid0(VALU_DEP_2)
	v_add_co_u32 v25, vcc_lo, v0, v10
	s_wait_alu 0xfffd
	v_add_co_ci_u32_e64 v26, null, v24, v11, vcc_lo
	global_load_b32 v23, v[25:26], off
	s_wait_loadcnt 0x0
	v_fma_f32 v23, s24, v23, v22
	global_store_b32 v[25:26], v23, off
	s_cbranch_execnz .LBB155_5
	s_branch .LBB155_34
.LBB155_30:                             ;   in Loop: Header=BB155_6 Depth=1
	s_branch .LBB155_18
.LBB155_31:                             ;   in Loop: Header=BB155_6 Depth=1
	s_branch .LBB155_22
.LBB155_32:                             ;   in Loop: Header=BB155_6 Depth=1
	s_branch .LBB155_26
.LBB155_33:                             ;   in Loop: Header=BB155_6 Depth=1
.LBB155_34:                             ;   in Loop: Header=BB155_6 Depth=1
	s_delay_alu instid0(VALU_DEP_2)
	v_add_co_u32 v10, vcc_lo, v0, v10
	s_wait_alu 0xfffd
	v_add_co_ci_u32_e64 v11, null, v24, v11, vcc_lo
	global_store_b32 v[10:11], v22, off
	s_branch .LBB155_5
.LBB155_35:
	s_endpgm
	.section	.rodata,"a",@progbits
	.p2align	6, 0x0
	.amdhsa_kernel _ZL29rocblas_internal_gemmt_kernelIlLi16ELi32ELi8ELc78ELc67ELc76ELb0ELb0EfPKfS1_PfEviT_T9_T10_S3_lS5_S3_lS4_T11_S3_li
		.amdhsa_group_segment_fixed_size 2048
		.amdhsa_private_segment_fixed_size 0
		.amdhsa_kernarg_size 108
		.amdhsa_user_sgpr_count 2
		.amdhsa_user_sgpr_dispatch_ptr 0
		.amdhsa_user_sgpr_queue_ptr 0
		.amdhsa_user_sgpr_kernarg_segment_ptr 1
		.amdhsa_user_sgpr_dispatch_id 0
		.amdhsa_user_sgpr_private_segment_size 0
		.amdhsa_wavefront_size32 1
		.amdhsa_uses_dynamic_stack 0
		.amdhsa_enable_private_segment 0
		.amdhsa_system_sgpr_workgroup_id_x 1
		.amdhsa_system_sgpr_workgroup_id_y 1
		.amdhsa_system_sgpr_workgroup_id_z 1
		.amdhsa_system_sgpr_workgroup_info 0
		.amdhsa_system_vgpr_workitem_id 1
		.amdhsa_next_free_vgpr 56
		.amdhsa_next_free_sgpr 34
		.amdhsa_reserve_vcc 1
		.amdhsa_float_round_mode_32 0
		.amdhsa_float_round_mode_16_64 0
		.amdhsa_float_denorm_mode_32 3
		.amdhsa_float_denorm_mode_16_64 3
		.amdhsa_fp16_overflow 0
		.amdhsa_workgroup_processor_mode 1
		.amdhsa_memory_ordered 1
		.amdhsa_forward_progress 1
		.amdhsa_inst_pref_size 15
		.amdhsa_round_robin_scheduling 0
		.amdhsa_exception_fp_ieee_invalid_op 0
		.amdhsa_exception_fp_denorm_src 0
		.amdhsa_exception_fp_ieee_div_zero 0
		.amdhsa_exception_fp_ieee_overflow 0
		.amdhsa_exception_fp_ieee_underflow 0
		.amdhsa_exception_fp_ieee_inexact 0
		.amdhsa_exception_int_div_zero 0
	.end_amdhsa_kernel
	.section	.text._ZL29rocblas_internal_gemmt_kernelIlLi16ELi32ELi8ELc78ELc67ELc76ELb0ELb0EfPKfS1_PfEviT_T9_T10_S3_lS5_S3_lS4_T11_S3_li,"axG",@progbits,_ZL29rocblas_internal_gemmt_kernelIlLi16ELi32ELi8ELc78ELc67ELc76ELb0ELb0EfPKfS1_PfEviT_T9_T10_S3_lS5_S3_lS4_T11_S3_li,comdat
.Lfunc_end155:
	.size	_ZL29rocblas_internal_gemmt_kernelIlLi16ELi32ELi8ELc78ELc67ELc76ELb0ELb0EfPKfS1_PfEviT_T9_T10_S3_lS5_S3_lS4_T11_S3_li, .Lfunc_end155-_ZL29rocblas_internal_gemmt_kernelIlLi16ELi32ELi8ELc78ELc67ELc76ELb0ELb0EfPKfS1_PfEviT_T9_T10_S3_lS5_S3_lS4_T11_S3_li
                                        ; -- End function
	.set _ZL29rocblas_internal_gemmt_kernelIlLi16ELi32ELi8ELc78ELc67ELc76ELb0ELb0EfPKfS1_PfEviT_T9_T10_S3_lS5_S3_lS4_T11_S3_li.num_vgpr, 56
	.set _ZL29rocblas_internal_gemmt_kernelIlLi16ELi32ELi8ELc78ELc67ELc76ELb0ELb0EfPKfS1_PfEviT_T9_T10_S3_lS5_S3_lS4_T11_S3_li.num_agpr, 0
	.set _ZL29rocblas_internal_gemmt_kernelIlLi16ELi32ELi8ELc78ELc67ELc76ELb0ELb0EfPKfS1_PfEviT_T9_T10_S3_lS5_S3_lS4_T11_S3_li.numbered_sgpr, 34
	.set _ZL29rocblas_internal_gemmt_kernelIlLi16ELi32ELi8ELc78ELc67ELc76ELb0ELb0EfPKfS1_PfEviT_T9_T10_S3_lS5_S3_lS4_T11_S3_li.num_named_barrier, 0
	.set _ZL29rocblas_internal_gemmt_kernelIlLi16ELi32ELi8ELc78ELc67ELc76ELb0ELb0EfPKfS1_PfEviT_T9_T10_S3_lS5_S3_lS4_T11_S3_li.private_seg_size, 0
	.set _ZL29rocblas_internal_gemmt_kernelIlLi16ELi32ELi8ELc78ELc67ELc76ELb0ELb0EfPKfS1_PfEviT_T9_T10_S3_lS5_S3_lS4_T11_S3_li.uses_vcc, 1
	.set _ZL29rocblas_internal_gemmt_kernelIlLi16ELi32ELi8ELc78ELc67ELc76ELb0ELb0EfPKfS1_PfEviT_T9_T10_S3_lS5_S3_lS4_T11_S3_li.uses_flat_scratch, 0
	.set _ZL29rocblas_internal_gemmt_kernelIlLi16ELi32ELi8ELc78ELc67ELc76ELb0ELb0EfPKfS1_PfEviT_T9_T10_S3_lS5_S3_lS4_T11_S3_li.has_dyn_sized_stack, 0
	.set _ZL29rocblas_internal_gemmt_kernelIlLi16ELi32ELi8ELc78ELc67ELc76ELb0ELb0EfPKfS1_PfEviT_T9_T10_S3_lS5_S3_lS4_T11_S3_li.has_recursion, 0
	.set _ZL29rocblas_internal_gemmt_kernelIlLi16ELi32ELi8ELc78ELc67ELc76ELb0ELb0EfPKfS1_PfEviT_T9_T10_S3_lS5_S3_lS4_T11_S3_li.has_indirect_call, 0
	.section	.AMDGPU.csdata,"",@progbits
; Kernel info:
; codeLenInByte = 1832
; TotalNumSgprs: 36
; NumVgprs: 56
; ScratchSize: 0
; MemoryBound: 0
; FloatMode: 240
; IeeeMode: 1
; LDSByteSize: 2048 bytes/workgroup (compile time only)
; SGPRBlocks: 0
; VGPRBlocks: 6
; NumSGPRsForWavesPerEU: 36
; NumVGPRsForWavesPerEU: 56
; Occupancy: 16
; WaveLimiterHint : 0
; COMPUTE_PGM_RSRC2:SCRATCH_EN: 0
; COMPUTE_PGM_RSRC2:USER_SGPR: 2
; COMPUTE_PGM_RSRC2:TRAP_HANDLER: 0
; COMPUTE_PGM_RSRC2:TGID_X_EN: 1
; COMPUTE_PGM_RSRC2:TGID_Y_EN: 1
; COMPUTE_PGM_RSRC2:TGID_Z_EN: 1
; COMPUTE_PGM_RSRC2:TIDIG_COMP_CNT: 1
	.section	.text._ZL29rocblas_internal_gemmt_kernelIlLi16ELi32ELi8ELc84ELc78ELc76ELb0ELb0EfPKfS1_PfEviT_T9_T10_S3_lS5_S3_lS4_T11_S3_li,"axG",@progbits,_ZL29rocblas_internal_gemmt_kernelIlLi16ELi32ELi8ELc84ELc78ELc76ELb0ELb0EfPKfS1_PfEviT_T9_T10_S3_lS5_S3_lS4_T11_S3_li,comdat
	.globl	_ZL29rocblas_internal_gemmt_kernelIlLi16ELi32ELi8ELc84ELc78ELc76ELb0ELb0EfPKfS1_PfEviT_T9_T10_S3_lS5_S3_lS4_T11_S3_li ; -- Begin function _ZL29rocblas_internal_gemmt_kernelIlLi16ELi32ELi8ELc84ELc78ELc76ELb0ELb0EfPKfS1_PfEviT_T9_T10_S3_lS5_S3_lS4_T11_S3_li
	.p2align	8
	.type	_ZL29rocblas_internal_gemmt_kernelIlLi16ELi32ELi8ELc84ELc78ELc76ELb0ELb0EfPKfS1_PfEviT_T9_T10_S3_lS5_S3_lS4_T11_S3_li,@function
_ZL29rocblas_internal_gemmt_kernelIlLi16ELi32ELi8ELc84ELc78ELc76ELb0ELb0EfPKfS1_PfEviT_T9_T10_S3_lS5_S3_lS4_T11_S3_li: ; @_ZL29rocblas_internal_gemmt_kernelIlLi16ELi32ELi8ELc84ELc78ELc76ELb0ELb0EfPKfS1_PfEviT_T9_T10_S3_lS5_S3_lS4_T11_S3_li
; %bb.0:
	s_clause 0x1
	s_load_b256 s[24:31], s[0:1], 0x48
	s_load_b512 s[8:23], s[0:1], 0x8
	s_wait_kmcnt 0x0
	s_load_b32 s24, s[24:25], 0x0
	s_load_b32 s10, s[10:11], 0x0
	s_wait_kmcnt 0x0
	s_cmp_neq_f32 s24, 1.0
	s_cselect_b32 s2, -1, 0
	s_delay_alu instid0(SALU_CYCLE_1)
	s_and_b32 vcc_lo, exec_lo, s2
	s_cbranch_vccnz .LBB156_2
; %bb.1:
	s_cmp_lg_u64 s[8:9], 0
	s_cselect_b32 s2, -1, 0
	s_cmp_neq_f32 s10, 0
	s_cselect_b32 s3, -1, 0
	s_delay_alu instid0(SALU_CYCLE_1)
	s_and_b32 s2, s2, s3
.LBB156_2:
	s_delay_alu instid0(SALU_CYCLE_1)
	s_and_not1_b32 vcc_lo, exec_lo, s2
	s_cbranch_vccnz .LBB156_35
; %bb.3:
	s_load_b32 s11, s[0:1], 0x68
	s_lshr_b32 s6, ttmp7, 16
	s_wait_kmcnt 0x0
	s_cmp_ge_u32 s6, s11
	s_cbranch_scc1 .LBB156_35
; %bb.4:
	v_and_b32_e32 v10, 0x3ff, v0
	v_bfe_u32 v11, v0, 10, 10
	s_load_b32 s3, s[0:1], 0x0
	s_lshl_b32 s0, ttmp7, 5
	s_lshl_b32 s2, ttmp9, 5
	s_and_b32 s0, s0, 0x1fffe0
	v_lshl_add_u32 v2, v11, 4, v10
	v_add_nc_u32_e32 v22, s0, v11
	s_cmp_neq_f32 s10, 0
	v_cmp_gt_i64_e64 s25, s[8:9], 0
	v_lshl_add_u32 v21, v11, 5, 0x400
	v_lshrrev_b32_e32 v8, 3, v2
	v_and_b32_e32 v15, 31, v2
	v_lshrrev_b32_e32 v14, 5, v2
	v_mad_co_u64_u32 v[6:7], null, s28, v22, 0
	s_delay_alu instid0(VALU_DEP_4) | instskip(NEXT) | instid1(VALU_DEP_4)
	v_add_nc_u32_e32 v16, s0, v8
	v_or_b32_e32 v17, s2, v15
	v_and_b32_e32 v12, 7, v0
	v_add_nc_u32_e32 v23, 16, v22
	s_mov_b32 s7, 0
	v_mad_co_u64_u32 v[0:1], null, s20, v16, 0
	v_mad_co_u64_u32 v[2:3], null, s14, v17, 0
	v_mul_lo_u32 v18, s15, v17
	s_cselect_b32 s20, -1, 0
	s_ashr_i32 s1, s2, 31
	v_lshlrev_b32_e32 v9, 2, v12
	s_wait_alu 0xfffe
	s_mul_i32 s0, s14, s1
	s_cmp_neq_f32 s24, 0
	v_mad_co_u64_u32 v[4:5], null, s21, v16, v[1:2]
	s_wait_alu 0xfffe
	v_add3_u32 v3, v3, s0, v18
	v_lshl_or_b32 v19, v8, 5, v9
	v_mad_co_u64_u32 v[8:9], null, s28, v23, 0
	s_wait_kmcnt 0x0
	v_cmp_gt_i32_e64 s0, s3, v17
	v_lshlrev_b64_e32 v[2:3], 2, v[2:3]
	v_mov_b32_e32 v1, v4
	v_lshlrev_b32_e32 v5, 2, v15
	v_lshlrev_b32_e32 v13, 2, v10
	s_delay_alu instid0(VALU_DEP_4) | instskip(NEXT) | instid1(VALU_DEP_4)
	v_add_co_u32 v17, vcc_lo, s12, v2
	v_lshlrev_b64_e32 v[0:1], 2, v[0:1]
	v_add_co_ci_u32_e64 v18, null, s13, v3, vcc_lo
	v_mov_b32_e32 v3, v9
	v_lshl_or_b32 v15, v14, 7, v5
	v_cmp_gt_i32_e64 s1, s3, v16
	s_cselect_b32 s12, -1, 0
	s_and_b32 s14, s20, s25
	v_mad_co_u64_u32 v[4:5], null, s29, v23, v[3:4]
	v_add_nc_u32_e32 v16, 0x400, v19
	v_add_co_u32 v19, vcc_lo, s18, v0
	s_wait_alu 0xfffd
	v_add_co_ci_u32_e64 v20, null, s19, v1, vcc_lo
	v_dual_mov_b32 v1, v7 :: v_dual_add_nc_u32 v0, s2, v10
	v_mov_b32_e32 v5, 0
	v_mov_b32_e32 v9, v4
	s_delay_alu instid0(VALU_DEP_3) | instskip(NEXT) | instid1(VALU_DEP_4)
	v_mad_co_u64_u32 v[1:2], null, s29, v22, v[1:2]
	v_cmp_gt_i32_e64 s2, s3, v0
	v_add_nc_u32_e32 v2, 16, v0
	v_cmp_le_i32_e64 s4, v23, v0
	v_lshlrev_b64_e32 v[8:9], 2, v[8:9]
	v_mov_b32_e32 v7, v1
	v_cmp_le_i32_e32 vcc_lo, v22, v0
	v_cmp_gt_i32_e64 s3, s3, v2
	v_cmp_le_i32_e64 s5, v23, v2
	v_ashrrev_i32_e32 v1, 31, v0
	v_lshlrev_b64_e32 v[6:7], 2, v[6:7]
	s_and_b32 s13, vcc_lo, s2
	v_cmp_le_i32_e32 vcc_lo, v22, v2
	v_ashrrev_i32_e32 v3, 31, v2
	s_and_b32 s4, s4, s2
	s_and_b32 s5, s5, s3
	s_and_b32 s15, vcc_lo, s3
	s_branch .LBB156_6
.LBB156_5:                              ;   in Loop: Header=BB156_6 Depth=1
	s_wait_alu 0xfffe
	s_or_b32 exec_lo, exec_lo, s2
	s_add_co_i32 s6, s6, 0x10000
	s_delay_alu instid0(SALU_CYCLE_1)
	s_cmp_lt_u32 s6, s11
	s_cbranch_scc0 .LBB156_35
.LBB156_6:                              ; =>This Loop Header: Depth=1
                                        ;     Child Loop BB156_9 Depth 2
	v_dual_mov_b32 v11, v5 :: v_dual_mov_b32 v10, v5
	v_dual_mov_b32 v23, v5 :: v_dual_mov_b32 v22, v5
	s_wait_alu 0xfffe
	s_and_not1_b32 vcc_lo, exec_lo, s14
	s_wait_alu 0xfffe
	s_cbranch_vccnz .LBB156_15
; %bb.7:                                ;   in Loop: Header=BB156_6 Depth=1
	s_mul_u64 s[2:3], s[16:17], s[6:7]
	s_mul_u64 s[18:19], s[22:23], s[6:7]
	s_wait_alu 0xfffe
	s_lshl_b64 s[2:3], s[2:3], 2
	v_dual_mov_b32 v22, 0 :: v_dual_mov_b32 v23, 0
	s_wait_alu 0xfffe
	v_add_co_u32 v24, vcc_lo, v17, s2
	s_wait_alu 0xfffd
	v_add_co_ci_u32_e64 v25, null, s3, v18, vcc_lo
	s_lshl_b64 s[2:3], s[18:19], 2
	v_dual_mov_b32 v10, 0 :: v_dual_mov_b32 v11, 0
	s_wait_alu 0xfffe
	v_add_co_u32 v26, vcc_lo, v19, s2
	s_wait_alu 0xfffd
	v_add_co_ci_u32_e64 v27, null, s3, v20, vcc_lo
	s_mov_b64 s[2:3], 0
	s_branch .LBB156_9
.LBB156_8:                              ;   in Loop: Header=BB156_9 Depth=2
	s_wait_alu 0xfffe
	s_or_b32 exec_lo, exec_lo, s18
	s_wait_loadcnt 0x0
	ds_store_b32 v16, v29
	s_wait_dscnt 0x0
	s_barrier_signal -1
	s_barrier_wait -1
	global_inv scope:SCOPE_SE
	ds_load_b128 v[28:31], v21
	ds_load_2addr_b32 v[44:45], v13 offset1:16
	ds_load_b128 v[32:35], v21 offset:512
	ds_load_2addr_b32 v[46:47], v13 offset0:32 offset1:48
	ds_load_2addr_b32 v[48:49], v13 offset0:64 offset1:80
	;; [unrolled: 1-line block ×3, first 2 shown]
	ds_load_b128 v[36:39], v21 offset:16
	ds_load_2addr_b32 v[52:53], v13 offset0:128 offset1:144
	ds_load_b128 v[40:43], v21 offset:528
	ds_load_2addr_b32 v[54:55], v13 offset0:160 offset1:176
	s_add_nc_u64 s[2:3], s[2:3], 8
	s_wait_alu 0xfffe
	v_cmp_gt_i64_e64 s18, s[8:9], s[2:3]
	s_and_b32 vcc_lo, exec_lo, s18
	s_wait_dscnt 0x8
	v_fmac_f32_e32 v10, v45, v28
	v_fmac_f32_e32 v11, v44, v28
	s_wait_dscnt 0x7
	v_fmac_f32_e32 v22, v45, v32
	v_fmac_f32_e32 v23, v44, v32
	ds_load_2addr_b32 v[44:45], v13 offset0:192 offset1:208
	s_wait_dscnt 0x7
	v_fmac_f32_e32 v10, v47, v29
	v_fmac_f32_e32 v11, v46, v29
	;; [unrolled: 1-line block ×4, first 2 shown]
	ds_load_2addr_b32 v[28:29], v13 offset0:224 offset1:240
	s_wait_dscnt 0x7
	v_fmac_f32_e32 v10, v49, v30
	v_fmac_f32_e32 v11, v48, v30
	;; [unrolled: 1-line block ×4, first 2 shown]
	s_wait_loadcnt_dscnt 0x0
	v_fmac_f32_e32 v10, v51, v31
	v_fmac_f32_e32 v11, v50, v31
	;; [unrolled: 1-line block ×4, first 2 shown]
	s_barrier_signal -1
	v_fmac_f32_e32 v10, v53, v36
	v_fmac_f32_e32 v11, v52, v36
	;; [unrolled: 1-line block ×4, first 2 shown]
	s_barrier_wait -1
	v_fmac_f32_e32 v10, v55, v37
	v_fmac_f32_e32 v11, v54, v37
	;; [unrolled: 1-line block ×4, first 2 shown]
	global_inv scope:SCOPE_SE
	v_fmac_f32_e32 v10, v45, v38
	v_fmac_f32_e32 v11, v44, v38
	;; [unrolled: 1-line block ×3, first 2 shown]
	s_delay_alu instid0(VALU_DEP_3) | instskip(NEXT) | instid1(VALU_DEP_3)
	v_dual_fmac_f32 v23, v44, v42 :: v_dual_fmac_f32 v10, v29, v39
	v_fmac_f32_e32 v11, v28, v39
	s_delay_alu instid0(VALU_DEP_3) | instskip(NEXT) | instid1(VALU_DEP_3)
	v_fmac_f32_e32 v22, v29, v43
	v_fmac_f32_e32 v23, v28, v43
	s_wait_alu 0xfffe
	s_cbranch_vccz .LBB156_15
.LBB156_9:                              ;   Parent Loop BB156_6 Depth=1
                                        ; =>  This Inner Loop Header: Depth=2
	v_mov_b32_e32 v28, 0
	s_and_saveexec_b32 s18, s0
	s_cbranch_execz .LBB156_13
; %bb.10:                               ;   in Loop: Header=BB156_9 Depth=2
	s_wait_alu 0xfffe
	v_add_nc_u32_e32 v4, s2, v14
	v_mov_b32_e32 v28, 0
	s_mov_b32 s19, exec_lo
	s_delay_alu instid0(VALU_DEP_2)
	v_cmpx_gt_u64_e64 s[8:9], v[4:5]
	s_cbranch_execz .LBB156_12
; %bb.11:                               ;   in Loop: Header=BB156_9 Depth=2
	v_lshlrev_b64_e32 v[28:29], 2, v[4:5]
	s_delay_alu instid0(VALU_DEP_1) | instskip(SKIP_1) | instid1(VALU_DEP_2)
	v_add_co_u32 v28, vcc_lo, v24, v28
	s_wait_alu 0xfffd
	v_add_co_ci_u32_e64 v29, null, v25, v29, vcc_lo
	global_load_b32 v28, v[28:29], off
.LBB156_12:                             ;   in Loop: Header=BB156_9 Depth=2
	s_wait_alu 0xfffe
	s_or_b32 exec_lo, exec_lo, s19
.LBB156_13:                             ;   in Loop: Header=BB156_9 Depth=2
	s_wait_alu 0xfffe
	s_or_b32 exec_lo, exec_lo, s18
	v_dual_mov_b32 v29, 0 :: v_dual_add_nc_u32 v4, s2, v12
	s_wait_loadcnt 0x0
	ds_store_b32 v15, v28
	v_cmp_gt_u64_e32 vcc_lo, s[8:9], v[4:5]
	s_and_b32 s19, vcc_lo, s1
	s_wait_alu 0xfffe
	s_and_saveexec_b32 s18, s19
	s_cbranch_execz .LBB156_8
; %bb.14:                               ;   in Loop: Header=BB156_9 Depth=2
	v_lshlrev_b64_e32 v[28:29], 2, v[4:5]
	s_delay_alu instid0(VALU_DEP_1) | instskip(SKIP_1) | instid1(VALU_DEP_2)
	v_add_co_u32 v28, vcc_lo, v26, v28
	s_wait_alu 0xfffd
	v_add_co_ci_u32_e64 v29, null, v27, v29, vcc_lo
	global_load_b32 v29, v[28:29], off
	s_branch .LBB156_8
.LBB156_15:                             ;   in Loop: Header=BB156_6 Depth=1
	s_mul_u64 s[2:3], s[30:31], s[6:7]
	s_wait_alu 0xfffe
	s_lshl_b64 s[2:3], s[2:3], 2
	s_wait_alu 0xfffe
	s_add_nc_u64 s[2:3], s[26:27], s[2:3]
	s_wait_alu 0xfffe
	v_add_co_u32 v4, vcc_lo, s2, v6
	s_wait_alu 0xfffd
	v_add_co_ci_u32_e64 v24, null, s3, v7, vcc_lo
	s_and_saveexec_b32 s18, s13
	s_cbranch_execz .LBB156_19
; %bb.16:                               ;   in Loop: Header=BB156_6 Depth=1
	v_mul_f32_e32 v11, s10, v11
	s_and_b32 vcc_lo, exec_lo, s12
	s_wait_alu 0xfffe
	s_cbranch_vccz .LBB156_30
; %bb.17:                               ;   in Loop: Header=BB156_6 Depth=1
	v_lshlrev_b64_e32 v[25:26], 2, v[0:1]
	s_delay_alu instid0(VALU_DEP_1) | instskip(SKIP_1) | instid1(VALU_DEP_2)
	v_add_co_u32 v25, vcc_lo, v4, v25
	s_wait_alu 0xfffd
	v_add_co_ci_u32_e64 v26, null, v24, v26, vcc_lo
	global_load_b32 v27, v[25:26], off
	s_wait_loadcnt 0x0
	v_fma_f32 v27, s24, v27, v11
	global_store_b32 v[25:26], v27, off
	s_cbranch_execnz .LBB156_19
.LBB156_18:                             ;   in Loop: Header=BB156_6 Depth=1
	v_lshlrev_b64_e32 v[25:26], 2, v[0:1]
	s_delay_alu instid0(VALU_DEP_1) | instskip(SKIP_1) | instid1(VALU_DEP_2)
	v_add_co_u32 v25, vcc_lo, v4, v25
	s_wait_alu 0xfffd
	v_add_co_ci_u32_e64 v26, null, v24, v26, vcc_lo
	global_store_b32 v[25:26], v11, off
.LBB156_19:                             ;   in Loop: Header=BB156_6 Depth=1
	s_wait_alu 0xfffe
	s_or_b32 exec_lo, exec_lo, s18
	s_and_saveexec_b32 s18, s15
	s_cbranch_execz .LBB156_23
; %bb.20:                               ;   in Loop: Header=BB156_6 Depth=1
	v_mul_f32_e32 v10, s10, v10
	s_and_not1_b32 vcc_lo, exec_lo, s12
	s_wait_alu 0xfffe
	s_cbranch_vccnz .LBB156_31
; %bb.21:                               ;   in Loop: Header=BB156_6 Depth=1
	v_lshlrev_b64_e32 v[25:26], 2, v[2:3]
	s_delay_alu instid0(VALU_DEP_1) | instskip(SKIP_1) | instid1(VALU_DEP_2)
	v_add_co_u32 v25, vcc_lo, v4, v25
	s_wait_alu 0xfffd
	v_add_co_ci_u32_e64 v26, null, v24, v26, vcc_lo
	global_load_b32 v11, v[25:26], off
	s_wait_loadcnt 0x0
	v_fma_f32 v11, s24, v11, v10
	global_store_b32 v[25:26], v11, off
	s_cbranch_execnz .LBB156_23
.LBB156_22:                             ;   in Loop: Header=BB156_6 Depth=1
	v_lshlrev_b64_e32 v[25:26], 2, v[2:3]
	s_delay_alu instid0(VALU_DEP_1) | instskip(SKIP_1) | instid1(VALU_DEP_2)
	v_add_co_u32 v25, vcc_lo, v4, v25
	s_wait_alu 0xfffd
	v_add_co_ci_u32_e64 v26, null, v24, v26, vcc_lo
	global_store_b32 v[25:26], v10, off
.LBB156_23:                             ;   in Loop: Header=BB156_6 Depth=1
	s_wait_alu 0xfffe
	s_or_b32 exec_lo, exec_lo, s18
	v_add_co_u32 v4, vcc_lo, s2, v8
	s_wait_alu 0xfffd
	v_add_co_ci_u32_e64 v24, null, s3, v9, vcc_lo
	s_and_saveexec_b32 s2, s4
	s_cbranch_execz .LBB156_27
; %bb.24:                               ;   in Loop: Header=BB156_6 Depth=1
	v_lshlrev_b64_e32 v[10:11], 2, v[0:1]
	v_mul_f32_e32 v23, s10, v23
	s_and_not1_b32 vcc_lo, exec_lo, s12
	s_wait_alu 0xfffe
	s_cbranch_vccnz .LBB156_32
; %bb.25:                               ;   in Loop: Header=BB156_6 Depth=1
	s_delay_alu instid0(VALU_DEP_2)
	v_add_co_u32 v25, vcc_lo, v4, v10
	s_wait_alu 0xfffd
	v_add_co_ci_u32_e64 v26, null, v24, v11, vcc_lo
	global_load_b32 v27, v[25:26], off
	s_wait_loadcnt 0x0
	v_fma_f32 v27, s24, v27, v23
	global_store_b32 v[25:26], v27, off
	s_cbranch_execnz .LBB156_27
.LBB156_26:                             ;   in Loop: Header=BB156_6 Depth=1
	v_add_co_u32 v10, vcc_lo, v4, v10
	s_wait_alu 0xfffd
	v_add_co_ci_u32_e64 v11, null, v24, v11, vcc_lo
	global_store_b32 v[10:11], v23, off
.LBB156_27:                             ;   in Loop: Header=BB156_6 Depth=1
	s_wait_alu 0xfffe
	s_or_b32 exec_lo, exec_lo, s2
	s_and_saveexec_b32 s2, s5
	s_cbranch_execz .LBB156_5
; %bb.28:                               ;   in Loop: Header=BB156_6 Depth=1
	v_lshlrev_b64_e32 v[10:11], 2, v[2:3]
	v_mul_f32_e32 v22, s10, v22
	s_and_not1_b32 vcc_lo, exec_lo, s12
	s_wait_alu 0xfffe
	s_cbranch_vccnz .LBB156_33
; %bb.29:                               ;   in Loop: Header=BB156_6 Depth=1
	s_delay_alu instid0(VALU_DEP_2)
	v_add_co_u32 v25, vcc_lo, v4, v10
	s_wait_alu 0xfffd
	v_add_co_ci_u32_e64 v26, null, v24, v11, vcc_lo
	global_load_b32 v23, v[25:26], off
	s_wait_loadcnt 0x0
	v_fma_f32 v23, s24, v23, v22
	global_store_b32 v[25:26], v23, off
	s_cbranch_execnz .LBB156_5
	s_branch .LBB156_34
.LBB156_30:                             ;   in Loop: Header=BB156_6 Depth=1
	s_branch .LBB156_18
.LBB156_31:                             ;   in Loop: Header=BB156_6 Depth=1
	s_branch .LBB156_22
.LBB156_32:                             ;   in Loop: Header=BB156_6 Depth=1
	s_branch .LBB156_26
.LBB156_33:                             ;   in Loop: Header=BB156_6 Depth=1
.LBB156_34:                             ;   in Loop: Header=BB156_6 Depth=1
	s_delay_alu instid0(VALU_DEP_2)
	v_add_co_u32 v10, vcc_lo, v4, v10
	s_wait_alu 0xfffd
	v_add_co_ci_u32_e64 v11, null, v24, v11, vcc_lo
	global_store_b32 v[10:11], v22, off
	s_branch .LBB156_5
.LBB156_35:
	s_endpgm
	.section	.rodata,"a",@progbits
	.p2align	6, 0x0
	.amdhsa_kernel _ZL29rocblas_internal_gemmt_kernelIlLi16ELi32ELi8ELc84ELc78ELc76ELb0ELb0EfPKfS1_PfEviT_T9_T10_S3_lS5_S3_lS4_T11_S3_li
		.amdhsa_group_segment_fixed_size 2048
		.amdhsa_private_segment_fixed_size 0
		.amdhsa_kernarg_size 108
		.amdhsa_user_sgpr_count 2
		.amdhsa_user_sgpr_dispatch_ptr 0
		.amdhsa_user_sgpr_queue_ptr 0
		.amdhsa_user_sgpr_kernarg_segment_ptr 1
		.amdhsa_user_sgpr_dispatch_id 0
		.amdhsa_user_sgpr_private_segment_size 0
		.amdhsa_wavefront_size32 1
		.amdhsa_uses_dynamic_stack 0
		.amdhsa_enable_private_segment 0
		.amdhsa_system_sgpr_workgroup_id_x 1
		.amdhsa_system_sgpr_workgroup_id_y 1
		.amdhsa_system_sgpr_workgroup_id_z 1
		.amdhsa_system_sgpr_workgroup_info 0
		.amdhsa_system_vgpr_workitem_id 1
		.amdhsa_next_free_vgpr 56
		.amdhsa_next_free_sgpr 32
		.amdhsa_reserve_vcc 1
		.amdhsa_float_round_mode_32 0
		.amdhsa_float_round_mode_16_64 0
		.amdhsa_float_denorm_mode_32 3
		.amdhsa_float_denorm_mode_16_64 3
		.amdhsa_fp16_overflow 0
		.amdhsa_workgroup_processor_mode 1
		.amdhsa_memory_ordered 1
		.amdhsa_forward_progress 1
		.amdhsa_inst_pref_size 15
		.amdhsa_round_robin_scheduling 0
		.amdhsa_exception_fp_ieee_invalid_op 0
		.amdhsa_exception_fp_denorm_src 0
		.amdhsa_exception_fp_ieee_div_zero 0
		.amdhsa_exception_fp_ieee_overflow 0
		.amdhsa_exception_fp_ieee_underflow 0
		.amdhsa_exception_fp_ieee_inexact 0
		.amdhsa_exception_int_div_zero 0
	.end_amdhsa_kernel
	.section	.text._ZL29rocblas_internal_gemmt_kernelIlLi16ELi32ELi8ELc84ELc78ELc76ELb0ELb0EfPKfS1_PfEviT_T9_T10_S3_lS5_S3_lS4_T11_S3_li,"axG",@progbits,_ZL29rocblas_internal_gemmt_kernelIlLi16ELi32ELi8ELc84ELc78ELc76ELb0ELb0EfPKfS1_PfEviT_T9_T10_S3_lS5_S3_lS4_T11_S3_li,comdat
.Lfunc_end156:
	.size	_ZL29rocblas_internal_gemmt_kernelIlLi16ELi32ELi8ELc84ELc78ELc76ELb0ELb0EfPKfS1_PfEviT_T9_T10_S3_lS5_S3_lS4_T11_S3_li, .Lfunc_end156-_ZL29rocblas_internal_gemmt_kernelIlLi16ELi32ELi8ELc84ELc78ELc76ELb0ELb0EfPKfS1_PfEviT_T9_T10_S3_lS5_S3_lS4_T11_S3_li
                                        ; -- End function
	.set _ZL29rocblas_internal_gemmt_kernelIlLi16ELi32ELi8ELc84ELc78ELc76ELb0ELb0EfPKfS1_PfEviT_T9_T10_S3_lS5_S3_lS4_T11_S3_li.num_vgpr, 56
	.set _ZL29rocblas_internal_gemmt_kernelIlLi16ELi32ELi8ELc84ELc78ELc76ELb0ELb0EfPKfS1_PfEviT_T9_T10_S3_lS5_S3_lS4_T11_S3_li.num_agpr, 0
	.set _ZL29rocblas_internal_gemmt_kernelIlLi16ELi32ELi8ELc84ELc78ELc76ELb0ELb0EfPKfS1_PfEviT_T9_T10_S3_lS5_S3_lS4_T11_S3_li.numbered_sgpr, 32
	.set _ZL29rocblas_internal_gemmt_kernelIlLi16ELi32ELi8ELc84ELc78ELc76ELb0ELb0EfPKfS1_PfEviT_T9_T10_S3_lS5_S3_lS4_T11_S3_li.num_named_barrier, 0
	.set _ZL29rocblas_internal_gemmt_kernelIlLi16ELi32ELi8ELc84ELc78ELc76ELb0ELb0EfPKfS1_PfEviT_T9_T10_S3_lS5_S3_lS4_T11_S3_li.private_seg_size, 0
	.set _ZL29rocblas_internal_gemmt_kernelIlLi16ELi32ELi8ELc84ELc78ELc76ELb0ELb0EfPKfS1_PfEviT_T9_T10_S3_lS5_S3_lS4_T11_S3_li.uses_vcc, 1
	.set _ZL29rocblas_internal_gemmt_kernelIlLi16ELi32ELi8ELc84ELc78ELc76ELb0ELb0EfPKfS1_PfEviT_T9_T10_S3_lS5_S3_lS4_T11_S3_li.uses_flat_scratch, 0
	.set _ZL29rocblas_internal_gemmt_kernelIlLi16ELi32ELi8ELc84ELc78ELc76ELb0ELb0EfPKfS1_PfEviT_T9_T10_S3_lS5_S3_lS4_T11_S3_li.has_dyn_sized_stack, 0
	.set _ZL29rocblas_internal_gemmt_kernelIlLi16ELi32ELi8ELc84ELc78ELc76ELb0ELb0EfPKfS1_PfEviT_T9_T10_S3_lS5_S3_lS4_T11_S3_li.has_recursion, 0
	.set _ZL29rocblas_internal_gemmt_kernelIlLi16ELi32ELi8ELc84ELc78ELc76ELb0ELb0EfPKfS1_PfEviT_T9_T10_S3_lS5_S3_lS4_T11_S3_li.has_indirect_call, 0
	.section	.AMDGPU.csdata,"",@progbits
; Kernel info:
; codeLenInByte = 1864
; TotalNumSgprs: 34
; NumVgprs: 56
; ScratchSize: 0
; MemoryBound: 0
; FloatMode: 240
; IeeeMode: 1
; LDSByteSize: 2048 bytes/workgroup (compile time only)
; SGPRBlocks: 0
; VGPRBlocks: 6
; NumSGPRsForWavesPerEU: 34
; NumVGPRsForWavesPerEU: 56
; Occupancy: 16
; WaveLimiterHint : 0
; COMPUTE_PGM_RSRC2:SCRATCH_EN: 0
; COMPUTE_PGM_RSRC2:USER_SGPR: 2
; COMPUTE_PGM_RSRC2:TRAP_HANDLER: 0
; COMPUTE_PGM_RSRC2:TGID_X_EN: 1
; COMPUTE_PGM_RSRC2:TGID_Y_EN: 1
; COMPUTE_PGM_RSRC2:TGID_Z_EN: 1
; COMPUTE_PGM_RSRC2:TIDIG_COMP_CNT: 1
	.section	.text._ZL29rocblas_internal_gemmt_kernelIlLi16ELi32ELi8ELc84ELc84ELc76ELb0ELb0EfPKfS1_PfEviT_T9_T10_S3_lS5_S3_lS4_T11_S3_li,"axG",@progbits,_ZL29rocblas_internal_gemmt_kernelIlLi16ELi32ELi8ELc84ELc84ELc76ELb0ELb0EfPKfS1_PfEviT_T9_T10_S3_lS5_S3_lS4_T11_S3_li,comdat
	.globl	_ZL29rocblas_internal_gemmt_kernelIlLi16ELi32ELi8ELc84ELc84ELc76ELb0ELb0EfPKfS1_PfEviT_T9_T10_S3_lS5_S3_lS4_T11_S3_li ; -- Begin function _ZL29rocblas_internal_gemmt_kernelIlLi16ELi32ELi8ELc84ELc84ELc76ELb0ELb0EfPKfS1_PfEviT_T9_T10_S3_lS5_S3_lS4_T11_S3_li
	.p2align	8
	.type	_ZL29rocblas_internal_gemmt_kernelIlLi16ELi32ELi8ELc84ELc84ELc76ELb0ELb0EfPKfS1_PfEviT_T9_T10_S3_lS5_S3_lS4_T11_S3_li,@function
_ZL29rocblas_internal_gemmt_kernelIlLi16ELi32ELi8ELc84ELc84ELc76ELb0ELb0EfPKfS1_PfEviT_T9_T10_S3_lS5_S3_lS4_T11_S3_li: ; @_ZL29rocblas_internal_gemmt_kernelIlLi16ELi32ELi8ELc84ELc84ELc76ELb0ELb0EfPKfS1_PfEviT_T9_T10_S3_lS5_S3_lS4_T11_S3_li
; %bb.0:
	s_clause 0x1
	s_load_b256 s[24:31], s[0:1], 0x48
	s_load_b512 s[8:23], s[0:1], 0x8
	s_wait_kmcnt 0x0
	s_load_b32 s24, s[24:25], 0x0
	s_load_b32 s10, s[10:11], 0x0
	s_wait_kmcnt 0x0
	s_cmp_neq_f32 s24, 1.0
	s_cselect_b32 s2, -1, 0
	s_delay_alu instid0(SALU_CYCLE_1)
	s_and_b32 vcc_lo, exec_lo, s2
	s_cbranch_vccnz .LBB157_2
; %bb.1:
	s_cmp_lg_u64 s[8:9], 0
	s_cselect_b32 s2, -1, 0
	s_cmp_neq_f32 s10, 0
	s_cselect_b32 s3, -1, 0
	s_delay_alu instid0(SALU_CYCLE_1)
	s_and_b32 s2, s2, s3
.LBB157_2:
	s_delay_alu instid0(SALU_CYCLE_1)
	s_and_not1_b32 vcc_lo, exec_lo, s2
	s_cbranch_vccnz .LBB157_35
; %bb.3:
	s_load_b32 s11, s[0:1], 0x68
	s_lshr_b32 s6, ttmp7, 16
	s_wait_kmcnt 0x0
	s_cmp_ge_u32 s6, s11
	s_cbranch_scc1 .LBB157_35
; %bb.4:
	v_and_b32_e32 v2, 0x3ff, v0
	v_bfe_u32 v3, v0, 10, 10
	s_load_b32 s3, s[0:1], 0x0
	s_lshl_b32 s0, ttmp7, 5
	s_lshl_b32 s2, ttmp9, 5
	s_and_b32 s0, s0, 0x1fffe0
	v_lshl_add_u32 v4, v3, 4, v2
	v_add_nc_u32_e32 v11, s0, v3
	v_and_b32_e32 v12, 7, v0
	s_cmp_neq_f32 s10, 0
	v_lshl_add_u32 v21, v3, 5, 0x400
	v_lshrrev_b32_e32 v13, 5, v4
	v_mad_co_u64_u32 v[6:7], null, s28, v11, 0
	v_and_b32_e32 v5, 31, v4
	s_cselect_b32 s33, -1, 0
	s_ashr_i32 s1, s2, 31
	v_lshlrev_b32_e32 v9, 2, v12
	s_wait_alu 0xfffe
	s_mul_i32 s1, s14, s1
	v_or_b32_e32 v8, s2, v5
	v_lshrrev_b32_e32 v4, 3, v4
	v_add_nc_u32_e32 v22, 16, v11
	s_cmp_neq_f32 s24, 0
	v_cmp_gt_i64_e64 s25, s[8:9], 0
	v_mul_lo_u32 v10, s15, v8
	v_mad_co_u64_u32 v[0:1], null, s14, v8, 0
	s_mov_b32 s7, 0
	s_wait_alu 0xfffe
	v_add3_u32 v1, v1, s1, v10
	v_add_nc_u32_e32 v10, s0, v4
	v_lshl_or_b32 v4, v4, 5, v9
	s_wait_kmcnt 0x0
	v_cmp_gt_i32_e64 s0, s3, v8
	v_mad_co_u64_u32 v[8:9], null, s28, v22, 0
	v_lshlrev_b64_e32 v[0:1], 2, v[0:1]
	v_add_nc_u32_e32 v15, 0x400, v4
	v_lshlrev_b32_e32 v4, 2, v10
	v_cmp_gt_i32_e64 s1, s3, v10
	s_delay_alu instid0(VALU_DEP_4) | instskip(NEXT) | instid1(VALU_DEP_1)
	v_add_co_u32 v16, vcc_lo, s12, v0
	v_add_co_ci_u32_e64 v17, null, s13, v1, vcc_lo
	v_dual_mov_b32 v1, 0 :: v_dual_mov_b32 v0, v7
	v_add_co_u32 v18, s4, s18, v4
	v_lshlrev_b32_e32 v20, 2, v2
	v_add_nc_u32_e32 v2, s2, v2
	s_delay_alu instid0(VALU_DEP_4) | instskip(SKIP_1) | instid1(VALU_DEP_3)
	v_mad_co_u64_u32 v[3:4], null, s29, v11, v[0:1]
	v_dual_mov_b32 v0, v9 :: v_dual_lshlrev_b32 v5, 2, v5
	v_cmp_le_i32_e32 vcc_lo, v11, v2
	v_cmp_gt_i32_e64 s2, s3, v2
	v_add_nc_u32_e32 v4, 16, v2
	s_delay_alu instid0(VALU_DEP_4)
	v_mad_co_u64_u32 v[9:10], null, s29, v22, v[0:1]
	v_mov_b32_e32 v7, v3
	v_add_co_ci_u32_e64 v19, null, s19, 0, s4
	s_cselect_b32 s12, -1, 0
	s_and_b32 s13, vcc_lo, s2
	v_cmp_le_i32_e32 vcc_lo, v11, v4
	v_cmp_gt_i32_e64 s3, s3, v4
	v_cmp_le_i32_e64 s4, v22, v2
	v_cmp_le_i32_e64 s5, v22, v4
	v_lshlrev_b64_e32 v[6:7], 2, v[6:7]
	v_lshlrev_b64_e32 v[8:9], 2, v[8:9]
	v_lshl_or_b32 v14, v13, 7, v5
	v_ashrrev_i32_e32 v3, 31, v2
	v_ashrrev_i32_e32 v5, 31, v4
	s_and_b32 s14, s33, s25
	s_and_b32 s15, vcc_lo, s3
	s_and_b32 s4, s4, s2
	s_and_b32 s5, s5, s3
	s_branch .LBB157_6
.LBB157_5:                              ;   in Loop: Header=BB157_6 Depth=1
	s_wait_alu 0xfffe
	s_or_b32 exec_lo, exec_lo, s2
	s_add_co_i32 s6, s6, 0x10000
	s_delay_alu instid0(SALU_CYCLE_1)
	s_cmp_lt_u32 s6, s11
	s_cbranch_scc0 .LBB157_35
.LBB157_6:                              ; =>This Loop Header: Depth=1
                                        ;     Child Loop BB157_9 Depth 2
	v_dual_mov_b32 v11, v1 :: v_dual_mov_b32 v10, v1
	v_dual_mov_b32 v23, v1 :: v_dual_mov_b32 v22, v1
	s_wait_alu 0xfffe
	s_and_not1_b32 vcc_lo, exec_lo, s14
	s_wait_alu 0xfffe
	s_cbranch_vccnz .LBB157_15
; %bb.7:                                ;   in Loop: Header=BB157_6 Depth=1
	s_mul_u64 s[2:3], s[16:17], s[6:7]
	s_mul_u64 s[18:19], s[22:23], s[6:7]
	s_wait_alu 0xfffe
	s_lshl_b64 s[2:3], s[2:3], 2
	v_dual_mov_b32 v22, 0 :: v_dual_mov_b32 v23, 0
	s_wait_alu 0xfffe
	v_add_co_u32 v24, vcc_lo, v16, s2
	s_wait_alu 0xfffd
	v_add_co_ci_u32_e64 v25, null, s3, v17, vcc_lo
	s_lshl_b64 s[2:3], s[18:19], 2
	v_dual_mov_b32 v10, 0 :: v_dual_mov_b32 v11, 0
	s_wait_alu 0xfffe
	v_add_co_u32 v26, vcc_lo, v18, s2
	s_wait_alu 0xfffd
	v_add_co_ci_u32_e64 v27, null, s3, v19, vcc_lo
	s_mov_b64 s[2:3], 0
	s_branch .LBB157_9
.LBB157_8:                              ;   in Loop: Header=BB157_9 Depth=2
	s_wait_alu 0xfffe
	s_or_b32 exec_lo, exec_lo, s18
	s_wait_loadcnt 0x0
	ds_store_b32 v15, v29
	s_wait_dscnt 0x0
	s_barrier_signal -1
	s_barrier_wait -1
	global_inv scope:SCOPE_SE
	ds_load_b128 v[28:31], v21
	ds_load_2addr_b32 v[44:45], v20 offset1:16
	ds_load_b128 v[32:35], v21 offset:512
	ds_load_2addr_b32 v[46:47], v20 offset0:32 offset1:48
	ds_load_2addr_b32 v[48:49], v20 offset0:64 offset1:80
	;; [unrolled: 1-line block ×3, first 2 shown]
	ds_load_b128 v[36:39], v21 offset:16
	ds_load_2addr_b32 v[52:53], v20 offset0:128 offset1:144
	ds_load_b128 v[40:43], v21 offset:528
	ds_load_2addr_b32 v[54:55], v20 offset0:160 offset1:176
	s_add_nc_u64 s[2:3], s[2:3], 8
	s_wait_alu 0xfffe
	v_cmp_gt_i64_e64 s18, s[8:9], s[2:3]
	s_and_b32 vcc_lo, exec_lo, s18
	s_wait_dscnt 0x8
	v_fmac_f32_e32 v10, v45, v28
	v_fmac_f32_e32 v11, v44, v28
	s_wait_dscnt 0x7
	v_fmac_f32_e32 v22, v45, v32
	v_fmac_f32_e32 v23, v44, v32
	ds_load_2addr_b32 v[44:45], v20 offset0:192 offset1:208
	s_wait_dscnt 0x7
	v_fmac_f32_e32 v10, v47, v29
	v_fmac_f32_e32 v11, v46, v29
	;; [unrolled: 1-line block ×4, first 2 shown]
	ds_load_2addr_b32 v[28:29], v20 offset0:224 offset1:240
	s_wait_dscnt 0x7
	v_fmac_f32_e32 v10, v49, v30
	v_fmac_f32_e32 v11, v48, v30
	v_fmac_f32_e32 v22, v49, v34
	v_fmac_f32_e32 v23, v48, v34
	s_wait_loadcnt_dscnt 0x0
	v_fmac_f32_e32 v10, v51, v31
	v_fmac_f32_e32 v11, v50, v31
	;; [unrolled: 1-line block ×4, first 2 shown]
	s_barrier_signal -1
	v_fmac_f32_e32 v10, v53, v36
	v_fmac_f32_e32 v11, v52, v36
	;; [unrolled: 1-line block ×4, first 2 shown]
	s_barrier_wait -1
	v_fmac_f32_e32 v10, v55, v37
	v_fmac_f32_e32 v11, v54, v37
	;; [unrolled: 1-line block ×4, first 2 shown]
	global_inv scope:SCOPE_SE
	v_fmac_f32_e32 v10, v45, v38
	v_fmac_f32_e32 v11, v44, v38
	;; [unrolled: 1-line block ×3, first 2 shown]
	s_delay_alu instid0(VALU_DEP_3) | instskip(NEXT) | instid1(VALU_DEP_3)
	v_dual_fmac_f32 v23, v44, v42 :: v_dual_fmac_f32 v10, v29, v39
	v_fmac_f32_e32 v11, v28, v39
	s_delay_alu instid0(VALU_DEP_3) | instskip(NEXT) | instid1(VALU_DEP_3)
	v_fmac_f32_e32 v22, v29, v43
	v_fmac_f32_e32 v23, v28, v43
	s_wait_alu 0xfffe
	s_cbranch_vccz .LBB157_15
.LBB157_9:                              ;   Parent Loop BB157_6 Depth=1
                                        ; =>  This Inner Loop Header: Depth=2
	v_mov_b32_e32 v28, 0
	s_and_saveexec_b32 s18, s0
	s_cbranch_execz .LBB157_13
; %bb.10:                               ;   in Loop: Header=BB157_9 Depth=2
	s_wait_alu 0xfffe
	v_add_nc_u32_e32 v0, s2, v13
	v_mov_b32_e32 v28, 0
	s_mov_b32 s19, exec_lo
	s_delay_alu instid0(VALU_DEP_2)
	v_cmpx_gt_u64_e64 s[8:9], v[0:1]
	s_cbranch_execz .LBB157_12
; %bb.11:                               ;   in Loop: Header=BB157_9 Depth=2
	v_lshlrev_b64_e32 v[28:29], 2, v[0:1]
	s_delay_alu instid0(VALU_DEP_1) | instskip(SKIP_1) | instid1(VALU_DEP_2)
	v_add_co_u32 v28, vcc_lo, v24, v28
	s_wait_alu 0xfffd
	v_add_co_ci_u32_e64 v29, null, v25, v29, vcc_lo
	global_load_b32 v28, v[28:29], off
.LBB157_12:                             ;   in Loop: Header=BB157_9 Depth=2
	s_wait_alu 0xfffe
	s_or_b32 exec_lo, exec_lo, s19
.LBB157_13:                             ;   in Loop: Header=BB157_9 Depth=2
	s_wait_alu 0xfffe
	s_or_b32 exec_lo, exec_lo, s18
	v_dual_mov_b32 v29, 0 :: v_dual_add_nc_u32 v0, s2, v12
	s_wait_loadcnt 0x0
	ds_store_b32 v14, v28
	v_cmp_gt_u64_e32 vcc_lo, s[8:9], v[0:1]
	s_and_b32 s19, vcc_lo, s1
	s_wait_alu 0xfffe
	s_and_saveexec_b32 s18, s19
	s_cbranch_execz .LBB157_8
; %bb.14:                               ;   in Loop: Header=BB157_9 Depth=2
	v_mad_co_u64_u32 v[28:29], null, s20, v0, 0
	s_delay_alu instid0(VALU_DEP_1) | instskip(NEXT) | instid1(VALU_DEP_1)
	v_mad_co_u64_u32 v[29:30], null, s21, v0, v[29:30]
	v_lshlrev_b64_e32 v[28:29], 2, v[28:29]
	s_delay_alu instid0(VALU_DEP_1) | instskip(SKIP_1) | instid1(VALU_DEP_2)
	v_add_co_u32 v28, vcc_lo, v26, v28
	s_wait_alu 0xfffd
	v_add_co_ci_u32_e64 v29, null, v27, v29, vcc_lo
	global_load_b32 v29, v[28:29], off
	s_branch .LBB157_8
.LBB157_15:                             ;   in Loop: Header=BB157_6 Depth=1
	s_mul_u64 s[2:3], s[30:31], s[6:7]
	s_wait_alu 0xfffe
	s_lshl_b64 s[2:3], s[2:3], 2
	s_wait_alu 0xfffe
	s_add_nc_u64 s[2:3], s[26:27], s[2:3]
	s_wait_alu 0xfffe
	v_add_co_u32 v0, vcc_lo, s2, v6
	s_wait_alu 0xfffd
	v_add_co_ci_u32_e64 v24, null, s3, v7, vcc_lo
	s_and_saveexec_b32 s18, s13
	s_cbranch_execz .LBB157_19
; %bb.16:                               ;   in Loop: Header=BB157_6 Depth=1
	v_mul_f32_e32 v11, s10, v11
	s_and_b32 vcc_lo, exec_lo, s12
	s_wait_alu 0xfffe
	s_cbranch_vccz .LBB157_30
; %bb.17:                               ;   in Loop: Header=BB157_6 Depth=1
	v_lshlrev_b64_e32 v[25:26], 2, v[2:3]
	s_delay_alu instid0(VALU_DEP_1) | instskip(SKIP_1) | instid1(VALU_DEP_2)
	v_add_co_u32 v25, vcc_lo, v0, v25
	s_wait_alu 0xfffd
	v_add_co_ci_u32_e64 v26, null, v24, v26, vcc_lo
	global_load_b32 v27, v[25:26], off
	s_wait_loadcnt 0x0
	v_fma_f32 v27, s24, v27, v11
	global_store_b32 v[25:26], v27, off
	s_cbranch_execnz .LBB157_19
.LBB157_18:                             ;   in Loop: Header=BB157_6 Depth=1
	v_lshlrev_b64_e32 v[25:26], 2, v[2:3]
	s_delay_alu instid0(VALU_DEP_1) | instskip(SKIP_1) | instid1(VALU_DEP_2)
	v_add_co_u32 v25, vcc_lo, v0, v25
	s_wait_alu 0xfffd
	v_add_co_ci_u32_e64 v26, null, v24, v26, vcc_lo
	global_store_b32 v[25:26], v11, off
.LBB157_19:                             ;   in Loop: Header=BB157_6 Depth=1
	s_wait_alu 0xfffe
	s_or_b32 exec_lo, exec_lo, s18
	s_and_saveexec_b32 s18, s15
	s_cbranch_execz .LBB157_23
; %bb.20:                               ;   in Loop: Header=BB157_6 Depth=1
	v_mul_f32_e32 v10, s10, v10
	s_and_not1_b32 vcc_lo, exec_lo, s12
	s_wait_alu 0xfffe
	s_cbranch_vccnz .LBB157_31
; %bb.21:                               ;   in Loop: Header=BB157_6 Depth=1
	v_lshlrev_b64_e32 v[25:26], 2, v[4:5]
	s_delay_alu instid0(VALU_DEP_1) | instskip(SKIP_1) | instid1(VALU_DEP_2)
	v_add_co_u32 v25, vcc_lo, v0, v25
	s_wait_alu 0xfffd
	v_add_co_ci_u32_e64 v26, null, v24, v26, vcc_lo
	global_load_b32 v11, v[25:26], off
	s_wait_loadcnt 0x0
	v_fma_f32 v11, s24, v11, v10
	global_store_b32 v[25:26], v11, off
	s_cbranch_execnz .LBB157_23
.LBB157_22:                             ;   in Loop: Header=BB157_6 Depth=1
	v_lshlrev_b64_e32 v[25:26], 2, v[4:5]
	s_delay_alu instid0(VALU_DEP_1) | instskip(SKIP_1) | instid1(VALU_DEP_2)
	v_add_co_u32 v25, vcc_lo, v0, v25
	s_wait_alu 0xfffd
	v_add_co_ci_u32_e64 v26, null, v24, v26, vcc_lo
	global_store_b32 v[25:26], v10, off
.LBB157_23:                             ;   in Loop: Header=BB157_6 Depth=1
	s_wait_alu 0xfffe
	s_or_b32 exec_lo, exec_lo, s18
	v_add_co_u32 v0, vcc_lo, s2, v8
	s_wait_alu 0xfffd
	v_add_co_ci_u32_e64 v24, null, s3, v9, vcc_lo
	s_and_saveexec_b32 s2, s4
	s_cbranch_execz .LBB157_27
; %bb.24:                               ;   in Loop: Header=BB157_6 Depth=1
	v_lshlrev_b64_e32 v[10:11], 2, v[2:3]
	v_mul_f32_e32 v23, s10, v23
	s_and_not1_b32 vcc_lo, exec_lo, s12
	s_wait_alu 0xfffe
	s_cbranch_vccnz .LBB157_32
; %bb.25:                               ;   in Loop: Header=BB157_6 Depth=1
	s_delay_alu instid0(VALU_DEP_2)
	v_add_co_u32 v25, vcc_lo, v0, v10
	s_wait_alu 0xfffd
	v_add_co_ci_u32_e64 v26, null, v24, v11, vcc_lo
	global_load_b32 v27, v[25:26], off
	s_wait_loadcnt 0x0
	v_fma_f32 v27, s24, v27, v23
	global_store_b32 v[25:26], v27, off
	s_cbranch_execnz .LBB157_27
.LBB157_26:                             ;   in Loop: Header=BB157_6 Depth=1
	v_add_co_u32 v10, vcc_lo, v0, v10
	s_wait_alu 0xfffd
	v_add_co_ci_u32_e64 v11, null, v24, v11, vcc_lo
	global_store_b32 v[10:11], v23, off
.LBB157_27:                             ;   in Loop: Header=BB157_6 Depth=1
	s_wait_alu 0xfffe
	s_or_b32 exec_lo, exec_lo, s2
	s_and_saveexec_b32 s2, s5
	s_cbranch_execz .LBB157_5
; %bb.28:                               ;   in Loop: Header=BB157_6 Depth=1
	v_lshlrev_b64_e32 v[10:11], 2, v[4:5]
	v_mul_f32_e32 v22, s10, v22
	s_and_not1_b32 vcc_lo, exec_lo, s12
	s_wait_alu 0xfffe
	s_cbranch_vccnz .LBB157_33
; %bb.29:                               ;   in Loop: Header=BB157_6 Depth=1
	s_delay_alu instid0(VALU_DEP_2)
	v_add_co_u32 v25, vcc_lo, v0, v10
	s_wait_alu 0xfffd
	v_add_co_ci_u32_e64 v26, null, v24, v11, vcc_lo
	global_load_b32 v23, v[25:26], off
	s_wait_loadcnt 0x0
	v_fma_f32 v23, s24, v23, v22
	global_store_b32 v[25:26], v23, off
	s_cbranch_execnz .LBB157_5
	s_branch .LBB157_34
.LBB157_30:                             ;   in Loop: Header=BB157_6 Depth=1
	s_branch .LBB157_18
.LBB157_31:                             ;   in Loop: Header=BB157_6 Depth=1
	s_branch .LBB157_22
.LBB157_32:                             ;   in Loop: Header=BB157_6 Depth=1
	s_branch .LBB157_26
.LBB157_33:                             ;   in Loop: Header=BB157_6 Depth=1
.LBB157_34:                             ;   in Loop: Header=BB157_6 Depth=1
	s_delay_alu instid0(VALU_DEP_2)
	v_add_co_u32 v10, vcc_lo, v0, v10
	s_wait_alu 0xfffd
	v_add_co_ci_u32_e64 v11, null, v24, v11, vcc_lo
	global_store_b32 v[10:11], v22, off
	s_branch .LBB157_5
.LBB157_35:
	s_endpgm
	.section	.rodata,"a",@progbits
	.p2align	6, 0x0
	.amdhsa_kernel _ZL29rocblas_internal_gemmt_kernelIlLi16ELi32ELi8ELc84ELc84ELc76ELb0ELb0EfPKfS1_PfEviT_T9_T10_S3_lS5_S3_lS4_T11_S3_li
		.amdhsa_group_segment_fixed_size 2048
		.amdhsa_private_segment_fixed_size 0
		.amdhsa_kernarg_size 108
		.amdhsa_user_sgpr_count 2
		.amdhsa_user_sgpr_dispatch_ptr 0
		.amdhsa_user_sgpr_queue_ptr 0
		.amdhsa_user_sgpr_kernarg_segment_ptr 1
		.amdhsa_user_sgpr_dispatch_id 0
		.amdhsa_user_sgpr_private_segment_size 0
		.amdhsa_wavefront_size32 1
		.amdhsa_uses_dynamic_stack 0
		.amdhsa_enable_private_segment 0
		.amdhsa_system_sgpr_workgroup_id_x 1
		.amdhsa_system_sgpr_workgroup_id_y 1
		.amdhsa_system_sgpr_workgroup_id_z 1
		.amdhsa_system_sgpr_workgroup_info 0
		.amdhsa_system_vgpr_workitem_id 1
		.amdhsa_next_free_vgpr 56
		.amdhsa_next_free_sgpr 34
		.amdhsa_reserve_vcc 1
		.amdhsa_float_round_mode_32 0
		.amdhsa_float_round_mode_16_64 0
		.amdhsa_float_denorm_mode_32 3
		.amdhsa_float_denorm_mode_16_64 3
		.amdhsa_fp16_overflow 0
		.amdhsa_workgroup_processor_mode 1
		.amdhsa_memory_ordered 1
		.amdhsa_forward_progress 1
		.amdhsa_inst_pref_size 15
		.amdhsa_round_robin_scheduling 0
		.amdhsa_exception_fp_ieee_invalid_op 0
		.amdhsa_exception_fp_denorm_src 0
		.amdhsa_exception_fp_ieee_div_zero 0
		.amdhsa_exception_fp_ieee_overflow 0
		.amdhsa_exception_fp_ieee_underflow 0
		.amdhsa_exception_fp_ieee_inexact 0
		.amdhsa_exception_int_div_zero 0
	.end_amdhsa_kernel
	.section	.text._ZL29rocblas_internal_gemmt_kernelIlLi16ELi32ELi8ELc84ELc84ELc76ELb0ELb0EfPKfS1_PfEviT_T9_T10_S3_lS5_S3_lS4_T11_S3_li,"axG",@progbits,_ZL29rocblas_internal_gemmt_kernelIlLi16ELi32ELi8ELc84ELc84ELc76ELb0ELb0EfPKfS1_PfEviT_T9_T10_S3_lS5_S3_lS4_T11_S3_li,comdat
.Lfunc_end157:
	.size	_ZL29rocblas_internal_gemmt_kernelIlLi16ELi32ELi8ELc84ELc84ELc76ELb0ELb0EfPKfS1_PfEviT_T9_T10_S3_lS5_S3_lS4_T11_S3_li, .Lfunc_end157-_ZL29rocblas_internal_gemmt_kernelIlLi16ELi32ELi8ELc84ELc84ELc76ELb0ELb0EfPKfS1_PfEviT_T9_T10_S3_lS5_S3_lS4_T11_S3_li
                                        ; -- End function
	.set _ZL29rocblas_internal_gemmt_kernelIlLi16ELi32ELi8ELc84ELc84ELc76ELb0ELb0EfPKfS1_PfEviT_T9_T10_S3_lS5_S3_lS4_T11_S3_li.num_vgpr, 56
	.set _ZL29rocblas_internal_gemmt_kernelIlLi16ELi32ELi8ELc84ELc84ELc76ELb0ELb0EfPKfS1_PfEviT_T9_T10_S3_lS5_S3_lS4_T11_S3_li.num_agpr, 0
	.set _ZL29rocblas_internal_gemmt_kernelIlLi16ELi32ELi8ELc84ELc84ELc76ELb0ELb0EfPKfS1_PfEviT_T9_T10_S3_lS5_S3_lS4_T11_S3_li.numbered_sgpr, 34
	.set _ZL29rocblas_internal_gemmt_kernelIlLi16ELi32ELi8ELc84ELc84ELc76ELb0ELb0EfPKfS1_PfEviT_T9_T10_S3_lS5_S3_lS4_T11_S3_li.num_named_barrier, 0
	.set _ZL29rocblas_internal_gemmt_kernelIlLi16ELi32ELi8ELc84ELc84ELc76ELb0ELb0EfPKfS1_PfEviT_T9_T10_S3_lS5_S3_lS4_T11_S3_li.private_seg_size, 0
	.set _ZL29rocblas_internal_gemmt_kernelIlLi16ELi32ELi8ELc84ELc84ELc76ELb0ELb0EfPKfS1_PfEviT_T9_T10_S3_lS5_S3_lS4_T11_S3_li.uses_vcc, 1
	.set _ZL29rocblas_internal_gemmt_kernelIlLi16ELi32ELi8ELc84ELc84ELc76ELb0ELb0EfPKfS1_PfEviT_T9_T10_S3_lS5_S3_lS4_T11_S3_li.uses_flat_scratch, 0
	.set _ZL29rocblas_internal_gemmt_kernelIlLi16ELi32ELi8ELc84ELc84ELc76ELb0ELb0EfPKfS1_PfEviT_T9_T10_S3_lS5_S3_lS4_T11_S3_li.has_dyn_sized_stack, 0
	.set _ZL29rocblas_internal_gemmt_kernelIlLi16ELi32ELi8ELc84ELc84ELc76ELb0ELb0EfPKfS1_PfEviT_T9_T10_S3_lS5_S3_lS4_T11_S3_li.has_recursion, 0
	.set _ZL29rocblas_internal_gemmt_kernelIlLi16ELi32ELi8ELc84ELc84ELc76ELb0ELb0EfPKfS1_PfEviT_T9_T10_S3_lS5_S3_lS4_T11_S3_li.has_indirect_call, 0
	.section	.AMDGPU.csdata,"",@progbits
; Kernel info:
; codeLenInByte = 1856
; TotalNumSgprs: 36
; NumVgprs: 56
; ScratchSize: 0
; MemoryBound: 0
; FloatMode: 240
; IeeeMode: 1
; LDSByteSize: 2048 bytes/workgroup (compile time only)
; SGPRBlocks: 0
; VGPRBlocks: 6
; NumSGPRsForWavesPerEU: 36
; NumVGPRsForWavesPerEU: 56
; Occupancy: 16
; WaveLimiterHint : 0
; COMPUTE_PGM_RSRC2:SCRATCH_EN: 0
; COMPUTE_PGM_RSRC2:USER_SGPR: 2
; COMPUTE_PGM_RSRC2:TRAP_HANDLER: 0
; COMPUTE_PGM_RSRC2:TGID_X_EN: 1
; COMPUTE_PGM_RSRC2:TGID_Y_EN: 1
; COMPUTE_PGM_RSRC2:TGID_Z_EN: 1
; COMPUTE_PGM_RSRC2:TIDIG_COMP_CNT: 1
	.section	.text._ZL29rocblas_internal_gemmt_kernelIlLi16ELi32ELi8ELc84ELc67ELc76ELb0ELb0EfPKfS1_PfEviT_T9_T10_S3_lS5_S3_lS4_T11_S3_li,"axG",@progbits,_ZL29rocblas_internal_gemmt_kernelIlLi16ELi32ELi8ELc84ELc67ELc76ELb0ELb0EfPKfS1_PfEviT_T9_T10_S3_lS5_S3_lS4_T11_S3_li,comdat
	.globl	_ZL29rocblas_internal_gemmt_kernelIlLi16ELi32ELi8ELc84ELc67ELc76ELb0ELb0EfPKfS1_PfEviT_T9_T10_S3_lS5_S3_lS4_T11_S3_li ; -- Begin function _ZL29rocblas_internal_gemmt_kernelIlLi16ELi32ELi8ELc84ELc67ELc76ELb0ELb0EfPKfS1_PfEviT_T9_T10_S3_lS5_S3_lS4_T11_S3_li
	.p2align	8
	.type	_ZL29rocblas_internal_gemmt_kernelIlLi16ELi32ELi8ELc84ELc67ELc76ELb0ELb0EfPKfS1_PfEviT_T9_T10_S3_lS5_S3_lS4_T11_S3_li,@function
_ZL29rocblas_internal_gemmt_kernelIlLi16ELi32ELi8ELc84ELc67ELc76ELb0ELb0EfPKfS1_PfEviT_T9_T10_S3_lS5_S3_lS4_T11_S3_li: ; @_ZL29rocblas_internal_gemmt_kernelIlLi16ELi32ELi8ELc84ELc67ELc76ELb0ELb0EfPKfS1_PfEviT_T9_T10_S3_lS5_S3_lS4_T11_S3_li
; %bb.0:
	s_clause 0x1
	s_load_b256 s[24:31], s[0:1], 0x48
	s_load_b512 s[8:23], s[0:1], 0x8
	s_wait_kmcnt 0x0
	s_load_b32 s24, s[24:25], 0x0
	s_load_b32 s10, s[10:11], 0x0
	s_wait_kmcnt 0x0
	s_cmp_neq_f32 s24, 1.0
	s_cselect_b32 s2, -1, 0
	s_delay_alu instid0(SALU_CYCLE_1)
	s_and_b32 vcc_lo, exec_lo, s2
	s_cbranch_vccnz .LBB158_2
; %bb.1:
	s_cmp_lg_u64 s[8:9], 0
	s_cselect_b32 s2, -1, 0
	s_cmp_neq_f32 s10, 0
	s_cselect_b32 s3, -1, 0
	s_delay_alu instid0(SALU_CYCLE_1)
	s_and_b32 s2, s2, s3
.LBB158_2:
	s_delay_alu instid0(SALU_CYCLE_1)
	s_and_not1_b32 vcc_lo, exec_lo, s2
	s_cbranch_vccnz .LBB158_35
; %bb.3:
	s_load_b32 s11, s[0:1], 0x68
	s_lshr_b32 s6, ttmp7, 16
	s_wait_kmcnt 0x0
	s_cmp_ge_u32 s6, s11
	s_cbranch_scc1 .LBB158_35
; %bb.4:
	v_and_b32_e32 v2, 0x3ff, v0
	v_bfe_u32 v3, v0, 10, 10
	s_load_b32 s3, s[0:1], 0x0
	s_lshl_b32 s0, ttmp7, 5
	s_lshl_b32 s2, ttmp9, 5
	s_and_b32 s0, s0, 0x1fffe0
	v_lshl_add_u32 v4, v3, 4, v2
	v_add_nc_u32_e32 v11, s0, v3
	v_and_b32_e32 v12, 7, v0
	s_cmp_neq_f32 s10, 0
	v_lshl_add_u32 v21, v3, 5, 0x400
	v_lshrrev_b32_e32 v13, 5, v4
	v_mad_co_u64_u32 v[6:7], null, s28, v11, 0
	v_and_b32_e32 v5, 31, v4
	s_cselect_b32 s33, -1, 0
	s_ashr_i32 s1, s2, 31
	v_lshlrev_b32_e32 v9, 2, v12
	s_wait_alu 0xfffe
	s_mul_i32 s1, s14, s1
	v_or_b32_e32 v8, s2, v5
	v_lshrrev_b32_e32 v4, 3, v4
	v_add_nc_u32_e32 v22, 16, v11
	s_cmp_neq_f32 s24, 0
	v_cmp_gt_i64_e64 s25, s[8:9], 0
	v_mul_lo_u32 v10, s15, v8
	v_mad_co_u64_u32 v[0:1], null, s14, v8, 0
	s_mov_b32 s7, 0
	s_wait_alu 0xfffe
	v_add3_u32 v1, v1, s1, v10
	v_add_nc_u32_e32 v10, s0, v4
	v_lshl_or_b32 v4, v4, 5, v9
	s_wait_kmcnt 0x0
	v_cmp_gt_i32_e64 s0, s3, v8
	v_mad_co_u64_u32 v[8:9], null, s28, v22, 0
	v_lshlrev_b64_e32 v[0:1], 2, v[0:1]
	v_add_nc_u32_e32 v15, 0x400, v4
	v_lshlrev_b32_e32 v4, 2, v10
	v_cmp_gt_i32_e64 s1, s3, v10
	s_delay_alu instid0(VALU_DEP_4) | instskip(NEXT) | instid1(VALU_DEP_1)
	v_add_co_u32 v16, vcc_lo, s12, v0
	v_add_co_ci_u32_e64 v17, null, s13, v1, vcc_lo
	v_dual_mov_b32 v1, 0 :: v_dual_mov_b32 v0, v7
	v_add_co_u32 v18, s4, s18, v4
	v_lshlrev_b32_e32 v20, 2, v2
	v_add_nc_u32_e32 v2, s2, v2
	s_delay_alu instid0(VALU_DEP_4) | instskip(SKIP_1) | instid1(VALU_DEP_3)
	v_mad_co_u64_u32 v[3:4], null, s29, v11, v[0:1]
	v_dual_mov_b32 v0, v9 :: v_dual_lshlrev_b32 v5, 2, v5
	v_cmp_le_i32_e32 vcc_lo, v11, v2
	v_cmp_gt_i32_e64 s2, s3, v2
	v_add_nc_u32_e32 v4, 16, v2
	s_delay_alu instid0(VALU_DEP_4)
	v_mad_co_u64_u32 v[9:10], null, s29, v22, v[0:1]
	v_mov_b32_e32 v7, v3
	v_add_co_ci_u32_e64 v19, null, s19, 0, s4
	s_cselect_b32 s12, -1, 0
	s_and_b32 s13, vcc_lo, s2
	v_cmp_le_i32_e32 vcc_lo, v11, v4
	v_cmp_gt_i32_e64 s3, s3, v4
	v_cmp_le_i32_e64 s4, v22, v2
	v_cmp_le_i32_e64 s5, v22, v4
	v_lshlrev_b64_e32 v[6:7], 2, v[6:7]
	v_lshlrev_b64_e32 v[8:9], 2, v[8:9]
	v_lshl_or_b32 v14, v13, 7, v5
	v_ashrrev_i32_e32 v3, 31, v2
	v_ashrrev_i32_e32 v5, 31, v4
	s_and_b32 s14, s33, s25
	s_and_b32 s15, vcc_lo, s3
	s_and_b32 s4, s4, s2
	s_and_b32 s5, s5, s3
	s_branch .LBB158_6
.LBB158_5:                              ;   in Loop: Header=BB158_6 Depth=1
	s_wait_alu 0xfffe
	s_or_b32 exec_lo, exec_lo, s2
	s_add_co_i32 s6, s6, 0x10000
	s_delay_alu instid0(SALU_CYCLE_1)
	s_cmp_lt_u32 s6, s11
	s_cbranch_scc0 .LBB158_35
.LBB158_6:                              ; =>This Loop Header: Depth=1
                                        ;     Child Loop BB158_9 Depth 2
	v_dual_mov_b32 v11, v1 :: v_dual_mov_b32 v10, v1
	v_dual_mov_b32 v23, v1 :: v_dual_mov_b32 v22, v1
	s_wait_alu 0xfffe
	s_and_not1_b32 vcc_lo, exec_lo, s14
	s_wait_alu 0xfffe
	s_cbranch_vccnz .LBB158_15
; %bb.7:                                ;   in Loop: Header=BB158_6 Depth=1
	s_mul_u64 s[2:3], s[16:17], s[6:7]
	s_mul_u64 s[18:19], s[22:23], s[6:7]
	s_wait_alu 0xfffe
	s_lshl_b64 s[2:3], s[2:3], 2
	v_dual_mov_b32 v22, 0 :: v_dual_mov_b32 v23, 0
	s_wait_alu 0xfffe
	v_add_co_u32 v24, vcc_lo, v16, s2
	s_wait_alu 0xfffd
	v_add_co_ci_u32_e64 v25, null, s3, v17, vcc_lo
	s_lshl_b64 s[2:3], s[18:19], 2
	v_dual_mov_b32 v10, 0 :: v_dual_mov_b32 v11, 0
	s_wait_alu 0xfffe
	v_add_co_u32 v26, vcc_lo, v18, s2
	s_wait_alu 0xfffd
	v_add_co_ci_u32_e64 v27, null, s3, v19, vcc_lo
	s_mov_b64 s[2:3], 0
	s_branch .LBB158_9
.LBB158_8:                              ;   in Loop: Header=BB158_9 Depth=2
	s_wait_alu 0xfffe
	s_or_b32 exec_lo, exec_lo, s18
	s_wait_loadcnt 0x0
	ds_store_b32 v15, v29
	s_wait_dscnt 0x0
	s_barrier_signal -1
	s_barrier_wait -1
	global_inv scope:SCOPE_SE
	ds_load_b128 v[28:31], v21
	ds_load_2addr_b32 v[44:45], v20 offset1:16
	ds_load_b128 v[32:35], v21 offset:512
	ds_load_2addr_b32 v[46:47], v20 offset0:32 offset1:48
	ds_load_2addr_b32 v[48:49], v20 offset0:64 offset1:80
	ds_load_2addr_b32 v[50:51], v20 offset0:96 offset1:112
	ds_load_b128 v[36:39], v21 offset:16
	ds_load_2addr_b32 v[52:53], v20 offset0:128 offset1:144
	ds_load_b128 v[40:43], v21 offset:528
	ds_load_2addr_b32 v[54:55], v20 offset0:160 offset1:176
	s_add_nc_u64 s[2:3], s[2:3], 8
	s_wait_alu 0xfffe
	v_cmp_gt_i64_e64 s18, s[8:9], s[2:3]
	s_and_b32 vcc_lo, exec_lo, s18
	s_wait_dscnt 0x8
	v_fmac_f32_e32 v10, v45, v28
	v_fmac_f32_e32 v11, v44, v28
	s_wait_dscnt 0x7
	v_fmac_f32_e32 v22, v45, v32
	v_fmac_f32_e32 v23, v44, v32
	ds_load_2addr_b32 v[44:45], v20 offset0:192 offset1:208
	s_wait_dscnt 0x7
	v_fmac_f32_e32 v10, v47, v29
	v_fmac_f32_e32 v11, v46, v29
	;; [unrolled: 1-line block ×4, first 2 shown]
	ds_load_2addr_b32 v[28:29], v20 offset0:224 offset1:240
	s_wait_dscnt 0x7
	v_fmac_f32_e32 v10, v49, v30
	v_fmac_f32_e32 v11, v48, v30
	;; [unrolled: 1-line block ×4, first 2 shown]
	s_wait_loadcnt_dscnt 0x0
	v_fmac_f32_e32 v10, v51, v31
	v_fmac_f32_e32 v11, v50, v31
	;; [unrolled: 1-line block ×4, first 2 shown]
	s_barrier_signal -1
	v_fmac_f32_e32 v10, v53, v36
	v_fmac_f32_e32 v11, v52, v36
	;; [unrolled: 1-line block ×4, first 2 shown]
	s_barrier_wait -1
	v_fmac_f32_e32 v10, v55, v37
	v_fmac_f32_e32 v11, v54, v37
	v_fmac_f32_e32 v22, v55, v41
	v_fmac_f32_e32 v23, v54, v41
	global_inv scope:SCOPE_SE
	v_fmac_f32_e32 v10, v45, v38
	v_fmac_f32_e32 v11, v44, v38
	;; [unrolled: 1-line block ×3, first 2 shown]
	s_delay_alu instid0(VALU_DEP_3) | instskip(NEXT) | instid1(VALU_DEP_3)
	v_dual_fmac_f32 v23, v44, v42 :: v_dual_fmac_f32 v10, v29, v39
	v_fmac_f32_e32 v11, v28, v39
	s_delay_alu instid0(VALU_DEP_3) | instskip(NEXT) | instid1(VALU_DEP_3)
	v_fmac_f32_e32 v22, v29, v43
	v_fmac_f32_e32 v23, v28, v43
	s_wait_alu 0xfffe
	s_cbranch_vccz .LBB158_15
.LBB158_9:                              ;   Parent Loop BB158_6 Depth=1
                                        ; =>  This Inner Loop Header: Depth=2
	v_mov_b32_e32 v28, 0
	s_and_saveexec_b32 s18, s0
	s_cbranch_execz .LBB158_13
; %bb.10:                               ;   in Loop: Header=BB158_9 Depth=2
	s_wait_alu 0xfffe
	v_add_nc_u32_e32 v0, s2, v13
	v_mov_b32_e32 v28, 0
	s_mov_b32 s19, exec_lo
	s_delay_alu instid0(VALU_DEP_2)
	v_cmpx_gt_u64_e64 s[8:9], v[0:1]
	s_cbranch_execz .LBB158_12
; %bb.11:                               ;   in Loop: Header=BB158_9 Depth=2
	v_lshlrev_b64_e32 v[28:29], 2, v[0:1]
	s_delay_alu instid0(VALU_DEP_1) | instskip(SKIP_1) | instid1(VALU_DEP_2)
	v_add_co_u32 v28, vcc_lo, v24, v28
	s_wait_alu 0xfffd
	v_add_co_ci_u32_e64 v29, null, v25, v29, vcc_lo
	global_load_b32 v28, v[28:29], off
.LBB158_12:                             ;   in Loop: Header=BB158_9 Depth=2
	s_wait_alu 0xfffe
	s_or_b32 exec_lo, exec_lo, s19
.LBB158_13:                             ;   in Loop: Header=BB158_9 Depth=2
	s_wait_alu 0xfffe
	s_or_b32 exec_lo, exec_lo, s18
	v_dual_mov_b32 v29, 0 :: v_dual_add_nc_u32 v0, s2, v12
	s_wait_loadcnt 0x0
	ds_store_b32 v14, v28
	v_cmp_gt_u64_e32 vcc_lo, s[8:9], v[0:1]
	s_and_b32 s19, vcc_lo, s1
	s_wait_alu 0xfffe
	s_and_saveexec_b32 s18, s19
	s_cbranch_execz .LBB158_8
; %bb.14:                               ;   in Loop: Header=BB158_9 Depth=2
	v_mad_co_u64_u32 v[28:29], null, s20, v0, 0
	s_delay_alu instid0(VALU_DEP_1) | instskip(NEXT) | instid1(VALU_DEP_1)
	v_mad_co_u64_u32 v[29:30], null, s21, v0, v[29:30]
	v_lshlrev_b64_e32 v[28:29], 2, v[28:29]
	s_delay_alu instid0(VALU_DEP_1) | instskip(SKIP_1) | instid1(VALU_DEP_2)
	v_add_co_u32 v28, vcc_lo, v26, v28
	s_wait_alu 0xfffd
	v_add_co_ci_u32_e64 v29, null, v27, v29, vcc_lo
	global_load_b32 v29, v[28:29], off
	s_branch .LBB158_8
.LBB158_15:                             ;   in Loop: Header=BB158_6 Depth=1
	s_mul_u64 s[2:3], s[30:31], s[6:7]
	s_wait_alu 0xfffe
	s_lshl_b64 s[2:3], s[2:3], 2
	s_wait_alu 0xfffe
	s_add_nc_u64 s[2:3], s[26:27], s[2:3]
	s_wait_alu 0xfffe
	v_add_co_u32 v0, vcc_lo, s2, v6
	s_wait_alu 0xfffd
	v_add_co_ci_u32_e64 v24, null, s3, v7, vcc_lo
	s_and_saveexec_b32 s18, s13
	s_cbranch_execz .LBB158_19
; %bb.16:                               ;   in Loop: Header=BB158_6 Depth=1
	v_mul_f32_e32 v11, s10, v11
	s_and_b32 vcc_lo, exec_lo, s12
	s_wait_alu 0xfffe
	s_cbranch_vccz .LBB158_30
; %bb.17:                               ;   in Loop: Header=BB158_6 Depth=1
	v_lshlrev_b64_e32 v[25:26], 2, v[2:3]
	s_delay_alu instid0(VALU_DEP_1) | instskip(SKIP_1) | instid1(VALU_DEP_2)
	v_add_co_u32 v25, vcc_lo, v0, v25
	s_wait_alu 0xfffd
	v_add_co_ci_u32_e64 v26, null, v24, v26, vcc_lo
	global_load_b32 v27, v[25:26], off
	s_wait_loadcnt 0x0
	v_fma_f32 v27, s24, v27, v11
	global_store_b32 v[25:26], v27, off
	s_cbranch_execnz .LBB158_19
.LBB158_18:                             ;   in Loop: Header=BB158_6 Depth=1
	v_lshlrev_b64_e32 v[25:26], 2, v[2:3]
	s_delay_alu instid0(VALU_DEP_1) | instskip(SKIP_1) | instid1(VALU_DEP_2)
	v_add_co_u32 v25, vcc_lo, v0, v25
	s_wait_alu 0xfffd
	v_add_co_ci_u32_e64 v26, null, v24, v26, vcc_lo
	global_store_b32 v[25:26], v11, off
.LBB158_19:                             ;   in Loop: Header=BB158_6 Depth=1
	s_wait_alu 0xfffe
	s_or_b32 exec_lo, exec_lo, s18
	s_and_saveexec_b32 s18, s15
	s_cbranch_execz .LBB158_23
; %bb.20:                               ;   in Loop: Header=BB158_6 Depth=1
	v_mul_f32_e32 v10, s10, v10
	s_and_not1_b32 vcc_lo, exec_lo, s12
	s_wait_alu 0xfffe
	s_cbranch_vccnz .LBB158_31
; %bb.21:                               ;   in Loop: Header=BB158_6 Depth=1
	v_lshlrev_b64_e32 v[25:26], 2, v[4:5]
	s_delay_alu instid0(VALU_DEP_1) | instskip(SKIP_1) | instid1(VALU_DEP_2)
	v_add_co_u32 v25, vcc_lo, v0, v25
	s_wait_alu 0xfffd
	v_add_co_ci_u32_e64 v26, null, v24, v26, vcc_lo
	global_load_b32 v11, v[25:26], off
	s_wait_loadcnt 0x0
	v_fma_f32 v11, s24, v11, v10
	global_store_b32 v[25:26], v11, off
	s_cbranch_execnz .LBB158_23
.LBB158_22:                             ;   in Loop: Header=BB158_6 Depth=1
	v_lshlrev_b64_e32 v[25:26], 2, v[4:5]
	s_delay_alu instid0(VALU_DEP_1) | instskip(SKIP_1) | instid1(VALU_DEP_2)
	v_add_co_u32 v25, vcc_lo, v0, v25
	s_wait_alu 0xfffd
	v_add_co_ci_u32_e64 v26, null, v24, v26, vcc_lo
	global_store_b32 v[25:26], v10, off
.LBB158_23:                             ;   in Loop: Header=BB158_6 Depth=1
	s_wait_alu 0xfffe
	s_or_b32 exec_lo, exec_lo, s18
	v_add_co_u32 v0, vcc_lo, s2, v8
	s_wait_alu 0xfffd
	v_add_co_ci_u32_e64 v24, null, s3, v9, vcc_lo
	s_and_saveexec_b32 s2, s4
	s_cbranch_execz .LBB158_27
; %bb.24:                               ;   in Loop: Header=BB158_6 Depth=1
	v_lshlrev_b64_e32 v[10:11], 2, v[2:3]
	v_mul_f32_e32 v23, s10, v23
	s_and_not1_b32 vcc_lo, exec_lo, s12
	s_wait_alu 0xfffe
	s_cbranch_vccnz .LBB158_32
; %bb.25:                               ;   in Loop: Header=BB158_6 Depth=1
	s_delay_alu instid0(VALU_DEP_2)
	v_add_co_u32 v25, vcc_lo, v0, v10
	s_wait_alu 0xfffd
	v_add_co_ci_u32_e64 v26, null, v24, v11, vcc_lo
	global_load_b32 v27, v[25:26], off
	s_wait_loadcnt 0x0
	v_fma_f32 v27, s24, v27, v23
	global_store_b32 v[25:26], v27, off
	s_cbranch_execnz .LBB158_27
.LBB158_26:                             ;   in Loop: Header=BB158_6 Depth=1
	v_add_co_u32 v10, vcc_lo, v0, v10
	s_wait_alu 0xfffd
	v_add_co_ci_u32_e64 v11, null, v24, v11, vcc_lo
	global_store_b32 v[10:11], v23, off
.LBB158_27:                             ;   in Loop: Header=BB158_6 Depth=1
	s_wait_alu 0xfffe
	s_or_b32 exec_lo, exec_lo, s2
	s_and_saveexec_b32 s2, s5
	s_cbranch_execz .LBB158_5
; %bb.28:                               ;   in Loop: Header=BB158_6 Depth=1
	v_lshlrev_b64_e32 v[10:11], 2, v[4:5]
	v_mul_f32_e32 v22, s10, v22
	s_and_not1_b32 vcc_lo, exec_lo, s12
	s_wait_alu 0xfffe
	s_cbranch_vccnz .LBB158_33
; %bb.29:                               ;   in Loop: Header=BB158_6 Depth=1
	s_delay_alu instid0(VALU_DEP_2)
	v_add_co_u32 v25, vcc_lo, v0, v10
	s_wait_alu 0xfffd
	v_add_co_ci_u32_e64 v26, null, v24, v11, vcc_lo
	global_load_b32 v23, v[25:26], off
	s_wait_loadcnt 0x0
	v_fma_f32 v23, s24, v23, v22
	global_store_b32 v[25:26], v23, off
	s_cbranch_execnz .LBB158_5
	s_branch .LBB158_34
.LBB158_30:                             ;   in Loop: Header=BB158_6 Depth=1
	s_branch .LBB158_18
.LBB158_31:                             ;   in Loop: Header=BB158_6 Depth=1
	s_branch .LBB158_22
.LBB158_32:                             ;   in Loop: Header=BB158_6 Depth=1
	s_branch .LBB158_26
.LBB158_33:                             ;   in Loop: Header=BB158_6 Depth=1
.LBB158_34:                             ;   in Loop: Header=BB158_6 Depth=1
	s_delay_alu instid0(VALU_DEP_2)
	v_add_co_u32 v10, vcc_lo, v0, v10
	s_wait_alu 0xfffd
	v_add_co_ci_u32_e64 v11, null, v24, v11, vcc_lo
	global_store_b32 v[10:11], v22, off
	s_branch .LBB158_5
.LBB158_35:
	s_endpgm
	.section	.rodata,"a",@progbits
	.p2align	6, 0x0
	.amdhsa_kernel _ZL29rocblas_internal_gemmt_kernelIlLi16ELi32ELi8ELc84ELc67ELc76ELb0ELb0EfPKfS1_PfEviT_T9_T10_S3_lS5_S3_lS4_T11_S3_li
		.amdhsa_group_segment_fixed_size 2048
		.amdhsa_private_segment_fixed_size 0
		.amdhsa_kernarg_size 108
		.amdhsa_user_sgpr_count 2
		.amdhsa_user_sgpr_dispatch_ptr 0
		.amdhsa_user_sgpr_queue_ptr 0
		.amdhsa_user_sgpr_kernarg_segment_ptr 1
		.amdhsa_user_sgpr_dispatch_id 0
		.amdhsa_user_sgpr_private_segment_size 0
		.amdhsa_wavefront_size32 1
		.amdhsa_uses_dynamic_stack 0
		.amdhsa_enable_private_segment 0
		.amdhsa_system_sgpr_workgroup_id_x 1
		.amdhsa_system_sgpr_workgroup_id_y 1
		.amdhsa_system_sgpr_workgroup_id_z 1
		.amdhsa_system_sgpr_workgroup_info 0
		.amdhsa_system_vgpr_workitem_id 1
		.amdhsa_next_free_vgpr 56
		.amdhsa_next_free_sgpr 34
		.amdhsa_reserve_vcc 1
		.amdhsa_float_round_mode_32 0
		.amdhsa_float_round_mode_16_64 0
		.amdhsa_float_denorm_mode_32 3
		.amdhsa_float_denorm_mode_16_64 3
		.amdhsa_fp16_overflow 0
		.amdhsa_workgroup_processor_mode 1
		.amdhsa_memory_ordered 1
		.amdhsa_forward_progress 1
		.amdhsa_inst_pref_size 15
		.amdhsa_round_robin_scheduling 0
		.amdhsa_exception_fp_ieee_invalid_op 0
		.amdhsa_exception_fp_denorm_src 0
		.amdhsa_exception_fp_ieee_div_zero 0
		.amdhsa_exception_fp_ieee_overflow 0
		.amdhsa_exception_fp_ieee_underflow 0
		.amdhsa_exception_fp_ieee_inexact 0
		.amdhsa_exception_int_div_zero 0
	.end_amdhsa_kernel
	.section	.text._ZL29rocblas_internal_gemmt_kernelIlLi16ELi32ELi8ELc84ELc67ELc76ELb0ELb0EfPKfS1_PfEviT_T9_T10_S3_lS5_S3_lS4_T11_S3_li,"axG",@progbits,_ZL29rocblas_internal_gemmt_kernelIlLi16ELi32ELi8ELc84ELc67ELc76ELb0ELb0EfPKfS1_PfEviT_T9_T10_S3_lS5_S3_lS4_T11_S3_li,comdat
.Lfunc_end158:
	.size	_ZL29rocblas_internal_gemmt_kernelIlLi16ELi32ELi8ELc84ELc67ELc76ELb0ELb0EfPKfS1_PfEviT_T9_T10_S3_lS5_S3_lS4_T11_S3_li, .Lfunc_end158-_ZL29rocblas_internal_gemmt_kernelIlLi16ELi32ELi8ELc84ELc67ELc76ELb0ELb0EfPKfS1_PfEviT_T9_T10_S3_lS5_S3_lS4_T11_S3_li
                                        ; -- End function
	.set _ZL29rocblas_internal_gemmt_kernelIlLi16ELi32ELi8ELc84ELc67ELc76ELb0ELb0EfPKfS1_PfEviT_T9_T10_S3_lS5_S3_lS4_T11_S3_li.num_vgpr, 56
	.set _ZL29rocblas_internal_gemmt_kernelIlLi16ELi32ELi8ELc84ELc67ELc76ELb0ELb0EfPKfS1_PfEviT_T9_T10_S3_lS5_S3_lS4_T11_S3_li.num_agpr, 0
	.set _ZL29rocblas_internal_gemmt_kernelIlLi16ELi32ELi8ELc84ELc67ELc76ELb0ELb0EfPKfS1_PfEviT_T9_T10_S3_lS5_S3_lS4_T11_S3_li.numbered_sgpr, 34
	.set _ZL29rocblas_internal_gemmt_kernelIlLi16ELi32ELi8ELc84ELc67ELc76ELb0ELb0EfPKfS1_PfEviT_T9_T10_S3_lS5_S3_lS4_T11_S3_li.num_named_barrier, 0
	.set _ZL29rocblas_internal_gemmt_kernelIlLi16ELi32ELi8ELc84ELc67ELc76ELb0ELb0EfPKfS1_PfEviT_T9_T10_S3_lS5_S3_lS4_T11_S3_li.private_seg_size, 0
	.set _ZL29rocblas_internal_gemmt_kernelIlLi16ELi32ELi8ELc84ELc67ELc76ELb0ELb0EfPKfS1_PfEviT_T9_T10_S3_lS5_S3_lS4_T11_S3_li.uses_vcc, 1
	.set _ZL29rocblas_internal_gemmt_kernelIlLi16ELi32ELi8ELc84ELc67ELc76ELb0ELb0EfPKfS1_PfEviT_T9_T10_S3_lS5_S3_lS4_T11_S3_li.uses_flat_scratch, 0
	.set _ZL29rocblas_internal_gemmt_kernelIlLi16ELi32ELi8ELc84ELc67ELc76ELb0ELb0EfPKfS1_PfEviT_T9_T10_S3_lS5_S3_lS4_T11_S3_li.has_dyn_sized_stack, 0
	.set _ZL29rocblas_internal_gemmt_kernelIlLi16ELi32ELi8ELc84ELc67ELc76ELb0ELb0EfPKfS1_PfEviT_T9_T10_S3_lS5_S3_lS4_T11_S3_li.has_recursion, 0
	.set _ZL29rocblas_internal_gemmt_kernelIlLi16ELi32ELi8ELc84ELc67ELc76ELb0ELb0EfPKfS1_PfEviT_T9_T10_S3_lS5_S3_lS4_T11_S3_li.has_indirect_call, 0
	.section	.AMDGPU.csdata,"",@progbits
; Kernel info:
; codeLenInByte = 1856
; TotalNumSgprs: 36
; NumVgprs: 56
; ScratchSize: 0
; MemoryBound: 0
; FloatMode: 240
; IeeeMode: 1
; LDSByteSize: 2048 bytes/workgroup (compile time only)
; SGPRBlocks: 0
; VGPRBlocks: 6
; NumSGPRsForWavesPerEU: 36
; NumVGPRsForWavesPerEU: 56
; Occupancy: 16
; WaveLimiterHint : 0
; COMPUTE_PGM_RSRC2:SCRATCH_EN: 0
; COMPUTE_PGM_RSRC2:USER_SGPR: 2
; COMPUTE_PGM_RSRC2:TRAP_HANDLER: 0
; COMPUTE_PGM_RSRC2:TGID_X_EN: 1
; COMPUTE_PGM_RSRC2:TGID_Y_EN: 1
; COMPUTE_PGM_RSRC2:TGID_Z_EN: 1
; COMPUTE_PGM_RSRC2:TIDIG_COMP_CNT: 1
	.section	.text._ZL29rocblas_internal_gemmt_kernelIlLi16ELi32ELi8ELc67ELc78ELc76ELb0ELb0EfPKfS1_PfEviT_T9_T10_S3_lS5_S3_lS4_T11_S3_li,"axG",@progbits,_ZL29rocblas_internal_gemmt_kernelIlLi16ELi32ELi8ELc67ELc78ELc76ELb0ELb0EfPKfS1_PfEviT_T9_T10_S3_lS5_S3_lS4_T11_S3_li,comdat
	.globl	_ZL29rocblas_internal_gemmt_kernelIlLi16ELi32ELi8ELc67ELc78ELc76ELb0ELb0EfPKfS1_PfEviT_T9_T10_S3_lS5_S3_lS4_T11_S3_li ; -- Begin function _ZL29rocblas_internal_gemmt_kernelIlLi16ELi32ELi8ELc67ELc78ELc76ELb0ELb0EfPKfS1_PfEviT_T9_T10_S3_lS5_S3_lS4_T11_S3_li
	.p2align	8
	.type	_ZL29rocblas_internal_gemmt_kernelIlLi16ELi32ELi8ELc67ELc78ELc76ELb0ELb0EfPKfS1_PfEviT_T9_T10_S3_lS5_S3_lS4_T11_S3_li,@function
_ZL29rocblas_internal_gemmt_kernelIlLi16ELi32ELi8ELc67ELc78ELc76ELb0ELb0EfPKfS1_PfEviT_T9_T10_S3_lS5_S3_lS4_T11_S3_li: ; @_ZL29rocblas_internal_gemmt_kernelIlLi16ELi32ELi8ELc67ELc78ELc76ELb0ELb0EfPKfS1_PfEviT_T9_T10_S3_lS5_S3_lS4_T11_S3_li
; %bb.0:
	s_clause 0x1
	s_load_b256 s[24:31], s[0:1], 0x48
	s_load_b512 s[8:23], s[0:1], 0x8
	s_wait_kmcnt 0x0
	s_load_b32 s24, s[24:25], 0x0
	s_load_b32 s10, s[10:11], 0x0
	s_wait_kmcnt 0x0
	s_cmp_neq_f32 s24, 1.0
	s_cselect_b32 s2, -1, 0
	s_delay_alu instid0(SALU_CYCLE_1)
	s_and_b32 vcc_lo, exec_lo, s2
	s_cbranch_vccnz .LBB159_2
; %bb.1:
	s_cmp_lg_u64 s[8:9], 0
	s_cselect_b32 s2, -1, 0
	s_cmp_neq_f32 s10, 0
	s_cselect_b32 s3, -1, 0
	s_delay_alu instid0(SALU_CYCLE_1)
	s_and_b32 s2, s2, s3
.LBB159_2:
	s_delay_alu instid0(SALU_CYCLE_1)
	s_and_not1_b32 vcc_lo, exec_lo, s2
	s_cbranch_vccnz .LBB159_35
; %bb.3:
	s_load_b32 s11, s[0:1], 0x68
	s_lshr_b32 s6, ttmp7, 16
	s_wait_kmcnt 0x0
	s_cmp_ge_u32 s6, s11
	s_cbranch_scc1 .LBB159_35
; %bb.4:
	v_and_b32_e32 v10, 0x3ff, v0
	v_bfe_u32 v11, v0, 10, 10
	s_load_b32 s3, s[0:1], 0x0
	s_lshl_b32 s0, ttmp7, 5
	s_lshl_b32 s2, ttmp9, 5
	s_and_b32 s0, s0, 0x1fffe0
	v_lshl_add_u32 v2, v11, 4, v10
	v_add_nc_u32_e32 v22, s0, v11
	s_cmp_neq_f32 s10, 0
	v_cmp_gt_i64_e64 s25, s[8:9], 0
	v_lshl_add_u32 v21, v11, 5, 0x400
	v_lshrrev_b32_e32 v8, 3, v2
	v_and_b32_e32 v15, 31, v2
	v_lshrrev_b32_e32 v14, 5, v2
	v_mad_co_u64_u32 v[6:7], null, s28, v22, 0
	s_delay_alu instid0(VALU_DEP_4) | instskip(NEXT) | instid1(VALU_DEP_4)
	v_add_nc_u32_e32 v16, s0, v8
	v_or_b32_e32 v17, s2, v15
	v_and_b32_e32 v12, 7, v0
	v_add_nc_u32_e32 v23, 16, v22
	s_mov_b32 s7, 0
	v_mad_co_u64_u32 v[0:1], null, s20, v16, 0
	v_mad_co_u64_u32 v[2:3], null, s14, v17, 0
	v_mul_lo_u32 v18, s15, v17
	s_cselect_b32 s20, -1, 0
	s_ashr_i32 s1, s2, 31
	v_lshlrev_b32_e32 v9, 2, v12
	s_wait_alu 0xfffe
	s_mul_i32 s0, s14, s1
	s_cmp_neq_f32 s24, 0
	v_mad_co_u64_u32 v[4:5], null, s21, v16, v[1:2]
	s_wait_alu 0xfffe
	v_add3_u32 v3, v3, s0, v18
	v_lshl_or_b32 v19, v8, 5, v9
	v_mad_co_u64_u32 v[8:9], null, s28, v23, 0
	s_wait_kmcnt 0x0
	v_cmp_gt_i32_e64 s0, s3, v17
	v_lshlrev_b64_e32 v[2:3], 2, v[2:3]
	v_mov_b32_e32 v1, v4
	v_lshlrev_b32_e32 v5, 2, v15
	v_lshlrev_b32_e32 v13, 2, v10
	s_delay_alu instid0(VALU_DEP_4) | instskip(NEXT) | instid1(VALU_DEP_4)
	v_add_co_u32 v17, vcc_lo, s12, v2
	v_lshlrev_b64_e32 v[0:1], 2, v[0:1]
	v_add_co_ci_u32_e64 v18, null, s13, v3, vcc_lo
	v_mov_b32_e32 v3, v9
	v_lshl_or_b32 v15, v14, 7, v5
	v_cmp_gt_i32_e64 s1, s3, v16
	s_cselect_b32 s12, -1, 0
	s_and_b32 s14, s20, s25
	v_mad_co_u64_u32 v[4:5], null, s29, v23, v[3:4]
	v_add_nc_u32_e32 v16, 0x400, v19
	v_add_co_u32 v19, vcc_lo, s18, v0
	s_wait_alu 0xfffd
	v_add_co_ci_u32_e64 v20, null, s19, v1, vcc_lo
	v_dual_mov_b32 v1, v7 :: v_dual_add_nc_u32 v0, s2, v10
	v_mov_b32_e32 v5, 0
	v_mov_b32_e32 v9, v4
	s_delay_alu instid0(VALU_DEP_3) | instskip(NEXT) | instid1(VALU_DEP_4)
	v_mad_co_u64_u32 v[1:2], null, s29, v22, v[1:2]
	v_cmp_gt_i32_e64 s2, s3, v0
	v_add_nc_u32_e32 v2, 16, v0
	v_cmp_le_i32_e64 s4, v23, v0
	v_lshlrev_b64_e32 v[8:9], 2, v[8:9]
	v_mov_b32_e32 v7, v1
	v_cmp_le_i32_e32 vcc_lo, v22, v0
	v_cmp_gt_i32_e64 s3, s3, v2
	v_cmp_le_i32_e64 s5, v23, v2
	v_ashrrev_i32_e32 v1, 31, v0
	v_lshlrev_b64_e32 v[6:7], 2, v[6:7]
	s_and_b32 s13, vcc_lo, s2
	v_cmp_le_i32_e32 vcc_lo, v22, v2
	v_ashrrev_i32_e32 v3, 31, v2
	s_and_b32 s4, s4, s2
	s_and_b32 s5, s5, s3
	s_and_b32 s15, vcc_lo, s3
	s_branch .LBB159_6
.LBB159_5:                              ;   in Loop: Header=BB159_6 Depth=1
	s_wait_alu 0xfffe
	s_or_b32 exec_lo, exec_lo, s2
	s_add_co_i32 s6, s6, 0x10000
	s_delay_alu instid0(SALU_CYCLE_1)
	s_cmp_lt_u32 s6, s11
	s_cbranch_scc0 .LBB159_35
.LBB159_6:                              ; =>This Loop Header: Depth=1
                                        ;     Child Loop BB159_9 Depth 2
	v_dual_mov_b32 v11, v5 :: v_dual_mov_b32 v10, v5
	v_dual_mov_b32 v23, v5 :: v_dual_mov_b32 v22, v5
	s_wait_alu 0xfffe
	s_and_not1_b32 vcc_lo, exec_lo, s14
	s_wait_alu 0xfffe
	s_cbranch_vccnz .LBB159_15
; %bb.7:                                ;   in Loop: Header=BB159_6 Depth=1
	s_mul_u64 s[2:3], s[16:17], s[6:7]
	s_mul_u64 s[18:19], s[22:23], s[6:7]
	s_wait_alu 0xfffe
	s_lshl_b64 s[2:3], s[2:3], 2
	v_dual_mov_b32 v22, 0 :: v_dual_mov_b32 v23, 0
	s_wait_alu 0xfffe
	v_add_co_u32 v24, vcc_lo, v17, s2
	s_wait_alu 0xfffd
	v_add_co_ci_u32_e64 v25, null, s3, v18, vcc_lo
	s_lshl_b64 s[2:3], s[18:19], 2
	v_dual_mov_b32 v10, 0 :: v_dual_mov_b32 v11, 0
	s_wait_alu 0xfffe
	v_add_co_u32 v26, vcc_lo, v19, s2
	s_wait_alu 0xfffd
	v_add_co_ci_u32_e64 v27, null, s3, v20, vcc_lo
	s_mov_b64 s[2:3], 0
	s_branch .LBB159_9
.LBB159_8:                              ;   in Loop: Header=BB159_9 Depth=2
	s_wait_alu 0xfffe
	s_or_b32 exec_lo, exec_lo, s18
	s_wait_loadcnt 0x0
	ds_store_b32 v16, v29
	s_wait_dscnt 0x0
	s_barrier_signal -1
	s_barrier_wait -1
	global_inv scope:SCOPE_SE
	ds_load_b128 v[28:31], v21
	ds_load_2addr_b32 v[44:45], v13 offset1:16
	ds_load_b128 v[32:35], v21 offset:512
	ds_load_2addr_b32 v[46:47], v13 offset0:32 offset1:48
	ds_load_2addr_b32 v[48:49], v13 offset0:64 offset1:80
	;; [unrolled: 1-line block ×3, first 2 shown]
	ds_load_b128 v[36:39], v21 offset:16
	ds_load_2addr_b32 v[52:53], v13 offset0:128 offset1:144
	ds_load_b128 v[40:43], v21 offset:528
	ds_load_2addr_b32 v[54:55], v13 offset0:160 offset1:176
	s_add_nc_u64 s[2:3], s[2:3], 8
	s_wait_alu 0xfffe
	v_cmp_gt_i64_e64 s18, s[8:9], s[2:3]
	s_and_b32 vcc_lo, exec_lo, s18
	s_wait_dscnt 0x8
	v_fmac_f32_e32 v10, v45, v28
	v_fmac_f32_e32 v11, v44, v28
	s_wait_dscnt 0x7
	v_fmac_f32_e32 v22, v45, v32
	v_fmac_f32_e32 v23, v44, v32
	ds_load_2addr_b32 v[44:45], v13 offset0:192 offset1:208
	s_wait_dscnt 0x7
	v_fmac_f32_e32 v10, v47, v29
	v_fmac_f32_e32 v11, v46, v29
	v_fmac_f32_e32 v22, v47, v33
	v_fmac_f32_e32 v23, v46, v33
	ds_load_2addr_b32 v[28:29], v13 offset0:224 offset1:240
	s_wait_dscnt 0x7
	v_fmac_f32_e32 v10, v49, v30
	v_fmac_f32_e32 v11, v48, v30
	;; [unrolled: 1-line block ×4, first 2 shown]
	s_wait_loadcnt_dscnt 0x0
	v_fmac_f32_e32 v10, v51, v31
	v_fmac_f32_e32 v11, v50, v31
	;; [unrolled: 1-line block ×4, first 2 shown]
	s_barrier_signal -1
	v_fmac_f32_e32 v10, v53, v36
	v_fmac_f32_e32 v11, v52, v36
	v_fmac_f32_e32 v22, v53, v40
	v_fmac_f32_e32 v23, v52, v40
	s_barrier_wait -1
	v_fmac_f32_e32 v10, v55, v37
	v_fmac_f32_e32 v11, v54, v37
	;; [unrolled: 1-line block ×4, first 2 shown]
	global_inv scope:SCOPE_SE
	v_fmac_f32_e32 v10, v45, v38
	v_fmac_f32_e32 v11, v44, v38
	v_fmac_f32_e32 v22, v45, v42
	s_delay_alu instid0(VALU_DEP_3) | instskip(NEXT) | instid1(VALU_DEP_3)
	v_dual_fmac_f32 v23, v44, v42 :: v_dual_fmac_f32 v10, v29, v39
	v_fmac_f32_e32 v11, v28, v39
	s_delay_alu instid0(VALU_DEP_3) | instskip(NEXT) | instid1(VALU_DEP_3)
	v_fmac_f32_e32 v22, v29, v43
	v_fmac_f32_e32 v23, v28, v43
	s_wait_alu 0xfffe
	s_cbranch_vccz .LBB159_15
.LBB159_9:                              ;   Parent Loop BB159_6 Depth=1
                                        ; =>  This Inner Loop Header: Depth=2
	v_mov_b32_e32 v28, 0
	s_and_saveexec_b32 s18, s0
	s_cbranch_execz .LBB159_13
; %bb.10:                               ;   in Loop: Header=BB159_9 Depth=2
	s_wait_alu 0xfffe
	v_add_nc_u32_e32 v4, s2, v14
	v_mov_b32_e32 v28, 0
	s_mov_b32 s19, exec_lo
	s_delay_alu instid0(VALU_DEP_2)
	v_cmpx_gt_u64_e64 s[8:9], v[4:5]
	s_cbranch_execz .LBB159_12
; %bb.11:                               ;   in Loop: Header=BB159_9 Depth=2
	v_lshlrev_b64_e32 v[28:29], 2, v[4:5]
	s_delay_alu instid0(VALU_DEP_1) | instskip(SKIP_1) | instid1(VALU_DEP_2)
	v_add_co_u32 v28, vcc_lo, v24, v28
	s_wait_alu 0xfffd
	v_add_co_ci_u32_e64 v29, null, v25, v29, vcc_lo
	global_load_b32 v28, v[28:29], off
.LBB159_12:                             ;   in Loop: Header=BB159_9 Depth=2
	s_wait_alu 0xfffe
	s_or_b32 exec_lo, exec_lo, s19
.LBB159_13:                             ;   in Loop: Header=BB159_9 Depth=2
	s_wait_alu 0xfffe
	s_or_b32 exec_lo, exec_lo, s18
	v_dual_mov_b32 v29, 0 :: v_dual_add_nc_u32 v4, s2, v12
	s_wait_loadcnt 0x0
	ds_store_b32 v15, v28
	v_cmp_gt_u64_e32 vcc_lo, s[8:9], v[4:5]
	s_and_b32 s19, vcc_lo, s1
	s_wait_alu 0xfffe
	s_and_saveexec_b32 s18, s19
	s_cbranch_execz .LBB159_8
; %bb.14:                               ;   in Loop: Header=BB159_9 Depth=2
	v_lshlrev_b64_e32 v[28:29], 2, v[4:5]
	s_delay_alu instid0(VALU_DEP_1) | instskip(SKIP_1) | instid1(VALU_DEP_2)
	v_add_co_u32 v28, vcc_lo, v26, v28
	s_wait_alu 0xfffd
	v_add_co_ci_u32_e64 v29, null, v27, v29, vcc_lo
	global_load_b32 v29, v[28:29], off
	s_branch .LBB159_8
.LBB159_15:                             ;   in Loop: Header=BB159_6 Depth=1
	s_mul_u64 s[2:3], s[30:31], s[6:7]
	s_wait_alu 0xfffe
	s_lshl_b64 s[2:3], s[2:3], 2
	s_wait_alu 0xfffe
	s_add_nc_u64 s[2:3], s[26:27], s[2:3]
	s_wait_alu 0xfffe
	v_add_co_u32 v4, vcc_lo, s2, v6
	s_wait_alu 0xfffd
	v_add_co_ci_u32_e64 v24, null, s3, v7, vcc_lo
	s_and_saveexec_b32 s18, s13
	s_cbranch_execz .LBB159_19
; %bb.16:                               ;   in Loop: Header=BB159_6 Depth=1
	v_mul_f32_e32 v11, s10, v11
	s_and_b32 vcc_lo, exec_lo, s12
	s_wait_alu 0xfffe
	s_cbranch_vccz .LBB159_30
; %bb.17:                               ;   in Loop: Header=BB159_6 Depth=1
	v_lshlrev_b64_e32 v[25:26], 2, v[0:1]
	s_delay_alu instid0(VALU_DEP_1) | instskip(SKIP_1) | instid1(VALU_DEP_2)
	v_add_co_u32 v25, vcc_lo, v4, v25
	s_wait_alu 0xfffd
	v_add_co_ci_u32_e64 v26, null, v24, v26, vcc_lo
	global_load_b32 v27, v[25:26], off
	s_wait_loadcnt 0x0
	v_fma_f32 v27, s24, v27, v11
	global_store_b32 v[25:26], v27, off
	s_cbranch_execnz .LBB159_19
.LBB159_18:                             ;   in Loop: Header=BB159_6 Depth=1
	v_lshlrev_b64_e32 v[25:26], 2, v[0:1]
	s_delay_alu instid0(VALU_DEP_1) | instskip(SKIP_1) | instid1(VALU_DEP_2)
	v_add_co_u32 v25, vcc_lo, v4, v25
	s_wait_alu 0xfffd
	v_add_co_ci_u32_e64 v26, null, v24, v26, vcc_lo
	global_store_b32 v[25:26], v11, off
.LBB159_19:                             ;   in Loop: Header=BB159_6 Depth=1
	s_wait_alu 0xfffe
	s_or_b32 exec_lo, exec_lo, s18
	s_and_saveexec_b32 s18, s15
	s_cbranch_execz .LBB159_23
; %bb.20:                               ;   in Loop: Header=BB159_6 Depth=1
	v_mul_f32_e32 v10, s10, v10
	s_and_not1_b32 vcc_lo, exec_lo, s12
	s_wait_alu 0xfffe
	s_cbranch_vccnz .LBB159_31
; %bb.21:                               ;   in Loop: Header=BB159_6 Depth=1
	v_lshlrev_b64_e32 v[25:26], 2, v[2:3]
	s_delay_alu instid0(VALU_DEP_1) | instskip(SKIP_1) | instid1(VALU_DEP_2)
	v_add_co_u32 v25, vcc_lo, v4, v25
	s_wait_alu 0xfffd
	v_add_co_ci_u32_e64 v26, null, v24, v26, vcc_lo
	global_load_b32 v11, v[25:26], off
	s_wait_loadcnt 0x0
	v_fma_f32 v11, s24, v11, v10
	global_store_b32 v[25:26], v11, off
	s_cbranch_execnz .LBB159_23
.LBB159_22:                             ;   in Loop: Header=BB159_6 Depth=1
	v_lshlrev_b64_e32 v[25:26], 2, v[2:3]
	s_delay_alu instid0(VALU_DEP_1) | instskip(SKIP_1) | instid1(VALU_DEP_2)
	v_add_co_u32 v25, vcc_lo, v4, v25
	s_wait_alu 0xfffd
	v_add_co_ci_u32_e64 v26, null, v24, v26, vcc_lo
	global_store_b32 v[25:26], v10, off
.LBB159_23:                             ;   in Loop: Header=BB159_6 Depth=1
	s_wait_alu 0xfffe
	s_or_b32 exec_lo, exec_lo, s18
	v_add_co_u32 v4, vcc_lo, s2, v8
	s_wait_alu 0xfffd
	v_add_co_ci_u32_e64 v24, null, s3, v9, vcc_lo
	s_and_saveexec_b32 s2, s4
	s_cbranch_execz .LBB159_27
; %bb.24:                               ;   in Loop: Header=BB159_6 Depth=1
	v_lshlrev_b64_e32 v[10:11], 2, v[0:1]
	v_mul_f32_e32 v23, s10, v23
	s_and_not1_b32 vcc_lo, exec_lo, s12
	s_wait_alu 0xfffe
	s_cbranch_vccnz .LBB159_32
; %bb.25:                               ;   in Loop: Header=BB159_6 Depth=1
	s_delay_alu instid0(VALU_DEP_2)
	v_add_co_u32 v25, vcc_lo, v4, v10
	s_wait_alu 0xfffd
	v_add_co_ci_u32_e64 v26, null, v24, v11, vcc_lo
	global_load_b32 v27, v[25:26], off
	s_wait_loadcnt 0x0
	v_fma_f32 v27, s24, v27, v23
	global_store_b32 v[25:26], v27, off
	s_cbranch_execnz .LBB159_27
.LBB159_26:                             ;   in Loop: Header=BB159_6 Depth=1
	v_add_co_u32 v10, vcc_lo, v4, v10
	s_wait_alu 0xfffd
	v_add_co_ci_u32_e64 v11, null, v24, v11, vcc_lo
	global_store_b32 v[10:11], v23, off
.LBB159_27:                             ;   in Loop: Header=BB159_6 Depth=1
	s_wait_alu 0xfffe
	s_or_b32 exec_lo, exec_lo, s2
	s_and_saveexec_b32 s2, s5
	s_cbranch_execz .LBB159_5
; %bb.28:                               ;   in Loop: Header=BB159_6 Depth=1
	v_lshlrev_b64_e32 v[10:11], 2, v[2:3]
	v_mul_f32_e32 v22, s10, v22
	s_and_not1_b32 vcc_lo, exec_lo, s12
	s_wait_alu 0xfffe
	s_cbranch_vccnz .LBB159_33
; %bb.29:                               ;   in Loop: Header=BB159_6 Depth=1
	s_delay_alu instid0(VALU_DEP_2)
	v_add_co_u32 v25, vcc_lo, v4, v10
	s_wait_alu 0xfffd
	v_add_co_ci_u32_e64 v26, null, v24, v11, vcc_lo
	global_load_b32 v23, v[25:26], off
	s_wait_loadcnt 0x0
	v_fma_f32 v23, s24, v23, v22
	global_store_b32 v[25:26], v23, off
	s_cbranch_execnz .LBB159_5
	s_branch .LBB159_34
.LBB159_30:                             ;   in Loop: Header=BB159_6 Depth=1
	s_branch .LBB159_18
.LBB159_31:                             ;   in Loop: Header=BB159_6 Depth=1
	s_branch .LBB159_22
.LBB159_32:                             ;   in Loop: Header=BB159_6 Depth=1
	s_branch .LBB159_26
.LBB159_33:                             ;   in Loop: Header=BB159_6 Depth=1
.LBB159_34:                             ;   in Loop: Header=BB159_6 Depth=1
	s_delay_alu instid0(VALU_DEP_2)
	v_add_co_u32 v10, vcc_lo, v4, v10
	s_wait_alu 0xfffd
	v_add_co_ci_u32_e64 v11, null, v24, v11, vcc_lo
	global_store_b32 v[10:11], v22, off
	s_branch .LBB159_5
.LBB159_35:
	s_endpgm
	.section	.rodata,"a",@progbits
	.p2align	6, 0x0
	.amdhsa_kernel _ZL29rocblas_internal_gemmt_kernelIlLi16ELi32ELi8ELc67ELc78ELc76ELb0ELb0EfPKfS1_PfEviT_T9_T10_S3_lS5_S3_lS4_T11_S3_li
		.amdhsa_group_segment_fixed_size 2048
		.amdhsa_private_segment_fixed_size 0
		.amdhsa_kernarg_size 108
		.amdhsa_user_sgpr_count 2
		.amdhsa_user_sgpr_dispatch_ptr 0
		.amdhsa_user_sgpr_queue_ptr 0
		.amdhsa_user_sgpr_kernarg_segment_ptr 1
		.amdhsa_user_sgpr_dispatch_id 0
		.amdhsa_user_sgpr_private_segment_size 0
		.amdhsa_wavefront_size32 1
		.amdhsa_uses_dynamic_stack 0
		.amdhsa_enable_private_segment 0
		.amdhsa_system_sgpr_workgroup_id_x 1
		.amdhsa_system_sgpr_workgroup_id_y 1
		.amdhsa_system_sgpr_workgroup_id_z 1
		.amdhsa_system_sgpr_workgroup_info 0
		.amdhsa_system_vgpr_workitem_id 1
		.amdhsa_next_free_vgpr 56
		.amdhsa_next_free_sgpr 32
		.amdhsa_reserve_vcc 1
		.amdhsa_float_round_mode_32 0
		.amdhsa_float_round_mode_16_64 0
		.amdhsa_float_denorm_mode_32 3
		.amdhsa_float_denorm_mode_16_64 3
		.amdhsa_fp16_overflow 0
		.amdhsa_workgroup_processor_mode 1
		.amdhsa_memory_ordered 1
		.amdhsa_forward_progress 1
		.amdhsa_inst_pref_size 15
		.amdhsa_round_robin_scheduling 0
		.amdhsa_exception_fp_ieee_invalid_op 0
		.amdhsa_exception_fp_denorm_src 0
		.amdhsa_exception_fp_ieee_div_zero 0
		.amdhsa_exception_fp_ieee_overflow 0
		.amdhsa_exception_fp_ieee_underflow 0
		.amdhsa_exception_fp_ieee_inexact 0
		.amdhsa_exception_int_div_zero 0
	.end_amdhsa_kernel
	.section	.text._ZL29rocblas_internal_gemmt_kernelIlLi16ELi32ELi8ELc67ELc78ELc76ELb0ELb0EfPKfS1_PfEviT_T9_T10_S3_lS5_S3_lS4_T11_S3_li,"axG",@progbits,_ZL29rocblas_internal_gemmt_kernelIlLi16ELi32ELi8ELc67ELc78ELc76ELb0ELb0EfPKfS1_PfEviT_T9_T10_S3_lS5_S3_lS4_T11_S3_li,comdat
.Lfunc_end159:
	.size	_ZL29rocblas_internal_gemmt_kernelIlLi16ELi32ELi8ELc67ELc78ELc76ELb0ELb0EfPKfS1_PfEviT_T9_T10_S3_lS5_S3_lS4_T11_S3_li, .Lfunc_end159-_ZL29rocblas_internal_gemmt_kernelIlLi16ELi32ELi8ELc67ELc78ELc76ELb0ELb0EfPKfS1_PfEviT_T9_T10_S3_lS5_S3_lS4_T11_S3_li
                                        ; -- End function
	.set _ZL29rocblas_internal_gemmt_kernelIlLi16ELi32ELi8ELc67ELc78ELc76ELb0ELb0EfPKfS1_PfEviT_T9_T10_S3_lS5_S3_lS4_T11_S3_li.num_vgpr, 56
	.set _ZL29rocblas_internal_gemmt_kernelIlLi16ELi32ELi8ELc67ELc78ELc76ELb0ELb0EfPKfS1_PfEviT_T9_T10_S3_lS5_S3_lS4_T11_S3_li.num_agpr, 0
	.set _ZL29rocblas_internal_gemmt_kernelIlLi16ELi32ELi8ELc67ELc78ELc76ELb0ELb0EfPKfS1_PfEviT_T9_T10_S3_lS5_S3_lS4_T11_S3_li.numbered_sgpr, 32
	.set _ZL29rocblas_internal_gemmt_kernelIlLi16ELi32ELi8ELc67ELc78ELc76ELb0ELb0EfPKfS1_PfEviT_T9_T10_S3_lS5_S3_lS4_T11_S3_li.num_named_barrier, 0
	.set _ZL29rocblas_internal_gemmt_kernelIlLi16ELi32ELi8ELc67ELc78ELc76ELb0ELb0EfPKfS1_PfEviT_T9_T10_S3_lS5_S3_lS4_T11_S3_li.private_seg_size, 0
	.set _ZL29rocblas_internal_gemmt_kernelIlLi16ELi32ELi8ELc67ELc78ELc76ELb0ELb0EfPKfS1_PfEviT_T9_T10_S3_lS5_S3_lS4_T11_S3_li.uses_vcc, 1
	.set _ZL29rocblas_internal_gemmt_kernelIlLi16ELi32ELi8ELc67ELc78ELc76ELb0ELb0EfPKfS1_PfEviT_T9_T10_S3_lS5_S3_lS4_T11_S3_li.uses_flat_scratch, 0
	.set _ZL29rocblas_internal_gemmt_kernelIlLi16ELi32ELi8ELc67ELc78ELc76ELb0ELb0EfPKfS1_PfEviT_T9_T10_S3_lS5_S3_lS4_T11_S3_li.has_dyn_sized_stack, 0
	.set _ZL29rocblas_internal_gemmt_kernelIlLi16ELi32ELi8ELc67ELc78ELc76ELb0ELb0EfPKfS1_PfEviT_T9_T10_S3_lS5_S3_lS4_T11_S3_li.has_recursion, 0
	.set _ZL29rocblas_internal_gemmt_kernelIlLi16ELi32ELi8ELc67ELc78ELc76ELb0ELb0EfPKfS1_PfEviT_T9_T10_S3_lS5_S3_lS4_T11_S3_li.has_indirect_call, 0
	.section	.AMDGPU.csdata,"",@progbits
; Kernel info:
; codeLenInByte = 1864
; TotalNumSgprs: 34
; NumVgprs: 56
; ScratchSize: 0
; MemoryBound: 0
; FloatMode: 240
; IeeeMode: 1
; LDSByteSize: 2048 bytes/workgroup (compile time only)
; SGPRBlocks: 0
; VGPRBlocks: 6
; NumSGPRsForWavesPerEU: 34
; NumVGPRsForWavesPerEU: 56
; Occupancy: 16
; WaveLimiterHint : 0
; COMPUTE_PGM_RSRC2:SCRATCH_EN: 0
; COMPUTE_PGM_RSRC2:USER_SGPR: 2
; COMPUTE_PGM_RSRC2:TRAP_HANDLER: 0
; COMPUTE_PGM_RSRC2:TGID_X_EN: 1
; COMPUTE_PGM_RSRC2:TGID_Y_EN: 1
; COMPUTE_PGM_RSRC2:TGID_Z_EN: 1
; COMPUTE_PGM_RSRC2:TIDIG_COMP_CNT: 1
	.section	.text._ZL29rocblas_internal_gemmt_kernelIlLi16ELi32ELi8ELc67ELc84ELc76ELb0ELb0EfPKfS1_PfEviT_T9_T10_S3_lS5_S3_lS4_T11_S3_li,"axG",@progbits,_ZL29rocblas_internal_gemmt_kernelIlLi16ELi32ELi8ELc67ELc84ELc76ELb0ELb0EfPKfS1_PfEviT_T9_T10_S3_lS5_S3_lS4_T11_S3_li,comdat
	.globl	_ZL29rocblas_internal_gemmt_kernelIlLi16ELi32ELi8ELc67ELc84ELc76ELb0ELb0EfPKfS1_PfEviT_T9_T10_S3_lS5_S3_lS4_T11_S3_li ; -- Begin function _ZL29rocblas_internal_gemmt_kernelIlLi16ELi32ELi8ELc67ELc84ELc76ELb0ELb0EfPKfS1_PfEviT_T9_T10_S3_lS5_S3_lS4_T11_S3_li
	.p2align	8
	.type	_ZL29rocblas_internal_gemmt_kernelIlLi16ELi32ELi8ELc67ELc84ELc76ELb0ELb0EfPKfS1_PfEviT_T9_T10_S3_lS5_S3_lS4_T11_S3_li,@function
_ZL29rocblas_internal_gemmt_kernelIlLi16ELi32ELi8ELc67ELc84ELc76ELb0ELb0EfPKfS1_PfEviT_T9_T10_S3_lS5_S3_lS4_T11_S3_li: ; @_ZL29rocblas_internal_gemmt_kernelIlLi16ELi32ELi8ELc67ELc84ELc76ELb0ELb0EfPKfS1_PfEviT_T9_T10_S3_lS5_S3_lS4_T11_S3_li
; %bb.0:
	s_clause 0x1
	s_load_b256 s[24:31], s[0:1], 0x48
	s_load_b512 s[8:23], s[0:1], 0x8
	s_wait_kmcnt 0x0
	s_load_b32 s24, s[24:25], 0x0
	s_load_b32 s10, s[10:11], 0x0
	s_wait_kmcnt 0x0
	s_cmp_neq_f32 s24, 1.0
	s_cselect_b32 s2, -1, 0
	s_delay_alu instid0(SALU_CYCLE_1)
	s_and_b32 vcc_lo, exec_lo, s2
	s_cbranch_vccnz .LBB160_2
; %bb.1:
	s_cmp_lg_u64 s[8:9], 0
	s_cselect_b32 s2, -1, 0
	s_cmp_neq_f32 s10, 0
	s_cselect_b32 s3, -1, 0
	s_delay_alu instid0(SALU_CYCLE_1)
	s_and_b32 s2, s2, s3
.LBB160_2:
	s_delay_alu instid0(SALU_CYCLE_1)
	s_and_not1_b32 vcc_lo, exec_lo, s2
	s_cbranch_vccnz .LBB160_35
; %bb.3:
	s_load_b32 s11, s[0:1], 0x68
	s_lshr_b32 s6, ttmp7, 16
	s_wait_kmcnt 0x0
	s_cmp_ge_u32 s6, s11
	s_cbranch_scc1 .LBB160_35
; %bb.4:
	v_and_b32_e32 v2, 0x3ff, v0
	v_bfe_u32 v3, v0, 10, 10
	s_load_b32 s3, s[0:1], 0x0
	s_lshl_b32 s0, ttmp7, 5
	s_lshl_b32 s2, ttmp9, 5
	s_and_b32 s0, s0, 0x1fffe0
	v_lshl_add_u32 v4, v3, 4, v2
	v_add_nc_u32_e32 v11, s0, v3
	v_and_b32_e32 v12, 7, v0
	s_cmp_neq_f32 s10, 0
	v_lshl_add_u32 v21, v3, 5, 0x400
	v_lshrrev_b32_e32 v13, 5, v4
	v_mad_co_u64_u32 v[6:7], null, s28, v11, 0
	v_and_b32_e32 v5, 31, v4
	s_cselect_b32 s33, -1, 0
	s_ashr_i32 s1, s2, 31
	v_lshlrev_b32_e32 v9, 2, v12
	s_wait_alu 0xfffe
	s_mul_i32 s1, s14, s1
	v_or_b32_e32 v8, s2, v5
	v_lshrrev_b32_e32 v4, 3, v4
	v_add_nc_u32_e32 v22, 16, v11
	s_cmp_neq_f32 s24, 0
	v_cmp_gt_i64_e64 s25, s[8:9], 0
	v_mul_lo_u32 v10, s15, v8
	v_mad_co_u64_u32 v[0:1], null, s14, v8, 0
	s_mov_b32 s7, 0
	s_wait_alu 0xfffe
	v_add3_u32 v1, v1, s1, v10
	v_add_nc_u32_e32 v10, s0, v4
	v_lshl_or_b32 v4, v4, 5, v9
	s_wait_kmcnt 0x0
	v_cmp_gt_i32_e64 s0, s3, v8
	v_mad_co_u64_u32 v[8:9], null, s28, v22, 0
	v_lshlrev_b64_e32 v[0:1], 2, v[0:1]
	v_add_nc_u32_e32 v15, 0x400, v4
	v_lshlrev_b32_e32 v4, 2, v10
	v_cmp_gt_i32_e64 s1, s3, v10
	s_delay_alu instid0(VALU_DEP_4) | instskip(NEXT) | instid1(VALU_DEP_1)
	v_add_co_u32 v16, vcc_lo, s12, v0
	v_add_co_ci_u32_e64 v17, null, s13, v1, vcc_lo
	v_dual_mov_b32 v1, 0 :: v_dual_mov_b32 v0, v7
	v_add_co_u32 v18, s4, s18, v4
	v_lshlrev_b32_e32 v20, 2, v2
	v_add_nc_u32_e32 v2, s2, v2
	s_delay_alu instid0(VALU_DEP_4) | instskip(SKIP_1) | instid1(VALU_DEP_3)
	v_mad_co_u64_u32 v[3:4], null, s29, v11, v[0:1]
	v_dual_mov_b32 v0, v9 :: v_dual_lshlrev_b32 v5, 2, v5
	v_cmp_le_i32_e32 vcc_lo, v11, v2
	v_cmp_gt_i32_e64 s2, s3, v2
	v_add_nc_u32_e32 v4, 16, v2
	s_delay_alu instid0(VALU_DEP_4)
	v_mad_co_u64_u32 v[9:10], null, s29, v22, v[0:1]
	v_mov_b32_e32 v7, v3
	v_add_co_ci_u32_e64 v19, null, s19, 0, s4
	s_cselect_b32 s12, -1, 0
	s_and_b32 s13, vcc_lo, s2
	v_cmp_le_i32_e32 vcc_lo, v11, v4
	v_cmp_gt_i32_e64 s3, s3, v4
	v_cmp_le_i32_e64 s4, v22, v2
	v_cmp_le_i32_e64 s5, v22, v4
	v_lshlrev_b64_e32 v[6:7], 2, v[6:7]
	v_lshlrev_b64_e32 v[8:9], 2, v[8:9]
	v_lshl_or_b32 v14, v13, 7, v5
	v_ashrrev_i32_e32 v3, 31, v2
	v_ashrrev_i32_e32 v5, 31, v4
	s_and_b32 s14, s33, s25
	s_and_b32 s15, vcc_lo, s3
	s_and_b32 s4, s4, s2
	s_and_b32 s5, s5, s3
	s_branch .LBB160_6
.LBB160_5:                              ;   in Loop: Header=BB160_6 Depth=1
	s_wait_alu 0xfffe
	s_or_b32 exec_lo, exec_lo, s2
	s_add_co_i32 s6, s6, 0x10000
	s_delay_alu instid0(SALU_CYCLE_1)
	s_cmp_lt_u32 s6, s11
	s_cbranch_scc0 .LBB160_35
.LBB160_6:                              ; =>This Loop Header: Depth=1
                                        ;     Child Loop BB160_9 Depth 2
	v_dual_mov_b32 v11, v1 :: v_dual_mov_b32 v10, v1
	v_dual_mov_b32 v23, v1 :: v_dual_mov_b32 v22, v1
	s_wait_alu 0xfffe
	s_and_not1_b32 vcc_lo, exec_lo, s14
	s_wait_alu 0xfffe
	s_cbranch_vccnz .LBB160_15
; %bb.7:                                ;   in Loop: Header=BB160_6 Depth=1
	s_mul_u64 s[2:3], s[16:17], s[6:7]
	s_mul_u64 s[18:19], s[22:23], s[6:7]
	s_wait_alu 0xfffe
	s_lshl_b64 s[2:3], s[2:3], 2
	v_dual_mov_b32 v22, 0 :: v_dual_mov_b32 v23, 0
	s_wait_alu 0xfffe
	v_add_co_u32 v24, vcc_lo, v16, s2
	s_wait_alu 0xfffd
	v_add_co_ci_u32_e64 v25, null, s3, v17, vcc_lo
	s_lshl_b64 s[2:3], s[18:19], 2
	v_dual_mov_b32 v10, 0 :: v_dual_mov_b32 v11, 0
	s_wait_alu 0xfffe
	v_add_co_u32 v26, vcc_lo, v18, s2
	s_wait_alu 0xfffd
	v_add_co_ci_u32_e64 v27, null, s3, v19, vcc_lo
	s_mov_b64 s[2:3], 0
	s_branch .LBB160_9
.LBB160_8:                              ;   in Loop: Header=BB160_9 Depth=2
	s_wait_alu 0xfffe
	s_or_b32 exec_lo, exec_lo, s18
	s_wait_loadcnt 0x0
	ds_store_b32 v15, v29
	s_wait_dscnt 0x0
	s_barrier_signal -1
	s_barrier_wait -1
	global_inv scope:SCOPE_SE
	ds_load_b128 v[28:31], v21
	ds_load_2addr_b32 v[44:45], v20 offset1:16
	ds_load_b128 v[32:35], v21 offset:512
	ds_load_2addr_b32 v[46:47], v20 offset0:32 offset1:48
	ds_load_2addr_b32 v[48:49], v20 offset0:64 offset1:80
	ds_load_2addr_b32 v[50:51], v20 offset0:96 offset1:112
	ds_load_b128 v[36:39], v21 offset:16
	ds_load_2addr_b32 v[52:53], v20 offset0:128 offset1:144
	ds_load_b128 v[40:43], v21 offset:528
	ds_load_2addr_b32 v[54:55], v20 offset0:160 offset1:176
	s_add_nc_u64 s[2:3], s[2:3], 8
	s_wait_alu 0xfffe
	v_cmp_gt_i64_e64 s18, s[8:9], s[2:3]
	s_and_b32 vcc_lo, exec_lo, s18
	s_wait_dscnt 0x8
	v_fmac_f32_e32 v10, v45, v28
	v_fmac_f32_e32 v11, v44, v28
	s_wait_dscnt 0x7
	v_fmac_f32_e32 v22, v45, v32
	v_fmac_f32_e32 v23, v44, v32
	ds_load_2addr_b32 v[44:45], v20 offset0:192 offset1:208
	s_wait_dscnt 0x7
	v_fmac_f32_e32 v10, v47, v29
	v_fmac_f32_e32 v11, v46, v29
	v_fmac_f32_e32 v22, v47, v33
	v_fmac_f32_e32 v23, v46, v33
	ds_load_2addr_b32 v[28:29], v20 offset0:224 offset1:240
	s_wait_dscnt 0x7
	v_fmac_f32_e32 v10, v49, v30
	v_fmac_f32_e32 v11, v48, v30
	;; [unrolled: 1-line block ×4, first 2 shown]
	s_wait_loadcnt_dscnt 0x0
	v_fmac_f32_e32 v10, v51, v31
	v_fmac_f32_e32 v11, v50, v31
	v_fmac_f32_e32 v22, v51, v35
	v_fmac_f32_e32 v23, v50, v35
	s_barrier_signal -1
	v_fmac_f32_e32 v10, v53, v36
	v_fmac_f32_e32 v11, v52, v36
	;; [unrolled: 1-line block ×4, first 2 shown]
	s_barrier_wait -1
	v_fmac_f32_e32 v10, v55, v37
	v_fmac_f32_e32 v11, v54, v37
	;; [unrolled: 1-line block ×4, first 2 shown]
	global_inv scope:SCOPE_SE
	v_fmac_f32_e32 v10, v45, v38
	v_fmac_f32_e32 v11, v44, v38
	;; [unrolled: 1-line block ×3, first 2 shown]
	s_delay_alu instid0(VALU_DEP_3) | instskip(NEXT) | instid1(VALU_DEP_3)
	v_dual_fmac_f32 v23, v44, v42 :: v_dual_fmac_f32 v10, v29, v39
	v_fmac_f32_e32 v11, v28, v39
	s_delay_alu instid0(VALU_DEP_3) | instskip(NEXT) | instid1(VALU_DEP_3)
	v_fmac_f32_e32 v22, v29, v43
	v_fmac_f32_e32 v23, v28, v43
	s_wait_alu 0xfffe
	s_cbranch_vccz .LBB160_15
.LBB160_9:                              ;   Parent Loop BB160_6 Depth=1
                                        ; =>  This Inner Loop Header: Depth=2
	v_mov_b32_e32 v28, 0
	s_and_saveexec_b32 s18, s0
	s_cbranch_execz .LBB160_13
; %bb.10:                               ;   in Loop: Header=BB160_9 Depth=2
	s_wait_alu 0xfffe
	v_add_nc_u32_e32 v0, s2, v13
	v_mov_b32_e32 v28, 0
	s_mov_b32 s19, exec_lo
	s_delay_alu instid0(VALU_DEP_2)
	v_cmpx_gt_u64_e64 s[8:9], v[0:1]
	s_cbranch_execz .LBB160_12
; %bb.11:                               ;   in Loop: Header=BB160_9 Depth=2
	v_lshlrev_b64_e32 v[28:29], 2, v[0:1]
	s_delay_alu instid0(VALU_DEP_1) | instskip(SKIP_1) | instid1(VALU_DEP_2)
	v_add_co_u32 v28, vcc_lo, v24, v28
	s_wait_alu 0xfffd
	v_add_co_ci_u32_e64 v29, null, v25, v29, vcc_lo
	global_load_b32 v28, v[28:29], off
.LBB160_12:                             ;   in Loop: Header=BB160_9 Depth=2
	s_wait_alu 0xfffe
	s_or_b32 exec_lo, exec_lo, s19
.LBB160_13:                             ;   in Loop: Header=BB160_9 Depth=2
	s_wait_alu 0xfffe
	s_or_b32 exec_lo, exec_lo, s18
	v_dual_mov_b32 v29, 0 :: v_dual_add_nc_u32 v0, s2, v12
	s_wait_loadcnt 0x0
	ds_store_b32 v14, v28
	v_cmp_gt_u64_e32 vcc_lo, s[8:9], v[0:1]
	s_and_b32 s19, vcc_lo, s1
	s_wait_alu 0xfffe
	s_and_saveexec_b32 s18, s19
	s_cbranch_execz .LBB160_8
; %bb.14:                               ;   in Loop: Header=BB160_9 Depth=2
	v_mad_co_u64_u32 v[28:29], null, s20, v0, 0
	s_delay_alu instid0(VALU_DEP_1) | instskip(NEXT) | instid1(VALU_DEP_1)
	v_mad_co_u64_u32 v[29:30], null, s21, v0, v[29:30]
	v_lshlrev_b64_e32 v[28:29], 2, v[28:29]
	s_delay_alu instid0(VALU_DEP_1) | instskip(SKIP_1) | instid1(VALU_DEP_2)
	v_add_co_u32 v28, vcc_lo, v26, v28
	s_wait_alu 0xfffd
	v_add_co_ci_u32_e64 v29, null, v27, v29, vcc_lo
	global_load_b32 v29, v[28:29], off
	s_branch .LBB160_8
.LBB160_15:                             ;   in Loop: Header=BB160_6 Depth=1
	s_mul_u64 s[2:3], s[30:31], s[6:7]
	s_wait_alu 0xfffe
	s_lshl_b64 s[2:3], s[2:3], 2
	s_wait_alu 0xfffe
	s_add_nc_u64 s[2:3], s[26:27], s[2:3]
	s_wait_alu 0xfffe
	v_add_co_u32 v0, vcc_lo, s2, v6
	s_wait_alu 0xfffd
	v_add_co_ci_u32_e64 v24, null, s3, v7, vcc_lo
	s_and_saveexec_b32 s18, s13
	s_cbranch_execz .LBB160_19
; %bb.16:                               ;   in Loop: Header=BB160_6 Depth=1
	v_mul_f32_e32 v11, s10, v11
	s_and_b32 vcc_lo, exec_lo, s12
	s_wait_alu 0xfffe
	s_cbranch_vccz .LBB160_30
; %bb.17:                               ;   in Loop: Header=BB160_6 Depth=1
	v_lshlrev_b64_e32 v[25:26], 2, v[2:3]
	s_delay_alu instid0(VALU_DEP_1) | instskip(SKIP_1) | instid1(VALU_DEP_2)
	v_add_co_u32 v25, vcc_lo, v0, v25
	s_wait_alu 0xfffd
	v_add_co_ci_u32_e64 v26, null, v24, v26, vcc_lo
	global_load_b32 v27, v[25:26], off
	s_wait_loadcnt 0x0
	v_fma_f32 v27, s24, v27, v11
	global_store_b32 v[25:26], v27, off
	s_cbranch_execnz .LBB160_19
.LBB160_18:                             ;   in Loop: Header=BB160_6 Depth=1
	v_lshlrev_b64_e32 v[25:26], 2, v[2:3]
	s_delay_alu instid0(VALU_DEP_1) | instskip(SKIP_1) | instid1(VALU_DEP_2)
	v_add_co_u32 v25, vcc_lo, v0, v25
	s_wait_alu 0xfffd
	v_add_co_ci_u32_e64 v26, null, v24, v26, vcc_lo
	global_store_b32 v[25:26], v11, off
.LBB160_19:                             ;   in Loop: Header=BB160_6 Depth=1
	s_wait_alu 0xfffe
	s_or_b32 exec_lo, exec_lo, s18
	s_and_saveexec_b32 s18, s15
	s_cbranch_execz .LBB160_23
; %bb.20:                               ;   in Loop: Header=BB160_6 Depth=1
	v_mul_f32_e32 v10, s10, v10
	s_and_not1_b32 vcc_lo, exec_lo, s12
	s_wait_alu 0xfffe
	s_cbranch_vccnz .LBB160_31
; %bb.21:                               ;   in Loop: Header=BB160_6 Depth=1
	v_lshlrev_b64_e32 v[25:26], 2, v[4:5]
	s_delay_alu instid0(VALU_DEP_1) | instskip(SKIP_1) | instid1(VALU_DEP_2)
	v_add_co_u32 v25, vcc_lo, v0, v25
	s_wait_alu 0xfffd
	v_add_co_ci_u32_e64 v26, null, v24, v26, vcc_lo
	global_load_b32 v11, v[25:26], off
	s_wait_loadcnt 0x0
	v_fma_f32 v11, s24, v11, v10
	global_store_b32 v[25:26], v11, off
	s_cbranch_execnz .LBB160_23
.LBB160_22:                             ;   in Loop: Header=BB160_6 Depth=1
	v_lshlrev_b64_e32 v[25:26], 2, v[4:5]
	s_delay_alu instid0(VALU_DEP_1) | instskip(SKIP_1) | instid1(VALU_DEP_2)
	v_add_co_u32 v25, vcc_lo, v0, v25
	s_wait_alu 0xfffd
	v_add_co_ci_u32_e64 v26, null, v24, v26, vcc_lo
	global_store_b32 v[25:26], v10, off
.LBB160_23:                             ;   in Loop: Header=BB160_6 Depth=1
	s_wait_alu 0xfffe
	s_or_b32 exec_lo, exec_lo, s18
	v_add_co_u32 v0, vcc_lo, s2, v8
	s_wait_alu 0xfffd
	v_add_co_ci_u32_e64 v24, null, s3, v9, vcc_lo
	s_and_saveexec_b32 s2, s4
	s_cbranch_execz .LBB160_27
; %bb.24:                               ;   in Loop: Header=BB160_6 Depth=1
	v_lshlrev_b64_e32 v[10:11], 2, v[2:3]
	v_mul_f32_e32 v23, s10, v23
	s_and_not1_b32 vcc_lo, exec_lo, s12
	s_wait_alu 0xfffe
	s_cbranch_vccnz .LBB160_32
; %bb.25:                               ;   in Loop: Header=BB160_6 Depth=1
	s_delay_alu instid0(VALU_DEP_2)
	v_add_co_u32 v25, vcc_lo, v0, v10
	s_wait_alu 0xfffd
	v_add_co_ci_u32_e64 v26, null, v24, v11, vcc_lo
	global_load_b32 v27, v[25:26], off
	s_wait_loadcnt 0x0
	v_fma_f32 v27, s24, v27, v23
	global_store_b32 v[25:26], v27, off
	s_cbranch_execnz .LBB160_27
.LBB160_26:                             ;   in Loop: Header=BB160_6 Depth=1
	v_add_co_u32 v10, vcc_lo, v0, v10
	s_wait_alu 0xfffd
	v_add_co_ci_u32_e64 v11, null, v24, v11, vcc_lo
	global_store_b32 v[10:11], v23, off
.LBB160_27:                             ;   in Loop: Header=BB160_6 Depth=1
	s_wait_alu 0xfffe
	s_or_b32 exec_lo, exec_lo, s2
	s_and_saveexec_b32 s2, s5
	s_cbranch_execz .LBB160_5
; %bb.28:                               ;   in Loop: Header=BB160_6 Depth=1
	v_lshlrev_b64_e32 v[10:11], 2, v[4:5]
	v_mul_f32_e32 v22, s10, v22
	s_and_not1_b32 vcc_lo, exec_lo, s12
	s_wait_alu 0xfffe
	s_cbranch_vccnz .LBB160_33
; %bb.29:                               ;   in Loop: Header=BB160_6 Depth=1
	s_delay_alu instid0(VALU_DEP_2)
	v_add_co_u32 v25, vcc_lo, v0, v10
	s_wait_alu 0xfffd
	v_add_co_ci_u32_e64 v26, null, v24, v11, vcc_lo
	global_load_b32 v23, v[25:26], off
	s_wait_loadcnt 0x0
	v_fma_f32 v23, s24, v23, v22
	global_store_b32 v[25:26], v23, off
	s_cbranch_execnz .LBB160_5
	s_branch .LBB160_34
.LBB160_30:                             ;   in Loop: Header=BB160_6 Depth=1
	s_branch .LBB160_18
.LBB160_31:                             ;   in Loop: Header=BB160_6 Depth=1
	s_branch .LBB160_22
.LBB160_32:                             ;   in Loop: Header=BB160_6 Depth=1
	s_branch .LBB160_26
.LBB160_33:                             ;   in Loop: Header=BB160_6 Depth=1
.LBB160_34:                             ;   in Loop: Header=BB160_6 Depth=1
	s_delay_alu instid0(VALU_DEP_2)
	v_add_co_u32 v10, vcc_lo, v0, v10
	s_wait_alu 0xfffd
	v_add_co_ci_u32_e64 v11, null, v24, v11, vcc_lo
	global_store_b32 v[10:11], v22, off
	s_branch .LBB160_5
.LBB160_35:
	s_endpgm
	.section	.rodata,"a",@progbits
	.p2align	6, 0x0
	.amdhsa_kernel _ZL29rocblas_internal_gemmt_kernelIlLi16ELi32ELi8ELc67ELc84ELc76ELb0ELb0EfPKfS1_PfEviT_T9_T10_S3_lS5_S3_lS4_T11_S3_li
		.amdhsa_group_segment_fixed_size 2048
		.amdhsa_private_segment_fixed_size 0
		.amdhsa_kernarg_size 108
		.amdhsa_user_sgpr_count 2
		.amdhsa_user_sgpr_dispatch_ptr 0
		.amdhsa_user_sgpr_queue_ptr 0
		.amdhsa_user_sgpr_kernarg_segment_ptr 1
		.amdhsa_user_sgpr_dispatch_id 0
		.amdhsa_user_sgpr_private_segment_size 0
		.amdhsa_wavefront_size32 1
		.amdhsa_uses_dynamic_stack 0
		.amdhsa_enable_private_segment 0
		.amdhsa_system_sgpr_workgroup_id_x 1
		.amdhsa_system_sgpr_workgroup_id_y 1
		.amdhsa_system_sgpr_workgroup_id_z 1
		.amdhsa_system_sgpr_workgroup_info 0
		.amdhsa_system_vgpr_workitem_id 1
		.amdhsa_next_free_vgpr 56
		.amdhsa_next_free_sgpr 34
		.amdhsa_reserve_vcc 1
		.amdhsa_float_round_mode_32 0
		.amdhsa_float_round_mode_16_64 0
		.amdhsa_float_denorm_mode_32 3
		.amdhsa_float_denorm_mode_16_64 3
		.amdhsa_fp16_overflow 0
		.amdhsa_workgroup_processor_mode 1
		.amdhsa_memory_ordered 1
		.amdhsa_forward_progress 1
		.amdhsa_inst_pref_size 15
		.amdhsa_round_robin_scheduling 0
		.amdhsa_exception_fp_ieee_invalid_op 0
		.amdhsa_exception_fp_denorm_src 0
		.amdhsa_exception_fp_ieee_div_zero 0
		.amdhsa_exception_fp_ieee_overflow 0
		.amdhsa_exception_fp_ieee_underflow 0
		.amdhsa_exception_fp_ieee_inexact 0
		.amdhsa_exception_int_div_zero 0
	.end_amdhsa_kernel
	.section	.text._ZL29rocblas_internal_gemmt_kernelIlLi16ELi32ELi8ELc67ELc84ELc76ELb0ELb0EfPKfS1_PfEviT_T9_T10_S3_lS5_S3_lS4_T11_S3_li,"axG",@progbits,_ZL29rocblas_internal_gemmt_kernelIlLi16ELi32ELi8ELc67ELc84ELc76ELb0ELb0EfPKfS1_PfEviT_T9_T10_S3_lS5_S3_lS4_T11_S3_li,comdat
.Lfunc_end160:
	.size	_ZL29rocblas_internal_gemmt_kernelIlLi16ELi32ELi8ELc67ELc84ELc76ELb0ELb0EfPKfS1_PfEviT_T9_T10_S3_lS5_S3_lS4_T11_S3_li, .Lfunc_end160-_ZL29rocblas_internal_gemmt_kernelIlLi16ELi32ELi8ELc67ELc84ELc76ELb0ELb0EfPKfS1_PfEviT_T9_T10_S3_lS5_S3_lS4_T11_S3_li
                                        ; -- End function
	.set _ZL29rocblas_internal_gemmt_kernelIlLi16ELi32ELi8ELc67ELc84ELc76ELb0ELb0EfPKfS1_PfEviT_T9_T10_S3_lS5_S3_lS4_T11_S3_li.num_vgpr, 56
	.set _ZL29rocblas_internal_gemmt_kernelIlLi16ELi32ELi8ELc67ELc84ELc76ELb0ELb0EfPKfS1_PfEviT_T9_T10_S3_lS5_S3_lS4_T11_S3_li.num_agpr, 0
	.set _ZL29rocblas_internal_gemmt_kernelIlLi16ELi32ELi8ELc67ELc84ELc76ELb0ELb0EfPKfS1_PfEviT_T9_T10_S3_lS5_S3_lS4_T11_S3_li.numbered_sgpr, 34
	.set _ZL29rocblas_internal_gemmt_kernelIlLi16ELi32ELi8ELc67ELc84ELc76ELb0ELb0EfPKfS1_PfEviT_T9_T10_S3_lS5_S3_lS4_T11_S3_li.num_named_barrier, 0
	.set _ZL29rocblas_internal_gemmt_kernelIlLi16ELi32ELi8ELc67ELc84ELc76ELb0ELb0EfPKfS1_PfEviT_T9_T10_S3_lS5_S3_lS4_T11_S3_li.private_seg_size, 0
	.set _ZL29rocblas_internal_gemmt_kernelIlLi16ELi32ELi8ELc67ELc84ELc76ELb0ELb0EfPKfS1_PfEviT_T9_T10_S3_lS5_S3_lS4_T11_S3_li.uses_vcc, 1
	.set _ZL29rocblas_internal_gemmt_kernelIlLi16ELi32ELi8ELc67ELc84ELc76ELb0ELb0EfPKfS1_PfEviT_T9_T10_S3_lS5_S3_lS4_T11_S3_li.uses_flat_scratch, 0
	.set _ZL29rocblas_internal_gemmt_kernelIlLi16ELi32ELi8ELc67ELc84ELc76ELb0ELb0EfPKfS1_PfEviT_T9_T10_S3_lS5_S3_lS4_T11_S3_li.has_dyn_sized_stack, 0
	.set _ZL29rocblas_internal_gemmt_kernelIlLi16ELi32ELi8ELc67ELc84ELc76ELb0ELb0EfPKfS1_PfEviT_T9_T10_S3_lS5_S3_lS4_T11_S3_li.has_recursion, 0
	.set _ZL29rocblas_internal_gemmt_kernelIlLi16ELi32ELi8ELc67ELc84ELc76ELb0ELb0EfPKfS1_PfEviT_T9_T10_S3_lS5_S3_lS4_T11_S3_li.has_indirect_call, 0
	.section	.AMDGPU.csdata,"",@progbits
; Kernel info:
; codeLenInByte = 1856
; TotalNumSgprs: 36
; NumVgprs: 56
; ScratchSize: 0
; MemoryBound: 0
; FloatMode: 240
; IeeeMode: 1
; LDSByteSize: 2048 bytes/workgroup (compile time only)
; SGPRBlocks: 0
; VGPRBlocks: 6
; NumSGPRsForWavesPerEU: 36
; NumVGPRsForWavesPerEU: 56
; Occupancy: 16
; WaveLimiterHint : 0
; COMPUTE_PGM_RSRC2:SCRATCH_EN: 0
; COMPUTE_PGM_RSRC2:USER_SGPR: 2
; COMPUTE_PGM_RSRC2:TRAP_HANDLER: 0
; COMPUTE_PGM_RSRC2:TGID_X_EN: 1
; COMPUTE_PGM_RSRC2:TGID_Y_EN: 1
; COMPUTE_PGM_RSRC2:TGID_Z_EN: 1
; COMPUTE_PGM_RSRC2:TIDIG_COMP_CNT: 1
	.section	.text._ZL29rocblas_internal_gemmt_kernelIlLi16ELi32ELi8ELc67ELc67ELc76ELb0ELb0EfPKfS1_PfEviT_T9_T10_S3_lS5_S3_lS4_T11_S3_li,"axG",@progbits,_ZL29rocblas_internal_gemmt_kernelIlLi16ELi32ELi8ELc67ELc67ELc76ELb0ELb0EfPKfS1_PfEviT_T9_T10_S3_lS5_S3_lS4_T11_S3_li,comdat
	.globl	_ZL29rocblas_internal_gemmt_kernelIlLi16ELi32ELi8ELc67ELc67ELc76ELb0ELb0EfPKfS1_PfEviT_T9_T10_S3_lS5_S3_lS4_T11_S3_li ; -- Begin function _ZL29rocblas_internal_gemmt_kernelIlLi16ELi32ELi8ELc67ELc67ELc76ELb0ELb0EfPKfS1_PfEviT_T9_T10_S3_lS5_S3_lS4_T11_S3_li
	.p2align	8
	.type	_ZL29rocblas_internal_gemmt_kernelIlLi16ELi32ELi8ELc67ELc67ELc76ELb0ELb0EfPKfS1_PfEviT_T9_T10_S3_lS5_S3_lS4_T11_S3_li,@function
_ZL29rocblas_internal_gemmt_kernelIlLi16ELi32ELi8ELc67ELc67ELc76ELb0ELb0EfPKfS1_PfEviT_T9_T10_S3_lS5_S3_lS4_T11_S3_li: ; @_ZL29rocblas_internal_gemmt_kernelIlLi16ELi32ELi8ELc67ELc67ELc76ELb0ELb0EfPKfS1_PfEviT_T9_T10_S3_lS5_S3_lS4_T11_S3_li
; %bb.0:
	s_clause 0x1
	s_load_b256 s[24:31], s[0:1], 0x48
	s_load_b512 s[8:23], s[0:1], 0x8
	s_wait_kmcnt 0x0
	s_load_b32 s24, s[24:25], 0x0
	s_load_b32 s10, s[10:11], 0x0
	s_wait_kmcnt 0x0
	s_cmp_neq_f32 s24, 1.0
	s_cselect_b32 s2, -1, 0
	s_delay_alu instid0(SALU_CYCLE_1)
	s_and_b32 vcc_lo, exec_lo, s2
	s_cbranch_vccnz .LBB161_2
; %bb.1:
	s_cmp_lg_u64 s[8:9], 0
	s_cselect_b32 s2, -1, 0
	s_cmp_neq_f32 s10, 0
	s_cselect_b32 s3, -1, 0
	s_delay_alu instid0(SALU_CYCLE_1)
	s_and_b32 s2, s2, s3
.LBB161_2:
	s_delay_alu instid0(SALU_CYCLE_1)
	s_and_not1_b32 vcc_lo, exec_lo, s2
	s_cbranch_vccnz .LBB161_35
; %bb.3:
	s_load_b32 s11, s[0:1], 0x68
	s_lshr_b32 s6, ttmp7, 16
	s_wait_kmcnt 0x0
	s_cmp_ge_u32 s6, s11
	s_cbranch_scc1 .LBB161_35
; %bb.4:
	v_and_b32_e32 v2, 0x3ff, v0
	v_bfe_u32 v3, v0, 10, 10
	s_load_b32 s3, s[0:1], 0x0
	s_lshl_b32 s0, ttmp7, 5
	s_lshl_b32 s2, ttmp9, 5
	s_and_b32 s0, s0, 0x1fffe0
	v_lshl_add_u32 v4, v3, 4, v2
	v_add_nc_u32_e32 v11, s0, v3
	v_and_b32_e32 v12, 7, v0
	s_cmp_neq_f32 s10, 0
	v_lshl_add_u32 v21, v3, 5, 0x400
	v_lshrrev_b32_e32 v13, 5, v4
	v_mad_co_u64_u32 v[6:7], null, s28, v11, 0
	v_and_b32_e32 v5, 31, v4
	s_cselect_b32 s33, -1, 0
	s_ashr_i32 s1, s2, 31
	v_lshlrev_b32_e32 v9, 2, v12
	s_wait_alu 0xfffe
	s_mul_i32 s1, s14, s1
	v_or_b32_e32 v8, s2, v5
	v_lshrrev_b32_e32 v4, 3, v4
	v_add_nc_u32_e32 v22, 16, v11
	s_cmp_neq_f32 s24, 0
	v_cmp_gt_i64_e64 s25, s[8:9], 0
	v_mul_lo_u32 v10, s15, v8
	v_mad_co_u64_u32 v[0:1], null, s14, v8, 0
	s_mov_b32 s7, 0
	s_wait_alu 0xfffe
	v_add3_u32 v1, v1, s1, v10
	v_add_nc_u32_e32 v10, s0, v4
	v_lshl_or_b32 v4, v4, 5, v9
	s_wait_kmcnt 0x0
	v_cmp_gt_i32_e64 s0, s3, v8
	v_mad_co_u64_u32 v[8:9], null, s28, v22, 0
	v_lshlrev_b64_e32 v[0:1], 2, v[0:1]
	v_add_nc_u32_e32 v15, 0x400, v4
	v_lshlrev_b32_e32 v4, 2, v10
	v_cmp_gt_i32_e64 s1, s3, v10
	s_delay_alu instid0(VALU_DEP_4) | instskip(NEXT) | instid1(VALU_DEP_1)
	v_add_co_u32 v16, vcc_lo, s12, v0
	v_add_co_ci_u32_e64 v17, null, s13, v1, vcc_lo
	v_dual_mov_b32 v1, 0 :: v_dual_mov_b32 v0, v7
	v_add_co_u32 v18, s4, s18, v4
	v_lshlrev_b32_e32 v20, 2, v2
	v_add_nc_u32_e32 v2, s2, v2
	s_delay_alu instid0(VALU_DEP_4) | instskip(SKIP_1) | instid1(VALU_DEP_3)
	v_mad_co_u64_u32 v[3:4], null, s29, v11, v[0:1]
	v_dual_mov_b32 v0, v9 :: v_dual_lshlrev_b32 v5, 2, v5
	v_cmp_le_i32_e32 vcc_lo, v11, v2
	v_cmp_gt_i32_e64 s2, s3, v2
	v_add_nc_u32_e32 v4, 16, v2
	s_delay_alu instid0(VALU_DEP_4)
	v_mad_co_u64_u32 v[9:10], null, s29, v22, v[0:1]
	v_mov_b32_e32 v7, v3
	v_add_co_ci_u32_e64 v19, null, s19, 0, s4
	s_cselect_b32 s12, -1, 0
	s_and_b32 s13, vcc_lo, s2
	v_cmp_le_i32_e32 vcc_lo, v11, v4
	v_cmp_gt_i32_e64 s3, s3, v4
	v_cmp_le_i32_e64 s4, v22, v2
	v_cmp_le_i32_e64 s5, v22, v4
	v_lshlrev_b64_e32 v[6:7], 2, v[6:7]
	v_lshlrev_b64_e32 v[8:9], 2, v[8:9]
	v_lshl_or_b32 v14, v13, 7, v5
	v_ashrrev_i32_e32 v3, 31, v2
	v_ashrrev_i32_e32 v5, 31, v4
	s_and_b32 s14, s33, s25
	s_and_b32 s15, vcc_lo, s3
	s_and_b32 s4, s4, s2
	s_and_b32 s5, s5, s3
	s_branch .LBB161_6
.LBB161_5:                              ;   in Loop: Header=BB161_6 Depth=1
	s_wait_alu 0xfffe
	s_or_b32 exec_lo, exec_lo, s2
	s_add_co_i32 s6, s6, 0x10000
	s_delay_alu instid0(SALU_CYCLE_1)
	s_cmp_lt_u32 s6, s11
	s_cbranch_scc0 .LBB161_35
.LBB161_6:                              ; =>This Loop Header: Depth=1
                                        ;     Child Loop BB161_9 Depth 2
	v_dual_mov_b32 v11, v1 :: v_dual_mov_b32 v10, v1
	v_dual_mov_b32 v23, v1 :: v_dual_mov_b32 v22, v1
	s_wait_alu 0xfffe
	s_and_not1_b32 vcc_lo, exec_lo, s14
	s_wait_alu 0xfffe
	s_cbranch_vccnz .LBB161_15
; %bb.7:                                ;   in Loop: Header=BB161_6 Depth=1
	s_mul_u64 s[2:3], s[16:17], s[6:7]
	s_mul_u64 s[18:19], s[22:23], s[6:7]
	s_wait_alu 0xfffe
	s_lshl_b64 s[2:3], s[2:3], 2
	v_dual_mov_b32 v22, 0 :: v_dual_mov_b32 v23, 0
	s_wait_alu 0xfffe
	v_add_co_u32 v24, vcc_lo, v16, s2
	s_wait_alu 0xfffd
	v_add_co_ci_u32_e64 v25, null, s3, v17, vcc_lo
	s_lshl_b64 s[2:3], s[18:19], 2
	v_dual_mov_b32 v10, 0 :: v_dual_mov_b32 v11, 0
	s_wait_alu 0xfffe
	v_add_co_u32 v26, vcc_lo, v18, s2
	s_wait_alu 0xfffd
	v_add_co_ci_u32_e64 v27, null, s3, v19, vcc_lo
	s_mov_b64 s[2:3], 0
	s_branch .LBB161_9
.LBB161_8:                              ;   in Loop: Header=BB161_9 Depth=2
	s_wait_alu 0xfffe
	s_or_b32 exec_lo, exec_lo, s18
	s_wait_loadcnt 0x0
	ds_store_b32 v15, v29
	s_wait_dscnt 0x0
	s_barrier_signal -1
	s_barrier_wait -1
	global_inv scope:SCOPE_SE
	ds_load_b128 v[28:31], v21
	ds_load_2addr_b32 v[44:45], v20 offset1:16
	ds_load_b128 v[32:35], v21 offset:512
	ds_load_2addr_b32 v[46:47], v20 offset0:32 offset1:48
	ds_load_2addr_b32 v[48:49], v20 offset0:64 offset1:80
	ds_load_2addr_b32 v[50:51], v20 offset0:96 offset1:112
	ds_load_b128 v[36:39], v21 offset:16
	ds_load_2addr_b32 v[52:53], v20 offset0:128 offset1:144
	ds_load_b128 v[40:43], v21 offset:528
	ds_load_2addr_b32 v[54:55], v20 offset0:160 offset1:176
	s_add_nc_u64 s[2:3], s[2:3], 8
	s_wait_alu 0xfffe
	v_cmp_gt_i64_e64 s18, s[8:9], s[2:3]
	s_and_b32 vcc_lo, exec_lo, s18
	s_wait_dscnt 0x8
	v_fmac_f32_e32 v10, v45, v28
	v_fmac_f32_e32 v11, v44, v28
	s_wait_dscnt 0x7
	v_fmac_f32_e32 v22, v45, v32
	v_fmac_f32_e32 v23, v44, v32
	ds_load_2addr_b32 v[44:45], v20 offset0:192 offset1:208
	s_wait_dscnt 0x7
	v_fmac_f32_e32 v10, v47, v29
	v_fmac_f32_e32 v11, v46, v29
	;; [unrolled: 1-line block ×4, first 2 shown]
	ds_load_2addr_b32 v[28:29], v20 offset0:224 offset1:240
	s_wait_dscnt 0x7
	v_fmac_f32_e32 v10, v49, v30
	v_fmac_f32_e32 v11, v48, v30
	;; [unrolled: 1-line block ×4, first 2 shown]
	s_wait_loadcnt_dscnt 0x0
	v_fmac_f32_e32 v10, v51, v31
	v_fmac_f32_e32 v11, v50, v31
	;; [unrolled: 1-line block ×4, first 2 shown]
	s_barrier_signal -1
	v_fmac_f32_e32 v10, v53, v36
	v_fmac_f32_e32 v11, v52, v36
	;; [unrolled: 1-line block ×4, first 2 shown]
	s_barrier_wait -1
	v_fmac_f32_e32 v10, v55, v37
	v_fmac_f32_e32 v11, v54, v37
	;; [unrolled: 1-line block ×4, first 2 shown]
	global_inv scope:SCOPE_SE
	v_fmac_f32_e32 v10, v45, v38
	v_fmac_f32_e32 v11, v44, v38
	v_fmac_f32_e32 v22, v45, v42
	s_delay_alu instid0(VALU_DEP_3) | instskip(NEXT) | instid1(VALU_DEP_3)
	v_dual_fmac_f32 v23, v44, v42 :: v_dual_fmac_f32 v10, v29, v39
	v_fmac_f32_e32 v11, v28, v39
	s_delay_alu instid0(VALU_DEP_3) | instskip(NEXT) | instid1(VALU_DEP_3)
	v_fmac_f32_e32 v22, v29, v43
	v_fmac_f32_e32 v23, v28, v43
	s_wait_alu 0xfffe
	s_cbranch_vccz .LBB161_15
.LBB161_9:                              ;   Parent Loop BB161_6 Depth=1
                                        ; =>  This Inner Loop Header: Depth=2
	v_mov_b32_e32 v28, 0
	s_and_saveexec_b32 s18, s0
	s_cbranch_execz .LBB161_13
; %bb.10:                               ;   in Loop: Header=BB161_9 Depth=2
	s_wait_alu 0xfffe
	v_add_nc_u32_e32 v0, s2, v13
	v_mov_b32_e32 v28, 0
	s_mov_b32 s19, exec_lo
	s_delay_alu instid0(VALU_DEP_2)
	v_cmpx_gt_u64_e64 s[8:9], v[0:1]
	s_cbranch_execz .LBB161_12
; %bb.11:                               ;   in Loop: Header=BB161_9 Depth=2
	v_lshlrev_b64_e32 v[28:29], 2, v[0:1]
	s_delay_alu instid0(VALU_DEP_1) | instskip(SKIP_1) | instid1(VALU_DEP_2)
	v_add_co_u32 v28, vcc_lo, v24, v28
	s_wait_alu 0xfffd
	v_add_co_ci_u32_e64 v29, null, v25, v29, vcc_lo
	global_load_b32 v28, v[28:29], off
.LBB161_12:                             ;   in Loop: Header=BB161_9 Depth=2
	s_wait_alu 0xfffe
	s_or_b32 exec_lo, exec_lo, s19
.LBB161_13:                             ;   in Loop: Header=BB161_9 Depth=2
	s_wait_alu 0xfffe
	s_or_b32 exec_lo, exec_lo, s18
	v_dual_mov_b32 v29, 0 :: v_dual_add_nc_u32 v0, s2, v12
	s_wait_loadcnt 0x0
	ds_store_b32 v14, v28
	v_cmp_gt_u64_e32 vcc_lo, s[8:9], v[0:1]
	s_and_b32 s19, vcc_lo, s1
	s_wait_alu 0xfffe
	s_and_saveexec_b32 s18, s19
	s_cbranch_execz .LBB161_8
; %bb.14:                               ;   in Loop: Header=BB161_9 Depth=2
	v_mad_co_u64_u32 v[28:29], null, s20, v0, 0
	s_delay_alu instid0(VALU_DEP_1) | instskip(NEXT) | instid1(VALU_DEP_1)
	v_mad_co_u64_u32 v[29:30], null, s21, v0, v[29:30]
	v_lshlrev_b64_e32 v[28:29], 2, v[28:29]
	s_delay_alu instid0(VALU_DEP_1) | instskip(SKIP_1) | instid1(VALU_DEP_2)
	v_add_co_u32 v28, vcc_lo, v26, v28
	s_wait_alu 0xfffd
	v_add_co_ci_u32_e64 v29, null, v27, v29, vcc_lo
	global_load_b32 v29, v[28:29], off
	s_branch .LBB161_8
.LBB161_15:                             ;   in Loop: Header=BB161_6 Depth=1
	s_mul_u64 s[2:3], s[30:31], s[6:7]
	s_wait_alu 0xfffe
	s_lshl_b64 s[2:3], s[2:3], 2
	s_wait_alu 0xfffe
	s_add_nc_u64 s[2:3], s[26:27], s[2:3]
	s_wait_alu 0xfffe
	v_add_co_u32 v0, vcc_lo, s2, v6
	s_wait_alu 0xfffd
	v_add_co_ci_u32_e64 v24, null, s3, v7, vcc_lo
	s_and_saveexec_b32 s18, s13
	s_cbranch_execz .LBB161_19
; %bb.16:                               ;   in Loop: Header=BB161_6 Depth=1
	v_mul_f32_e32 v11, s10, v11
	s_and_b32 vcc_lo, exec_lo, s12
	s_wait_alu 0xfffe
	s_cbranch_vccz .LBB161_30
; %bb.17:                               ;   in Loop: Header=BB161_6 Depth=1
	v_lshlrev_b64_e32 v[25:26], 2, v[2:3]
	s_delay_alu instid0(VALU_DEP_1) | instskip(SKIP_1) | instid1(VALU_DEP_2)
	v_add_co_u32 v25, vcc_lo, v0, v25
	s_wait_alu 0xfffd
	v_add_co_ci_u32_e64 v26, null, v24, v26, vcc_lo
	global_load_b32 v27, v[25:26], off
	s_wait_loadcnt 0x0
	v_fma_f32 v27, s24, v27, v11
	global_store_b32 v[25:26], v27, off
	s_cbranch_execnz .LBB161_19
.LBB161_18:                             ;   in Loop: Header=BB161_6 Depth=1
	v_lshlrev_b64_e32 v[25:26], 2, v[2:3]
	s_delay_alu instid0(VALU_DEP_1) | instskip(SKIP_1) | instid1(VALU_DEP_2)
	v_add_co_u32 v25, vcc_lo, v0, v25
	s_wait_alu 0xfffd
	v_add_co_ci_u32_e64 v26, null, v24, v26, vcc_lo
	global_store_b32 v[25:26], v11, off
.LBB161_19:                             ;   in Loop: Header=BB161_6 Depth=1
	s_wait_alu 0xfffe
	s_or_b32 exec_lo, exec_lo, s18
	s_and_saveexec_b32 s18, s15
	s_cbranch_execz .LBB161_23
; %bb.20:                               ;   in Loop: Header=BB161_6 Depth=1
	v_mul_f32_e32 v10, s10, v10
	s_and_not1_b32 vcc_lo, exec_lo, s12
	s_wait_alu 0xfffe
	s_cbranch_vccnz .LBB161_31
; %bb.21:                               ;   in Loop: Header=BB161_6 Depth=1
	v_lshlrev_b64_e32 v[25:26], 2, v[4:5]
	s_delay_alu instid0(VALU_DEP_1) | instskip(SKIP_1) | instid1(VALU_DEP_2)
	v_add_co_u32 v25, vcc_lo, v0, v25
	s_wait_alu 0xfffd
	v_add_co_ci_u32_e64 v26, null, v24, v26, vcc_lo
	global_load_b32 v11, v[25:26], off
	s_wait_loadcnt 0x0
	v_fma_f32 v11, s24, v11, v10
	global_store_b32 v[25:26], v11, off
	s_cbranch_execnz .LBB161_23
.LBB161_22:                             ;   in Loop: Header=BB161_6 Depth=1
	v_lshlrev_b64_e32 v[25:26], 2, v[4:5]
	s_delay_alu instid0(VALU_DEP_1) | instskip(SKIP_1) | instid1(VALU_DEP_2)
	v_add_co_u32 v25, vcc_lo, v0, v25
	s_wait_alu 0xfffd
	v_add_co_ci_u32_e64 v26, null, v24, v26, vcc_lo
	global_store_b32 v[25:26], v10, off
.LBB161_23:                             ;   in Loop: Header=BB161_6 Depth=1
	s_wait_alu 0xfffe
	s_or_b32 exec_lo, exec_lo, s18
	v_add_co_u32 v0, vcc_lo, s2, v8
	s_wait_alu 0xfffd
	v_add_co_ci_u32_e64 v24, null, s3, v9, vcc_lo
	s_and_saveexec_b32 s2, s4
	s_cbranch_execz .LBB161_27
; %bb.24:                               ;   in Loop: Header=BB161_6 Depth=1
	v_lshlrev_b64_e32 v[10:11], 2, v[2:3]
	v_mul_f32_e32 v23, s10, v23
	s_and_not1_b32 vcc_lo, exec_lo, s12
	s_wait_alu 0xfffe
	s_cbranch_vccnz .LBB161_32
; %bb.25:                               ;   in Loop: Header=BB161_6 Depth=1
	s_delay_alu instid0(VALU_DEP_2)
	v_add_co_u32 v25, vcc_lo, v0, v10
	s_wait_alu 0xfffd
	v_add_co_ci_u32_e64 v26, null, v24, v11, vcc_lo
	global_load_b32 v27, v[25:26], off
	s_wait_loadcnt 0x0
	v_fma_f32 v27, s24, v27, v23
	global_store_b32 v[25:26], v27, off
	s_cbranch_execnz .LBB161_27
.LBB161_26:                             ;   in Loop: Header=BB161_6 Depth=1
	v_add_co_u32 v10, vcc_lo, v0, v10
	s_wait_alu 0xfffd
	v_add_co_ci_u32_e64 v11, null, v24, v11, vcc_lo
	global_store_b32 v[10:11], v23, off
.LBB161_27:                             ;   in Loop: Header=BB161_6 Depth=1
	s_wait_alu 0xfffe
	s_or_b32 exec_lo, exec_lo, s2
	s_and_saveexec_b32 s2, s5
	s_cbranch_execz .LBB161_5
; %bb.28:                               ;   in Loop: Header=BB161_6 Depth=1
	v_lshlrev_b64_e32 v[10:11], 2, v[4:5]
	v_mul_f32_e32 v22, s10, v22
	s_and_not1_b32 vcc_lo, exec_lo, s12
	s_wait_alu 0xfffe
	s_cbranch_vccnz .LBB161_33
; %bb.29:                               ;   in Loop: Header=BB161_6 Depth=1
	s_delay_alu instid0(VALU_DEP_2)
	v_add_co_u32 v25, vcc_lo, v0, v10
	s_wait_alu 0xfffd
	v_add_co_ci_u32_e64 v26, null, v24, v11, vcc_lo
	global_load_b32 v23, v[25:26], off
	s_wait_loadcnt 0x0
	v_fma_f32 v23, s24, v23, v22
	global_store_b32 v[25:26], v23, off
	s_cbranch_execnz .LBB161_5
	s_branch .LBB161_34
.LBB161_30:                             ;   in Loop: Header=BB161_6 Depth=1
	s_branch .LBB161_18
.LBB161_31:                             ;   in Loop: Header=BB161_6 Depth=1
	s_branch .LBB161_22
.LBB161_32:                             ;   in Loop: Header=BB161_6 Depth=1
	s_branch .LBB161_26
.LBB161_33:                             ;   in Loop: Header=BB161_6 Depth=1
.LBB161_34:                             ;   in Loop: Header=BB161_6 Depth=1
	s_delay_alu instid0(VALU_DEP_2)
	v_add_co_u32 v10, vcc_lo, v0, v10
	s_wait_alu 0xfffd
	v_add_co_ci_u32_e64 v11, null, v24, v11, vcc_lo
	global_store_b32 v[10:11], v22, off
	s_branch .LBB161_5
.LBB161_35:
	s_endpgm
	.section	.rodata,"a",@progbits
	.p2align	6, 0x0
	.amdhsa_kernel _ZL29rocblas_internal_gemmt_kernelIlLi16ELi32ELi8ELc67ELc67ELc76ELb0ELb0EfPKfS1_PfEviT_T9_T10_S3_lS5_S3_lS4_T11_S3_li
		.amdhsa_group_segment_fixed_size 2048
		.amdhsa_private_segment_fixed_size 0
		.amdhsa_kernarg_size 108
		.amdhsa_user_sgpr_count 2
		.amdhsa_user_sgpr_dispatch_ptr 0
		.amdhsa_user_sgpr_queue_ptr 0
		.amdhsa_user_sgpr_kernarg_segment_ptr 1
		.amdhsa_user_sgpr_dispatch_id 0
		.amdhsa_user_sgpr_private_segment_size 0
		.amdhsa_wavefront_size32 1
		.amdhsa_uses_dynamic_stack 0
		.amdhsa_enable_private_segment 0
		.amdhsa_system_sgpr_workgroup_id_x 1
		.amdhsa_system_sgpr_workgroup_id_y 1
		.amdhsa_system_sgpr_workgroup_id_z 1
		.amdhsa_system_sgpr_workgroup_info 0
		.amdhsa_system_vgpr_workitem_id 1
		.amdhsa_next_free_vgpr 56
		.amdhsa_next_free_sgpr 34
		.amdhsa_reserve_vcc 1
		.amdhsa_float_round_mode_32 0
		.amdhsa_float_round_mode_16_64 0
		.amdhsa_float_denorm_mode_32 3
		.amdhsa_float_denorm_mode_16_64 3
		.amdhsa_fp16_overflow 0
		.amdhsa_workgroup_processor_mode 1
		.amdhsa_memory_ordered 1
		.amdhsa_forward_progress 1
		.amdhsa_inst_pref_size 15
		.amdhsa_round_robin_scheduling 0
		.amdhsa_exception_fp_ieee_invalid_op 0
		.amdhsa_exception_fp_denorm_src 0
		.amdhsa_exception_fp_ieee_div_zero 0
		.amdhsa_exception_fp_ieee_overflow 0
		.amdhsa_exception_fp_ieee_underflow 0
		.amdhsa_exception_fp_ieee_inexact 0
		.amdhsa_exception_int_div_zero 0
	.end_amdhsa_kernel
	.section	.text._ZL29rocblas_internal_gemmt_kernelIlLi16ELi32ELi8ELc67ELc67ELc76ELb0ELb0EfPKfS1_PfEviT_T9_T10_S3_lS5_S3_lS4_T11_S3_li,"axG",@progbits,_ZL29rocblas_internal_gemmt_kernelIlLi16ELi32ELi8ELc67ELc67ELc76ELb0ELb0EfPKfS1_PfEviT_T9_T10_S3_lS5_S3_lS4_T11_S3_li,comdat
.Lfunc_end161:
	.size	_ZL29rocblas_internal_gemmt_kernelIlLi16ELi32ELi8ELc67ELc67ELc76ELb0ELb0EfPKfS1_PfEviT_T9_T10_S3_lS5_S3_lS4_T11_S3_li, .Lfunc_end161-_ZL29rocblas_internal_gemmt_kernelIlLi16ELi32ELi8ELc67ELc67ELc76ELb0ELb0EfPKfS1_PfEviT_T9_T10_S3_lS5_S3_lS4_T11_S3_li
                                        ; -- End function
	.set _ZL29rocblas_internal_gemmt_kernelIlLi16ELi32ELi8ELc67ELc67ELc76ELb0ELb0EfPKfS1_PfEviT_T9_T10_S3_lS5_S3_lS4_T11_S3_li.num_vgpr, 56
	.set _ZL29rocblas_internal_gemmt_kernelIlLi16ELi32ELi8ELc67ELc67ELc76ELb0ELb0EfPKfS1_PfEviT_T9_T10_S3_lS5_S3_lS4_T11_S3_li.num_agpr, 0
	.set _ZL29rocblas_internal_gemmt_kernelIlLi16ELi32ELi8ELc67ELc67ELc76ELb0ELb0EfPKfS1_PfEviT_T9_T10_S3_lS5_S3_lS4_T11_S3_li.numbered_sgpr, 34
	.set _ZL29rocblas_internal_gemmt_kernelIlLi16ELi32ELi8ELc67ELc67ELc76ELb0ELb0EfPKfS1_PfEviT_T9_T10_S3_lS5_S3_lS4_T11_S3_li.num_named_barrier, 0
	.set _ZL29rocblas_internal_gemmt_kernelIlLi16ELi32ELi8ELc67ELc67ELc76ELb0ELb0EfPKfS1_PfEviT_T9_T10_S3_lS5_S3_lS4_T11_S3_li.private_seg_size, 0
	.set _ZL29rocblas_internal_gemmt_kernelIlLi16ELi32ELi8ELc67ELc67ELc76ELb0ELb0EfPKfS1_PfEviT_T9_T10_S3_lS5_S3_lS4_T11_S3_li.uses_vcc, 1
	.set _ZL29rocblas_internal_gemmt_kernelIlLi16ELi32ELi8ELc67ELc67ELc76ELb0ELb0EfPKfS1_PfEviT_T9_T10_S3_lS5_S3_lS4_T11_S3_li.uses_flat_scratch, 0
	.set _ZL29rocblas_internal_gemmt_kernelIlLi16ELi32ELi8ELc67ELc67ELc76ELb0ELb0EfPKfS1_PfEviT_T9_T10_S3_lS5_S3_lS4_T11_S3_li.has_dyn_sized_stack, 0
	.set _ZL29rocblas_internal_gemmt_kernelIlLi16ELi32ELi8ELc67ELc67ELc76ELb0ELb0EfPKfS1_PfEviT_T9_T10_S3_lS5_S3_lS4_T11_S3_li.has_recursion, 0
	.set _ZL29rocblas_internal_gemmt_kernelIlLi16ELi32ELi8ELc67ELc67ELc76ELb0ELb0EfPKfS1_PfEviT_T9_T10_S3_lS5_S3_lS4_T11_S3_li.has_indirect_call, 0
	.section	.AMDGPU.csdata,"",@progbits
; Kernel info:
; codeLenInByte = 1856
; TotalNumSgprs: 36
; NumVgprs: 56
; ScratchSize: 0
; MemoryBound: 0
; FloatMode: 240
; IeeeMode: 1
; LDSByteSize: 2048 bytes/workgroup (compile time only)
; SGPRBlocks: 0
; VGPRBlocks: 6
; NumSGPRsForWavesPerEU: 36
; NumVGPRsForWavesPerEU: 56
; Occupancy: 16
; WaveLimiterHint : 0
; COMPUTE_PGM_RSRC2:SCRATCH_EN: 0
; COMPUTE_PGM_RSRC2:USER_SGPR: 2
; COMPUTE_PGM_RSRC2:TRAP_HANDLER: 0
; COMPUTE_PGM_RSRC2:TGID_X_EN: 1
; COMPUTE_PGM_RSRC2:TGID_Y_EN: 1
; COMPUTE_PGM_RSRC2:TGID_Z_EN: 1
; COMPUTE_PGM_RSRC2:TIDIG_COMP_CNT: 1
	.section	.text._ZL29rocblas_internal_gemmt_kernelIlLi16ELi32ELi8ELc78ELc78ELc85ELb0ELb0EffPKfPfEviT_T9_T10_S3_lS5_S3_lS4_T11_S3_li,"axG",@progbits,_ZL29rocblas_internal_gemmt_kernelIlLi16ELi32ELi8ELc78ELc78ELc85ELb0ELb0EffPKfPfEviT_T9_T10_S3_lS5_S3_lS4_T11_S3_li,comdat
	.globl	_ZL29rocblas_internal_gemmt_kernelIlLi16ELi32ELi8ELc78ELc78ELc85ELb0ELb0EffPKfPfEviT_T9_T10_S3_lS5_S3_lS4_T11_S3_li ; -- Begin function _ZL29rocblas_internal_gemmt_kernelIlLi16ELi32ELi8ELc78ELc78ELc85ELb0ELb0EffPKfPfEviT_T9_T10_S3_lS5_S3_lS4_T11_S3_li
	.p2align	8
	.type	_ZL29rocblas_internal_gemmt_kernelIlLi16ELi32ELi8ELc78ELc78ELc85ELb0ELb0EffPKfPfEviT_T9_T10_S3_lS5_S3_lS4_T11_S3_li,@function
_ZL29rocblas_internal_gemmt_kernelIlLi16ELi32ELi8ELc78ELc78ELc85ELb0ELb0EffPKfPfEviT_T9_T10_S3_lS5_S3_lS4_T11_S3_li: ; @_ZL29rocblas_internal_gemmt_kernelIlLi16ELi32ELi8ELc78ELc78ELc85ELb0ELb0EffPKfPfEviT_T9_T10_S3_lS5_S3_lS4_T11_S3_li
; %bb.0:
	s_clause 0x1
	s_load_b32 s23, s[0:1], 0x48
	s_load_b96 s[20:22], s[0:1], 0x8
	s_wait_kmcnt 0x0
	s_cmp_neq_f32 s23, 1.0
	s_cselect_b32 s2, -1, 0
	s_delay_alu instid0(SALU_CYCLE_1)
	s_and_b32 vcc_lo, exec_lo, s2
	s_cbranch_vccnz .LBB162_2
; %bb.1:
	s_cmp_lg_u64 s[20:21], 0
	s_cselect_b32 s2, -1, 0
	s_cmp_neq_f32 s22, 0
	s_cselect_b32 s3, -1, 0
	s_delay_alu instid0(SALU_CYCLE_1)
	s_and_b32 s2, s2, s3
.LBB162_2:
	s_delay_alu instid0(SALU_CYCLE_1)
	s_and_not1_b32 vcc_lo, exec_lo, s2
	s_cbranch_vccnz .LBB162_35
; %bb.3:
	s_load_b32 s28, s[0:1], 0x68
	s_lshr_b32 s24, ttmp7, 16
	s_wait_kmcnt 0x0
	s_cmp_ge_u32 s24, s28
	s_cbranch_scc1 .LBB162_35
; %bb.4:
	v_and_b32_e32 v10, 0x3ff, v0
	v_bfe_u32 v11, v0, 10, 10
	s_clause 0x1
	s_load_b128 s[12:15], s[0:1], 0x38
	s_load_b64 s[26:27], s[0:1], 0x60
	s_lshl_b32 s2, ttmp7, 5
	s_clause 0x2
	s_load_b32 s3, s[0:1], 0x0
	s_load_b256 s[4:11], s[0:1], 0x18
	s_load_b128 s[16:19], s[0:1], 0x50
	v_lshl_add_u32 v2, v11, 4, v10
	s_and_b32 s0, s2, 0x1fffe0
	v_and_b32_e32 v12, 7, v0
	s_lshl_b32 s2, ttmp9, 5
	v_add_nc_u32_e32 v22, s0, v11
	v_lshrrev_b32_e32 v3, 3, v2
	v_and_b32_e32 v5, 31, v2
	v_lshlrev_b32_e32 v4, 2, v12
	v_lshrrev_b32_e32 v14, 5, v2
	v_add_nc_u32_e32 v23, 16, v22
	v_add_nc_u32_e32 v8, s0, v3
	v_or_b32_e32 v2, s2, v5
	v_lshlrev_b32_e32 v9, 2, v5
	v_lshl_or_b32 v16, v3, 5, v4
	s_cmp_neq_f32 s22, 0
	v_cmp_gt_i64_e64 s29, s[20:21], 0
	s_wait_kmcnt 0x0
	v_mad_co_u64_u32 v[0:1], null, s12, v8, 0
	v_ashrrev_i32_e32 v3, 31, v2
	v_mad_co_u64_u32 v[6:7], null, s18, v22, 0
	v_cmp_gt_i32_e64 s0, s3, v2
	v_lshl_or_b32 v15, v14, 7, v9
	s_cselect_b32 s12, -1, 0
	v_mad_co_u64_u32 v[4:5], null, s13, v8, v[1:2]
	v_lshlrev_b64_e32 v[2:3], 2, v[2:3]
	s_cmp_neq_f32 s23, 0
	v_add_nc_u32_e32 v16, 0x400, v16
	v_lshl_add_u32 v21, v11, 5, 0x400
	s_mov_b32 s25, 0
	s_delay_alu instid0(VALU_DEP_4) | instskip(SKIP_2) | instid1(VALU_DEP_3)
	v_mov_b32_e32 v1, v4
	v_dual_mov_b32 v4, v7 :: v_dual_lshlrev_b32 v13, 2, v10
	v_add_co_u32 v17, vcc_lo, s4, v2
	v_lshlrev_b64_e32 v[0:1], 2, v[0:1]
	v_add_co_ci_u32_e64 v18, null, s5, v3, vcc_lo
	s_delay_alu instid0(VALU_DEP_2) | instskip(SKIP_1) | instid1(VALU_DEP_3)
	v_add_co_u32 v19, vcc_lo, s10, v0
	s_wait_alu 0xfffd
	v_add_co_ci_u32_e64 v20, null, s11, v1, vcc_lo
	v_mad_co_u64_u32 v[1:2], null, s19, v22, v[4:5]
	v_add_nc_u32_e32 v0, s2, v10
	s_cselect_b32 s10, -1, 0
	s_wait_alu 0xfffe
	s_and_b32 s12, s12, s29
	s_delay_alu instid0(VALU_DEP_1) | instskip(SKIP_3) | instid1(VALU_DEP_4)
	v_dual_mov_b32 v7, v1 :: v_dual_add_nc_u32 v2, 16, v0
	v_cmp_gt_i32_e64 s1, s3, v8
	v_mad_co_u64_u32 v[8:9], null, s18, v23, 0
	v_cmp_le_i32_e64 s4, v0, v23
	v_cmp_le_i32_e64 s5, v2, v23
	v_lshlrev_b64_e32 v[6:7], 2, v[6:7]
	v_ashrrev_i32_e32 v1, 31, v0
	v_mov_b32_e32 v3, v9
	s_delay_alu instid0(VALU_DEP_1) | instskip(SKIP_2) | instid1(VALU_DEP_3)
	v_mad_co_u64_u32 v[4:5], null, s19, v23, v[3:4]
	v_ashrrev_i32_e32 v3, 31, v2
	v_mov_b32_e32 v5, 0
	v_mov_b32_e32 v9, v4
	v_cmp_gt_i32_e32 vcc_lo, s3, v22
	v_cmp_le_i32_e64 s2, v0, v22
	v_cmp_gt_i32_e64 s3, s3, v23
	s_delay_alu instid0(VALU_DEP_4)
	v_lshlrev_b64_e32 v[8:9], 2, v[8:9]
	s_and_b32 s11, vcc_lo, s2
	v_cmp_le_i32_e64 s2, v2, v22
	s_and_b32 s4, s3, s4
	s_and_b32 s5, s3, s5
	s_and_b32 s13, vcc_lo, s2
	s_branch .LBB162_6
.LBB162_5:                              ;   in Loop: Header=BB162_6 Depth=1
	s_wait_alu 0xfffe
	s_or_b32 exec_lo, exec_lo, s2
	s_add_co_i32 s24, s24, 0x10000
	s_delay_alu instid0(SALU_CYCLE_1)
	s_cmp_lt_u32 s24, s28
	s_cbranch_scc0 .LBB162_35
.LBB162_6:                              ; =>This Loop Header: Depth=1
                                        ;     Child Loop BB162_9 Depth 2
	v_dual_mov_b32 v11, v5 :: v_dual_mov_b32 v10, v5
	v_dual_mov_b32 v23, v5 :: v_dual_mov_b32 v22, v5
	s_wait_alu 0xfffe
	s_and_not1_b32 vcc_lo, exec_lo, s12
	s_wait_alu 0xfffe
	s_cbranch_vccnz .LBB162_15
; %bb.7:                                ;   in Loop: Header=BB162_6 Depth=1
	s_mul_u64 s[2:3], s[8:9], s[24:25]
	s_mul_u64 s[18:19], s[14:15], s[24:25]
	s_wait_alu 0xfffe
	s_lshl_b64 s[2:3], s[2:3], 2
	v_dual_mov_b32 v22, 0 :: v_dual_mov_b32 v23, 0
	s_wait_alu 0xfffe
	v_add_co_u32 v24, vcc_lo, v17, s2
	s_wait_alu 0xfffd
	v_add_co_ci_u32_e64 v25, null, s3, v18, vcc_lo
	s_lshl_b64 s[2:3], s[18:19], 2
	v_dual_mov_b32 v10, 0 :: v_dual_mov_b32 v11, 0
	s_wait_alu 0xfffe
	v_add_co_u32 v26, vcc_lo, v19, s2
	s_wait_alu 0xfffd
	v_add_co_ci_u32_e64 v27, null, s3, v20, vcc_lo
	s_mov_b64 s[2:3], 0
	s_branch .LBB162_9
.LBB162_8:                              ;   in Loop: Header=BB162_9 Depth=2
	s_wait_alu 0xfffe
	s_or_b32 exec_lo, exec_lo, s18
	s_wait_loadcnt 0x0
	ds_store_b32 v16, v29
	s_wait_dscnt 0x0
	s_barrier_signal -1
	s_barrier_wait -1
	global_inv scope:SCOPE_SE
	ds_load_b128 v[28:31], v21
	ds_load_2addr_b32 v[44:45], v13 offset1:16
	ds_load_b128 v[32:35], v21 offset:512
	ds_load_2addr_b32 v[46:47], v13 offset0:32 offset1:48
	ds_load_2addr_b32 v[48:49], v13 offset0:64 offset1:80
	;; [unrolled: 1-line block ×3, first 2 shown]
	ds_load_b128 v[36:39], v21 offset:16
	ds_load_2addr_b32 v[52:53], v13 offset0:128 offset1:144
	ds_load_b128 v[40:43], v21 offset:528
	ds_load_2addr_b32 v[54:55], v13 offset0:160 offset1:176
	s_add_nc_u64 s[2:3], s[2:3], 8
	s_wait_alu 0xfffe
	v_cmp_gt_i64_e64 s18, s[20:21], s[2:3]
	s_and_b32 vcc_lo, exec_lo, s18
	s_wait_dscnt 0x8
	v_fmac_f32_e32 v10, v45, v28
	v_fmac_f32_e32 v11, v44, v28
	s_wait_dscnt 0x7
	v_fmac_f32_e32 v22, v45, v32
	v_fmac_f32_e32 v23, v44, v32
	ds_load_2addr_b32 v[44:45], v13 offset0:192 offset1:208
	s_wait_dscnt 0x7
	v_fmac_f32_e32 v10, v47, v29
	v_fmac_f32_e32 v11, v46, v29
	;; [unrolled: 1-line block ×4, first 2 shown]
	ds_load_2addr_b32 v[28:29], v13 offset0:224 offset1:240
	s_wait_dscnt 0x7
	v_fmac_f32_e32 v10, v49, v30
	v_fmac_f32_e32 v11, v48, v30
	v_fmac_f32_e32 v22, v49, v34
	v_fmac_f32_e32 v23, v48, v34
	s_wait_loadcnt_dscnt 0x0
	v_fmac_f32_e32 v10, v51, v31
	v_fmac_f32_e32 v11, v50, v31
	v_fmac_f32_e32 v22, v51, v35
	v_fmac_f32_e32 v23, v50, v35
	s_barrier_signal -1
	v_fmac_f32_e32 v10, v53, v36
	v_fmac_f32_e32 v11, v52, v36
	;; [unrolled: 1-line block ×4, first 2 shown]
	s_barrier_wait -1
	v_fmac_f32_e32 v10, v55, v37
	v_fmac_f32_e32 v11, v54, v37
	;; [unrolled: 1-line block ×4, first 2 shown]
	global_inv scope:SCOPE_SE
	v_fmac_f32_e32 v10, v45, v38
	v_fmac_f32_e32 v11, v44, v38
	;; [unrolled: 1-line block ×3, first 2 shown]
	s_delay_alu instid0(VALU_DEP_3) | instskip(NEXT) | instid1(VALU_DEP_3)
	v_dual_fmac_f32 v23, v44, v42 :: v_dual_fmac_f32 v10, v29, v39
	v_fmac_f32_e32 v11, v28, v39
	s_delay_alu instid0(VALU_DEP_3) | instskip(NEXT) | instid1(VALU_DEP_3)
	v_fmac_f32_e32 v22, v29, v43
	v_fmac_f32_e32 v23, v28, v43
	s_wait_alu 0xfffe
	s_cbranch_vccz .LBB162_15
.LBB162_9:                              ;   Parent Loop BB162_6 Depth=1
                                        ; =>  This Inner Loop Header: Depth=2
	v_mov_b32_e32 v28, 0
	s_and_saveexec_b32 s18, s0
	s_cbranch_execz .LBB162_13
; %bb.10:                               ;   in Loop: Header=BB162_9 Depth=2
	s_wait_alu 0xfffe
	v_add_nc_u32_e32 v4, s2, v14
	v_mov_b32_e32 v28, 0
	s_mov_b32 s19, exec_lo
	s_delay_alu instid0(VALU_DEP_2)
	v_cmpx_gt_u64_e64 s[20:21], v[4:5]
	s_cbranch_execz .LBB162_12
; %bb.11:                               ;   in Loop: Header=BB162_9 Depth=2
	v_mad_co_u64_u32 v[28:29], null, s6, v4, 0
	s_delay_alu instid0(VALU_DEP_1) | instskip(NEXT) | instid1(VALU_DEP_1)
	v_mad_co_u64_u32 v[29:30], null, s7, v4, v[29:30]
	v_lshlrev_b64_e32 v[28:29], 2, v[28:29]
	s_delay_alu instid0(VALU_DEP_1) | instskip(SKIP_1) | instid1(VALU_DEP_2)
	v_add_co_u32 v28, vcc_lo, v24, v28
	s_wait_alu 0xfffd
	v_add_co_ci_u32_e64 v29, null, v25, v29, vcc_lo
	global_load_b32 v28, v[28:29], off
.LBB162_12:                             ;   in Loop: Header=BB162_9 Depth=2
	s_wait_alu 0xfffe
	s_or_b32 exec_lo, exec_lo, s19
.LBB162_13:                             ;   in Loop: Header=BB162_9 Depth=2
	s_wait_alu 0xfffe
	s_or_b32 exec_lo, exec_lo, s18
	v_dual_mov_b32 v29, 0 :: v_dual_add_nc_u32 v4, s2, v12
	s_wait_loadcnt 0x0
	ds_store_b32 v15, v28
	v_cmp_gt_u64_e32 vcc_lo, s[20:21], v[4:5]
	s_and_b32 s19, vcc_lo, s1
	s_wait_alu 0xfffe
	s_and_saveexec_b32 s18, s19
	s_cbranch_execz .LBB162_8
; %bb.14:                               ;   in Loop: Header=BB162_9 Depth=2
	v_lshlrev_b64_e32 v[28:29], 2, v[4:5]
	s_delay_alu instid0(VALU_DEP_1) | instskip(SKIP_1) | instid1(VALU_DEP_2)
	v_add_co_u32 v28, vcc_lo, v26, v28
	s_wait_alu 0xfffd
	v_add_co_ci_u32_e64 v29, null, v27, v29, vcc_lo
	global_load_b32 v29, v[28:29], off
	s_branch .LBB162_8
.LBB162_15:                             ;   in Loop: Header=BB162_6 Depth=1
	s_mul_u64 s[2:3], s[26:27], s[24:25]
	s_wait_alu 0xfffe
	s_lshl_b64 s[2:3], s[2:3], 2
	s_wait_alu 0xfffe
	s_add_nc_u64 s[2:3], s[16:17], s[2:3]
	s_wait_alu 0xfffe
	v_add_co_u32 v4, vcc_lo, s2, v6
	s_wait_alu 0xfffd
	v_add_co_ci_u32_e64 v24, null, s3, v7, vcc_lo
	s_and_saveexec_b32 s18, s11
	s_cbranch_execz .LBB162_19
; %bb.16:                               ;   in Loop: Header=BB162_6 Depth=1
	v_mul_f32_e32 v11, s22, v11
	s_and_b32 vcc_lo, exec_lo, s10
	s_wait_alu 0xfffe
	s_cbranch_vccz .LBB162_30
; %bb.17:                               ;   in Loop: Header=BB162_6 Depth=1
	v_lshlrev_b64_e32 v[25:26], 2, v[0:1]
	s_delay_alu instid0(VALU_DEP_1) | instskip(SKIP_1) | instid1(VALU_DEP_2)
	v_add_co_u32 v25, vcc_lo, v4, v25
	s_wait_alu 0xfffd
	v_add_co_ci_u32_e64 v26, null, v24, v26, vcc_lo
	global_load_b32 v27, v[25:26], off
	s_wait_loadcnt 0x0
	v_fma_f32 v27, s23, v27, v11
	global_store_b32 v[25:26], v27, off
	s_cbranch_execnz .LBB162_19
.LBB162_18:                             ;   in Loop: Header=BB162_6 Depth=1
	v_lshlrev_b64_e32 v[25:26], 2, v[0:1]
	s_delay_alu instid0(VALU_DEP_1) | instskip(SKIP_1) | instid1(VALU_DEP_2)
	v_add_co_u32 v25, vcc_lo, v4, v25
	s_wait_alu 0xfffd
	v_add_co_ci_u32_e64 v26, null, v24, v26, vcc_lo
	global_store_b32 v[25:26], v11, off
.LBB162_19:                             ;   in Loop: Header=BB162_6 Depth=1
	s_wait_alu 0xfffe
	s_or_b32 exec_lo, exec_lo, s18
	s_and_saveexec_b32 s18, s13
	s_cbranch_execz .LBB162_23
; %bb.20:                               ;   in Loop: Header=BB162_6 Depth=1
	v_mul_f32_e32 v10, s22, v10
	s_and_not1_b32 vcc_lo, exec_lo, s10
	s_wait_alu 0xfffe
	s_cbranch_vccnz .LBB162_31
; %bb.21:                               ;   in Loop: Header=BB162_6 Depth=1
	v_lshlrev_b64_e32 v[25:26], 2, v[2:3]
	s_delay_alu instid0(VALU_DEP_1) | instskip(SKIP_1) | instid1(VALU_DEP_2)
	v_add_co_u32 v25, vcc_lo, v4, v25
	s_wait_alu 0xfffd
	v_add_co_ci_u32_e64 v26, null, v24, v26, vcc_lo
	global_load_b32 v11, v[25:26], off
	s_wait_loadcnt 0x0
	v_fma_f32 v11, s23, v11, v10
	global_store_b32 v[25:26], v11, off
	s_cbranch_execnz .LBB162_23
.LBB162_22:                             ;   in Loop: Header=BB162_6 Depth=1
	v_lshlrev_b64_e32 v[25:26], 2, v[2:3]
	s_delay_alu instid0(VALU_DEP_1) | instskip(SKIP_1) | instid1(VALU_DEP_2)
	v_add_co_u32 v25, vcc_lo, v4, v25
	s_wait_alu 0xfffd
	v_add_co_ci_u32_e64 v26, null, v24, v26, vcc_lo
	global_store_b32 v[25:26], v10, off
.LBB162_23:                             ;   in Loop: Header=BB162_6 Depth=1
	s_wait_alu 0xfffe
	s_or_b32 exec_lo, exec_lo, s18
	v_add_co_u32 v4, vcc_lo, s2, v8
	s_wait_alu 0xfffd
	v_add_co_ci_u32_e64 v24, null, s3, v9, vcc_lo
	s_and_saveexec_b32 s2, s4
	s_cbranch_execz .LBB162_27
; %bb.24:                               ;   in Loop: Header=BB162_6 Depth=1
	v_lshlrev_b64_e32 v[10:11], 2, v[0:1]
	v_mul_f32_e32 v23, s22, v23
	s_and_not1_b32 vcc_lo, exec_lo, s10
	s_wait_alu 0xfffe
	s_cbranch_vccnz .LBB162_32
; %bb.25:                               ;   in Loop: Header=BB162_6 Depth=1
	s_delay_alu instid0(VALU_DEP_2)
	v_add_co_u32 v25, vcc_lo, v4, v10
	s_wait_alu 0xfffd
	v_add_co_ci_u32_e64 v26, null, v24, v11, vcc_lo
	global_load_b32 v27, v[25:26], off
	s_wait_loadcnt 0x0
	v_fma_f32 v27, s23, v27, v23
	global_store_b32 v[25:26], v27, off
	s_cbranch_execnz .LBB162_27
.LBB162_26:                             ;   in Loop: Header=BB162_6 Depth=1
	v_add_co_u32 v10, vcc_lo, v4, v10
	s_wait_alu 0xfffd
	v_add_co_ci_u32_e64 v11, null, v24, v11, vcc_lo
	global_store_b32 v[10:11], v23, off
.LBB162_27:                             ;   in Loop: Header=BB162_6 Depth=1
	s_wait_alu 0xfffe
	s_or_b32 exec_lo, exec_lo, s2
	s_and_saveexec_b32 s2, s5
	s_cbranch_execz .LBB162_5
; %bb.28:                               ;   in Loop: Header=BB162_6 Depth=1
	v_lshlrev_b64_e32 v[10:11], 2, v[2:3]
	v_mul_f32_e32 v22, s22, v22
	s_and_not1_b32 vcc_lo, exec_lo, s10
	s_wait_alu 0xfffe
	s_cbranch_vccnz .LBB162_33
; %bb.29:                               ;   in Loop: Header=BB162_6 Depth=1
	s_delay_alu instid0(VALU_DEP_2)
	v_add_co_u32 v25, vcc_lo, v4, v10
	s_wait_alu 0xfffd
	v_add_co_ci_u32_e64 v26, null, v24, v11, vcc_lo
	global_load_b32 v23, v[25:26], off
	s_wait_loadcnt 0x0
	v_fma_f32 v23, s23, v23, v22
	global_store_b32 v[25:26], v23, off
	s_cbranch_execnz .LBB162_5
	s_branch .LBB162_34
.LBB162_30:                             ;   in Loop: Header=BB162_6 Depth=1
	s_branch .LBB162_18
.LBB162_31:                             ;   in Loop: Header=BB162_6 Depth=1
	s_branch .LBB162_22
.LBB162_32:                             ;   in Loop: Header=BB162_6 Depth=1
	s_branch .LBB162_26
.LBB162_33:                             ;   in Loop: Header=BB162_6 Depth=1
.LBB162_34:                             ;   in Loop: Header=BB162_6 Depth=1
	s_delay_alu instid0(VALU_DEP_2)
	v_add_co_u32 v10, vcc_lo, v4, v10
	s_wait_alu 0xfffd
	v_add_co_ci_u32_e64 v11, null, v24, v11, vcc_lo
	global_store_b32 v[10:11], v22, off
	s_branch .LBB162_5
.LBB162_35:
	s_endpgm
	.section	.rodata,"a",@progbits
	.p2align	6, 0x0
	.amdhsa_kernel _ZL29rocblas_internal_gemmt_kernelIlLi16ELi32ELi8ELc78ELc78ELc85ELb0ELb0EffPKfPfEviT_T9_T10_S3_lS5_S3_lS4_T11_S3_li
		.amdhsa_group_segment_fixed_size 2048
		.amdhsa_private_segment_fixed_size 0
		.amdhsa_kernarg_size 108
		.amdhsa_user_sgpr_count 2
		.amdhsa_user_sgpr_dispatch_ptr 0
		.amdhsa_user_sgpr_queue_ptr 0
		.amdhsa_user_sgpr_kernarg_segment_ptr 1
		.amdhsa_user_sgpr_dispatch_id 0
		.amdhsa_user_sgpr_private_segment_size 0
		.amdhsa_wavefront_size32 1
		.amdhsa_uses_dynamic_stack 0
		.amdhsa_enable_private_segment 0
		.amdhsa_system_sgpr_workgroup_id_x 1
		.amdhsa_system_sgpr_workgroup_id_y 1
		.amdhsa_system_sgpr_workgroup_id_z 1
		.amdhsa_system_sgpr_workgroup_info 0
		.amdhsa_system_vgpr_workitem_id 1
		.amdhsa_next_free_vgpr 56
		.amdhsa_next_free_sgpr 30
		.amdhsa_reserve_vcc 1
		.amdhsa_float_round_mode_32 0
		.amdhsa_float_round_mode_16_64 0
		.amdhsa_float_denorm_mode_32 3
		.amdhsa_float_denorm_mode_16_64 3
		.amdhsa_fp16_overflow 0
		.amdhsa_workgroup_processor_mode 1
		.amdhsa_memory_ordered 1
		.amdhsa_forward_progress 1
		.amdhsa_inst_pref_size 15
		.amdhsa_round_robin_scheduling 0
		.amdhsa_exception_fp_ieee_invalid_op 0
		.amdhsa_exception_fp_denorm_src 0
		.amdhsa_exception_fp_ieee_div_zero 0
		.amdhsa_exception_fp_ieee_overflow 0
		.amdhsa_exception_fp_ieee_underflow 0
		.amdhsa_exception_fp_ieee_inexact 0
		.amdhsa_exception_int_div_zero 0
	.end_amdhsa_kernel
	.section	.text._ZL29rocblas_internal_gemmt_kernelIlLi16ELi32ELi8ELc78ELc78ELc85ELb0ELb0EffPKfPfEviT_T9_T10_S3_lS5_S3_lS4_T11_S3_li,"axG",@progbits,_ZL29rocblas_internal_gemmt_kernelIlLi16ELi32ELi8ELc78ELc78ELc85ELb0ELb0EffPKfPfEviT_T9_T10_S3_lS5_S3_lS4_T11_S3_li,comdat
.Lfunc_end162:
	.size	_ZL29rocblas_internal_gemmt_kernelIlLi16ELi32ELi8ELc78ELc78ELc85ELb0ELb0EffPKfPfEviT_T9_T10_S3_lS5_S3_lS4_T11_S3_li, .Lfunc_end162-_ZL29rocblas_internal_gemmt_kernelIlLi16ELi32ELi8ELc78ELc78ELc85ELb0ELb0EffPKfPfEviT_T9_T10_S3_lS5_S3_lS4_T11_S3_li
                                        ; -- End function
	.set _ZL29rocblas_internal_gemmt_kernelIlLi16ELi32ELi8ELc78ELc78ELc85ELb0ELb0EffPKfPfEviT_T9_T10_S3_lS5_S3_lS4_T11_S3_li.num_vgpr, 56
	.set _ZL29rocblas_internal_gemmt_kernelIlLi16ELi32ELi8ELc78ELc78ELc85ELb0ELb0EffPKfPfEviT_T9_T10_S3_lS5_S3_lS4_T11_S3_li.num_agpr, 0
	.set _ZL29rocblas_internal_gemmt_kernelIlLi16ELi32ELi8ELc78ELc78ELc85ELb0ELb0EffPKfPfEviT_T9_T10_S3_lS5_S3_lS4_T11_S3_li.numbered_sgpr, 30
	.set _ZL29rocblas_internal_gemmt_kernelIlLi16ELi32ELi8ELc78ELc78ELc85ELb0ELb0EffPKfPfEviT_T9_T10_S3_lS5_S3_lS4_T11_S3_li.num_named_barrier, 0
	.set _ZL29rocblas_internal_gemmt_kernelIlLi16ELi32ELi8ELc78ELc78ELc85ELb0ELb0EffPKfPfEviT_T9_T10_S3_lS5_S3_lS4_T11_S3_li.private_seg_size, 0
	.set _ZL29rocblas_internal_gemmt_kernelIlLi16ELi32ELi8ELc78ELc78ELc85ELb0ELb0EffPKfPfEviT_T9_T10_S3_lS5_S3_lS4_T11_S3_li.uses_vcc, 1
	.set _ZL29rocblas_internal_gemmt_kernelIlLi16ELi32ELi8ELc78ELc78ELc85ELb0ELb0EffPKfPfEviT_T9_T10_S3_lS5_S3_lS4_T11_S3_li.uses_flat_scratch, 0
	.set _ZL29rocblas_internal_gemmt_kernelIlLi16ELi32ELi8ELc78ELc78ELc85ELb0ELb0EffPKfPfEviT_T9_T10_S3_lS5_S3_lS4_T11_S3_li.has_dyn_sized_stack, 0
	.set _ZL29rocblas_internal_gemmt_kernelIlLi16ELi32ELi8ELc78ELc78ELc85ELb0ELb0EffPKfPfEviT_T9_T10_S3_lS5_S3_lS4_T11_S3_li.has_recursion, 0
	.set _ZL29rocblas_internal_gemmt_kernelIlLi16ELi32ELi8ELc78ELc78ELc85ELb0ELb0EffPKfPfEviT_T9_T10_S3_lS5_S3_lS4_T11_S3_li.has_indirect_call, 0
	.section	.AMDGPU.csdata,"",@progbits
; Kernel info:
; codeLenInByte = 1884
; TotalNumSgprs: 32
; NumVgprs: 56
; ScratchSize: 0
; MemoryBound: 0
; FloatMode: 240
; IeeeMode: 1
; LDSByteSize: 2048 bytes/workgroup (compile time only)
; SGPRBlocks: 0
; VGPRBlocks: 6
; NumSGPRsForWavesPerEU: 32
; NumVGPRsForWavesPerEU: 56
; Occupancy: 16
; WaveLimiterHint : 0
; COMPUTE_PGM_RSRC2:SCRATCH_EN: 0
; COMPUTE_PGM_RSRC2:USER_SGPR: 2
; COMPUTE_PGM_RSRC2:TRAP_HANDLER: 0
; COMPUTE_PGM_RSRC2:TGID_X_EN: 1
; COMPUTE_PGM_RSRC2:TGID_Y_EN: 1
; COMPUTE_PGM_RSRC2:TGID_Z_EN: 1
; COMPUTE_PGM_RSRC2:TIDIG_COMP_CNT: 1
	.section	.text._ZL29rocblas_internal_gemmt_kernelIlLi16ELi32ELi8ELc78ELc84ELc85ELb0ELb0EffPKfPfEviT_T9_T10_S3_lS5_S3_lS4_T11_S3_li,"axG",@progbits,_ZL29rocblas_internal_gemmt_kernelIlLi16ELi32ELi8ELc78ELc84ELc85ELb0ELb0EffPKfPfEviT_T9_T10_S3_lS5_S3_lS4_T11_S3_li,comdat
	.globl	_ZL29rocblas_internal_gemmt_kernelIlLi16ELi32ELi8ELc78ELc84ELc85ELb0ELb0EffPKfPfEviT_T9_T10_S3_lS5_S3_lS4_T11_S3_li ; -- Begin function _ZL29rocblas_internal_gemmt_kernelIlLi16ELi32ELi8ELc78ELc84ELc85ELb0ELb0EffPKfPfEviT_T9_T10_S3_lS5_S3_lS4_T11_S3_li
	.p2align	8
	.type	_ZL29rocblas_internal_gemmt_kernelIlLi16ELi32ELi8ELc78ELc84ELc85ELb0ELb0EffPKfPfEviT_T9_T10_S3_lS5_S3_lS4_T11_S3_li,@function
_ZL29rocblas_internal_gemmt_kernelIlLi16ELi32ELi8ELc78ELc84ELc85ELb0ELb0EffPKfPfEviT_T9_T10_S3_lS5_S3_lS4_T11_S3_li: ; @_ZL29rocblas_internal_gemmt_kernelIlLi16ELi32ELi8ELc78ELc84ELc85ELb0ELb0EffPKfPfEviT_T9_T10_S3_lS5_S3_lS4_T11_S3_li
; %bb.0:
	s_clause 0x1
	s_load_b32 s23, s[0:1], 0x48
	s_load_b96 s[20:22], s[0:1], 0x8
	s_wait_kmcnt 0x0
	s_cmp_neq_f32 s23, 1.0
	s_cselect_b32 s2, -1, 0
	s_delay_alu instid0(SALU_CYCLE_1)
	s_and_b32 vcc_lo, exec_lo, s2
	s_cbranch_vccnz .LBB163_2
; %bb.1:
	s_cmp_lg_u64 s[20:21], 0
	s_cselect_b32 s2, -1, 0
	s_cmp_neq_f32 s22, 0
	s_cselect_b32 s3, -1, 0
	s_delay_alu instid0(SALU_CYCLE_1)
	s_and_b32 s2, s2, s3
.LBB163_2:
	s_delay_alu instid0(SALU_CYCLE_1)
	s_and_not1_b32 vcc_lo, exec_lo, s2
	s_cbranch_vccnz .LBB163_35
; %bb.3:
	s_load_b32 s28, s[0:1], 0x68
	s_lshr_b32 s24, ttmp7, 16
	s_wait_kmcnt 0x0
	s_cmp_ge_u32 s24, s28
	s_cbranch_scc1 .LBB163_35
; %bb.4:
	v_and_b32_e32 v3, 0x3ff, v0
	v_bfe_u32 v4, v0, 10, 10
	s_lshl_b32 s2, ttmp9, 5
	s_clause 0x3
	s_load_b256 s[4:11], s[0:1], 0x18
	s_load_b128 s[12:15], s[0:1], 0x38
	s_load_b128 s[16:19], s[0:1], 0x50
	s_load_b64 s[26:27], s[0:1], 0x60
	v_and_b32_e32 v12, 7, v0
	s_load_b32 s3, s[0:1], 0x0
	v_lshl_add_u32 v2, v4, 4, v3
	s_lshl_b32 s0, ttmp7, 5
	v_lshl_add_u32 v21, v4, 5, 0x400
	s_and_b32 s0, s0, 0x1fffe0
	s_cmp_neq_f32 s22, 0
	v_and_b32_e32 v5, 31, v2
	v_lshrrev_b32_e32 v7, 3, v2
	v_lshrrev_b32_e32 v13, 5, v2
	v_add_nc_u32_e32 v11, s0, v4
	s_cselect_b32 s30, -1, 0
	v_or_b32_e32 v0, s2, v5
	v_add_nc_u32_e32 v8, s0, v7
	s_cmp_neq_f32 s23, 0
	v_add_nc_u32_e32 v22, 16, v11
	v_cmp_gt_i64_e64 s29, s[20:21], 0
	v_ashrrev_i32_e32 v1, 31, v0
	s_mov_b32 s25, 0
	s_wait_kmcnt 0x0
	v_cmp_gt_i32_e64 s0, s3, v0
	s_delay_alu instid0(VALU_DEP_2) | instskip(SKIP_3) | instid1(VALU_DEP_4)
	v_lshlrev_b64_e32 v[1:2], 2, v[0:1]
	v_lshlrev_b32_e32 v0, 2, v8
	v_cmp_gt_i32_e64 s1, s3, v8
	v_mad_co_u64_u32 v[8:9], null, s18, v22, 0
	v_add_co_u32 v15, vcc_lo, s4, v1
	v_dual_mov_b32 v1, 0 :: v_dual_lshlrev_b32 v6, 2, v12
	v_add_co_u32 v18, s4, s10, v0
	v_add_co_ci_u32_e64 v16, null, s5, v2, vcc_lo
	s_delay_alu instid0(VALU_DEP_3)
	v_lshl_or_b32 v6, v7, 5, v6
	v_cmp_gt_i32_e32 vcc_lo, s3, v11
	s_wait_alu 0xf1ff
	v_add_co_ci_u32_e64 v19, null, s11, 0, s4
	s_cselect_b32 s10, -1, 0
	v_add_nc_u32_e32 v17, 0x400, v6
	v_mad_co_u64_u32 v[6:7], null, s18, v11, 0
	v_cmp_gt_i32_e64 s3, s3, v22
	s_and_b32 s18, s30, s29
	v_mov_b32_e32 v0, v7
	v_lshlrev_b32_e32 v20, 2, v3
	v_add_nc_u32_e32 v2, s2, v3
	s_delay_alu instid0(VALU_DEP_3) | instskip(SKIP_1) | instid1(VALU_DEP_3)
	v_mad_co_u64_u32 v[3:4], null, s19, v11, v[0:1]
	v_mov_b32_e32 v0, v9
	v_cmp_le_i32_e64 s2, v2, v11
	v_add_nc_u32_e32 v4, 16, v2
	v_lshlrev_b32_e32 v5, 2, v5
	v_cmp_le_i32_e64 s4, v2, v22
	v_mad_co_u64_u32 v[9:10], null, s19, v22, v[0:1]
	v_mov_b32_e32 v7, v3
	s_and_b32 s11, vcc_lo, s2
	v_cmp_le_i32_e64 s2, v4, v11
	v_cmp_le_i32_e64 s5, v4, v22
	v_lshl_or_b32 v14, v13, 7, v5
	v_lshlrev_b64_e32 v[6:7], 2, v[6:7]
	v_lshlrev_b64_e32 v[8:9], 2, v[8:9]
	v_ashrrev_i32_e32 v3, 31, v2
	v_ashrrev_i32_e32 v5, 31, v4
	s_and_b32 s19, vcc_lo, s2
	s_and_b32 s4, s3, s4
	s_and_b32 s5, s3, s5
	s_branch .LBB163_6
.LBB163_5:                              ;   in Loop: Header=BB163_6 Depth=1
	s_wait_alu 0xfffe
	s_or_b32 exec_lo, exec_lo, s2
	s_add_co_i32 s24, s24, 0x10000
	s_delay_alu instid0(SALU_CYCLE_1)
	s_cmp_lt_u32 s24, s28
	s_cbranch_scc0 .LBB163_35
.LBB163_6:                              ; =>This Loop Header: Depth=1
                                        ;     Child Loop BB163_9 Depth 2
	v_dual_mov_b32 v11, v1 :: v_dual_mov_b32 v10, v1
	v_dual_mov_b32 v23, v1 :: v_dual_mov_b32 v22, v1
	s_wait_alu 0xfffe
	s_and_not1_b32 vcc_lo, exec_lo, s18
	s_wait_alu 0xfffe
	s_cbranch_vccnz .LBB163_15
; %bb.7:                                ;   in Loop: Header=BB163_6 Depth=1
	s_mul_u64 s[2:3], s[8:9], s[24:25]
	s_mul_u64 s[30:31], s[14:15], s[24:25]
	s_wait_alu 0xfffe
	s_lshl_b64 s[2:3], s[2:3], 2
	v_dual_mov_b32 v22, 0 :: v_dual_mov_b32 v23, 0
	s_wait_alu 0xfffe
	v_add_co_u32 v24, vcc_lo, v15, s2
	s_wait_alu 0xfffd
	v_add_co_ci_u32_e64 v25, null, s3, v16, vcc_lo
	s_lshl_b64 s[2:3], s[30:31], 2
	v_dual_mov_b32 v10, 0 :: v_dual_mov_b32 v11, 0
	s_wait_alu 0xfffe
	v_add_co_u32 v26, vcc_lo, v18, s2
	s_wait_alu 0xfffd
	v_add_co_ci_u32_e64 v27, null, s3, v19, vcc_lo
	s_mov_b64 s[2:3], 0
	s_branch .LBB163_9
.LBB163_8:                              ;   in Loop: Header=BB163_9 Depth=2
	s_or_b32 exec_lo, exec_lo, s29
	s_wait_loadcnt 0x0
	ds_store_b32 v17, v29
	s_wait_dscnt 0x0
	s_barrier_signal -1
	s_barrier_wait -1
	global_inv scope:SCOPE_SE
	ds_load_b128 v[28:31], v21
	ds_load_2addr_b32 v[44:45], v20 offset1:16
	ds_load_b128 v[32:35], v21 offset:512
	ds_load_2addr_b32 v[46:47], v20 offset0:32 offset1:48
	ds_load_2addr_b32 v[48:49], v20 offset0:64 offset1:80
	ds_load_2addr_b32 v[50:51], v20 offset0:96 offset1:112
	ds_load_b128 v[36:39], v21 offset:16
	ds_load_2addr_b32 v[52:53], v20 offset0:128 offset1:144
	ds_load_b128 v[40:43], v21 offset:528
	ds_load_2addr_b32 v[54:55], v20 offset0:160 offset1:176
	s_add_nc_u64 s[2:3], s[2:3], 8
	s_wait_alu 0xfffe
	v_cmp_gt_i64_e64 s29, s[20:21], s[2:3]
	s_and_b32 vcc_lo, exec_lo, s29
	s_wait_dscnt 0x8
	v_fmac_f32_e32 v10, v45, v28
	v_fmac_f32_e32 v11, v44, v28
	s_wait_dscnt 0x7
	v_fmac_f32_e32 v22, v45, v32
	v_fmac_f32_e32 v23, v44, v32
	ds_load_2addr_b32 v[44:45], v20 offset0:192 offset1:208
	s_wait_dscnt 0x7
	v_fmac_f32_e32 v10, v47, v29
	v_fmac_f32_e32 v11, v46, v29
	;; [unrolled: 1-line block ×4, first 2 shown]
	ds_load_2addr_b32 v[28:29], v20 offset0:224 offset1:240
	s_wait_dscnt 0x7
	v_fmac_f32_e32 v10, v49, v30
	v_fmac_f32_e32 v11, v48, v30
	;; [unrolled: 1-line block ×4, first 2 shown]
	s_wait_loadcnt_dscnt 0x0
	v_fmac_f32_e32 v10, v51, v31
	v_fmac_f32_e32 v11, v50, v31
	;; [unrolled: 1-line block ×4, first 2 shown]
	s_barrier_signal -1
	v_fmac_f32_e32 v10, v53, v36
	v_fmac_f32_e32 v11, v52, v36
	;; [unrolled: 1-line block ×4, first 2 shown]
	s_barrier_wait -1
	v_fmac_f32_e32 v10, v55, v37
	v_fmac_f32_e32 v11, v54, v37
	;; [unrolled: 1-line block ×4, first 2 shown]
	global_inv scope:SCOPE_SE
	v_fmac_f32_e32 v10, v45, v38
	v_fmac_f32_e32 v11, v44, v38
	;; [unrolled: 1-line block ×3, first 2 shown]
	s_delay_alu instid0(VALU_DEP_3) | instskip(NEXT) | instid1(VALU_DEP_3)
	v_dual_fmac_f32 v23, v44, v42 :: v_dual_fmac_f32 v10, v29, v39
	v_fmac_f32_e32 v11, v28, v39
	s_delay_alu instid0(VALU_DEP_3) | instskip(NEXT) | instid1(VALU_DEP_3)
	v_fmac_f32_e32 v22, v29, v43
	v_fmac_f32_e32 v23, v28, v43
	s_wait_alu 0xfffe
	s_cbranch_vccz .LBB163_15
.LBB163_9:                              ;   Parent Loop BB163_6 Depth=1
                                        ; =>  This Inner Loop Header: Depth=2
	v_mov_b32_e32 v28, 0
	s_and_saveexec_b32 s29, s0
	s_cbranch_execz .LBB163_13
; %bb.10:                               ;   in Loop: Header=BB163_9 Depth=2
	s_wait_alu 0xfffe
	v_add_nc_u32_e32 v0, s2, v13
	v_mov_b32_e32 v28, 0
	s_mov_b32 s30, exec_lo
	s_delay_alu instid0(VALU_DEP_2)
	v_cmpx_gt_u64_e64 s[20:21], v[0:1]
	s_cbranch_execz .LBB163_12
; %bb.11:                               ;   in Loop: Header=BB163_9 Depth=2
	v_mad_co_u64_u32 v[28:29], null, s6, v0, 0
	s_delay_alu instid0(VALU_DEP_1) | instskip(NEXT) | instid1(VALU_DEP_1)
	v_mad_co_u64_u32 v[29:30], null, s7, v0, v[29:30]
	v_lshlrev_b64_e32 v[28:29], 2, v[28:29]
	s_delay_alu instid0(VALU_DEP_1) | instskip(SKIP_1) | instid1(VALU_DEP_2)
	v_add_co_u32 v28, vcc_lo, v24, v28
	s_wait_alu 0xfffd
	v_add_co_ci_u32_e64 v29, null, v25, v29, vcc_lo
	global_load_b32 v28, v[28:29], off
.LBB163_12:                             ;   in Loop: Header=BB163_9 Depth=2
	s_or_b32 exec_lo, exec_lo, s30
.LBB163_13:                             ;   in Loop: Header=BB163_9 Depth=2
	s_delay_alu instid0(SALU_CYCLE_1)
	s_or_b32 exec_lo, exec_lo, s29
	s_wait_alu 0xfffe
	v_dual_mov_b32 v29, 0 :: v_dual_add_nc_u32 v0, s2, v12
	s_wait_loadcnt 0x0
	ds_store_b32 v14, v28
	v_cmp_gt_u64_e32 vcc_lo, s[20:21], v[0:1]
	s_and_b32 s30, vcc_lo, s1
	s_delay_alu instid0(SALU_CYCLE_1)
	s_and_saveexec_b32 s29, s30
	s_cbranch_execz .LBB163_8
; %bb.14:                               ;   in Loop: Header=BB163_9 Depth=2
	v_mad_co_u64_u32 v[28:29], null, s12, v0, 0
	s_delay_alu instid0(VALU_DEP_1) | instskip(NEXT) | instid1(VALU_DEP_1)
	v_mad_co_u64_u32 v[29:30], null, s13, v0, v[29:30]
	v_lshlrev_b64_e32 v[28:29], 2, v[28:29]
	s_delay_alu instid0(VALU_DEP_1) | instskip(SKIP_1) | instid1(VALU_DEP_2)
	v_add_co_u32 v28, vcc_lo, v26, v28
	s_wait_alu 0xfffd
	v_add_co_ci_u32_e64 v29, null, v27, v29, vcc_lo
	global_load_b32 v29, v[28:29], off
	s_branch .LBB163_8
.LBB163_15:                             ;   in Loop: Header=BB163_6 Depth=1
	s_mul_u64 s[2:3], s[26:27], s[24:25]
	s_wait_alu 0xfffe
	s_lshl_b64 s[2:3], s[2:3], 2
	s_wait_alu 0xfffe
	s_add_nc_u64 s[2:3], s[16:17], s[2:3]
	s_wait_alu 0xfffe
	v_add_co_u32 v0, vcc_lo, s2, v6
	s_wait_alu 0xfffd
	v_add_co_ci_u32_e64 v24, null, s3, v7, vcc_lo
	s_and_saveexec_b32 s29, s11
	s_cbranch_execz .LBB163_19
; %bb.16:                               ;   in Loop: Header=BB163_6 Depth=1
	v_mul_f32_e32 v11, s22, v11
	s_and_b32 vcc_lo, exec_lo, s10
	s_wait_alu 0xfffe
	s_cbranch_vccz .LBB163_30
; %bb.17:                               ;   in Loop: Header=BB163_6 Depth=1
	v_lshlrev_b64_e32 v[25:26], 2, v[2:3]
	s_delay_alu instid0(VALU_DEP_1) | instskip(SKIP_1) | instid1(VALU_DEP_2)
	v_add_co_u32 v25, vcc_lo, v0, v25
	s_wait_alu 0xfffd
	v_add_co_ci_u32_e64 v26, null, v24, v26, vcc_lo
	global_load_b32 v27, v[25:26], off
	s_wait_loadcnt 0x0
	v_fma_f32 v27, s23, v27, v11
	global_store_b32 v[25:26], v27, off
	s_cbranch_execnz .LBB163_19
.LBB163_18:                             ;   in Loop: Header=BB163_6 Depth=1
	v_lshlrev_b64_e32 v[25:26], 2, v[2:3]
	s_delay_alu instid0(VALU_DEP_1) | instskip(SKIP_1) | instid1(VALU_DEP_2)
	v_add_co_u32 v25, vcc_lo, v0, v25
	s_wait_alu 0xfffd
	v_add_co_ci_u32_e64 v26, null, v24, v26, vcc_lo
	global_store_b32 v[25:26], v11, off
.LBB163_19:                             ;   in Loop: Header=BB163_6 Depth=1
	s_or_b32 exec_lo, exec_lo, s29
	s_and_saveexec_b32 s29, s19
	s_cbranch_execz .LBB163_23
; %bb.20:                               ;   in Loop: Header=BB163_6 Depth=1
	v_mul_f32_e32 v10, s22, v10
	s_and_not1_b32 vcc_lo, exec_lo, s10
	s_wait_alu 0xfffe
	s_cbranch_vccnz .LBB163_31
; %bb.21:                               ;   in Loop: Header=BB163_6 Depth=1
	v_lshlrev_b64_e32 v[25:26], 2, v[4:5]
	s_delay_alu instid0(VALU_DEP_1) | instskip(SKIP_1) | instid1(VALU_DEP_2)
	v_add_co_u32 v25, vcc_lo, v0, v25
	s_wait_alu 0xfffd
	v_add_co_ci_u32_e64 v26, null, v24, v26, vcc_lo
	global_load_b32 v11, v[25:26], off
	s_wait_loadcnt 0x0
	v_fma_f32 v11, s23, v11, v10
	global_store_b32 v[25:26], v11, off
	s_cbranch_execnz .LBB163_23
.LBB163_22:                             ;   in Loop: Header=BB163_6 Depth=1
	v_lshlrev_b64_e32 v[25:26], 2, v[4:5]
	s_delay_alu instid0(VALU_DEP_1) | instskip(SKIP_1) | instid1(VALU_DEP_2)
	v_add_co_u32 v25, vcc_lo, v0, v25
	s_wait_alu 0xfffd
	v_add_co_ci_u32_e64 v26, null, v24, v26, vcc_lo
	global_store_b32 v[25:26], v10, off
.LBB163_23:                             ;   in Loop: Header=BB163_6 Depth=1
	s_or_b32 exec_lo, exec_lo, s29
	v_add_co_u32 v0, vcc_lo, s2, v8
	s_wait_alu 0xfffd
	v_add_co_ci_u32_e64 v24, null, s3, v9, vcc_lo
	s_and_saveexec_b32 s2, s4
	s_cbranch_execz .LBB163_27
; %bb.24:                               ;   in Loop: Header=BB163_6 Depth=1
	v_lshlrev_b64_e32 v[10:11], 2, v[2:3]
	v_mul_f32_e32 v23, s22, v23
	s_and_not1_b32 vcc_lo, exec_lo, s10
	s_wait_alu 0xfffe
	s_cbranch_vccnz .LBB163_32
; %bb.25:                               ;   in Loop: Header=BB163_6 Depth=1
	s_delay_alu instid0(VALU_DEP_2)
	v_add_co_u32 v25, vcc_lo, v0, v10
	s_wait_alu 0xfffd
	v_add_co_ci_u32_e64 v26, null, v24, v11, vcc_lo
	global_load_b32 v27, v[25:26], off
	s_wait_loadcnt 0x0
	v_fma_f32 v27, s23, v27, v23
	global_store_b32 v[25:26], v27, off
	s_cbranch_execnz .LBB163_27
.LBB163_26:                             ;   in Loop: Header=BB163_6 Depth=1
	v_add_co_u32 v10, vcc_lo, v0, v10
	s_wait_alu 0xfffd
	v_add_co_ci_u32_e64 v11, null, v24, v11, vcc_lo
	global_store_b32 v[10:11], v23, off
.LBB163_27:                             ;   in Loop: Header=BB163_6 Depth=1
	s_wait_alu 0xfffe
	s_or_b32 exec_lo, exec_lo, s2
	s_and_saveexec_b32 s2, s5
	s_cbranch_execz .LBB163_5
; %bb.28:                               ;   in Loop: Header=BB163_6 Depth=1
	v_lshlrev_b64_e32 v[10:11], 2, v[4:5]
	v_mul_f32_e32 v22, s22, v22
	s_and_not1_b32 vcc_lo, exec_lo, s10
	s_wait_alu 0xfffe
	s_cbranch_vccnz .LBB163_33
; %bb.29:                               ;   in Loop: Header=BB163_6 Depth=1
	s_delay_alu instid0(VALU_DEP_2)
	v_add_co_u32 v25, vcc_lo, v0, v10
	s_wait_alu 0xfffd
	v_add_co_ci_u32_e64 v26, null, v24, v11, vcc_lo
	global_load_b32 v23, v[25:26], off
	s_wait_loadcnt 0x0
	v_fma_f32 v23, s23, v23, v22
	global_store_b32 v[25:26], v23, off
	s_cbranch_execnz .LBB163_5
	s_branch .LBB163_34
.LBB163_30:                             ;   in Loop: Header=BB163_6 Depth=1
	s_branch .LBB163_18
.LBB163_31:                             ;   in Loop: Header=BB163_6 Depth=1
	s_branch .LBB163_22
.LBB163_32:                             ;   in Loop: Header=BB163_6 Depth=1
	s_branch .LBB163_26
.LBB163_33:                             ;   in Loop: Header=BB163_6 Depth=1
.LBB163_34:                             ;   in Loop: Header=BB163_6 Depth=1
	s_delay_alu instid0(VALU_DEP_2)
	v_add_co_u32 v10, vcc_lo, v0, v10
	s_wait_alu 0xfffd
	v_add_co_ci_u32_e64 v11, null, v24, v11, vcc_lo
	global_store_b32 v[10:11], v22, off
	s_branch .LBB163_5
.LBB163_35:
	s_endpgm
	.section	.rodata,"a",@progbits
	.p2align	6, 0x0
	.amdhsa_kernel _ZL29rocblas_internal_gemmt_kernelIlLi16ELi32ELi8ELc78ELc84ELc85ELb0ELb0EffPKfPfEviT_T9_T10_S3_lS5_S3_lS4_T11_S3_li
		.amdhsa_group_segment_fixed_size 2048
		.amdhsa_private_segment_fixed_size 0
		.amdhsa_kernarg_size 108
		.amdhsa_user_sgpr_count 2
		.amdhsa_user_sgpr_dispatch_ptr 0
		.amdhsa_user_sgpr_queue_ptr 0
		.amdhsa_user_sgpr_kernarg_segment_ptr 1
		.amdhsa_user_sgpr_dispatch_id 0
		.amdhsa_user_sgpr_private_segment_size 0
		.amdhsa_wavefront_size32 1
		.amdhsa_uses_dynamic_stack 0
		.amdhsa_enable_private_segment 0
		.amdhsa_system_sgpr_workgroup_id_x 1
		.amdhsa_system_sgpr_workgroup_id_y 1
		.amdhsa_system_sgpr_workgroup_id_z 1
		.amdhsa_system_sgpr_workgroup_info 0
		.amdhsa_system_vgpr_workitem_id 1
		.amdhsa_next_free_vgpr 56
		.amdhsa_next_free_sgpr 32
		.amdhsa_reserve_vcc 1
		.amdhsa_float_round_mode_32 0
		.amdhsa_float_round_mode_16_64 0
		.amdhsa_float_denorm_mode_32 3
		.amdhsa_float_denorm_mode_16_64 3
		.amdhsa_fp16_overflow 0
		.amdhsa_workgroup_processor_mode 1
		.amdhsa_memory_ordered 1
		.amdhsa_forward_progress 1
		.amdhsa_inst_pref_size 15
		.amdhsa_round_robin_scheduling 0
		.amdhsa_exception_fp_ieee_invalid_op 0
		.amdhsa_exception_fp_denorm_src 0
		.amdhsa_exception_fp_ieee_div_zero 0
		.amdhsa_exception_fp_ieee_overflow 0
		.amdhsa_exception_fp_ieee_underflow 0
		.amdhsa_exception_fp_ieee_inexact 0
		.amdhsa_exception_int_div_zero 0
	.end_amdhsa_kernel
	.section	.text._ZL29rocblas_internal_gemmt_kernelIlLi16ELi32ELi8ELc78ELc84ELc85ELb0ELb0EffPKfPfEviT_T9_T10_S3_lS5_S3_lS4_T11_S3_li,"axG",@progbits,_ZL29rocblas_internal_gemmt_kernelIlLi16ELi32ELi8ELc78ELc84ELc85ELb0ELb0EffPKfPfEviT_T9_T10_S3_lS5_S3_lS4_T11_S3_li,comdat
.Lfunc_end163:
	.size	_ZL29rocblas_internal_gemmt_kernelIlLi16ELi32ELi8ELc78ELc84ELc85ELb0ELb0EffPKfPfEviT_T9_T10_S3_lS5_S3_lS4_T11_S3_li, .Lfunc_end163-_ZL29rocblas_internal_gemmt_kernelIlLi16ELi32ELi8ELc78ELc84ELc85ELb0ELb0EffPKfPfEviT_T9_T10_S3_lS5_S3_lS4_T11_S3_li
                                        ; -- End function
	.set _ZL29rocblas_internal_gemmt_kernelIlLi16ELi32ELi8ELc78ELc84ELc85ELb0ELb0EffPKfPfEviT_T9_T10_S3_lS5_S3_lS4_T11_S3_li.num_vgpr, 56
	.set _ZL29rocblas_internal_gemmt_kernelIlLi16ELi32ELi8ELc78ELc84ELc85ELb0ELb0EffPKfPfEviT_T9_T10_S3_lS5_S3_lS4_T11_S3_li.num_agpr, 0
	.set _ZL29rocblas_internal_gemmt_kernelIlLi16ELi32ELi8ELc78ELc84ELc85ELb0ELb0EffPKfPfEviT_T9_T10_S3_lS5_S3_lS4_T11_S3_li.numbered_sgpr, 32
	.set _ZL29rocblas_internal_gemmt_kernelIlLi16ELi32ELi8ELc78ELc84ELc85ELb0ELb0EffPKfPfEviT_T9_T10_S3_lS5_S3_lS4_T11_S3_li.num_named_barrier, 0
	.set _ZL29rocblas_internal_gemmt_kernelIlLi16ELi32ELi8ELc78ELc84ELc85ELb0ELb0EffPKfPfEviT_T9_T10_S3_lS5_S3_lS4_T11_S3_li.private_seg_size, 0
	.set _ZL29rocblas_internal_gemmt_kernelIlLi16ELi32ELi8ELc78ELc84ELc85ELb0ELb0EffPKfPfEviT_T9_T10_S3_lS5_S3_lS4_T11_S3_li.uses_vcc, 1
	.set _ZL29rocblas_internal_gemmt_kernelIlLi16ELi32ELi8ELc78ELc84ELc85ELb0ELb0EffPKfPfEviT_T9_T10_S3_lS5_S3_lS4_T11_S3_li.uses_flat_scratch, 0
	.set _ZL29rocblas_internal_gemmt_kernelIlLi16ELi32ELi8ELc78ELc84ELc85ELb0ELb0EffPKfPfEviT_T9_T10_S3_lS5_S3_lS4_T11_S3_li.has_dyn_sized_stack, 0
	.set _ZL29rocblas_internal_gemmt_kernelIlLi16ELi32ELi8ELc78ELc84ELc85ELb0ELb0EffPKfPfEviT_T9_T10_S3_lS5_S3_lS4_T11_S3_li.has_recursion, 0
	.set _ZL29rocblas_internal_gemmt_kernelIlLi16ELi32ELi8ELc78ELc84ELc85ELb0ELb0EffPKfPfEviT_T9_T10_S3_lS5_S3_lS4_T11_S3_li.has_indirect_call, 0
	.section	.AMDGPU.csdata,"",@progbits
; Kernel info:
; codeLenInByte = 1852
; TotalNumSgprs: 34
; NumVgprs: 56
; ScratchSize: 0
; MemoryBound: 0
; FloatMode: 240
; IeeeMode: 1
; LDSByteSize: 2048 bytes/workgroup (compile time only)
; SGPRBlocks: 0
; VGPRBlocks: 6
; NumSGPRsForWavesPerEU: 34
; NumVGPRsForWavesPerEU: 56
; Occupancy: 16
; WaveLimiterHint : 0
; COMPUTE_PGM_RSRC2:SCRATCH_EN: 0
; COMPUTE_PGM_RSRC2:USER_SGPR: 2
; COMPUTE_PGM_RSRC2:TRAP_HANDLER: 0
; COMPUTE_PGM_RSRC2:TGID_X_EN: 1
; COMPUTE_PGM_RSRC2:TGID_Y_EN: 1
; COMPUTE_PGM_RSRC2:TGID_Z_EN: 1
; COMPUTE_PGM_RSRC2:TIDIG_COMP_CNT: 1
	.section	.text._ZL29rocblas_internal_gemmt_kernelIlLi16ELi32ELi8ELc78ELc67ELc85ELb0ELb0EffPKfPfEviT_T9_T10_S3_lS5_S3_lS4_T11_S3_li,"axG",@progbits,_ZL29rocblas_internal_gemmt_kernelIlLi16ELi32ELi8ELc78ELc67ELc85ELb0ELb0EffPKfPfEviT_T9_T10_S3_lS5_S3_lS4_T11_S3_li,comdat
	.globl	_ZL29rocblas_internal_gemmt_kernelIlLi16ELi32ELi8ELc78ELc67ELc85ELb0ELb0EffPKfPfEviT_T9_T10_S3_lS5_S3_lS4_T11_S3_li ; -- Begin function _ZL29rocblas_internal_gemmt_kernelIlLi16ELi32ELi8ELc78ELc67ELc85ELb0ELb0EffPKfPfEviT_T9_T10_S3_lS5_S3_lS4_T11_S3_li
	.p2align	8
	.type	_ZL29rocblas_internal_gemmt_kernelIlLi16ELi32ELi8ELc78ELc67ELc85ELb0ELb0EffPKfPfEviT_T9_T10_S3_lS5_S3_lS4_T11_S3_li,@function
_ZL29rocblas_internal_gemmt_kernelIlLi16ELi32ELi8ELc78ELc67ELc85ELb0ELb0EffPKfPfEviT_T9_T10_S3_lS5_S3_lS4_T11_S3_li: ; @_ZL29rocblas_internal_gemmt_kernelIlLi16ELi32ELi8ELc78ELc67ELc85ELb0ELb0EffPKfPfEviT_T9_T10_S3_lS5_S3_lS4_T11_S3_li
; %bb.0:
	s_clause 0x1
	s_load_b32 s23, s[0:1], 0x48
	s_load_b96 s[20:22], s[0:1], 0x8
	s_wait_kmcnt 0x0
	s_cmp_neq_f32 s23, 1.0
	s_cselect_b32 s2, -1, 0
	s_delay_alu instid0(SALU_CYCLE_1)
	s_and_b32 vcc_lo, exec_lo, s2
	s_cbranch_vccnz .LBB164_2
; %bb.1:
	s_cmp_lg_u64 s[20:21], 0
	s_cselect_b32 s2, -1, 0
	s_cmp_neq_f32 s22, 0
	s_cselect_b32 s3, -1, 0
	s_delay_alu instid0(SALU_CYCLE_1)
	s_and_b32 s2, s2, s3
.LBB164_2:
	s_delay_alu instid0(SALU_CYCLE_1)
	s_and_not1_b32 vcc_lo, exec_lo, s2
	s_cbranch_vccnz .LBB164_35
; %bb.3:
	s_load_b32 s28, s[0:1], 0x68
	s_lshr_b32 s24, ttmp7, 16
	s_wait_kmcnt 0x0
	s_cmp_ge_u32 s24, s28
	s_cbranch_scc1 .LBB164_35
; %bb.4:
	v_and_b32_e32 v3, 0x3ff, v0
	v_bfe_u32 v4, v0, 10, 10
	s_lshl_b32 s2, ttmp9, 5
	s_clause 0x3
	s_load_b256 s[4:11], s[0:1], 0x18
	s_load_b128 s[12:15], s[0:1], 0x38
	s_load_b128 s[16:19], s[0:1], 0x50
	s_load_b64 s[26:27], s[0:1], 0x60
	v_and_b32_e32 v12, 7, v0
	s_load_b32 s3, s[0:1], 0x0
	v_lshl_add_u32 v2, v4, 4, v3
	s_lshl_b32 s0, ttmp7, 5
	v_lshl_add_u32 v21, v4, 5, 0x400
	s_and_b32 s0, s0, 0x1fffe0
	s_cmp_neq_f32 s22, 0
	v_and_b32_e32 v5, 31, v2
	v_lshrrev_b32_e32 v7, 3, v2
	v_lshrrev_b32_e32 v13, 5, v2
	v_add_nc_u32_e32 v11, s0, v4
	s_cselect_b32 s30, -1, 0
	v_or_b32_e32 v0, s2, v5
	v_add_nc_u32_e32 v8, s0, v7
	s_cmp_neq_f32 s23, 0
	v_add_nc_u32_e32 v22, 16, v11
	v_cmp_gt_i64_e64 s29, s[20:21], 0
	v_ashrrev_i32_e32 v1, 31, v0
	s_mov_b32 s25, 0
	s_wait_kmcnt 0x0
	v_cmp_gt_i32_e64 s0, s3, v0
	s_delay_alu instid0(VALU_DEP_2) | instskip(SKIP_3) | instid1(VALU_DEP_4)
	v_lshlrev_b64_e32 v[1:2], 2, v[0:1]
	v_lshlrev_b32_e32 v0, 2, v8
	v_cmp_gt_i32_e64 s1, s3, v8
	v_mad_co_u64_u32 v[8:9], null, s18, v22, 0
	v_add_co_u32 v15, vcc_lo, s4, v1
	v_dual_mov_b32 v1, 0 :: v_dual_lshlrev_b32 v6, 2, v12
	v_add_co_u32 v18, s4, s10, v0
	v_add_co_ci_u32_e64 v16, null, s5, v2, vcc_lo
	s_delay_alu instid0(VALU_DEP_3)
	v_lshl_or_b32 v6, v7, 5, v6
	v_cmp_gt_i32_e32 vcc_lo, s3, v11
	s_wait_alu 0xf1ff
	v_add_co_ci_u32_e64 v19, null, s11, 0, s4
	s_cselect_b32 s10, -1, 0
	v_add_nc_u32_e32 v17, 0x400, v6
	v_mad_co_u64_u32 v[6:7], null, s18, v11, 0
	v_cmp_gt_i32_e64 s3, s3, v22
	s_and_b32 s18, s30, s29
	v_mov_b32_e32 v0, v7
	v_lshlrev_b32_e32 v20, 2, v3
	v_add_nc_u32_e32 v2, s2, v3
	s_delay_alu instid0(VALU_DEP_3) | instskip(SKIP_1) | instid1(VALU_DEP_3)
	v_mad_co_u64_u32 v[3:4], null, s19, v11, v[0:1]
	v_mov_b32_e32 v0, v9
	v_cmp_le_i32_e64 s2, v2, v11
	v_add_nc_u32_e32 v4, 16, v2
	v_lshlrev_b32_e32 v5, 2, v5
	v_cmp_le_i32_e64 s4, v2, v22
	v_mad_co_u64_u32 v[9:10], null, s19, v22, v[0:1]
	v_mov_b32_e32 v7, v3
	s_and_b32 s11, vcc_lo, s2
	v_cmp_le_i32_e64 s2, v4, v11
	v_cmp_le_i32_e64 s5, v4, v22
	v_lshl_or_b32 v14, v13, 7, v5
	v_lshlrev_b64_e32 v[6:7], 2, v[6:7]
	v_lshlrev_b64_e32 v[8:9], 2, v[8:9]
	v_ashrrev_i32_e32 v3, 31, v2
	v_ashrrev_i32_e32 v5, 31, v4
	s_and_b32 s19, vcc_lo, s2
	s_and_b32 s4, s3, s4
	s_and_b32 s5, s3, s5
	s_branch .LBB164_6
.LBB164_5:                              ;   in Loop: Header=BB164_6 Depth=1
	s_wait_alu 0xfffe
	s_or_b32 exec_lo, exec_lo, s2
	s_add_co_i32 s24, s24, 0x10000
	s_delay_alu instid0(SALU_CYCLE_1)
	s_cmp_lt_u32 s24, s28
	s_cbranch_scc0 .LBB164_35
.LBB164_6:                              ; =>This Loop Header: Depth=1
                                        ;     Child Loop BB164_9 Depth 2
	v_dual_mov_b32 v11, v1 :: v_dual_mov_b32 v10, v1
	v_dual_mov_b32 v23, v1 :: v_dual_mov_b32 v22, v1
	s_wait_alu 0xfffe
	s_and_not1_b32 vcc_lo, exec_lo, s18
	s_wait_alu 0xfffe
	s_cbranch_vccnz .LBB164_15
; %bb.7:                                ;   in Loop: Header=BB164_6 Depth=1
	s_mul_u64 s[2:3], s[8:9], s[24:25]
	s_mul_u64 s[30:31], s[14:15], s[24:25]
	s_wait_alu 0xfffe
	s_lshl_b64 s[2:3], s[2:3], 2
	v_dual_mov_b32 v22, 0 :: v_dual_mov_b32 v23, 0
	s_wait_alu 0xfffe
	v_add_co_u32 v24, vcc_lo, v15, s2
	s_wait_alu 0xfffd
	v_add_co_ci_u32_e64 v25, null, s3, v16, vcc_lo
	s_lshl_b64 s[2:3], s[30:31], 2
	v_dual_mov_b32 v10, 0 :: v_dual_mov_b32 v11, 0
	s_wait_alu 0xfffe
	v_add_co_u32 v26, vcc_lo, v18, s2
	s_wait_alu 0xfffd
	v_add_co_ci_u32_e64 v27, null, s3, v19, vcc_lo
	s_mov_b64 s[2:3], 0
	s_branch .LBB164_9
.LBB164_8:                              ;   in Loop: Header=BB164_9 Depth=2
	s_or_b32 exec_lo, exec_lo, s29
	s_wait_loadcnt 0x0
	ds_store_b32 v17, v29
	s_wait_dscnt 0x0
	s_barrier_signal -1
	s_barrier_wait -1
	global_inv scope:SCOPE_SE
	ds_load_b128 v[28:31], v21
	ds_load_2addr_b32 v[44:45], v20 offset1:16
	ds_load_b128 v[32:35], v21 offset:512
	ds_load_2addr_b32 v[46:47], v20 offset0:32 offset1:48
	ds_load_2addr_b32 v[48:49], v20 offset0:64 offset1:80
	;; [unrolled: 1-line block ×3, first 2 shown]
	ds_load_b128 v[36:39], v21 offset:16
	ds_load_2addr_b32 v[52:53], v20 offset0:128 offset1:144
	ds_load_b128 v[40:43], v21 offset:528
	ds_load_2addr_b32 v[54:55], v20 offset0:160 offset1:176
	s_add_nc_u64 s[2:3], s[2:3], 8
	s_wait_alu 0xfffe
	v_cmp_gt_i64_e64 s29, s[20:21], s[2:3]
	s_and_b32 vcc_lo, exec_lo, s29
	s_wait_dscnt 0x8
	v_fmac_f32_e32 v10, v45, v28
	v_fmac_f32_e32 v11, v44, v28
	s_wait_dscnt 0x7
	v_fmac_f32_e32 v22, v45, v32
	v_fmac_f32_e32 v23, v44, v32
	ds_load_2addr_b32 v[44:45], v20 offset0:192 offset1:208
	s_wait_dscnt 0x7
	v_fmac_f32_e32 v10, v47, v29
	v_fmac_f32_e32 v11, v46, v29
	;; [unrolled: 1-line block ×4, first 2 shown]
	ds_load_2addr_b32 v[28:29], v20 offset0:224 offset1:240
	s_wait_dscnt 0x7
	v_fmac_f32_e32 v10, v49, v30
	v_fmac_f32_e32 v11, v48, v30
	;; [unrolled: 1-line block ×4, first 2 shown]
	s_wait_loadcnt_dscnt 0x0
	v_fmac_f32_e32 v10, v51, v31
	v_fmac_f32_e32 v11, v50, v31
	;; [unrolled: 1-line block ×4, first 2 shown]
	s_barrier_signal -1
	v_fmac_f32_e32 v10, v53, v36
	v_fmac_f32_e32 v11, v52, v36
	;; [unrolled: 1-line block ×4, first 2 shown]
	s_barrier_wait -1
	v_fmac_f32_e32 v10, v55, v37
	v_fmac_f32_e32 v11, v54, v37
	;; [unrolled: 1-line block ×4, first 2 shown]
	global_inv scope:SCOPE_SE
	v_fmac_f32_e32 v10, v45, v38
	v_fmac_f32_e32 v11, v44, v38
	;; [unrolled: 1-line block ×3, first 2 shown]
	s_delay_alu instid0(VALU_DEP_3) | instskip(NEXT) | instid1(VALU_DEP_3)
	v_dual_fmac_f32 v23, v44, v42 :: v_dual_fmac_f32 v10, v29, v39
	v_fmac_f32_e32 v11, v28, v39
	s_delay_alu instid0(VALU_DEP_3) | instskip(NEXT) | instid1(VALU_DEP_3)
	v_fmac_f32_e32 v22, v29, v43
	v_fmac_f32_e32 v23, v28, v43
	s_wait_alu 0xfffe
	s_cbranch_vccz .LBB164_15
.LBB164_9:                              ;   Parent Loop BB164_6 Depth=1
                                        ; =>  This Inner Loop Header: Depth=2
	v_mov_b32_e32 v28, 0
	s_and_saveexec_b32 s29, s0
	s_cbranch_execz .LBB164_13
; %bb.10:                               ;   in Loop: Header=BB164_9 Depth=2
	s_wait_alu 0xfffe
	v_add_nc_u32_e32 v0, s2, v13
	v_mov_b32_e32 v28, 0
	s_mov_b32 s30, exec_lo
	s_delay_alu instid0(VALU_DEP_2)
	v_cmpx_gt_u64_e64 s[20:21], v[0:1]
	s_cbranch_execz .LBB164_12
; %bb.11:                               ;   in Loop: Header=BB164_9 Depth=2
	v_mad_co_u64_u32 v[28:29], null, s6, v0, 0
	s_delay_alu instid0(VALU_DEP_1) | instskip(NEXT) | instid1(VALU_DEP_1)
	v_mad_co_u64_u32 v[29:30], null, s7, v0, v[29:30]
	v_lshlrev_b64_e32 v[28:29], 2, v[28:29]
	s_delay_alu instid0(VALU_DEP_1) | instskip(SKIP_1) | instid1(VALU_DEP_2)
	v_add_co_u32 v28, vcc_lo, v24, v28
	s_wait_alu 0xfffd
	v_add_co_ci_u32_e64 v29, null, v25, v29, vcc_lo
	global_load_b32 v28, v[28:29], off
.LBB164_12:                             ;   in Loop: Header=BB164_9 Depth=2
	s_or_b32 exec_lo, exec_lo, s30
.LBB164_13:                             ;   in Loop: Header=BB164_9 Depth=2
	s_delay_alu instid0(SALU_CYCLE_1)
	s_or_b32 exec_lo, exec_lo, s29
	s_wait_alu 0xfffe
	v_dual_mov_b32 v29, 0 :: v_dual_add_nc_u32 v0, s2, v12
	s_wait_loadcnt 0x0
	ds_store_b32 v14, v28
	v_cmp_gt_u64_e32 vcc_lo, s[20:21], v[0:1]
	s_and_b32 s30, vcc_lo, s1
	s_delay_alu instid0(SALU_CYCLE_1)
	s_and_saveexec_b32 s29, s30
	s_cbranch_execz .LBB164_8
; %bb.14:                               ;   in Loop: Header=BB164_9 Depth=2
	v_mad_co_u64_u32 v[28:29], null, s12, v0, 0
	s_delay_alu instid0(VALU_DEP_1) | instskip(NEXT) | instid1(VALU_DEP_1)
	v_mad_co_u64_u32 v[29:30], null, s13, v0, v[29:30]
	v_lshlrev_b64_e32 v[28:29], 2, v[28:29]
	s_delay_alu instid0(VALU_DEP_1) | instskip(SKIP_1) | instid1(VALU_DEP_2)
	v_add_co_u32 v28, vcc_lo, v26, v28
	s_wait_alu 0xfffd
	v_add_co_ci_u32_e64 v29, null, v27, v29, vcc_lo
	global_load_b32 v29, v[28:29], off
	s_branch .LBB164_8
.LBB164_15:                             ;   in Loop: Header=BB164_6 Depth=1
	s_mul_u64 s[2:3], s[26:27], s[24:25]
	s_wait_alu 0xfffe
	s_lshl_b64 s[2:3], s[2:3], 2
	s_wait_alu 0xfffe
	s_add_nc_u64 s[2:3], s[16:17], s[2:3]
	s_wait_alu 0xfffe
	v_add_co_u32 v0, vcc_lo, s2, v6
	s_wait_alu 0xfffd
	v_add_co_ci_u32_e64 v24, null, s3, v7, vcc_lo
	s_and_saveexec_b32 s29, s11
	s_cbranch_execz .LBB164_19
; %bb.16:                               ;   in Loop: Header=BB164_6 Depth=1
	v_mul_f32_e32 v11, s22, v11
	s_and_b32 vcc_lo, exec_lo, s10
	s_wait_alu 0xfffe
	s_cbranch_vccz .LBB164_30
; %bb.17:                               ;   in Loop: Header=BB164_6 Depth=1
	v_lshlrev_b64_e32 v[25:26], 2, v[2:3]
	s_delay_alu instid0(VALU_DEP_1) | instskip(SKIP_1) | instid1(VALU_DEP_2)
	v_add_co_u32 v25, vcc_lo, v0, v25
	s_wait_alu 0xfffd
	v_add_co_ci_u32_e64 v26, null, v24, v26, vcc_lo
	global_load_b32 v27, v[25:26], off
	s_wait_loadcnt 0x0
	v_fma_f32 v27, s23, v27, v11
	global_store_b32 v[25:26], v27, off
	s_cbranch_execnz .LBB164_19
.LBB164_18:                             ;   in Loop: Header=BB164_6 Depth=1
	v_lshlrev_b64_e32 v[25:26], 2, v[2:3]
	s_delay_alu instid0(VALU_DEP_1) | instskip(SKIP_1) | instid1(VALU_DEP_2)
	v_add_co_u32 v25, vcc_lo, v0, v25
	s_wait_alu 0xfffd
	v_add_co_ci_u32_e64 v26, null, v24, v26, vcc_lo
	global_store_b32 v[25:26], v11, off
.LBB164_19:                             ;   in Loop: Header=BB164_6 Depth=1
	s_or_b32 exec_lo, exec_lo, s29
	s_and_saveexec_b32 s29, s19
	s_cbranch_execz .LBB164_23
; %bb.20:                               ;   in Loop: Header=BB164_6 Depth=1
	v_mul_f32_e32 v10, s22, v10
	s_and_not1_b32 vcc_lo, exec_lo, s10
	s_wait_alu 0xfffe
	s_cbranch_vccnz .LBB164_31
; %bb.21:                               ;   in Loop: Header=BB164_6 Depth=1
	v_lshlrev_b64_e32 v[25:26], 2, v[4:5]
	s_delay_alu instid0(VALU_DEP_1) | instskip(SKIP_1) | instid1(VALU_DEP_2)
	v_add_co_u32 v25, vcc_lo, v0, v25
	s_wait_alu 0xfffd
	v_add_co_ci_u32_e64 v26, null, v24, v26, vcc_lo
	global_load_b32 v11, v[25:26], off
	s_wait_loadcnt 0x0
	v_fma_f32 v11, s23, v11, v10
	global_store_b32 v[25:26], v11, off
	s_cbranch_execnz .LBB164_23
.LBB164_22:                             ;   in Loop: Header=BB164_6 Depth=1
	v_lshlrev_b64_e32 v[25:26], 2, v[4:5]
	s_delay_alu instid0(VALU_DEP_1) | instskip(SKIP_1) | instid1(VALU_DEP_2)
	v_add_co_u32 v25, vcc_lo, v0, v25
	s_wait_alu 0xfffd
	v_add_co_ci_u32_e64 v26, null, v24, v26, vcc_lo
	global_store_b32 v[25:26], v10, off
.LBB164_23:                             ;   in Loop: Header=BB164_6 Depth=1
	s_or_b32 exec_lo, exec_lo, s29
	v_add_co_u32 v0, vcc_lo, s2, v8
	s_wait_alu 0xfffd
	v_add_co_ci_u32_e64 v24, null, s3, v9, vcc_lo
	s_and_saveexec_b32 s2, s4
	s_cbranch_execz .LBB164_27
; %bb.24:                               ;   in Loop: Header=BB164_6 Depth=1
	v_lshlrev_b64_e32 v[10:11], 2, v[2:3]
	v_mul_f32_e32 v23, s22, v23
	s_and_not1_b32 vcc_lo, exec_lo, s10
	s_wait_alu 0xfffe
	s_cbranch_vccnz .LBB164_32
; %bb.25:                               ;   in Loop: Header=BB164_6 Depth=1
	s_delay_alu instid0(VALU_DEP_2)
	v_add_co_u32 v25, vcc_lo, v0, v10
	s_wait_alu 0xfffd
	v_add_co_ci_u32_e64 v26, null, v24, v11, vcc_lo
	global_load_b32 v27, v[25:26], off
	s_wait_loadcnt 0x0
	v_fma_f32 v27, s23, v27, v23
	global_store_b32 v[25:26], v27, off
	s_cbranch_execnz .LBB164_27
.LBB164_26:                             ;   in Loop: Header=BB164_6 Depth=1
	v_add_co_u32 v10, vcc_lo, v0, v10
	s_wait_alu 0xfffd
	v_add_co_ci_u32_e64 v11, null, v24, v11, vcc_lo
	global_store_b32 v[10:11], v23, off
.LBB164_27:                             ;   in Loop: Header=BB164_6 Depth=1
	s_wait_alu 0xfffe
	s_or_b32 exec_lo, exec_lo, s2
	s_and_saveexec_b32 s2, s5
	s_cbranch_execz .LBB164_5
; %bb.28:                               ;   in Loop: Header=BB164_6 Depth=1
	v_lshlrev_b64_e32 v[10:11], 2, v[4:5]
	v_mul_f32_e32 v22, s22, v22
	s_and_not1_b32 vcc_lo, exec_lo, s10
	s_wait_alu 0xfffe
	s_cbranch_vccnz .LBB164_33
; %bb.29:                               ;   in Loop: Header=BB164_6 Depth=1
	s_delay_alu instid0(VALU_DEP_2)
	v_add_co_u32 v25, vcc_lo, v0, v10
	s_wait_alu 0xfffd
	v_add_co_ci_u32_e64 v26, null, v24, v11, vcc_lo
	global_load_b32 v23, v[25:26], off
	s_wait_loadcnt 0x0
	v_fma_f32 v23, s23, v23, v22
	global_store_b32 v[25:26], v23, off
	s_cbranch_execnz .LBB164_5
	s_branch .LBB164_34
.LBB164_30:                             ;   in Loop: Header=BB164_6 Depth=1
	s_branch .LBB164_18
.LBB164_31:                             ;   in Loop: Header=BB164_6 Depth=1
	s_branch .LBB164_22
.LBB164_32:                             ;   in Loop: Header=BB164_6 Depth=1
	s_branch .LBB164_26
.LBB164_33:                             ;   in Loop: Header=BB164_6 Depth=1
.LBB164_34:                             ;   in Loop: Header=BB164_6 Depth=1
	s_delay_alu instid0(VALU_DEP_2)
	v_add_co_u32 v10, vcc_lo, v0, v10
	s_wait_alu 0xfffd
	v_add_co_ci_u32_e64 v11, null, v24, v11, vcc_lo
	global_store_b32 v[10:11], v22, off
	s_branch .LBB164_5
.LBB164_35:
	s_endpgm
	.section	.rodata,"a",@progbits
	.p2align	6, 0x0
	.amdhsa_kernel _ZL29rocblas_internal_gemmt_kernelIlLi16ELi32ELi8ELc78ELc67ELc85ELb0ELb0EffPKfPfEviT_T9_T10_S3_lS5_S3_lS4_T11_S3_li
		.amdhsa_group_segment_fixed_size 2048
		.amdhsa_private_segment_fixed_size 0
		.amdhsa_kernarg_size 108
		.amdhsa_user_sgpr_count 2
		.amdhsa_user_sgpr_dispatch_ptr 0
		.amdhsa_user_sgpr_queue_ptr 0
		.amdhsa_user_sgpr_kernarg_segment_ptr 1
		.amdhsa_user_sgpr_dispatch_id 0
		.amdhsa_user_sgpr_private_segment_size 0
		.amdhsa_wavefront_size32 1
		.amdhsa_uses_dynamic_stack 0
		.amdhsa_enable_private_segment 0
		.amdhsa_system_sgpr_workgroup_id_x 1
		.amdhsa_system_sgpr_workgroup_id_y 1
		.amdhsa_system_sgpr_workgroup_id_z 1
		.amdhsa_system_sgpr_workgroup_info 0
		.amdhsa_system_vgpr_workitem_id 1
		.amdhsa_next_free_vgpr 56
		.amdhsa_next_free_sgpr 32
		.amdhsa_reserve_vcc 1
		.amdhsa_float_round_mode_32 0
		.amdhsa_float_round_mode_16_64 0
		.amdhsa_float_denorm_mode_32 3
		.amdhsa_float_denorm_mode_16_64 3
		.amdhsa_fp16_overflow 0
		.amdhsa_workgroup_processor_mode 1
		.amdhsa_memory_ordered 1
		.amdhsa_forward_progress 1
		.amdhsa_inst_pref_size 15
		.amdhsa_round_robin_scheduling 0
		.amdhsa_exception_fp_ieee_invalid_op 0
		.amdhsa_exception_fp_denorm_src 0
		.amdhsa_exception_fp_ieee_div_zero 0
		.amdhsa_exception_fp_ieee_overflow 0
		.amdhsa_exception_fp_ieee_underflow 0
		.amdhsa_exception_fp_ieee_inexact 0
		.amdhsa_exception_int_div_zero 0
	.end_amdhsa_kernel
	.section	.text._ZL29rocblas_internal_gemmt_kernelIlLi16ELi32ELi8ELc78ELc67ELc85ELb0ELb0EffPKfPfEviT_T9_T10_S3_lS5_S3_lS4_T11_S3_li,"axG",@progbits,_ZL29rocblas_internal_gemmt_kernelIlLi16ELi32ELi8ELc78ELc67ELc85ELb0ELb0EffPKfPfEviT_T9_T10_S3_lS5_S3_lS4_T11_S3_li,comdat
.Lfunc_end164:
	.size	_ZL29rocblas_internal_gemmt_kernelIlLi16ELi32ELi8ELc78ELc67ELc85ELb0ELb0EffPKfPfEviT_T9_T10_S3_lS5_S3_lS4_T11_S3_li, .Lfunc_end164-_ZL29rocblas_internal_gemmt_kernelIlLi16ELi32ELi8ELc78ELc67ELc85ELb0ELb0EffPKfPfEviT_T9_T10_S3_lS5_S3_lS4_T11_S3_li
                                        ; -- End function
	.set _ZL29rocblas_internal_gemmt_kernelIlLi16ELi32ELi8ELc78ELc67ELc85ELb0ELb0EffPKfPfEviT_T9_T10_S3_lS5_S3_lS4_T11_S3_li.num_vgpr, 56
	.set _ZL29rocblas_internal_gemmt_kernelIlLi16ELi32ELi8ELc78ELc67ELc85ELb0ELb0EffPKfPfEviT_T9_T10_S3_lS5_S3_lS4_T11_S3_li.num_agpr, 0
	.set _ZL29rocblas_internal_gemmt_kernelIlLi16ELi32ELi8ELc78ELc67ELc85ELb0ELb0EffPKfPfEviT_T9_T10_S3_lS5_S3_lS4_T11_S3_li.numbered_sgpr, 32
	.set _ZL29rocblas_internal_gemmt_kernelIlLi16ELi32ELi8ELc78ELc67ELc85ELb0ELb0EffPKfPfEviT_T9_T10_S3_lS5_S3_lS4_T11_S3_li.num_named_barrier, 0
	.set _ZL29rocblas_internal_gemmt_kernelIlLi16ELi32ELi8ELc78ELc67ELc85ELb0ELb0EffPKfPfEviT_T9_T10_S3_lS5_S3_lS4_T11_S3_li.private_seg_size, 0
	.set _ZL29rocblas_internal_gemmt_kernelIlLi16ELi32ELi8ELc78ELc67ELc85ELb0ELb0EffPKfPfEviT_T9_T10_S3_lS5_S3_lS4_T11_S3_li.uses_vcc, 1
	.set _ZL29rocblas_internal_gemmt_kernelIlLi16ELi32ELi8ELc78ELc67ELc85ELb0ELb0EffPKfPfEviT_T9_T10_S3_lS5_S3_lS4_T11_S3_li.uses_flat_scratch, 0
	.set _ZL29rocblas_internal_gemmt_kernelIlLi16ELi32ELi8ELc78ELc67ELc85ELb0ELb0EffPKfPfEviT_T9_T10_S3_lS5_S3_lS4_T11_S3_li.has_dyn_sized_stack, 0
	.set _ZL29rocblas_internal_gemmt_kernelIlLi16ELi32ELi8ELc78ELc67ELc85ELb0ELb0EffPKfPfEviT_T9_T10_S3_lS5_S3_lS4_T11_S3_li.has_recursion, 0
	.set _ZL29rocblas_internal_gemmt_kernelIlLi16ELi32ELi8ELc78ELc67ELc85ELb0ELb0EffPKfPfEviT_T9_T10_S3_lS5_S3_lS4_T11_S3_li.has_indirect_call, 0
	.section	.AMDGPU.csdata,"",@progbits
; Kernel info:
; codeLenInByte = 1852
; TotalNumSgprs: 34
; NumVgprs: 56
; ScratchSize: 0
; MemoryBound: 0
; FloatMode: 240
; IeeeMode: 1
; LDSByteSize: 2048 bytes/workgroup (compile time only)
; SGPRBlocks: 0
; VGPRBlocks: 6
; NumSGPRsForWavesPerEU: 34
; NumVGPRsForWavesPerEU: 56
; Occupancy: 16
; WaveLimiterHint : 0
; COMPUTE_PGM_RSRC2:SCRATCH_EN: 0
; COMPUTE_PGM_RSRC2:USER_SGPR: 2
; COMPUTE_PGM_RSRC2:TRAP_HANDLER: 0
; COMPUTE_PGM_RSRC2:TGID_X_EN: 1
; COMPUTE_PGM_RSRC2:TGID_Y_EN: 1
; COMPUTE_PGM_RSRC2:TGID_Z_EN: 1
; COMPUTE_PGM_RSRC2:TIDIG_COMP_CNT: 1
	.section	.text._ZL29rocblas_internal_gemmt_kernelIlLi16ELi32ELi8ELc84ELc78ELc85ELb0ELb0EffPKfPfEviT_T9_T10_S3_lS5_S3_lS4_T11_S3_li,"axG",@progbits,_ZL29rocblas_internal_gemmt_kernelIlLi16ELi32ELi8ELc84ELc78ELc85ELb0ELb0EffPKfPfEviT_T9_T10_S3_lS5_S3_lS4_T11_S3_li,comdat
	.globl	_ZL29rocblas_internal_gemmt_kernelIlLi16ELi32ELi8ELc84ELc78ELc85ELb0ELb0EffPKfPfEviT_T9_T10_S3_lS5_S3_lS4_T11_S3_li ; -- Begin function _ZL29rocblas_internal_gemmt_kernelIlLi16ELi32ELi8ELc84ELc78ELc85ELb0ELb0EffPKfPfEviT_T9_T10_S3_lS5_S3_lS4_T11_S3_li
	.p2align	8
	.type	_ZL29rocblas_internal_gemmt_kernelIlLi16ELi32ELi8ELc84ELc78ELc85ELb0ELb0EffPKfPfEviT_T9_T10_S3_lS5_S3_lS4_T11_S3_li,@function
_ZL29rocblas_internal_gemmt_kernelIlLi16ELi32ELi8ELc84ELc78ELc85ELb0ELb0EffPKfPfEviT_T9_T10_S3_lS5_S3_lS4_T11_S3_li: ; @_ZL29rocblas_internal_gemmt_kernelIlLi16ELi32ELi8ELc84ELc78ELc85ELb0ELb0EffPKfPfEviT_T9_T10_S3_lS5_S3_lS4_T11_S3_li
; %bb.0:
	s_clause 0x1
	s_load_b32 s23, s[0:1], 0x48
	s_load_b96 s[20:22], s[0:1], 0x8
	s_wait_kmcnt 0x0
	s_cmp_neq_f32 s23, 1.0
	s_cselect_b32 s2, -1, 0
	s_delay_alu instid0(SALU_CYCLE_1)
	s_and_b32 vcc_lo, exec_lo, s2
	s_cbranch_vccnz .LBB165_2
; %bb.1:
	s_cmp_lg_u64 s[20:21], 0
	s_cselect_b32 s2, -1, 0
	s_cmp_neq_f32 s22, 0
	s_cselect_b32 s3, -1, 0
	s_delay_alu instid0(SALU_CYCLE_1)
	s_and_b32 s2, s2, s3
.LBB165_2:
	s_delay_alu instid0(SALU_CYCLE_1)
	s_and_not1_b32 vcc_lo, exec_lo, s2
	s_cbranch_vccnz .LBB165_35
; %bb.3:
	s_load_b32 s28, s[0:1], 0x68
	s_lshr_b32 s24, ttmp7, 16
	s_wait_kmcnt 0x0
	s_cmp_ge_u32 s24, s28
	s_cbranch_scc1 .LBB165_35
; %bb.4:
	v_and_b32_e32 v10, 0x3ff, v0
	v_bfe_u32 v11, v0, 10, 10
	s_clause 0x4
	s_load_b256 s[4:11], s[0:1], 0x18
	s_load_b32 s3, s[0:1], 0x0
	s_load_b128 s[16:19], s[0:1], 0x50
	s_load_b128 s[12:15], s[0:1], 0x38
	s_load_b64 s[26:27], s[0:1], 0x60
	s_lshl_b32 s2, ttmp7, 5
	v_lshl_add_u32 v4, v11, 4, v10
	s_and_b32 s0, s2, 0x1fffe0
	s_lshl_b32 s2, ttmp9, 5
	s_cmp_neq_f32 s22, 0
	v_add_nc_u32_e32 v22, s0, v11
	v_and_b32_e32 v8, 31, v4
	v_lshrrev_b32_e32 v6, 3, v4
	v_and_b32_e32 v12, 7, v0
	v_lshrrev_b32_e32 v13, 5, v4
	v_add_nc_u32_e32 v23, 16, v22
	v_or_b32_e32 v9, s2, v8
	v_add_nc_u32_e32 v7, s0, v6
	v_lshlrev_b32_e32 v14, 2, v12
	v_cmp_gt_i64_e64 s29, s[20:21], 0
	v_lshl_add_u32 v21, v11, 5, 0x400
	s_wait_kmcnt 0x0
	v_mul_lo_u32 v15, s7, v9
	v_mad_co_u64_u32 v[2:3], null, s6, v9, 0
	v_mad_co_u64_u32 v[0:1], null, s12, v7, 0
	s_cselect_b32 s12, -1, 0
	s_ashr_i32 s0, s2, 31
	v_cmp_gt_i32_e64 s1, s3, v7
	s_wait_alu 0xfffe
	s_mul_i32 s0, s6, s0
	s_cmp_neq_f32 s23, 0
	s_wait_alu 0xfffe
	v_add3_u32 v3, v3, s0, v15
	v_mad_co_u64_u32 v[4:5], null, s13, v7, v[1:2]
	v_lshlrev_b32_e32 v1, 2, v8
	v_cmp_gt_i32_e64 s0, s3, v9
	s_delay_alu instid0(VALU_DEP_4)
	v_lshlrev_b64_e32 v[2:3], 2, v[2:3]
	v_mad_co_u64_u32 v[8:9], null, s18, v23, 0
	v_lshl_or_b32 v5, v6, 5, v14
	v_lshl_or_b32 v14, v13, 7, v1
	v_mov_b32_e32 v1, v4
	v_add_co_u32 v16, vcc_lo, s4, v2
	s_delay_alu instid0(VALU_DEP_1)
	v_add_co_ci_u32_e64 v17, null, s5, v3, vcc_lo
	v_mov_b32_e32 v3, v9
	v_add_nc_u32_e32 v15, 0x400, v5
	v_lshlrev_b64_e32 v[0:1], 2, v[0:1]
	s_cselect_b32 s6, -1, 0
	v_lshlrev_b32_e32 v20, 2, v10
	v_mad_co_u64_u32 v[4:5], null, s19, v23, v[3:4]
	v_mov_b32_e32 v5, 0
	s_delay_alu instid0(VALU_DEP_4) | instskip(SKIP_2) | instid1(VALU_DEP_4)
	v_add_co_u32 v18, vcc_lo, s10, v0
	s_wait_alu 0xfffd
	v_add_co_ci_u32_e64 v19, null, s11, v1, vcc_lo
	v_dual_mov_b32 v9, v4 :: v_dual_add_nc_u32 v0, s2, v10
	v_mad_co_u64_u32 v[6:7], null, s18, v22, 0
	v_cmp_gt_i32_e32 vcc_lo, s3, v22
	s_delay_alu instid0(VALU_DEP_3)
	v_cmp_le_i32_e64 s2, v0, v22
	v_cmp_gt_i32_e64 s3, s3, v23
	v_cmp_le_i32_e64 s4, v0, v23
	v_lshlrev_b64_e32 v[8:9], 2, v[8:9]
	s_mov_b32 s25, 0
	v_mov_b32_e32 v1, v7
	s_and_b32 s7, vcc_lo, s2
	s_and_b32 s10, s12, s29
	s_and_b32 s4, s3, s4
	s_delay_alu instid0(VALU_DEP_1) | instskip(SKIP_1) | instid1(VALU_DEP_1)
	v_mad_co_u64_u32 v[1:2], null, s19, v22, v[1:2]
	v_add_nc_u32_e32 v2, 16, v0
	v_cmp_le_i32_e64 s2, v2, v22
	s_delay_alu instid0(VALU_DEP_3)
	v_mov_b32_e32 v7, v1
	v_cmp_le_i32_e64 s5, v2, v23
	v_ashrrev_i32_e32 v1, 31, v0
	v_ashrrev_i32_e32 v3, 31, v2
	s_and_b32 s11, vcc_lo, s2
	v_lshlrev_b64_e32 v[6:7], 2, v[6:7]
	s_and_b32 s5, s3, s5
	s_branch .LBB165_6
.LBB165_5:                              ;   in Loop: Header=BB165_6 Depth=1
	s_wait_alu 0xfffe
	s_or_b32 exec_lo, exec_lo, s2
	s_add_co_i32 s24, s24, 0x10000
	s_delay_alu instid0(SALU_CYCLE_1)
	s_cmp_lt_u32 s24, s28
	s_cbranch_scc0 .LBB165_35
.LBB165_6:                              ; =>This Loop Header: Depth=1
                                        ;     Child Loop BB165_9 Depth 2
	v_dual_mov_b32 v11, v5 :: v_dual_mov_b32 v10, v5
	v_dual_mov_b32 v23, v5 :: v_dual_mov_b32 v22, v5
	s_wait_alu 0xfffe
	s_and_not1_b32 vcc_lo, exec_lo, s10
	s_wait_alu 0xfffe
	s_cbranch_vccnz .LBB165_15
; %bb.7:                                ;   in Loop: Header=BB165_6 Depth=1
	s_mul_u64 s[2:3], s[8:9], s[24:25]
	s_mul_u64 s[12:13], s[14:15], s[24:25]
	s_wait_alu 0xfffe
	s_lshl_b64 s[2:3], s[2:3], 2
	v_dual_mov_b32 v22, 0 :: v_dual_mov_b32 v23, 0
	s_wait_alu 0xfffe
	v_add_co_u32 v24, vcc_lo, v16, s2
	s_wait_alu 0xfffd
	v_add_co_ci_u32_e64 v25, null, s3, v17, vcc_lo
	s_lshl_b64 s[2:3], s[12:13], 2
	v_dual_mov_b32 v10, 0 :: v_dual_mov_b32 v11, 0
	s_wait_alu 0xfffe
	v_add_co_u32 v26, vcc_lo, v18, s2
	s_wait_alu 0xfffd
	v_add_co_ci_u32_e64 v27, null, s3, v19, vcc_lo
	s_mov_b64 s[2:3], 0
	s_branch .LBB165_9
.LBB165_8:                              ;   in Loop: Header=BB165_9 Depth=2
	s_wait_alu 0xfffe
	s_or_b32 exec_lo, exec_lo, s12
	s_wait_loadcnt 0x0
	ds_store_b32 v15, v29
	s_wait_dscnt 0x0
	s_barrier_signal -1
	s_barrier_wait -1
	global_inv scope:SCOPE_SE
	ds_load_b128 v[28:31], v21
	ds_load_2addr_b32 v[44:45], v20 offset1:16
	ds_load_b128 v[32:35], v21 offset:512
	ds_load_2addr_b32 v[46:47], v20 offset0:32 offset1:48
	ds_load_2addr_b32 v[48:49], v20 offset0:64 offset1:80
	;; [unrolled: 1-line block ×3, first 2 shown]
	ds_load_b128 v[36:39], v21 offset:16
	ds_load_2addr_b32 v[52:53], v20 offset0:128 offset1:144
	ds_load_b128 v[40:43], v21 offset:528
	ds_load_2addr_b32 v[54:55], v20 offset0:160 offset1:176
	s_add_nc_u64 s[2:3], s[2:3], 8
	s_wait_alu 0xfffe
	v_cmp_gt_i64_e64 s12, s[20:21], s[2:3]
	s_and_b32 vcc_lo, exec_lo, s12
	s_wait_dscnt 0x8
	v_fmac_f32_e32 v10, v45, v28
	v_fmac_f32_e32 v11, v44, v28
	s_wait_dscnt 0x7
	v_fmac_f32_e32 v22, v45, v32
	v_fmac_f32_e32 v23, v44, v32
	ds_load_2addr_b32 v[44:45], v20 offset0:192 offset1:208
	s_wait_dscnt 0x7
	v_fmac_f32_e32 v10, v47, v29
	v_fmac_f32_e32 v11, v46, v29
	;; [unrolled: 1-line block ×4, first 2 shown]
	ds_load_2addr_b32 v[28:29], v20 offset0:224 offset1:240
	s_wait_dscnt 0x7
	v_fmac_f32_e32 v10, v49, v30
	v_fmac_f32_e32 v11, v48, v30
	;; [unrolled: 1-line block ×4, first 2 shown]
	s_wait_loadcnt_dscnt 0x0
	v_fmac_f32_e32 v10, v51, v31
	v_fmac_f32_e32 v11, v50, v31
	;; [unrolled: 1-line block ×4, first 2 shown]
	s_barrier_signal -1
	v_fmac_f32_e32 v10, v53, v36
	v_fmac_f32_e32 v11, v52, v36
	;; [unrolled: 1-line block ×4, first 2 shown]
	s_barrier_wait -1
	v_fmac_f32_e32 v10, v55, v37
	v_fmac_f32_e32 v11, v54, v37
	;; [unrolled: 1-line block ×4, first 2 shown]
	global_inv scope:SCOPE_SE
	v_fmac_f32_e32 v10, v45, v38
	v_fmac_f32_e32 v11, v44, v38
	;; [unrolled: 1-line block ×3, first 2 shown]
	s_delay_alu instid0(VALU_DEP_3) | instskip(NEXT) | instid1(VALU_DEP_3)
	v_dual_fmac_f32 v23, v44, v42 :: v_dual_fmac_f32 v10, v29, v39
	v_fmac_f32_e32 v11, v28, v39
	s_delay_alu instid0(VALU_DEP_3) | instskip(NEXT) | instid1(VALU_DEP_3)
	v_fmac_f32_e32 v22, v29, v43
	v_fmac_f32_e32 v23, v28, v43
	s_wait_alu 0xfffe
	s_cbranch_vccz .LBB165_15
.LBB165_9:                              ;   Parent Loop BB165_6 Depth=1
                                        ; =>  This Inner Loop Header: Depth=2
	v_mov_b32_e32 v28, 0
	s_and_saveexec_b32 s12, s0
	s_cbranch_execz .LBB165_13
; %bb.10:                               ;   in Loop: Header=BB165_9 Depth=2
	s_wait_alu 0xfffe
	v_add_nc_u32_e32 v4, s2, v13
	v_mov_b32_e32 v28, 0
	s_mov_b32 s13, exec_lo
	s_delay_alu instid0(VALU_DEP_2)
	v_cmpx_gt_u64_e64 s[20:21], v[4:5]
	s_cbranch_execz .LBB165_12
; %bb.11:                               ;   in Loop: Header=BB165_9 Depth=2
	v_lshlrev_b64_e32 v[28:29], 2, v[4:5]
	s_delay_alu instid0(VALU_DEP_1) | instskip(SKIP_1) | instid1(VALU_DEP_2)
	v_add_co_u32 v28, vcc_lo, v24, v28
	s_wait_alu 0xfffd
	v_add_co_ci_u32_e64 v29, null, v25, v29, vcc_lo
	global_load_b32 v28, v[28:29], off
.LBB165_12:                             ;   in Loop: Header=BB165_9 Depth=2
	s_wait_alu 0xfffe
	s_or_b32 exec_lo, exec_lo, s13
.LBB165_13:                             ;   in Loop: Header=BB165_9 Depth=2
	s_wait_alu 0xfffe
	s_or_b32 exec_lo, exec_lo, s12
	v_dual_mov_b32 v29, 0 :: v_dual_add_nc_u32 v4, s2, v12
	s_wait_loadcnt 0x0
	ds_store_b32 v14, v28
	v_cmp_gt_u64_e32 vcc_lo, s[20:21], v[4:5]
	s_and_b32 s13, vcc_lo, s1
	s_wait_alu 0xfffe
	s_and_saveexec_b32 s12, s13
	s_cbranch_execz .LBB165_8
; %bb.14:                               ;   in Loop: Header=BB165_9 Depth=2
	v_lshlrev_b64_e32 v[28:29], 2, v[4:5]
	s_delay_alu instid0(VALU_DEP_1) | instskip(SKIP_1) | instid1(VALU_DEP_2)
	v_add_co_u32 v28, vcc_lo, v26, v28
	s_wait_alu 0xfffd
	v_add_co_ci_u32_e64 v29, null, v27, v29, vcc_lo
	global_load_b32 v29, v[28:29], off
	s_branch .LBB165_8
.LBB165_15:                             ;   in Loop: Header=BB165_6 Depth=1
	s_mul_u64 s[2:3], s[26:27], s[24:25]
	s_wait_alu 0xfffe
	s_lshl_b64 s[2:3], s[2:3], 2
	s_wait_alu 0xfffe
	s_add_nc_u64 s[2:3], s[16:17], s[2:3]
	s_wait_alu 0xfffe
	v_add_co_u32 v4, vcc_lo, s2, v6
	s_wait_alu 0xfffd
	v_add_co_ci_u32_e64 v24, null, s3, v7, vcc_lo
	s_and_saveexec_b32 s12, s7
	s_cbranch_execz .LBB165_19
; %bb.16:                               ;   in Loop: Header=BB165_6 Depth=1
	v_mul_f32_e32 v11, s22, v11
	s_and_b32 vcc_lo, exec_lo, s6
	s_wait_alu 0xfffe
	s_cbranch_vccz .LBB165_30
; %bb.17:                               ;   in Loop: Header=BB165_6 Depth=1
	v_lshlrev_b64_e32 v[25:26], 2, v[0:1]
	s_delay_alu instid0(VALU_DEP_1) | instskip(SKIP_1) | instid1(VALU_DEP_2)
	v_add_co_u32 v25, vcc_lo, v4, v25
	s_wait_alu 0xfffd
	v_add_co_ci_u32_e64 v26, null, v24, v26, vcc_lo
	global_load_b32 v27, v[25:26], off
	s_wait_loadcnt 0x0
	v_fma_f32 v27, s23, v27, v11
	global_store_b32 v[25:26], v27, off
	s_cbranch_execnz .LBB165_19
.LBB165_18:                             ;   in Loop: Header=BB165_6 Depth=1
	v_lshlrev_b64_e32 v[25:26], 2, v[0:1]
	s_delay_alu instid0(VALU_DEP_1) | instskip(SKIP_1) | instid1(VALU_DEP_2)
	v_add_co_u32 v25, vcc_lo, v4, v25
	s_wait_alu 0xfffd
	v_add_co_ci_u32_e64 v26, null, v24, v26, vcc_lo
	global_store_b32 v[25:26], v11, off
.LBB165_19:                             ;   in Loop: Header=BB165_6 Depth=1
	s_wait_alu 0xfffe
	s_or_b32 exec_lo, exec_lo, s12
	s_and_saveexec_b32 s12, s11
	s_cbranch_execz .LBB165_23
; %bb.20:                               ;   in Loop: Header=BB165_6 Depth=1
	v_mul_f32_e32 v10, s22, v10
	s_and_not1_b32 vcc_lo, exec_lo, s6
	s_wait_alu 0xfffe
	s_cbranch_vccnz .LBB165_31
; %bb.21:                               ;   in Loop: Header=BB165_6 Depth=1
	v_lshlrev_b64_e32 v[25:26], 2, v[2:3]
	s_delay_alu instid0(VALU_DEP_1) | instskip(SKIP_1) | instid1(VALU_DEP_2)
	v_add_co_u32 v25, vcc_lo, v4, v25
	s_wait_alu 0xfffd
	v_add_co_ci_u32_e64 v26, null, v24, v26, vcc_lo
	global_load_b32 v11, v[25:26], off
	s_wait_loadcnt 0x0
	v_fma_f32 v11, s23, v11, v10
	global_store_b32 v[25:26], v11, off
	s_cbranch_execnz .LBB165_23
.LBB165_22:                             ;   in Loop: Header=BB165_6 Depth=1
	v_lshlrev_b64_e32 v[25:26], 2, v[2:3]
	s_delay_alu instid0(VALU_DEP_1) | instskip(SKIP_1) | instid1(VALU_DEP_2)
	v_add_co_u32 v25, vcc_lo, v4, v25
	s_wait_alu 0xfffd
	v_add_co_ci_u32_e64 v26, null, v24, v26, vcc_lo
	global_store_b32 v[25:26], v10, off
.LBB165_23:                             ;   in Loop: Header=BB165_6 Depth=1
	s_wait_alu 0xfffe
	s_or_b32 exec_lo, exec_lo, s12
	v_add_co_u32 v4, vcc_lo, s2, v8
	s_wait_alu 0xfffd
	v_add_co_ci_u32_e64 v24, null, s3, v9, vcc_lo
	s_and_saveexec_b32 s2, s4
	s_cbranch_execz .LBB165_27
; %bb.24:                               ;   in Loop: Header=BB165_6 Depth=1
	v_lshlrev_b64_e32 v[10:11], 2, v[0:1]
	v_mul_f32_e32 v23, s22, v23
	s_and_not1_b32 vcc_lo, exec_lo, s6
	s_wait_alu 0xfffe
	s_cbranch_vccnz .LBB165_32
; %bb.25:                               ;   in Loop: Header=BB165_6 Depth=1
	s_delay_alu instid0(VALU_DEP_2)
	v_add_co_u32 v25, vcc_lo, v4, v10
	s_wait_alu 0xfffd
	v_add_co_ci_u32_e64 v26, null, v24, v11, vcc_lo
	global_load_b32 v27, v[25:26], off
	s_wait_loadcnt 0x0
	v_fma_f32 v27, s23, v27, v23
	global_store_b32 v[25:26], v27, off
	s_cbranch_execnz .LBB165_27
.LBB165_26:                             ;   in Loop: Header=BB165_6 Depth=1
	v_add_co_u32 v10, vcc_lo, v4, v10
	s_wait_alu 0xfffd
	v_add_co_ci_u32_e64 v11, null, v24, v11, vcc_lo
	global_store_b32 v[10:11], v23, off
.LBB165_27:                             ;   in Loop: Header=BB165_6 Depth=1
	s_wait_alu 0xfffe
	s_or_b32 exec_lo, exec_lo, s2
	s_and_saveexec_b32 s2, s5
	s_cbranch_execz .LBB165_5
; %bb.28:                               ;   in Loop: Header=BB165_6 Depth=1
	v_lshlrev_b64_e32 v[10:11], 2, v[2:3]
	v_mul_f32_e32 v22, s22, v22
	s_and_not1_b32 vcc_lo, exec_lo, s6
	s_wait_alu 0xfffe
	s_cbranch_vccnz .LBB165_33
; %bb.29:                               ;   in Loop: Header=BB165_6 Depth=1
	s_delay_alu instid0(VALU_DEP_2)
	v_add_co_u32 v25, vcc_lo, v4, v10
	s_wait_alu 0xfffd
	v_add_co_ci_u32_e64 v26, null, v24, v11, vcc_lo
	global_load_b32 v23, v[25:26], off
	s_wait_loadcnt 0x0
	v_fma_f32 v23, s23, v23, v22
	global_store_b32 v[25:26], v23, off
	s_cbranch_execnz .LBB165_5
	s_branch .LBB165_34
.LBB165_30:                             ;   in Loop: Header=BB165_6 Depth=1
	s_branch .LBB165_18
.LBB165_31:                             ;   in Loop: Header=BB165_6 Depth=1
	s_branch .LBB165_22
.LBB165_32:                             ;   in Loop: Header=BB165_6 Depth=1
	s_branch .LBB165_26
.LBB165_33:                             ;   in Loop: Header=BB165_6 Depth=1
.LBB165_34:                             ;   in Loop: Header=BB165_6 Depth=1
	s_delay_alu instid0(VALU_DEP_2)
	v_add_co_u32 v10, vcc_lo, v4, v10
	s_wait_alu 0xfffd
	v_add_co_ci_u32_e64 v11, null, v24, v11, vcc_lo
	global_store_b32 v[10:11], v22, off
	s_branch .LBB165_5
.LBB165_35:
	s_endpgm
	.section	.rodata,"a",@progbits
	.p2align	6, 0x0
	.amdhsa_kernel _ZL29rocblas_internal_gemmt_kernelIlLi16ELi32ELi8ELc84ELc78ELc85ELb0ELb0EffPKfPfEviT_T9_T10_S3_lS5_S3_lS4_T11_S3_li
		.amdhsa_group_segment_fixed_size 2048
		.amdhsa_private_segment_fixed_size 0
		.amdhsa_kernarg_size 108
		.amdhsa_user_sgpr_count 2
		.amdhsa_user_sgpr_dispatch_ptr 0
		.amdhsa_user_sgpr_queue_ptr 0
		.amdhsa_user_sgpr_kernarg_segment_ptr 1
		.amdhsa_user_sgpr_dispatch_id 0
		.amdhsa_user_sgpr_private_segment_size 0
		.amdhsa_wavefront_size32 1
		.amdhsa_uses_dynamic_stack 0
		.amdhsa_enable_private_segment 0
		.amdhsa_system_sgpr_workgroup_id_x 1
		.amdhsa_system_sgpr_workgroup_id_y 1
		.amdhsa_system_sgpr_workgroup_id_z 1
		.amdhsa_system_sgpr_workgroup_info 0
		.amdhsa_system_vgpr_workitem_id 1
		.amdhsa_next_free_vgpr 56
		.amdhsa_next_free_sgpr 30
		.amdhsa_reserve_vcc 1
		.amdhsa_float_round_mode_32 0
		.amdhsa_float_round_mode_16_64 0
		.amdhsa_float_denorm_mode_32 3
		.amdhsa_float_denorm_mode_16_64 3
		.amdhsa_fp16_overflow 0
		.amdhsa_workgroup_processor_mode 1
		.amdhsa_memory_ordered 1
		.amdhsa_forward_progress 1
		.amdhsa_inst_pref_size 15
		.amdhsa_round_robin_scheduling 0
		.amdhsa_exception_fp_ieee_invalid_op 0
		.amdhsa_exception_fp_denorm_src 0
		.amdhsa_exception_fp_ieee_div_zero 0
		.amdhsa_exception_fp_ieee_overflow 0
		.amdhsa_exception_fp_ieee_underflow 0
		.amdhsa_exception_fp_ieee_inexact 0
		.amdhsa_exception_int_div_zero 0
	.end_amdhsa_kernel
	.section	.text._ZL29rocblas_internal_gemmt_kernelIlLi16ELi32ELi8ELc84ELc78ELc85ELb0ELb0EffPKfPfEviT_T9_T10_S3_lS5_S3_lS4_T11_S3_li,"axG",@progbits,_ZL29rocblas_internal_gemmt_kernelIlLi16ELi32ELi8ELc84ELc78ELc85ELb0ELb0EffPKfPfEviT_T9_T10_S3_lS5_S3_lS4_T11_S3_li,comdat
.Lfunc_end165:
	.size	_ZL29rocblas_internal_gemmt_kernelIlLi16ELi32ELi8ELc84ELc78ELc85ELb0ELb0EffPKfPfEviT_T9_T10_S3_lS5_S3_lS4_T11_S3_li, .Lfunc_end165-_ZL29rocblas_internal_gemmt_kernelIlLi16ELi32ELi8ELc84ELc78ELc85ELb0ELb0EffPKfPfEviT_T9_T10_S3_lS5_S3_lS4_T11_S3_li
                                        ; -- End function
	.set _ZL29rocblas_internal_gemmt_kernelIlLi16ELi32ELi8ELc84ELc78ELc85ELb0ELb0EffPKfPfEviT_T9_T10_S3_lS5_S3_lS4_T11_S3_li.num_vgpr, 56
	.set _ZL29rocblas_internal_gemmt_kernelIlLi16ELi32ELi8ELc84ELc78ELc85ELb0ELb0EffPKfPfEviT_T9_T10_S3_lS5_S3_lS4_T11_S3_li.num_agpr, 0
	.set _ZL29rocblas_internal_gemmt_kernelIlLi16ELi32ELi8ELc84ELc78ELc85ELb0ELb0EffPKfPfEviT_T9_T10_S3_lS5_S3_lS4_T11_S3_li.numbered_sgpr, 30
	.set _ZL29rocblas_internal_gemmt_kernelIlLi16ELi32ELi8ELc84ELc78ELc85ELb0ELb0EffPKfPfEviT_T9_T10_S3_lS5_S3_lS4_T11_S3_li.num_named_barrier, 0
	.set _ZL29rocblas_internal_gemmt_kernelIlLi16ELi32ELi8ELc84ELc78ELc85ELb0ELb0EffPKfPfEviT_T9_T10_S3_lS5_S3_lS4_T11_S3_li.private_seg_size, 0
	.set _ZL29rocblas_internal_gemmt_kernelIlLi16ELi32ELi8ELc84ELc78ELc85ELb0ELb0EffPKfPfEviT_T9_T10_S3_lS5_S3_lS4_T11_S3_li.uses_vcc, 1
	.set _ZL29rocblas_internal_gemmt_kernelIlLi16ELi32ELi8ELc84ELc78ELc85ELb0ELb0EffPKfPfEviT_T9_T10_S3_lS5_S3_lS4_T11_S3_li.uses_flat_scratch, 0
	.set _ZL29rocblas_internal_gemmt_kernelIlLi16ELi32ELi8ELc84ELc78ELc85ELb0ELb0EffPKfPfEviT_T9_T10_S3_lS5_S3_lS4_T11_S3_li.has_dyn_sized_stack, 0
	.set _ZL29rocblas_internal_gemmt_kernelIlLi16ELi32ELi8ELc84ELc78ELc85ELb0ELb0EffPKfPfEviT_T9_T10_S3_lS5_S3_lS4_T11_S3_li.has_recursion, 0
	.set _ZL29rocblas_internal_gemmt_kernelIlLi16ELi32ELi8ELc84ELc78ELc85ELb0ELb0EffPKfPfEviT_T9_T10_S3_lS5_S3_lS4_T11_S3_li.has_indirect_call, 0
	.section	.AMDGPU.csdata,"",@progbits
; Kernel info:
; codeLenInByte = 1896
; TotalNumSgprs: 32
; NumVgprs: 56
; ScratchSize: 0
; MemoryBound: 0
; FloatMode: 240
; IeeeMode: 1
; LDSByteSize: 2048 bytes/workgroup (compile time only)
; SGPRBlocks: 0
; VGPRBlocks: 6
; NumSGPRsForWavesPerEU: 32
; NumVGPRsForWavesPerEU: 56
; Occupancy: 16
; WaveLimiterHint : 0
; COMPUTE_PGM_RSRC2:SCRATCH_EN: 0
; COMPUTE_PGM_RSRC2:USER_SGPR: 2
; COMPUTE_PGM_RSRC2:TRAP_HANDLER: 0
; COMPUTE_PGM_RSRC2:TGID_X_EN: 1
; COMPUTE_PGM_RSRC2:TGID_Y_EN: 1
; COMPUTE_PGM_RSRC2:TGID_Z_EN: 1
; COMPUTE_PGM_RSRC2:TIDIG_COMP_CNT: 1
	.section	.text._ZL29rocblas_internal_gemmt_kernelIlLi16ELi32ELi8ELc84ELc84ELc85ELb0ELb0EffPKfPfEviT_T9_T10_S3_lS5_S3_lS4_T11_S3_li,"axG",@progbits,_ZL29rocblas_internal_gemmt_kernelIlLi16ELi32ELi8ELc84ELc84ELc85ELb0ELb0EffPKfPfEviT_T9_T10_S3_lS5_S3_lS4_T11_S3_li,comdat
	.globl	_ZL29rocblas_internal_gemmt_kernelIlLi16ELi32ELi8ELc84ELc84ELc85ELb0ELb0EffPKfPfEviT_T9_T10_S3_lS5_S3_lS4_T11_S3_li ; -- Begin function _ZL29rocblas_internal_gemmt_kernelIlLi16ELi32ELi8ELc84ELc84ELc85ELb0ELb0EffPKfPfEviT_T9_T10_S3_lS5_S3_lS4_T11_S3_li
	.p2align	8
	.type	_ZL29rocblas_internal_gemmt_kernelIlLi16ELi32ELi8ELc84ELc84ELc85ELb0ELb0EffPKfPfEviT_T9_T10_S3_lS5_S3_lS4_T11_S3_li,@function
_ZL29rocblas_internal_gemmt_kernelIlLi16ELi32ELi8ELc84ELc84ELc85ELb0ELb0EffPKfPfEviT_T9_T10_S3_lS5_S3_lS4_T11_S3_li: ; @_ZL29rocblas_internal_gemmt_kernelIlLi16ELi32ELi8ELc84ELc84ELc85ELb0ELb0EffPKfPfEviT_T9_T10_S3_lS5_S3_lS4_T11_S3_li
; %bb.0:
	s_clause 0x1
	s_load_b32 s23, s[0:1], 0x48
	s_load_b96 s[20:22], s[0:1], 0x8
	s_wait_kmcnt 0x0
	s_cmp_neq_f32 s23, 1.0
	s_cselect_b32 s2, -1, 0
	s_delay_alu instid0(SALU_CYCLE_1)
	s_and_b32 vcc_lo, exec_lo, s2
	s_cbranch_vccnz .LBB166_2
; %bb.1:
	s_cmp_lg_u64 s[20:21], 0
	s_cselect_b32 s2, -1, 0
	s_cmp_neq_f32 s22, 0
	s_cselect_b32 s3, -1, 0
	s_delay_alu instid0(SALU_CYCLE_1)
	s_and_b32 s2, s2, s3
.LBB166_2:
	s_delay_alu instid0(SALU_CYCLE_1)
	s_and_not1_b32 vcc_lo, exec_lo, s2
	s_cbranch_vccnz .LBB166_35
; %bb.3:
	s_load_b32 s28, s[0:1], 0x68
	s_lshr_b32 s24, ttmp7, 16
	s_wait_kmcnt 0x0
	s_cmp_ge_u32 s24, s28
	s_cbranch_scc1 .LBB166_35
; %bb.4:
	v_and_b32_e32 v2, 0x3ff, v0
	v_bfe_u32 v3, v0, 10, 10
	s_load_b256 s[4:11], s[0:1], 0x18
	s_lshl_b32 s2, ttmp9, 5
	s_clause 0x2
	s_load_b32 s3, s[0:1], 0x0
	s_load_b128 s[12:15], s[0:1], 0x38
	s_load_b128 s[16:19], s[0:1], 0x50
	v_lshl_add_u32 v4, v3, 4, v2
	s_load_b64 s[26:27], s[0:1], 0x60
	s_lshl_b32 s0, ttmp7, 5
	v_and_b32_e32 v12, 7, v0
	s_and_b32 s0, s0, 0x1fffe0
	v_and_b32_e32 v5, 31, v4
	s_cmp_neq_f32 s22, 0
	v_lshrrev_b32_e32 v9, 3, v4
	v_lshlrev_b32_e32 v8, 2, v12
	v_add_nc_u32_e32 v11, s0, v3
	v_or_b32_e32 v6, s2, v5
	s_cselect_b32 s30, -1, 0
	s_ashr_i32 s1, s2, 31
	v_lshrrev_b32_e32 v13, 5, v4
	v_lshlrev_b32_e32 v4, 2, v5
	v_add_nc_u32_e32 v5, s0, v9
	s_wait_kmcnt 0x0
	v_mul_lo_u32 v7, s7, v6
	v_mad_co_u64_u32 v[0:1], null, s6, v6, 0
	s_wait_alu 0xfffe
	s_mul_i32 s1, s6, s1
	v_cmp_gt_i32_e64 s0, s3, v6
	v_add_nc_u32_e32 v22, 16, v11
	v_lshl_or_b32 v14, v13, 7, v4
	v_lshl_add_u32 v21, v3, 5, 0x400
	s_cmp_neq_f32 s23, 0
	s_wait_alu 0xfffe
	v_add3_u32 v1, v1, s1, v7
	v_lshl_or_b32 v7, v9, 5, v8
	v_mad_co_u64_u32 v[8:9], null, s18, v22, 0
	v_cmp_gt_i64_e64 s29, s[20:21], 0
	s_delay_alu instid0(VALU_DEP_4) | instskip(NEXT) | instid1(VALU_DEP_4)
	v_lshlrev_b64_e32 v[0:1], 2, v[0:1]
	v_add_nc_u32_e32 v15, 0x400, v7
	v_mad_co_u64_u32 v[6:7], null, s18, v11, 0
	v_cmp_gt_i32_e64 s1, s3, v5
	s_cselect_b32 s6, -1, 0
	v_add_co_u32 v16, vcc_lo, s4, v0
	v_lshlrev_b32_e32 v0, 2, v5
	v_add_co_ci_u32_e64 v17, null, s5, v1, vcc_lo
	v_dual_mov_b32 v1, 0 :: v_dual_lshlrev_b32 v20, 2, v2
	s_delay_alu instid0(VALU_DEP_3)
	v_add_co_u32 v18, s4, s10, v0
	v_mov_b32_e32 v0, v7
	v_add_nc_u32_e32 v2, s2, v2
	s_wait_alu 0xf1ff
	v_add_co_ci_u32_e64 v19, null, s11, 0, s4
	s_mov_b32 s25, 0
	v_mad_co_u64_u32 v[3:4], null, s19, v11, v[0:1]
	v_mov_b32_e32 v0, v9
	v_cmp_gt_i32_e32 vcc_lo, s3, v11
	v_cmp_le_i32_e64 s2, v2, v11
	v_add_nc_u32_e32 v4, 16, v2
	v_cmp_gt_i32_e64 s3, s3, v22
	v_mad_co_u64_u32 v[9:10], null, s19, v22, v[0:1]
	v_mov_b32_e32 v7, v3
	s_and_b32 s7, vcc_lo, s2
	v_cmp_le_i32_e64 s2, v4, v11
	v_cmp_le_i32_e64 s4, v2, v22
	;; [unrolled: 1-line block ×3, first 2 shown]
	v_lshlrev_b64_e32 v[6:7], 2, v[6:7]
	v_lshlrev_b64_e32 v[8:9], 2, v[8:9]
	v_ashrrev_i32_e32 v3, 31, v2
	v_ashrrev_i32_e32 v5, 31, v4
	s_and_b32 s10, s30, s29
	s_and_b32 s11, vcc_lo, s2
	s_and_b32 s4, s3, s4
	s_and_b32 s5, s3, s5
	s_branch .LBB166_6
.LBB166_5:                              ;   in Loop: Header=BB166_6 Depth=1
	s_wait_alu 0xfffe
	s_or_b32 exec_lo, exec_lo, s2
	s_add_co_i32 s24, s24, 0x10000
	s_delay_alu instid0(SALU_CYCLE_1)
	s_cmp_lt_u32 s24, s28
	s_cbranch_scc0 .LBB166_35
.LBB166_6:                              ; =>This Loop Header: Depth=1
                                        ;     Child Loop BB166_9 Depth 2
	v_dual_mov_b32 v11, v1 :: v_dual_mov_b32 v10, v1
	v_dual_mov_b32 v23, v1 :: v_dual_mov_b32 v22, v1
	s_wait_alu 0xfffe
	s_and_not1_b32 vcc_lo, exec_lo, s10
	s_wait_alu 0xfffe
	s_cbranch_vccnz .LBB166_15
; %bb.7:                                ;   in Loop: Header=BB166_6 Depth=1
	s_mul_u64 s[2:3], s[8:9], s[24:25]
	s_mul_u64 s[18:19], s[14:15], s[24:25]
	s_wait_alu 0xfffe
	s_lshl_b64 s[2:3], s[2:3], 2
	v_dual_mov_b32 v22, 0 :: v_dual_mov_b32 v23, 0
	s_wait_alu 0xfffe
	v_add_co_u32 v24, vcc_lo, v16, s2
	s_wait_alu 0xfffd
	v_add_co_ci_u32_e64 v25, null, s3, v17, vcc_lo
	s_lshl_b64 s[2:3], s[18:19], 2
	v_dual_mov_b32 v10, 0 :: v_dual_mov_b32 v11, 0
	s_wait_alu 0xfffe
	v_add_co_u32 v26, vcc_lo, v18, s2
	s_wait_alu 0xfffd
	v_add_co_ci_u32_e64 v27, null, s3, v19, vcc_lo
	s_mov_b64 s[2:3], 0
	s_branch .LBB166_9
.LBB166_8:                              ;   in Loop: Header=BB166_9 Depth=2
	s_wait_alu 0xfffe
	s_or_b32 exec_lo, exec_lo, s18
	s_wait_loadcnt 0x0
	ds_store_b32 v15, v29
	s_wait_dscnt 0x0
	s_barrier_signal -1
	s_barrier_wait -1
	global_inv scope:SCOPE_SE
	ds_load_b128 v[28:31], v21
	ds_load_2addr_b32 v[44:45], v20 offset1:16
	ds_load_b128 v[32:35], v21 offset:512
	ds_load_2addr_b32 v[46:47], v20 offset0:32 offset1:48
	ds_load_2addr_b32 v[48:49], v20 offset0:64 offset1:80
	;; [unrolled: 1-line block ×3, first 2 shown]
	ds_load_b128 v[36:39], v21 offset:16
	ds_load_2addr_b32 v[52:53], v20 offset0:128 offset1:144
	ds_load_b128 v[40:43], v21 offset:528
	ds_load_2addr_b32 v[54:55], v20 offset0:160 offset1:176
	s_add_nc_u64 s[2:3], s[2:3], 8
	s_wait_alu 0xfffe
	v_cmp_gt_i64_e64 s18, s[20:21], s[2:3]
	s_and_b32 vcc_lo, exec_lo, s18
	s_wait_dscnt 0x8
	v_fmac_f32_e32 v10, v45, v28
	v_fmac_f32_e32 v11, v44, v28
	s_wait_dscnt 0x7
	v_fmac_f32_e32 v22, v45, v32
	v_fmac_f32_e32 v23, v44, v32
	ds_load_2addr_b32 v[44:45], v20 offset0:192 offset1:208
	s_wait_dscnt 0x7
	v_fmac_f32_e32 v10, v47, v29
	v_fmac_f32_e32 v11, v46, v29
	;; [unrolled: 1-line block ×4, first 2 shown]
	ds_load_2addr_b32 v[28:29], v20 offset0:224 offset1:240
	s_wait_dscnt 0x7
	v_fmac_f32_e32 v10, v49, v30
	v_fmac_f32_e32 v11, v48, v30
	;; [unrolled: 1-line block ×4, first 2 shown]
	s_wait_loadcnt_dscnt 0x0
	v_fmac_f32_e32 v10, v51, v31
	v_fmac_f32_e32 v11, v50, v31
	;; [unrolled: 1-line block ×4, first 2 shown]
	s_barrier_signal -1
	v_fmac_f32_e32 v10, v53, v36
	v_fmac_f32_e32 v11, v52, v36
	;; [unrolled: 1-line block ×4, first 2 shown]
	s_barrier_wait -1
	v_fmac_f32_e32 v10, v55, v37
	v_fmac_f32_e32 v11, v54, v37
	;; [unrolled: 1-line block ×4, first 2 shown]
	global_inv scope:SCOPE_SE
	v_fmac_f32_e32 v10, v45, v38
	v_fmac_f32_e32 v11, v44, v38
	;; [unrolled: 1-line block ×3, first 2 shown]
	s_delay_alu instid0(VALU_DEP_3) | instskip(NEXT) | instid1(VALU_DEP_3)
	v_dual_fmac_f32 v23, v44, v42 :: v_dual_fmac_f32 v10, v29, v39
	v_fmac_f32_e32 v11, v28, v39
	s_delay_alu instid0(VALU_DEP_3) | instskip(NEXT) | instid1(VALU_DEP_3)
	v_fmac_f32_e32 v22, v29, v43
	v_fmac_f32_e32 v23, v28, v43
	s_wait_alu 0xfffe
	s_cbranch_vccz .LBB166_15
.LBB166_9:                              ;   Parent Loop BB166_6 Depth=1
                                        ; =>  This Inner Loop Header: Depth=2
	v_mov_b32_e32 v28, 0
	s_and_saveexec_b32 s18, s0
	s_cbranch_execz .LBB166_13
; %bb.10:                               ;   in Loop: Header=BB166_9 Depth=2
	s_wait_alu 0xfffe
	v_add_nc_u32_e32 v0, s2, v13
	v_mov_b32_e32 v28, 0
	s_mov_b32 s19, exec_lo
	s_delay_alu instid0(VALU_DEP_2)
	v_cmpx_gt_u64_e64 s[20:21], v[0:1]
	s_cbranch_execz .LBB166_12
; %bb.11:                               ;   in Loop: Header=BB166_9 Depth=2
	v_lshlrev_b64_e32 v[28:29], 2, v[0:1]
	s_delay_alu instid0(VALU_DEP_1) | instskip(SKIP_1) | instid1(VALU_DEP_2)
	v_add_co_u32 v28, vcc_lo, v24, v28
	s_wait_alu 0xfffd
	v_add_co_ci_u32_e64 v29, null, v25, v29, vcc_lo
	global_load_b32 v28, v[28:29], off
.LBB166_12:                             ;   in Loop: Header=BB166_9 Depth=2
	s_wait_alu 0xfffe
	s_or_b32 exec_lo, exec_lo, s19
.LBB166_13:                             ;   in Loop: Header=BB166_9 Depth=2
	s_wait_alu 0xfffe
	s_or_b32 exec_lo, exec_lo, s18
	v_dual_mov_b32 v29, 0 :: v_dual_add_nc_u32 v0, s2, v12
	s_wait_loadcnt 0x0
	ds_store_b32 v14, v28
	v_cmp_gt_u64_e32 vcc_lo, s[20:21], v[0:1]
	s_and_b32 s19, vcc_lo, s1
	s_wait_alu 0xfffe
	s_and_saveexec_b32 s18, s19
	s_cbranch_execz .LBB166_8
; %bb.14:                               ;   in Loop: Header=BB166_9 Depth=2
	v_mad_co_u64_u32 v[28:29], null, s12, v0, 0
	s_delay_alu instid0(VALU_DEP_1) | instskip(NEXT) | instid1(VALU_DEP_1)
	v_mad_co_u64_u32 v[29:30], null, s13, v0, v[29:30]
	v_lshlrev_b64_e32 v[28:29], 2, v[28:29]
	s_delay_alu instid0(VALU_DEP_1) | instskip(SKIP_1) | instid1(VALU_DEP_2)
	v_add_co_u32 v28, vcc_lo, v26, v28
	s_wait_alu 0xfffd
	v_add_co_ci_u32_e64 v29, null, v27, v29, vcc_lo
	global_load_b32 v29, v[28:29], off
	s_branch .LBB166_8
.LBB166_15:                             ;   in Loop: Header=BB166_6 Depth=1
	s_mul_u64 s[2:3], s[26:27], s[24:25]
	s_wait_alu 0xfffe
	s_lshl_b64 s[2:3], s[2:3], 2
	s_wait_alu 0xfffe
	s_add_nc_u64 s[2:3], s[16:17], s[2:3]
	s_wait_alu 0xfffe
	v_add_co_u32 v0, vcc_lo, s2, v6
	s_wait_alu 0xfffd
	v_add_co_ci_u32_e64 v24, null, s3, v7, vcc_lo
	s_and_saveexec_b32 s18, s7
	s_cbranch_execz .LBB166_19
; %bb.16:                               ;   in Loop: Header=BB166_6 Depth=1
	v_mul_f32_e32 v11, s22, v11
	s_and_b32 vcc_lo, exec_lo, s6
	s_wait_alu 0xfffe
	s_cbranch_vccz .LBB166_30
; %bb.17:                               ;   in Loop: Header=BB166_6 Depth=1
	v_lshlrev_b64_e32 v[25:26], 2, v[2:3]
	s_delay_alu instid0(VALU_DEP_1) | instskip(SKIP_1) | instid1(VALU_DEP_2)
	v_add_co_u32 v25, vcc_lo, v0, v25
	s_wait_alu 0xfffd
	v_add_co_ci_u32_e64 v26, null, v24, v26, vcc_lo
	global_load_b32 v27, v[25:26], off
	s_wait_loadcnt 0x0
	v_fma_f32 v27, s23, v27, v11
	global_store_b32 v[25:26], v27, off
	s_cbranch_execnz .LBB166_19
.LBB166_18:                             ;   in Loop: Header=BB166_6 Depth=1
	v_lshlrev_b64_e32 v[25:26], 2, v[2:3]
	s_delay_alu instid0(VALU_DEP_1) | instskip(SKIP_1) | instid1(VALU_DEP_2)
	v_add_co_u32 v25, vcc_lo, v0, v25
	s_wait_alu 0xfffd
	v_add_co_ci_u32_e64 v26, null, v24, v26, vcc_lo
	global_store_b32 v[25:26], v11, off
.LBB166_19:                             ;   in Loop: Header=BB166_6 Depth=1
	s_wait_alu 0xfffe
	s_or_b32 exec_lo, exec_lo, s18
	s_and_saveexec_b32 s18, s11
	s_cbranch_execz .LBB166_23
; %bb.20:                               ;   in Loop: Header=BB166_6 Depth=1
	v_mul_f32_e32 v10, s22, v10
	s_and_not1_b32 vcc_lo, exec_lo, s6
	s_wait_alu 0xfffe
	s_cbranch_vccnz .LBB166_31
; %bb.21:                               ;   in Loop: Header=BB166_6 Depth=1
	v_lshlrev_b64_e32 v[25:26], 2, v[4:5]
	s_delay_alu instid0(VALU_DEP_1) | instskip(SKIP_1) | instid1(VALU_DEP_2)
	v_add_co_u32 v25, vcc_lo, v0, v25
	s_wait_alu 0xfffd
	v_add_co_ci_u32_e64 v26, null, v24, v26, vcc_lo
	global_load_b32 v11, v[25:26], off
	s_wait_loadcnt 0x0
	v_fma_f32 v11, s23, v11, v10
	global_store_b32 v[25:26], v11, off
	s_cbranch_execnz .LBB166_23
.LBB166_22:                             ;   in Loop: Header=BB166_6 Depth=1
	v_lshlrev_b64_e32 v[25:26], 2, v[4:5]
	s_delay_alu instid0(VALU_DEP_1) | instskip(SKIP_1) | instid1(VALU_DEP_2)
	v_add_co_u32 v25, vcc_lo, v0, v25
	s_wait_alu 0xfffd
	v_add_co_ci_u32_e64 v26, null, v24, v26, vcc_lo
	global_store_b32 v[25:26], v10, off
.LBB166_23:                             ;   in Loop: Header=BB166_6 Depth=1
	s_wait_alu 0xfffe
	s_or_b32 exec_lo, exec_lo, s18
	v_add_co_u32 v0, vcc_lo, s2, v8
	s_wait_alu 0xfffd
	v_add_co_ci_u32_e64 v24, null, s3, v9, vcc_lo
	s_and_saveexec_b32 s2, s4
	s_cbranch_execz .LBB166_27
; %bb.24:                               ;   in Loop: Header=BB166_6 Depth=1
	v_lshlrev_b64_e32 v[10:11], 2, v[2:3]
	v_mul_f32_e32 v23, s22, v23
	s_and_not1_b32 vcc_lo, exec_lo, s6
	s_wait_alu 0xfffe
	s_cbranch_vccnz .LBB166_32
; %bb.25:                               ;   in Loop: Header=BB166_6 Depth=1
	s_delay_alu instid0(VALU_DEP_2)
	v_add_co_u32 v25, vcc_lo, v0, v10
	s_wait_alu 0xfffd
	v_add_co_ci_u32_e64 v26, null, v24, v11, vcc_lo
	global_load_b32 v27, v[25:26], off
	s_wait_loadcnt 0x0
	v_fma_f32 v27, s23, v27, v23
	global_store_b32 v[25:26], v27, off
	s_cbranch_execnz .LBB166_27
.LBB166_26:                             ;   in Loop: Header=BB166_6 Depth=1
	v_add_co_u32 v10, vcc_lo, v0, v10
	s_wait_alu 0xfffd
	v_add_co_ci_u32_e64 v11, null, v24, v11, vcc_lo
	global_store_b32 v[10:11], v23, off
.LBB166_27:                             ;   in Loop: Header=BB166_6 Depth=1
	s_wait_alu 0xfffe
	s_or_b32 exec_lo, exec_lo, s2
	s_and_saveexec_b32 s2, s5
	s_cbranch_execz .LBB166_5
; %bb.28:                               ;   in Loop: Header=BB166_6 Depth=1
	v_lshlrev_b64_e32 v[10:11], 2, v[4:5]
	v_mul_f32_e32 v22, s22, v22
	s_and_not1_b32 vcc_lo, exec_lo, s6
	s_wait_alu 0xfffe
	s_cbranch_vccnz .LBB166_33
; %bb.29:                               ;   in Loop: Header=BB166_6 Depth=1
	s_delay_alu instid0(VALU_DEP_2)
	v_add_co_u32 v25, vcc_lo, v0, v10
	s_wait_alu 0xfffd
	v_add_co_ci_u32_e64 v26, null, v24, v11, vcc_lo
	global_load_b32 v23, v[25:26], off
	s_wait_loadcnt 0x0
	v_fma_f32 v23, s23, v23, v22
	global_store_b32 v[25:26], v23, off
	s_cbranch_execnz .LBB166_5
	s_branch .LBB166_34
.LBB166_30:                             ;   in Loop: Header=BB166_6 Depth=1
	s_branch .LBB166_18
.LBB166_31:                             ;   in Loop: Header=BB166_6 Depth=1
	s_branch .LBB166_22
.LBB166_32:                             ;   in Loop: Header=BB166_6 Depth=1
	s_branch .LBB166_26
.LBB166_33:                             ;   in Loop: Header=BB166_6 Depth=1
.LBB166_34:                             ;   in Loop: Header=BB166_6 Depth=1
	s_delay_alu instid0(VALU_DEP_2)
	v_add_co_u32 v10, vcc_lo, v0, v10
	s_wait_alu 0xfffd
	v_add_co_ci_u32_e64 v11, null, v24, v11, vcc_lo
	global_store_b32 v[10:11], v22, off
	s_branch .LBB166_5
.LBB166_35:
	s_endpgm
	.section	.rodata,"a",@progbits
	.p2align	6, 0x0
	.amdhsa_kernel _ZL29rocblas_internal_gemmt_kernelIlLi16ELi32ELi8ELc84ELc84ELc85ELb0ELb0EffPKfPfEviT_T9_T10_S3_lS5_S3_lS4_T11_S3_li
		.amdhsa_group_segment_fixed_size 2048
		.amdhsa_private_segment_fixed_size 0
		.amdhsa_kernarg_size 108
		.amdhsa_user_sgpr_count 2
		.amdhsa_user_sgpr_dispatch_ptr 0
		.amdhsa_user_sgpr_queue_ptr 0
		.amdhsa_user_sgpr_kernarg_segment_ptr 1
		.amdhsa_user_sgpr_dispatch_id 0
		.amdhsa_user_sgpr_private_segment_size 0
		.amdhsa_wavefront_size32 1
		.amdhsa_uses_dynamic_stack 0
		.amdhsa_enable_private_segment 0
		.amdhsa_system_sgpr_workgroup_id_x 1
		.amdhsa_system_sgpr_workgroup_id_y 1
		.amdhsa_system_sgpr_workgroup_id_z 1
		.amdhsa_system_sgpr_workgroup_info 0
		.amdhsa_system_vgpr_workitem_id 1
		.amdhsa_next_free_vgpr 56
		.amdhsa_next_free_sgpr 31
		.amdhsa_reserve_vcc 1
		.amdhsa_float_round_mode_32 0
		.amdhsa_float_round_mode_16_64 0
		.amdhsa_float_denorm_mode_32 3
		.amdhsa_float_denorm_mode_16_64 3
		.amdhsa_fp16_overflow 0
		.amdhsa_workgroup_processor_mode 1
		.amdhsa_memory_ordered 1
		.amdhsa_forward_progress 1
		.amdhsa_inst_pref_size 15
		.amdhsa_round_robin_scheduling 0
		.amdhsa_exception_fp_ieee_invalid_op 0
		.amdhsa_exception_fp_denorm_src 0
		.amdhsa_exception_fp_ieee_div_zero 0
		.amdhsa_exception_fp_ieee_overflow 0
		.amdhsa_exception_fp_ieee_underflow 0
		.amdhsa_exception_fp_ieee_inexact 0
		.amdhsa_exception_int_div_zero 0
	.end_amdhsa_kernel
	.section	.text._ZL29rocblas_internal_gemmt_kernelIlLi16ELi32ELi8ELc84ELc84ELc85ELb0ELb0EffPKfPfEviT_T9_T10_S3_lS5_S3_lS4_T11_S3_li,"axG",@progbits,_ZL29rocblas_internal_gemmt_kernelIlLi16ELi32ELi8ELc84ELc84ELc85ELb0ELb0EffPKfPfEviT_T9_T10_S3_lS5_S3_lS4_T11_S3_li,comdat
.Lfunc_end166:
	.size	_ZL29rocblas_internal_gemmt_kernelIlLi16ELi32ELi8ELc84ELc84ELc85ELb0ELb0EffPKfPfEviT_T9_T10_S3_lS5_S3_lS4_T11_S3_li, .Lfunc_end166-_ZL29rocblas_internal_gemmt_kernelIlLi16ELi32ELi8ELc84ELc84ELc85ELb0ELb0EffPKfPfEviT_T9_T10_S3_lS5_S3_lS4_T11_S3_li
                                        ; -- End function
	.set _ZL29rocblas_internal_gemmt_kernelIlLi16ELi32ELi8ELc84ELc84ELc85ELb0ELb0EffPKfPfEviT_T9_T10_S3_lS5_S3_lS4_T11_S3_li.num_vgpr, 56
	.set _ZL29rocblas_internal_gemmt_kernelIlLi16ELi32ELi8ELc84ELc84ELc85ELb0ELb0EffPKfPfEviT_T9_T10_S3_lS5_S3_lS4_T11_S3_li.num_agpr, 0
	.set _ZL29rocblas_internal_gemmt_kernelIlLi16ELi32ELi8ELc84ELc84ELc85ELb0ELb0EffPKfPfEviT_T9_T10_S3_lS5_S3_lS4_T11_S3_li.numbered_sgpr, 31
	.set _ZL29rocblas_internal_gemmt_kernelIlLi16ELi32ELi8ELc84ELc84ELc85ELb0ELb0EffPKfPfEviT_T9_T10_S3_lS5_S3_lS4_T11_S3_li.num_named_barrier, 0
	.set _ZL29rocblas_internal_gemmt_kernelIlLi16ELi32ELi8ELc84ELc84ELc85ELb0ELb0EffPKfPfEviT_T9_T10_S3_lS5_S3_lS4_T11_S3_li.private_seg_size, 0
	.set _ZL29rocblas_internal_gemmt_kernelIlLi16ELi32ELi8ELc84ELc84ELc85ELb0ELb0EffPKfPfEviT_T9_T10_S3_lS5_S3_lS4_T11_S3_li.uses_vcc, 1
	.set _ZL29rocblas_internal_gemmt_kernelIlLi16ELi32ELi8ELc84ELc84ELc85ELb0ELb0EffPKfPfEviT_T9_T10_S3_lS5_S3_lS4_T11_S3_li.uses_flat_scratch, 0
	.set _ZL29rocblas_internal_gemmt_kernelIlLi16ELi32ELi8ELc84ELc84ELc85ELb0ELb0EffPKfPfEviT_T9_T10_S3_lS5_S3_lS4_T11_S3_li.has_dyn_sized_stack, 0
	.set _ZL29rocblas_internal_gemmt_kernelIlLi16ELi32ELi8ELc84ELc84ELc85ELb0ELb0EffPKfPfEviT_T9_T10_S3_lS5_S3_lS4_T11_S3_li.has_recursion, 0
	.set _ZL29rocblas_internal_gemmt_kernelIlLi16ELi32ELi8ELc84ELc84ELc85ELb0ELb0EffPKfPfEviT_T9_T10_S3_lS5_S3_lS4_T11_S3_li.has_indirect_call, 0
	.section	.AMDGPU.csdata,"",@progbits
; Kernel info:
; codeLenInByte = 1876
; TotalNumSgprs: 33
; NumVgprs: 56
; ScratchSize: 0
; MemoryBound: 0
; FloatMode: 240
; IeeeMode: 1
; LDSByteSize: 2048 bytes/workgroup (compile time only)
; SGPRBlocks: 0
; VGPRBlocks: 6
; NumSGPRsForWavesPerEU: 33
; NumVGPRsForWavesPerEU: 56
; Occupancy: 16
; WaveLimiterHint : 0
; COMPUTE_PGM_RSRC2:SCRATCH_EN: 0
; COMPUTE_PGM_RSRC2:USER_SGPR: 2
; COMPUTE_PGM_RSRC2:TRAP_HANDLER: 0
; COMPUTE_PGM_RSRC2:TGID_X_EN: 1
; COMPUTE_PGM_RSRC2:TGID_Y_EN: 1
; COMPUTE_PGM_RSRC2:TGID_Z_EN: 1
; COMPUTE_PGM_RSRC2:TIDIG_COMP_CNT: 1
	.section	.text._ZL29rocblas_internal_gemmt_kernelIlLi16ELi32ELi8ELc84ELc67ELc85ELb0ELb0EffPKfPfEviT_T9_T10_S3_lS5_S3_lS4_T11_S3_li,"axG",@progbits,_ZL29rocblas_internal_gemmt_kernelIlLi16ELi32ELi8ELc84ELc67ELc85ELb0ELb0EffPKfPfEviT_T9_T10_S3_lS5_S3_lS4_T11_S3_li,comdat
	.globl	_ZL29rocblas_internal_gemmt_kernelIlLi16ELi32ELi8ELc84ELc67ELc85ELb0ELb0EffPKfPfEviT_T9_T10_S3_lS5_S3_lS4_T11_S3_li ; -- Begin function _ZL29rocblas_internal_gemmt_kernelIlLi16ELi32ELi8ELc84ELc67ELc85ELb0ELb0EffPKfPfEviT_T9_T10_S3_lS5_S3_lS4_T11_S3_li
	.p2align	8
	.type	_ZL29rocblas_internal_gemmt_kernelIlLi16ELi32ELi8ELc84ELc67ELc85ELb0ELb0EffPKfPfEviT_T9_T10_S3_lS5_S3_lS4_T11_S3_li,@function
_ZL29rocblas_internal_gemmt_kernelIlLi16ELi32ELi8ELc84ELc67ELc85ELb0ELb0EffPKfPfEviT_T9_T10_S3_lS5_S3_lS4_T11_S3_li: ; @_ZL29rocblas_internal_gemmt_kernelIlLi16ELi32ELi8ELc84ELc67ELc85ELb0ELb0EffPKfPfEviT_T9_T10_S3_lS5_S3_lS4_T11_S3_li
; %bb.0:
	s_clause 0x1
	s_load_b32 s23, s[0:1], 0x48
	s_load_b96 s[20:22], s[0:1], 0x8
	s_wait_kmcnt 0x0
	s_cmp_neq_f32 s23, 1.0
	s_cselect_b32 s2, -1, 0
	s_delay_alu instid0(SALU_CYCLE_1)
	s_and_b32 vcc_lo, exec_lo, s2
	s_cbranch_vccnz .LBB167_2
; %bb.1:
	s_cmp_lg_u64 s[20:21], 0
	s_cselect_b32 s2, -1, 0
	s_cmp_neq_f32 s22, 0
	s_cselect_b32 s3, -1, 0
	s_delay_alu instid0(SALU_CYCLE_1)
	s_and_b32 s2, s2, s3
.LBB167_2:
	s_delay_alu instid0(SALU_CYCLE_1)
	s_and_not1_b32 vcc_lo, exec_lo, s2
	s_cbranch_vccnz .LBB167_35
; %bb.3:
	s_load_b32 s28, s[0:1], 0x68
	s_lshr_b32 s24, ttmp7, 16
	s_wait_kmcnt 0x0
	s_cmp_ge_u32 s24, s28
	s_cbranch_scc1 .LBB167_35
; %bb.4:
	v_and_b32_e32 v2, 0x3ff, v0
	v_bfe_u32 v3, v0, 10, 10
	s_load_b256 s[4:11], s[0:1], 0x18
	s_lshl_b32 s2, ttmp9, 5
	s_clause 0x2
	s_load_b32 s3, s[0:1], 0x0
	s_load_b128 s[12:15], s[0:1], 0x38
	s_load_b128 s[16:19], s[0:1], 0x50
	v_lshl_add_u32 v4, v3, 4, v2
	s_load_b64 s[26:27], s[0:1], 0x60
	s_lshl_b32 s0, ttmp7, 5
	v_and_b32_e32 v12, 7, v0
	s_and_b32 s0, s0, 0x1fffe0
	v_and_b32_e32 v5, 31, v4
	s_cmp_neq_f32 s22, 0
	v_lshrrev_b32_e32 v9, 3, v4
	v_lshlrev_b32_e32 v8, 2, v12
	v_add_nc_u32_e32 v11, s0, v3
	v_or_b32_e32 v6, s2, v5
	s_cselect_b32 s30, -1, 0
	s_ashr_i32 s1, s2, 31
	v_lshrrev_b32_e32 v13, 5, v4
	v_lshlrev_b32_e32 v4, 2, v5
	v_add_nc_u32_e32 v5, s0, v9
	s_wait_kmcnt 0x0
	v_mul_lo_u32 v7, s7, v6
	v_mad_co_u64_u32 v[0:1], null, s6, v6, 0
	s_wait_alu 0xfffe
	s_mul_i32 s1, s6, s1
	v_cmp_gt_i32_e64 s0, s3, v6
	v_add_nc_u32_e32 v22, 16, v11
	v_lshl_or_b32 v14, v13, 7, v4
	v_lshl_add_u32 v21, v3, 5, 0x400
	s_cmp_neq_f32 s23, 0
	s_wait_alu 0xfffe
	v_add3_u32 v1, v1, s1, v7
	v_lshl_or_b32 v7, v9, 5, v8
	v_mad_co_u64_u32 v[8:9], null, s18, v22, 0
	v_cmp_gt_i64_e64 s29, s[20:21], 0
	s_delay_alu instid0(VALU_DEP_4) | instskip(NEXT) | instid1(VALU_DEP_4)
	v_lshlrev_b64_e32 v[0:1], 2, v[0:1]
	v_add_nc_u32_e32 v15, 0x400, v7
	v_mad_co_u64_u32 v[6:7], null, s18, v11, 0
	v_cmp_gt_i32_e64 s1, s3, v5
	s_cselect_b32 s6, -1, 0
	v_add_co_u32 v16, vcc_lo, s4, v0
	v_lshlrev_b32_e32 v0, 2, v5
	v_add_co_ci_u32_e64 v17, null, s5, v1, vcc_lo
	v_dual_mov_b32 v1, 0 :: v_dual_lshlrev_b32 v20, 2, v2
	s_delay_alu instid0(VALU_DEP_3)
	v_add_co_u32 v18, s4, s10, v0
	v_mov_b32_e32 v0, v7
	v_add_nc_u32_e32 v2, s2, v2
	s_wait_alu 0xf1ff
	v_add_co_ci_u32_e64 v19, null, s11, 0, s4
	s_mov_b32 s25, 0
	v_mad_co_u64_u32 v[3:4], null, s19, v11, v[0:1]
	v_mov_b32_e32 v0, v9
	v_cmp_gt_i32_e32 vcc_lo, s3, v11
	v_cmp_le_i32_e64 s2, v2, v11
	v_add_nc_u32_e32 v4, 16, v2
	v_cmp_gt_i32_e64 s3, s3, v22
	v_mad_co_u64_u32 v[9:10], null, s19, v22, v[0:1]
	v_mov_b32_e32 v7, v3
	s_and_b32 s7, vcc_lo, s2
	v_cmp_le_i32_e64 s2, v4, v11
	v_cmp_le_i32_e64 s4, v2, v22
	;; [unrolled: 1-line block ×3, first 2 shown]
	v_lshlrev_b64_e32 v[6:7], 2, v[6:7]
	v_lshlrev_b64_e32 v[8:9], 2, v[8:9]
	v_ashrrev_i32_e32 v3, 31, v2
	v_ashrrev_i32_e32 v5, 31, v4
	s_and_b32 s10, s30, s29
	s_and_b32 s11, vcc_lo, s2
	s_and_b32 s4, s3, s4
	s_and_b32 s5, s3, s5
	s_branch .LBB167_6
.LBB167_5:                              ;   in Loop: Header=BB167_6 Depth=1
	s_wait_alu 0xfffe
	s_or_b32 exec_lo, exec_lo, s2
	s_add_co_i32 s24, s24, 0x10000
	s_delay_alu instid0(SALU_CYCLE_1)
	s_cmp_lt_u32 s24, s28
	s_cbranch_scc0 .LBB167_35
.LBB167_6:                              ; =>This Loop Header: Depth=1
                                        ;     Child Loop BB167_9 Depth 2
	v_dual_mov_b32 v11, v1 :: v_dual_mov_b32 v10, v1
	v_dual_mov_b32 v23, v1 :: v_dual_mov_b32 v22, v1
	s_wait_alu 0xfffe
	s_and_not1_b32 vcc_lo, exec_lo, s10
	s_wait_alu 0xfffe
	s_cbranch_vccnz .LBB167_15
; %bb.7:                                ;   in Loop: Header=BB167_6 Depth=1
	s_mul_u64 s[2:3], s[8:9], s[24:25]
	s_mul_u64 s[18:19], s[14:15], s[24:25]
	s_wait_alu 0xfffe
	s_lshl_b64 s[2:3], s[2:3], 2
	v_dual_mov_b32 v22, 0 :: v_dual_mov_b32 v23, 0
	s_wait_alu 0xfffe
	v_add_co_u32 v24, vcc_lo, v16, s2
	s_wait_alu 0xfffd
	v_add_co_ci_u32_e64 v25, null, s3, v17, vcc_lo
	s_lshl_b64 s[2:3], s[18:19], 2
	v_dual_mov_b32 v10, 0 :: v_dual_mov_b32 v11, 0
	s_wait_alu 0xfffe
	v_add_co_u32 v26, vcc_lo, v18, s2
	s_wait_alu 0xfffd
	v_add_co_ci_u32_e64 v27, null, s3, v19, vcc_lo
	s_mov_b64 s[2:3], 0
	s_branch .LBB167_9
.LBB167_8:                              ;   in Loop: Header=BB167_9 Depth=2
	s_wait_alu 0xfffe
	s_or_b32 exec_lo, exec_lo, s18
	s_wait_loadcnt 0x0
	ds_store_b32 v15, v29
	s_wait_dscnt 0x0
	s_barrier_signal -1
	s_barrier_wait -1
	global_inv scope:SCOPE_SE
	ds_load_b128 v[28:31], v21
	ds_load_2addr_b32 v[44:45], v20 offset1:16
	ds_load_b128 v[32:35], v21 offset:512
	ds_load_2addr_b32 v[46:47], v20 offset0:32 offset1:48
	ds_load_2addr_b32 v[48:49], v20 offset0:64 offset1:80
	;; [unrolled: 1-line block ×3, first 2 shown]
	ds_load_b128 v[36:39], v21 offset:16
	ds_load_2addr_b32 v[52:53], v20 offset0:128 offset1:144
	ds_load_b128 v[40:43], v21 offset:528
	ds_load_2addr_b32 v[54:55], v20 offset0:160 offset1:176
	s_add_nc_u64 s[2:3], s[2:3], 8
	s_wait_alu 0xfffe
	v_cmp_gt_i64_e64 s18, s[20:21], s[2:3]
	s_and_b32 vcc_lo, exec_lo, s18
	s_wait_dscnt 0x8
	v_fmac_f32_e32 v10, v45, v28
	v_fmac_f32_e32 v11, v44, v28
	s_wait_dscnt 0x7
	v_fmac_f32_e32 v22, v45, v32
	v_fmac_f32_e32 v23, v44, v32
	ds_load_2addr_b32 v[44:45], v20 offset0:192 offset1:208
	s_wait_dscnt 0x7
	v_fmac_f32_e32 v10, v47, v29
	v_fmac_f32_e32 v11, v46, v29
	;; [unrolled: 1-line block ×4, first 2 shown]
	ds_load_2addr_b32 v[28:29], v20 offset0:224 offset1:240
	s_wait_dscnt 0x7
	v_fmac_f32_e32 v10, v49, v30
	v_fmac_f32_e32 v11, v48, v30
	;; [unrolled: 1-line block ×4, first 2 shown]
	s_wait_loadcnt_dscnt 0x0
	v_fmac_f32_e32 v10, v51, v31
	v_fmac_f32_e32 v11, v50, v31
	;; [unrolled: 1-line block ×4, first 2 shown]
	s_barrier_signal -1
	v_fmac_f32_e32 v10, v53, v36
	v_fmac_f32_e32 v11, v52, v36
	;; [unrolled: 1-line block ×4, first 2 shown]
	s_barrier_wait -1
	v_fmac_f32_e32 v10, v55, v37
	v_fmac_f32_e32 v11, v54, v37
	;; [unrolled: 1-line block ×4, first 2 shown]
	global_inv scope:SCOPE_SE
	v_fmac_f32_e32 v10, v45, v38
	v_fmac_f32_e32 v11, v44, v38
	;; [unrolled: 1-line block ×3, first 2 shown]
	s_delay_alu instid0(VALU_DEP_3) | instskip(NEXT) | instid1(VALU_DEP_3)
	v_dual_fmac_f32 v23, v44, v42 :: v_dual_fmac_f32 v10, v29, v39
	v_fmac_f32_e32 v11, v28, v39
	s_delay_alu instid0(VALU_DEP_3) | instskip(NEXT) | instid1(VALU_DEP_3)
	v_fmac_f32_e32 v22, v29, v43
	v_fmac_f32_e32 v23, v28, v43
	s_wait_alu 0xfffe
	s_cbranch_vccz .LBB167_15
.LBB167_9:                              ;   Parent Loop BB167_6 Depth=1
                                        ; =>  This Inner Loop Header: Depth=2
	v_mov_b32_e32 v28, 0
	s_and_saveexec_b32 s18, s0
	s_cbranch_execz .LBB167_13
; %bb.10:                               ;   in Loop: Header=BB167_9 Depth=2
	s_wait_alu 0xfffe
	v_add_nc_u32_e32 v0, s2, v13
	v_mov_b32_e32 v28, 0
	s_mov_b32 s19, exec_lo
	s_delay_alu instid0(VALU_DEP_2)
	v_cmpx_gt_u64_e64 s[20:21], v[0:1]
	s_cbranch_execz .LBB167_12
; %bb.11:                               ;   in Loop: Header=BB167_9 Depth=2
	v_lshlrev_b64_e32 v[28:29], 2, v[0:1]
	s_delay_alu instid0(VALU_DEP_1) | instskip(SKIP_1) | instid1(VALU_DEP_2)
	v_add_co_u32 v28, vcc_lo, v24, v28
	s_wait_alu 0xfffd
	v_add_co_ci_u32_e64 v29, null, v25, v29, vcc_lo
	global_load_b32 v28, v[28:29], off
.LBB167_12:                             ;   in Loop: Header=BB167_9 Depth=2
	s_wait_alu 0xfffe
	s_or_b32 exec_lo, exec_lo, s19
.LBB167_13:                             ;   in Loop: Header=BB167_9 Depth=2
	s_wait_alu 0xfffe
	s_or_b32 exec_lo, exec_lo, s18
	v_dual_mov_b32 v29, 0 :: v_dual_add_nc_u32 v0, s2, v12
	s_wait_loadcnt 0x0
	ds_store_b32 v14, v28
	v_cmp_gt_u64_e32 vcc_lo, s[20:21], v[0:1]
	s_and_b32 s19, vcc_lo, s1
	s_wait_alu 0xfffe
	s_and_saveexec_b32 s18, s19
	s_cbranch_execz .LBB167_8
; %bb.14:                               ;   in Loop: Header=BB167_9 Depth=2
	v_mad_co_u64_u32 v[28:29], null, s12, v0, 0
	s_delay_alu instid0(VALU_DEP_1) | instskip(NEXT) | instid1(VALU_DEP_1)
	v_mad_co_u64_u32 v[29:30], null, s13, v0, v[29:30]
	v_lshlrev_b64_e32 v[28:29], 2, v[28:29]
	s_delay_alu instid0(VALU_DEP_1) | instskip(SKIP_1) | instid1(VALU_DEP_2)
	v_add_co_u32 v28, vcc_lo, v26, v28
	s_wait_alu 0xfffd
	v_add_co_ci_u32_e64 v29, null, v27, v29, vcc_lo
	global_load_b32 v29, v[28:29], off
	s_branch .LBB167_8
.LBB167_15:                             ;   in Loop: Header=BB167_6 Depth=1
	s_mul_u64 s[2:3], s[26:27], s[24:25]
	s_wait_alu 0xfffe
	s_lshl_b64 s[2:3], s[2:3], 2
	s_wait_alu 0xfffe
	s_add_nc_u64 s[2:3], s[16:17], s[2:3]
	s_wait_alu 0xfffe
	v_add_co_u32 v0, vcc_lo, s2, v6
	s_wait_alu 0xfffd
	v_add_co_ci_u32_e64 v24, null, s3, v7, vcc_lo
	s_and_saveexec_b32 s18, s7
	s_cbranch_execz .LBB167_19
; %bb.16:                               ;   in Loop: Header=BB167_6 Depth=1
	v_mul_f32_e32 v11, s22, v11
	s_and_b32 vcc_lo, exec_lo, s6
	s_wait_alu 0xfffe
	s_cbranch_vccz .LBB167_30
; %bb.17:                               ;   in Loop: Header=BB167_6 Depth=1
	v_lshlrev_b64_e32 v[25:26], 2, v[2:3]
	s_delay_alu instid0(VALU_DEP_1) | instskip(SKIP_1) | instid1(VALU_DEP_2)
	v_add_co_u32 v25, vcc_lo, v0, v25
	s_wait_alu 0xfffd
	v_add_co_ci_u32_e64 v26, null, v24, v26, vcc_lo
	global_load_b32 v27, v[25:26], off
	s_wait_loadcnt 0x0
	v_fma_f32 v27, s23, v27, v11
	global_store_b32 v[25:26], v27, off
	s_cbranch_execnz .LBB167_19
.LBB167_18:                             ;   in Loop: Header=BB167_6 Depth=1
	v_lshlrev_b64_e32 v[25:26], 2, v[2:3]
	s_delay_alu instid0(VALU_DEP_1) | instskip(SKIP_1) | instid1(VALU_DEP_2)
	v_add_co_u32 v25, vcc_lo, v0, v25
	s_wait_alu 0xfffd
	v_add_co_ci_u32_e64 v26, null, v24, v26, vcc_lo
	global_store_b32 v[25:26], v11, off
.LBB167_19:                             ;   in Loop: Header=BB167_6 Depth=1
	s_wait_alu 0xfffe
	s_or_b32 exec_lo, exec_lo, s18
	s_and_saveexec_b32 s18, s11
	s_cbranch_execz .LBB167_23
; %bb.20:                               ;   in Loop: Header=BB167_6 Depth=1
	v_mul_f32_e32 v10, s22, v10
	s_and_not1_b32 vcc_lo, exec_lo, s6
	s_wait_alu 0xfffe
	s_cbranch_vccnz .LBB167_31
; %bb.21:                               ;   in Loop: Header=BB167_6 Depth=1
	v_lshlrev_b64_e32 v[25:26], 2, v[4:5]
	s_delay_alu instid0(VALU_DEP_1) | instskip(SKIP_1) | instid1(VALU_DEP_2)
	v_add_co_u32 v25, vcc_lo, v0, v25
	s_wait_alu 0xfffd
	v_add_co_ci_u32_e64 v26, null, v24, v26, vcc_lo
	global_load_b32 v11, v[25:26], off
	s_wait_loadcnt 0x0
	v_fma_f32 v11, s23, v11, v10
	global_store_b32 v[25:26], v11, off
	s_cbranch_execnz .LBB167_23
.LBB167_22:                             ;   in Loop: Header=BB167_6 Depth=1
	v_lshlrev_b64_e32 v[25:26], 2, v[4:5]
	s_delay_alu instid0(VALU_DEP_1) | instskip(SKIP_1) | instid1(VALU_DEP_2)
	v_add_co_u32 v25, vcc_lo, v0, v25
	s_wait_alu 0xfffd
	v_add_co_ci_u32_e64 v26, null, v24, v26, vcc_lo
	global_store_b32 v[25:26], v10, off
.LBB167_23:                             ;   in Loop: Header=BB167_6 Depth=1
	s_wait_alu 0xfffe
	s_or_b32 exec_lo, exec_lo, s18
	v_add_co_u32 v0, vcc_lo, s2, v8
	s_wait_alu 0xfffd
	v_add_co_ci_u32_e64 v24, null, s3, v9, vcc_lo
	s_and_saveexec_b32 s2, s4
	s_cbranch_execz .LBB167_27
; %bb.24:                               ;   in Loop: Header=BB167_6 Depth=1
	v_lshlrev_b64_e32 v[10:11], 2, v[2:3]
	v_mul_f32_e32 v23, s22, v23
	s_and_not1_b32 vcc_lo, exec_lo, s6
	s_wait_alu 0xfffe
	s_cbranch_vccnz .LBB167_32
; %bb.25:                               ;   in Loop: Header=BB167_6 Depth=1
	s_delay_alu instid0(VALU_DEP_2)
	v_add_co_u32 v25, vcc_lo, v0, v10
	s_wait_alu 0xfffd
	v_add_co_ci_u32_e64 v26, null, v24, v11, vcc_lo
	global_load_b32 v27, v[25:26], off
	s_wait_loadcnt 0x0
	v_fma_f32 v27, s23, v27, v23
	global_store_b32 v[25:26], v27, off
	s_cbranch_execnz .LBB167_27
.LBB167_26:                             ;   in Loop: Header=BB167_6 Depth=1
	v_add_co_u32 v10, vcc_lo, v0, v10
	s_wait_alu 0xfffd
	v_add_co_ci_u32_e64 v11, null, v24, v11, vcc_lo
	global_store_b32 v[10:11], v23, off
.LBB167_27:                             ;   in Loop: Header=BB167_6 Depth=1
	s_wait_alu 0xfffe
	s_or_b32 exec_lo, exec_lo, s2
	s_and_saveexec_b32 s2, s5
	s_cbranch_execz .LBB167_5
; %bb.28:                               ;   in Loop: Header=BB167_6 Depth=1
	v_lshlrev_b64_e32 v[10:11], 2, v[4:5]
	v_mul_f32_e32 v22, s22, v22
	s_and_not1_b32 vcc_lo, exec_lo, s6
	s_wait_alu 0xfffe
	s_cbranch_vccnz .LBB167_33
; %bb.29:                               ;   in Loop: Header=BB167_6 Depth=1
	s_delay_alu instid0(VALU_DEP_2)
	v_add_co_u32 v25, vcc_lo, v0, v10
	s_wait_alu 0xfffd
	v_add_co_ci_u32_e64 v26, null, v24, v11, vcc_lo
	global_load_b32 v23, v[25:26], off
	s_wait_loadcnt 0x0
	v_fma_f32 v23, s23, v23, v22
	global_store_b32 v[25:26], v23, off
	s_cbranch_execnz .LBB167_5
	s_branch .LBB167_34
.LBB167_30:                             ;   in Loop: Header=BB167_6 Depth=1
	s_branch .LBB167_18
.LBB167_31:                             ;   in Loop: Header=BB167_6 Depth=1
	s_branch .LBB167_22
.LBB167_32:                             ;   in Loop: Header=BB167_6 Depth=1
	s_branch .LBB167_26
.LBB167_33:                             ;   in Loop: Header=BB167_6 Depth=1
.LBB167_34:                             ;   in Loop: Header=BB167_6 Depth=1
	s_delay_alu instid0(VALU_DEP_2)
	v_add_co_u32 v10, vcc_lo, v0, v10
	s_wait_alu 0xfffd
	v_add_co_ci_u32_e64 v11, null, v24, v11, vcc_lo
	global_store_b32 v[10:11], v22, off
	s_branch .LBB167_5
.LBB167_35:
	s_endpgm
	.section	.rodata,"a",@progbits
	.p2align	6, 0x0
	.amdhsa_kernel _ZL29rocblas_internal_gemmt_kernelIlLi16ELi32ELi8ELc84ELc67ELc85ELb0ELb0EffPKfPfEviT_T9_T10_S3_lS5_S3_lS4_T11_S3_li
		.amdhsa_group_segment_fixed_size 2048
		.amdhsa_private_segment_fixed_size 0
		.amdhsa_kernarg_size 108
		.amdhsa_user_sgpr_count 2
		.amdhsa_user_sgpr_dispatch_ptr 0
		.amdhsa_user_sgpr_queue_ptr 0
		.amdhsa_user_sgpr_kernarg_segment_ptr 1
		.amdhsa_user_sgpr_dispatch_id 0
		.amdhsa_user_sgpr_private_segment_size 0
		.amdhsa_wavefront_size32 1
		.amdhsa_uses_dynamic_stack 0
		.amdhsa_enable_private_segment 0
		.amdhsa_system_sgpr_workgroup_id_x 1
		.amdhsa_system_sgpr_workgroup_id_y 1
		.amdhsa_system_sgpr_workgroup_id_z 1
		.amdhsa_system_sgpr_workgroup_info 0
		.amdhsa_system_vgpr_workitem_id 1
		.amdhsa_next_free_vgpr 56
		.amdhsa_next_free_sgpr 31
		.amdhsa_reserve_vcc 1
		.amdhsa_float_round_mode_32 0
		.amdhsa_float_round_mode_16_64 0
		.amdhsa_float_denorm_mode_32 3
		.amdhsa_float_denorm_mode_16_64 3
		.amdhsa_fp16_overflow 0
		.amdhsa_workgroup_processor_mode 1
		.amdhsa_memory_ordered 1
		.amdhsa_forward_progress 1
		.amdhsa_inst_pref_size 15
		.amdhsa_round_robin_scheduling 0
		.amdhsa_exception_fp_ieee_invalid_op 0
		.amdhsa_exception_fp_denorm_src 0
		.amdhsa_exception_fp_ieee_div_zero 0
		.amdhsa_exception_fp_ieee_overflow 0
		.amdhsa_exception_fp_ieee_underflow 0
		.amdhsa_exception_fp_ieee_inexact 0
		.amdhsa_exception_int_div_zero 0
	.end_amdhsa_kernel
	.section	.text._ZL29rocblas_internal_gemmt_kernelIlLi16ELi32ELi8ELc84ELc67ELc85ELb0ELb0EffPKfPfEviT_T9_T10_S3_lS5_S3_lS4_T11_S3_li,"axG",@progbits,_ZL29rocblas_internal_gemmt_kernelIlLi16ELi32ELi8ELc84ELc67ELc85ELb0ELb0EffPKfPfEviT_T9_T10_S3_lS5_S3_lS4_T11_S3_li,comdat
.Lfunc_end167:
	.size	_ZL29rocblas_internal_gemmt_kernelIlLi16ELi32ELi8ELc84ELc67ELc85ELb0ELb0EffPKfPfEviT_T9_T10_S3_lS5_S3_lS4_T11_S3_li, .Lfunc_end167-_ZL29rocblas_internal_gemmt_kernelIlLi16ELi32ELi8ELc84ELc67ELc85ELb0ELb0EffPKfPfEviT_T9_T10_S3_lS5_S3_lS4_T11_S3_li
                                        ; -- End function
	.set _ZL29rocblas_internal_gemmt_kernelIlLi16ELi32ELi8ELc84ELc67ELc85ELb0ELb0EffPKfPfEviT_T9_T10_S3_lS5_S3_lS4_T11_S3_li.num_vgpr, 56
	.set _ZL29rocblas_internal_gemmt_kernelIlLi16ELi32ELi8ELc84ELc67ELc85ELb0ELb0EffPKfPfEviT_T9_T10_S3_lS5_S3_lS4_T11_S3_li.num_agpr, 0
	.set _ZL29rocblas_internal_gemmt_kernelIlLi16ELi32ELi8ELc84ELc67ELc85ELb0ELb0EffPKfPfEviT_T9_T10_S3_lS5_S3_lS4_T11_S3_li.numbered_sgpr, 31
	.set _ZL29rocblas_internal_gemmt_kernelIlLi16ELi32ELi8ELc84ELc67ELc85ELb0ELb0EffPKfPfEviT_T9_T10_S3_lS5_S3_lS4_T11_S3_li.num_named_barrier, 0
	.set _ZL29rocblas_internal_gemmt_kernelIlLi16ELi32ELi8ELc84ELc67ELc85ELb0ELb0EffPKfPfEviT_T9_T10_S3_lS5_S3_lS4_T11_S3_li.private_seg_size, 0
	.set _ZL29rocblas_internal_gemmt_kernelIlLi16ELi32ELi8ELc84ELc67ELc85ELb0ELb0EffPKfPfEviT_T9_T10_S3_lS5_S3_lS4_T11_S3_li.uses_vcc, 1
	.set _ZL29rocblas_internal_gemmt_kernelIlLi16ELi32ELi8ELc84ELc67ELc85ELb0ELb0EffPKfPfEviT_T9_T10_S3_lS5_S3_lS4_T11_S3_li.uses_flat_scratch, 0
	.set _ZL29rocblas_internal_gemmt_kernelIlLi16ELi32ELi8ELc84ELc67ELc85ELb0ELb0EffPKfPfEviT_T9_T10_S3_lS5_S3_lS4_T11_S3_li.has_dyn_sized_stack, 0
	.set _ZL29rocblas_internal_gemmt_kernelIlLi16ELi32ELi8ELc84ELc67ELc85ELb0ELb0EffPKfPfEviT_T9_T10_S3_lS5_S3_lS4_T11_S3_li.has_recursion, 0
	.set _ZL29rocblas_internal_gemmt_kernelIlLi16ELi32ELi8ELc84ELc67ELc85ELb0ELb0EffPKfPfEviT_T9_T10_S3_lS5_S3_lS4_T11_S3_li.has_indirect_call, 0
	.section	.AMDGPU.csdata,"",@progbits
; Kernel info:
; codeLenInByte = 1876
; TotalNumSgprs: 33
; NumVgprs: 56
; ScratchSize: 0
; MemoryBound: 0
; FloatMode: 240
; IeeeMode: 1
; LDSByteSize: 2048 bytes/workgroup (compile time only)
; SGPRBlocks: 0
; VGPRBlocks: 6
; NumSGPRsForWavesPerEU: 33
; NumVGPRsForWavesPerEU: 56
; Occupancy: 16
; WaveLimiterHint : 0
; COMPUTE_PGM_RSRC2:SCRATCH_EN: 0
; COMPUTE_PGM_RSRC2:USER_SGPR: 2
; COMPUTE_PGM_RSRC2:TRAP_HANDLER: 0
; COMPUTE_PGM_RSRC2:TGID_X_EN: 1
; COMPUTE_PGM_RSRC2:TGID_Y_EN: 1
; COMPUTE_PGM_RSRC2:TGID_Z_EN: 1
; COMPUTE_PGM_RSRC2:TIDIG_COMP_CNT: 1
	.section	.text._ZL29rocblas_internal_gemmt_kernelIlLi16ELi32ELi8ELc67ELc78ELc85ELb0ELb0EffPKfPfEviT_T9_T10_S3_lS5_S3_lS4_T11_S3_li,"axG",@progbits,_ZL29rocblas_internal_gemmt_kernelIlLi16ELi32ELi8ELc67ELc78ELc85ELb0ELb0EffPKfPfEviT_T9_T10_S3_lS5_S3_lS4_T11_S3_li,comdat
	.globl	_ZL29rocblas_internal_gemmt_kernelIlLi16ELi32ELi8ELc67ELc78ELc85ELb0ELb0EffPKfPfEviT_T9_T10_S3_lS5_S3_lS4_T11_S3_li ; -- Begin function _ZL29rocblas_internal_gemmt_kernelIlLi16ELi32ELi8ELc67ELc78ELc85ELb0ELb0EffPKfPfEviT_T9_T10_S3_lS5_S3_lS4_T11_S3_li
	.p2align	8
	.type	_ZL29rocblas_internal_gemmt_kernelIlLi16ELi32ELi8ELc67ELc78ELc85ELb0ELb0EffPKfPfEviT_T9_T10_S3_lS5_S3_lS4_T11_S3_li,@function
_ZL29rocblas_internal_gemmt_kernelIlLi16ELi32ELi8ELc67ELc78ELc85ELb0ELb0EffPKfPfEviT_T9_T10_S3_lS5_S3_lS4_T11_S3_li: ; @_ZL29rocblas_internal_gemmt_kernelIlLi16ELi32ELi8ELc67ELc78ELc85ELb0ELb0EffPKfPfEviT_T9_T10_S3_lS5_S3_lS4_T11_S3_li
; %bb.0:
	s_clause 0x1
	s_load_b32 s23, s[0:1], 0x48
	s_load_b96 s[20:22], s[0:1], 0x8
	s_wait_kmcnt 0x0
	s_cmp_neq_f32 s23, 1.0
	s_cselect_b32 s2, -1, 0
	s_delay_alu instid0(SALU_CYCLE_1)
	s_and_b32 vcc_lo, exec_lo, s2
	s_cbranch_vccnz .LBB168_2
; %bb.1:
	s_cmp_lg_u64 s[20:21], 0
	s_cselect_b32 s2, -1, 0
	s_cmp_neq_f32 s22, 0
	s_cselect_b32 s3, -1, 0
	s_delay_alu instid0(SALU_CYCLE_1)
	s_and_b32 s2, s2, s3
.LBB168_2:
	s_delay_alu instid0(SALU_CYCLE_1)
	s_and_not1_b32 vcc_lo, exec_lo, s2
	s_cbranch_vccnz .LBB168_35
; %bb.3:
	s_load_b32 s28, s[0:1], 0x68
	s_lshr_b32 s24, ttmp7, 16
	s_wait_kmcnt 0x0
	s_cmp_ge_u32 s24, s28
	s_cbranch_scc1 .LBB168_35
; %bb.4:
	v_and_b32_e32 v10, 0x3ff, v0
	v_bfe_u32 v11, v0, 10, 10
	s_clause 0x4
	s_load_b256 s[4:11], s[0:1], 0x18
	s_load_b32 s3, s[0:1], 0x0
	s_load_b128 s[16:19], s[0:1], 0x50
	s_load_b128 s[12:15], s[0:1], 0x38
	s_load_b64 s[26:27], s[0:1], 0x60
	s_lshl_b32 s2, ttmp7, 5
	v_lshl_add_u32 v4, v11, 4, v10
	s_and_b32 s0, s2, 0x1fffe0
	s_lshl_b32 s2, ttmp9, 5
	s_cmp_neq_f32 s22, 0
	v_add_nc_u32_e32 v22, s0, v11
	v_and_b32_e32 v8, 31, v4
	v_lshrrev_b32_e32 v6, 3, v4
	v_and_b32_e32 v12, 7, v0
	v_lshrrev_b32_e32 v13, 5, v4
	v_add_nc_u32_e32 v23, 16, v22
	v_or_b32_e32 v9, s2, v8
	v_add_nc_u32_e32 v7, s0, v6
	v_lshlrev_b32_e32 v14, 2, v12
	v_cmp_gt_i64_e64 s29, s[20:21], 0
	v_lshl_add_u32 v21, v11, 5, 0x400
	s_wait_kmcnt 0x0
	v_mul_lo_u32 v15, s7, v9
	v_mad_co_u64_u32 v[2:3], null, s6, v9, 0
	v_mad_co_u64_u32 v[0:1], null, s12, v7, 0
	s_cselect_b32 s12, -1, 0
	s_ashr_i32 s0, s2, 31
	v_cmp_gt_i32_e64 s1, s3, v7
	s_wait_alu 0xfffe
	s_mul_i32 s0, s6, s0
	s_cmp_neq_f32 s23, 0
	s_wait_alu 0xfffe
	v_add3_u32 v3, v3, s0, v15
	v_mad_co_u64_u32 v[4:5], null, s13, v7, v[1:2]
	v_lshlrev_b32_e32 v1, 2, v8
	v_cmp_gt_i32_e64 s0, s3, v9
	s_delay_alu instid0(VALU_DEP_4)
	v_lshlrev_b64_e32 v[2:3], 2, v[2:3]
	v_mad_co_u64_u32 v[8:9], null, s18, v23, 0
	v_lshl_or_b32 v5, v6, 5, v14
	v_lshl_or_b32 v14, v13, 7, v1
	v_mov_b32_e32 v1, v4
	v_add_co_u32 v16, vcc_lo, s4, v2
	s_delay_alu instid0(VALU_DEP_1)
	v_add_co_ci_u32_e64 v17, null, s5, v3, vcc_lo
	v_mov_b32_e32 v3, v9
	v_add_nc_u32_e32 v15, 0x400, v5
	v_lshlrev_b64_e32 v[0:1], 2, v[0:1]
	s_cselect_b32 s6, -1, 0
	v_lshlrev_b32_e32 v20, 2, v10
	v_mad_co_u64_u32 v[4:5], null, s19, v23, v[3:4]
	v_mov_b32_e32 v5, 0
	s_delay_alu instid0(VALU_DEP_4) | instskip(SKIP_2) | instid1(VALU_DEP_4)
	v_add_co_u32 v18, vcc_lo, s10, v0
	s_wait_alu 0xfffd
	v_add_co_ci_u32_e64 v19, null, s11, v1, vcc_lo
	v_dual_mov_b32 v9, v4 :: v_dual_add_nc_u32 v0, s2, v10
	v_mad_co_u64_u32 v[6:7], null, s18, v22, 0
	v_cmp_gt_i32_e32 vcc_lo, s3, v22
	s_delay_alu instid0(VALU_DEP_3)
	v_cmp_le_i32_e64 s2, v0, v22
	v_cmp_gt_i32_e64 s3, s3, v23
	v_cmp_le_i32_e64 s4, v0, v23
	v_lshlrev_b64_e32 v[8:9], 2, v[8:9]
	s_mov_b32 s25, 0
	v_mov_b32_e32 v1, v7
	s_and_b32 s7, vcc_lo, s2
	s_and_b32 s10, s12, s29
	s_and_b32 s4, s3, s4
	s_delay_alu instid0(VALU_DEP_1) | instskip(SKIP_1) | instid1(VALU_DEP_1)
	v_mad_co_u64_u32 v[1:2], null, s19, v22, v[1:2]
	v_add_nc_u32_e32 v2, 16, v0
	v_cmp_le_i32_e64 s2, v2, v22
	s_delay_alu instid0(VALU_DEP_3)
	v_mov_b32_e32 v7, v1
	v_cmp_le_i32_e64 s5, v2, v23
	v_ashrrev_i32_e32 v1, 31, v0
	v_ashrrev_i32_e32 v3, 31, v2
	s_and_b32 s11, vcc_lo, s2
	v_lshlrev_b64_e32 v[6:7], 2, v[6:7]
	s_and_b32 s5, s3, s5
	s_branch .LBB168_6
.LBB168_5:                              ;   in Loop: Header=BB168_6 Depth=1
	s_wait_alu 0xfffe
	s_or_b32 exec_lo, exec_lo, s2
	s_add_co_i32 s24, s24, 0x10000
	s_delay_alu instid0(SALU_CYCLE_1)
	s_cmp_lt_u32 s24, s28
	s_cbranch_scc0 .LBB168_35
.LBB168_6:                              ; =>This Loop Header: Depth=1
                                        ;     Child Loop BB168_9 Depth 2
	v_dual_mov_b32 v11, v5 :: v_dual_mov_b32 v10, v5
	v_dual_mov_b32 v23, v5 :: v_dual_mov_b32 v22, v5
	s_wait_alu 0xfffe
	s_and_not1_b32 vcc_lo, exec_lo, s10
	s_wait_alu 0xfffe
	s_cbranch_vccnz .LBB168_15
; %bb.7:                                ;   in Loop: Header=BB168_6 Depth=1
	s_mul_u64 s[2:3], s[8:9], s[24:25]
	s_mul_u64 s[12:13], s[14:15], s[24:25]
	s_wait_alu 0xfffe
	s_lshl_b64 s[2:3], s[2:3], 2
	v_dual_mov_b32 v22, 0 :: v_dual_mov_b32 v23, 0
	s_wait_alu 0xfffe
	v_add_co_u32 v24, vcc_lo, v16, s2
	s_wait_alu 0xfffd
	v_add_co_ci_u32_e64 v25, null, s3, v17, vcc_lo
	s_lshl_b64 s[2:3], s[12:13], 2
	v_dual_mov_b32 v10, 0 :: v_dual_mov_b32 v11, 0
	s_wait_alu 0xfffe
	v_add_co_u32 v26, vcc_lo, v18, s2
	s_wait_alu 0xfffd
	v_add_co_ci_u32_e64 v27, null, s3, v19, vcc_lo
	s_mov_b64 s[2:3], 0
	s_branch .LBB168_9
.LBB168_8:                              ;   in Loop: Header=BB168_9 Depth=2
	s_wait_alu 0xfffe
	s_or_b32 exec_lo, exec_lo, s12
	s_wait_loadcnt 0x0
	ds_store_b32 v15, v29
	s_wait_dscnt 0x0
	s_barrier_signal -1
	s_barrier_wait -1
	global_inv scope:SCOPE_SE
	ds_load_b128 v[28:31], v21
	ds_load_2addr_b32 v[44:45], v20 offset1:16
	ds_load_b128 v[32:35], v21 offset:512
	ds_load_2addr_b32 v[46:47], v20 offset0:32 offset1:48
	ds_load_2addr_b32 v[48:49], v20 offset0:64 offset1:80
	;; [unrolled: 1-line block ×3, first 2 shown]
	ds_load_b128 v[36:39], v21 offset:16
	ds_load_2addr_b32 v[52:53], v20 offset0:128 offset1:144
	ds_load_b128 v[40:43], v21 offset:528
	ds_load_2addr_b32 v[54:55], v20 offset0:160 offset1:176
	s_add_nc_u64 s[2:3], s[2:3], 8
	s_wait_alu 0xfffe
	v_cmp_gt_i64_e64 s12, s[20:21], s[2:3]
	s_and_b32 vcc_lo, exec_lo, s12
	s_wait_dscnt 0x8
	v_fmac_f32_e32 v10, v45, v28
	v_fmac_f32_e32 v11, v44, v28
	s_wait_dscnt 0x7
	v_fmac_f32_e32 v22, v45, v32
	v_fmac_f32_e32 v23, v44, v32
	ds_load_2addr_b32 v[44:45], v20 offset0:192 offset1:208
	s_wait_dscnt 0x7
	v_fmac_f32_e32 v10, v47, v29
	v_fmac_f32_e32 v11, v46, v29
	;; [unrolled: 1-line block ×4, first 2 shown]
	ds_load_2addr_b32 v[28:29], v20 offset0:224 offset1:240
	s_wait_dscnt 0x7
	v_fmac_f32_e32 v10, v49, v30
	v_fmac_f32_e32 v11, v48, v30
	v_fmac_f32_e32 v22, v49, v34
	v_fmac_f32_e32 v23, v48, v34
	s_wait_loadcnt_dscnt 0x0
	v_fmac_f32_e32 v10, v51, v31
	v_fmac_f32_e32 v11, v50, v31
	;; [unrolled: 1-line block ×4, first 2 shown]
	s_barrier_signal -1
	v_fmac_f32_e32 v10, v53, v36
	v_fmac_f32_e32 v11, v52, v36
	;; [unrolled: 1-line block ×4, first 2 shown]
	s_barrier_wait -1
	v_fmac_f32_e32 v10, v55, v37
	v_fmac_f32_e32 v11, v54, v37
	;; [unrolled: 1-line block ×4, first 2 shown]
	global_inv scope:SCOPE_SE
	v_fmac_f32_e32 v10, v45, v38
	v_fmac_f32_e32 v11, v44, v38
	;; [unrolled: 1-line block ×3, first 2 shown]
	s_delay_alu instid0(VALU_DEP_3) | instskip(NEXT) | instid1(VALU_DEP_3)
	v_dual_fmac_f32 v23, v44, v42 :: v_dual_fmac_f32 v10, v29, v39
	v_fmac_f32_e32 v11, v28, v39
	s_delay_alu instid0(VALU_DEP_3) | instskip(NEXT) | instid1(VALU_DEP_3)
	v_fmac_f32_e32 v22, v29, v43
	v_fmac_f32_e32 v23, v28, v43
	s_wait_alu 0xfffe
	s_cbranch_vccz .LBB168_15
.LBB168_9:                              ;   Parent Loop BB168_6 Depth=1
                                        ; =>  This Inner Loop Header: Depth=2
	v_mov_b32_e32 v28, 0
	s_and_saveexec_b32 s12, s0
	s_cbranch_execz .LBB168_13
; %bb.10:                               ;   in Loop: Header=BB168_9 Depth=2
	s_wait_alu 0xfffe
	v_add_nc_u32_e32 v4, s2, v13
	v_mov_b32_e32 v28, 0
	s_mov_b32 s13, exec_lo
	s_delay_alu instid0(VALU_DEP_2)
	v_cmpx_gt_u64_e64 s[20:21], v[4:5]
	s_cbranch_execz .LBB168_12
; %bb.11:                               ;   in Loop: Header=BB168_9 Depth=2
	v_lshlrev_b64_e32 v[28:29], 2, v[4:5]
	s_delay_alu instid0(VALU_DEP_1) | instskip(SKIP_1) | instid1(VALU_DEP_2)
	v_add_co_u32 v28, vcc_lo, v24, v28
	s_wait_alu 0xfffd
	v_add_co_ci_u32_e64 v29, null, v25, v29, vcc_lo
	global_load_b32 v28, v[28:29], off
.LBB168_12:                             ;   in Loop: Header=BB168_9 Depth=2
	s_wait_alu 0xfffe
	s_or_b32 exec_lo, exec_lo, s13
.LBB168_13:                             ;   in Loop: Header=BB168_9 Depth=2
	s_wait_alu 0xfffe
	s_or_b32 exec_lo, exec_lo, s12
	v_dual_mov_b32 v29, 0 :: v_dual_add_nc_u32 v4, s2, v12
	s_wait_loadcnt 0x0
	ds_store_b32 v14, v28
	v_cmp_gt_u64_e32 vcc_lo, s[20:21], v[4:5]
	s_and_b32 s13, vcc_lo, s1
	s_wait_alu 0xfffe
	s_and_saveexec_b32 s12, s13
	s_cbranch_execz .LBB168_8
; %bb.14:                               ;   in Loop: Header=BB168_9 Depth=2
	v_lshlrev_b64_e32 v[28:29], 2, v[4:5]
	s_delay_alu instid0(VALU_DEP_1) | instskip(SKIP_1) | instid1(VALU_DEP_2)
	v_add_co_u32 v28, vcc_lo, v26, v28
	s_wait_alu 0xfffd
	v_add_co_ci_u32_e64 v29, null, v27, v29, vcc_lo
	global_load_b32 v29, v[28:29], off
	s_branch .LBB168_8
.LBB168_15:                             ;   in Loop: Header=BB168_6 Depth=1
	s_mul_u64 s[2:3], s[26:27], s[24:25]
	s_wait_alu 0xfffe
	s_lshl_b64 s[2:3], s[2:3], 2
	s_wait_alu 0xfffe
	s_add_nc_u64 s[2:3], s[16:17], s[2:3]
	s_wait_alu 0xfffe
	v_add_co_u32 v4, vcc_lo, s2, v6
	s_wait_alu 0xfffd
	v_add_co_ci_u32_e64 v24, null, s3, v7, vcc_lo
	s_and_saveexec_b32 s12, s7
	s_cbranch_execz .LBB168_19
; %bb.16:                               ;   in Loop: Header=BB168_6 Depth=1
	v_mul_f32_e32 v11, s22, v11
	s_and_b32 vcc_lo, exec_lo, s6
	s_wait_alu 0xfffe
	s_cbranch_vccz .LBB168_30
; %bb.17:                               ;   in Loop: Header=BB168_6 Depth=1
	v_lshlrev_b64_e32 v[25:26], 2, v[0:1]
	s_delay_alu instid0(VALU_DEP_1) | instskip(SKIP_1) | instid1(VALU_DEP_2)
	v_add_co_u32 v25, vcc_lo, v4, v25
	s_wait_alu 0xfffd
	v_add_co_ci_u32_e64 v26, null, v24, v26, vcc_lo
	global_load_b32 v27, v[25:26], off
	s_wait_loadcnt 0x0
	v_fma_f32 v27, s23, v27, v11
	global_store_b32 v[25:26], v27, off
	s_cbranch_execnz .LBB168_19
.LBB168_18:                             ;   in Loop: Header=BB168_6 Depth=1
	v_lshlrev_b64_e32 v[25:26], 2, v[0:1]
	s_delay_alu instid0(VALU_DEP_1) | instskip(SKIP_1) | instid1(VALU_DEP_2)
	v_add_co_u32 v25, vcc_lo, v4, v25
	s_wait_alu 0xfffd
	v_add_co_ci_u32_e64 v26, null, v24, v26, vcc_lo
	global_store_b32 v[25:26], v11, off
.LBB168_19:                             ;   in Loop: Header=BB168_6 Depth=1
	s_wait_alu 0xfffe
	s_or_b32 exec_lo, exec_lo, s12
	s_and_saveexec_b32 s12, s11
	s_cbranch_execz .LBB168_23
; %bb.20:                               ;   in Loop: Header=BB168_6 Depth=1
	v_mul_f32_e32 v10, s22, v10
	s_and_not1_b32 vcc_lo, exec_lo, s6
	s_wait_alu 0xfffe
	s_cbranch_vccnz .LBB168_31
; %bb.21:                               ;   in Loop: Header=BB168_6 Depth=1
	v_lshlrev_b64_e32 v[25:26], 2, v[2:3]
	s_delay_alu instid0(VALU_DEP_1) | instskip(SKIP_1) | instid1(VALU_DEP_2)
	v_add_co_u32 v25, vcc_lo, v4, v25
	s_wait_alu 0xfffd
	v_add_co_ci_u32_e64 v26, null, v24, v26, vcc_lo
	global_load_b32 v11, v[25:26], off
	s_wait_loadcnt 0x0
	v_fma_f32 v11, s23, v11, v10
	global_store_b32 v[25:26], v11, off
	s_cbranch_execnz .LBB168_23
.LBB168_22:                             ;   in Loop: Header=BB168_6 Depth=1
	v_lshlrev_b64_e32 v[25:26], 2, v[2:3]
	s_delay_alu instid0(VALU_DEP_1) | instskip(SKIP_1) | instid1(VALU_DEP_2)
	v_add_co_u32 v25, vcc_lo, v4, v25
	s_wait_alu 0xfffd
	v_add_co_ci_u32_e64 v26, null, v24, v26, vcc_lo
	global_store_b32 v[25:26], v10, off
.LBB168_23:                             ;   in Loop: Header=BB168_6 Depth=1
	s_wait_alu 0xfffe
	s_or_b32 exec_lo, exec_lo, s12
	v_add_co_u32 v4, vcc_lo, s2, v8
	s_wait_alu 0xfffd
	v_add_co_ci_u32_e64 v24, null, s3, v9, vcc_lo
	s_and_saveexec_b32 s2, s4
	s_cbranch_execz .LBB168_27
; %bb.24:                               ;   in Loop: Header=BB168_6 Depth=1
	v_lshlrev_b64_e32 v[10:11], 2, v[0:1]
	v_mul_f32_e32 v23, s22, v23
	s_and_not1_b32 vcc_lo, exec_lo, s6
	s_wait_alu 0xfffe
	s_cbranch_vccnz .LBB168_32
; %bb.25:                               ;   in Loop: Header=BB168_6 Depth=1
	s_delay_alu instid0(VALU_DEP_2)
	v_add_co_u32 v25, vcc_lo, v4, v10
	s_wait_alu 0xfffd
	v_add_co_ci_u32_e64 v26, null, v24, v11, vcc_lo
	global_load_b32 v27, v[25:26], off
	s_wait_loadcnt 0x0
	v_fma_f32 v27, s23, v27, v23
	global_store_b32 v[25:26], v27, off
	s_cbranch_execnz .LBB168_27
.LBB168_26:                             ;   in Loop: Header=BB168_6 Depth=1
	v_add_co_u32 v10, vcc_lo, v4, v10
	s_wait_alu 0xfffd
	v_add_co_ci_u32_e64 v11, null, v24, v11, vcc_lo
	global_store_b32 v[10:11], v23, off
.LBB168_27:                             ;   in Loop: Header=BB168_6 Depth=1
	s_wait_alu 0xfffe
	s_or_b32 exec_lo, exec_lo, s2
	s_and_saveexec_b32 s2, s5
	s_cbranch_execz .LBB168_5
; %bb.28:                               ;   in Loop: Header=BB168_6 Depth=1
	v_lshlrev_b64_e32 v[10:11], 2, v[2:3]
	v_mul_f32_e32 v22, s22, v22
	s_and_not1_b32 vcc_lo, exec_lo, s6
	s_wait_alu 0xfffe
	s_cbranch_vccnz .LBB168_33
; %bb.29:                               ;   in Loop: Header=BB168_6 Depth=1
	s_delay_alu instid0(VALU_DEP_2)
	v_add_co_u32 v25, vcc_lo, v4, v10
	s_wait_alu 0xfffd
	v_add_co_ci_u32_e64 v26, null, v24, v11, vcc_lo
	global_load_b32 v23, v[25:26], off
	s_wait_loadcnt 0x0
	v_fma_f32 v23, s23, v23, v22
	global_store_b32 v[25:26], v23, off
	s_cbranch_execnz .LBB168_5
	s_branch .LBB168_34
.LBB168_30:                             ;   in Loop: Header=BB168_6 Depth=1
	s_branch .LBB168_18
.LBB168_31:                             ;   in Loop: Header=BB168_6 Depth=1
	s_branch .LBB168_22
.LBB168_32:                             ;   in Loop: Header=BB168_6 Depth=1
	s_branch .LBB168_26
.LBB168_33:                             ;   in Loop: Header=BB168_6 Depth=1
.LBB168_34:                             ;   in Loop: Header=BB168_6 Depth=1
	s_delay_alu instid0(VALU_DEP_2)
	v_add_co_u32 v10, vcc_lo, v4, v10
	s_wait_alu 0xfffd
	v_add_co_ci_u32_e64 v11, null, v24, v11, vcc_lo
	global_store_b32 v[10:11], v22, off
	s_branch .LBB168_5
.LBB168_35:
	s_endpgm
	.section	.rodata,"a",@progbits
	.p2align	6, 0x0
	.amdhsa_kernel _ZL29rocblas_internal_gemmt_kernelIlLi16ELi32ELi8ELc67ELc78ELc85ELb0ELb0EffPKfPfEviT_T9_T10_S3_lS5_S3_lS4_T11_S3_li
		.amdhsa_group_segment_fixed_size 2048
		.amdhsa_private_segment_fixed_size 0
		.amdhsa_kernarg_size 108
		.amdhsa_user_sgpr_count 2
		.amdhsa_user_sgpr_dispatch_ptr 0
		.amdhsa_user_sgpr_queue_ptr 0
		.amdhsa_user_sgpr_kernarg_segment_ptr 1
		.amdhsa_user_sgpr_dispatch_id 0
		.amdhsa_user_sgpr_private_segment_size 0
		.amdhsa_wavefront_size32 1
		.amdhsa_uses_dynamic_stack 0
		.amdhsa_enable_private_segment 0
		.amdhsa_system_sgpr_workgroup_id_x 1
		.amdhsa_system_sgpr_workgroup_id_y 1
		.amdhsa_system_sgpr_workgroup_id_z 1
		.amdhsa_system_sgpr_workgroup_info 0
		.amdhsa_system_vgpr_workitem_id 1
		.amdhsa_next_free_vgpr 56
		.amdhsa_next_free_sgpr 30
		.amdhsa_reserve_vcc 1
		.amdhsa_float_round_mode_32 0
		.amdhsa_float_round_mode_16_64 0
		.amdhsa_float_denorm_mode_32 3
		.amdhsa_float_denorm_mode_16_64 3
		.amdhsa_fp16_overflow 0
		.amdhsa_workgroup_processor_mode 1
		.amdhsa_memory_ordered 1
		.amdhsa_forward_progress 1
		.amdhsa_inst_pref_size 15
		.amdhsa_round_robin_scheduling 0
		.amdhsa_exception_fp_ieee_invalid_op 0
		.amdhsa_exception_fp_denorm_src 0
		.amdhsa_exception_fp_ieee_div_zero 0
		.amdhsa_exception_fp_ieee_overflow 0
		.amdhsa_exception_fp_ieee_underflow 0
		.amdhsa_exception_fp_ieee_inexact 0
		.amdhsa_exception_int_div_zero 0
	.end_amdhsa_kernel
	.section	.text._ZL29rocblas_internal_gemmt_kernelIlLi16ELi32ELi8ELc67ELc78ELc85ELb0ELb0EffPKfPfEviT_T9_T10_S3_lS5_S3_lS4_T11_S3_li,"axG",@progbits,_ZL29rocblas_internal_gemmt_kernelIlLi16ELi32ELi8ELc67ELc78ELc85ELb0ELb0EffPKfPfEviT_T9_T10_S3_lS5_S3_lS4_T11_S3_li,comdat
.Lfunc_end168:
	.size	_ZL29rocblas_internal_gemmt_kernelIlLi16ELi32ELi8ELc67ELc78ELc85ELb0ELb0EffPKfPfEviT_T9_T10_S3_lS5_S3_lS4_T11_S3_li, .Lfunc_end168-_ZL29rocblas_internal_gemmt_kernelIlLi16ELi32ELi8ELc67ELc78ELc85ELb0ELb0EffPKfPfEviT_T9_T10_S3_lS5_S3_lS4_T11_S3_li
                                        ; -- End function
	.set _ZL29rocblas_internal_gemmt_kernelIlLi16ELi32ELi8ELc67ELc78ELc85ELb0ELb0EffPKfPfEviT_T9_T10_S3_lS5_S3_lS4_T11_S3_li.num_vgpr, 56
	.set _ZL29rocblas_internal_gemmt_kernelIlLi16ELi32ELi8ELc67ELc78ELc85ELb0ELb0EffPKfPfEviT_T9_T10_S3_lS5_S3_lS4_T11_S3_li.num_agpr, 0
	.set _ZL29rocblas_internal_gemmt_kernelIlLi16ELi32ELi8ELc67ELc78ELc85ELb0ELb0EffPKfPfEviT_T9_T10_S3_lS5_S3_lS4_T11_S3_li.numbered_sgpr, 30
	.set _ZL29rocblas_internal_gemmt_kernelIlLi16ELi32ELi8ELc67ELc78ELc85ELb0ELb0EffPKfPfEviT_T9_T10_S3_lS5_S3_lS4_T11_S3_li.num_named_barrier, 0
	.set _ZL29rocblas_internal_gemmt_kernelIlLi16ELi32ELi8ELc67ELc78ELc85ELb0ELb0EffPKfPfEviT_T9_T10_S3_lS5_S3_lS4_T11_S3_li.private_seg_size, 0
	.set _ZL29rocblas_internal_gemmt_kernelIlLi16ELi32ELi8ELc67ELc78ELc85ELb0ELb0EffPKfPfEviT_T9_T10_S3_lS5_S3_lS4_T11_S3_li.uses_vcc, 1
	.set _ZL29rocblas_internal_gemmt_kernelIlLi16ELi32ELi8ELc67ELc78ELc85ELb0ELb0EffPKfPfEviT_T9_T10_S3_lS5_S3_lS4_T11_S3_li.uses_flat_scratch, 0
	.set _ZL29rocblas_internal_gemmt_kernelIlLi16ELi32ELi8ELc67ELc78ELc85ELb0ELb0EffPKfPfEviT_T9_T10_S3_lS5_S3_lS4_T11_S3_li.has_dyn_sized_stack, 0
	.set _ZL29rocblas_internal_gemmt_kernelIlLi16ELi32ELi8ELc67ELc78ELc85ELb0ELb0EffPKfPfEviT_T9_T10_S3_lS5_S3_lS4_T11_S3_li.has_recursion, 0
	.set _ZL29rocblas_internal_gemmt_kernelIlLi16ELi32ELi8ELc67ELc78ELc85ELb0ELb0EffPKfPfEviT_T9_T10_S3_lS5_S3_lS4_T11_S3_li.has_indirect_call, 0
	.section	.AMDGPU.csdata,"",@progbits
; Kernel info:
; codeLenInByte = 1896
; TotalNumSgprs: 32
; NumVgprs: 56
; ScratchSize: 0
; MemoryBound: 0
; FloatMode: 240
; IeeeMode: 1
; LDSByteSize: 2048 bytes/workgroup (compile time only)
; SGPRBlocks: 0
; VGPRBlocks: 6
; NumSGPRsForWavesPerEU: 32
; NumVGPRsForWavesPerEU: 56
; Occupancy: 16
; WaveLimiterHint : 0
; COMPUTE_PGM_RSRC2:SCRATCH_EN: 0
; COMPUTE_PGM_RSRC2:USER_SGPR: 2
; COMPUTE_PGM_RSRC2:TRAP_HANDLER: 0
; COMPUTE_PGM_RSRC2:TGID_X_EN: 1
; COMPUTE_PGM_RSRC2:TGID_Y_EN: 1
; COMPUTE_PGM_RSRC2:TGID_Z_EN: 1
; COMPUTE_PGM_RSRC2:TIDIG_COMP_CNT: 1
	.section	.text._ZL29rocblas_internal_gemmt_kernelIlLi16ELi32ELi8ELc67ELc84ELc85ELb0ELb0EffPKfPfEviT_T9_T10_S3_lS5_S3_lS4_T11_S3_li,"axG",@progbits,_ZL29rocblas_internal_gemmt_kernelIlLi16ELi32ELi8ELc67ELc84ELc85ELb0ELb0EffPKfPfEviT_T9_T10_S3_lS5_S3_lS4_T11_S3_li,comdat
	.globl	_ZL29rocblas_internal_gemmt_kernelIlLi16ELi32ELi8ELc67ELc84ELc85ELb0ELb0EffPKfPfEviT_T9_T10_S3_lS5_S3_lS4_T11_S3_li ; -- Begin function _ZL29rocblas_internal_gemmt_kernelIlLi16ELi32ELi8ELc67ELc84ELc85ELb0ELb0EffPKfPfEviT_T9_T10_S3_lS5_S3_lS4_T11_S3_li
	.p2align	8
	.type	_ZL29rocblas_internal_gemmt_kernelIlLi16ELi32ELi8ELc67ELc84ELc85ELb0ELb0EffPKfPfEviT_T9_T10_S3_lS5_S3_lS4_T11_S3_li,@function
_ZL29rocblas_internal_gemmt_kernelIlLi16ELi32ELi8ELc67ELc84ELc85ELb0ELb0EffPKfPfEviT_T9_T10_S3_lS5_S3_lS4_T11_S3_li: ; @_ZL29rocblas_internal_gemmt_kernelIlLi16ELi32ELi8ELc67ELc84ELc85ELb0ELb0EffPKfPfEviT_T9_T10_S3_lS5_S3_lS4_T11_S3_li
; %bb.0:
	s_clause 0x1
	s_load_b32 s23, s[0:1], 0x48
	s_load_b96 s[20:22], s[0:1], 0x8
	s_wait_kmcnt 0x0
	s_cmp_neq_f32 s23, 1.0
	s_cselect_b32 s2, -1, 0
	s_delay_alu instid0(SALU_CYCLE_1)
	s_and_b32 vcc_lo, exec_lo, s2
	s_cbranch_vccnz .LBB169_2
; %bb.1:
	s_cmp_lg_u64 s[20:21], 0
	s_cselect_b32 s2, -1, 0
	s_cmp_neq_f32 s22, 0
	s_cselect_b32 s3, -1, 0
	s_delay_alu instid0(SALU_CYCLE_1)
	s_and_b32 s2, s2, s3
.LBB169_2:
	s_delay_alu instid0(SALU_CYCLE_1)
	s_and_not1_b32 vcc_lo, exec_lo, s2
	s_cbranch_vccnz .LBB169_35
; %bb.3:
	s_load_b32 s28, s[0:1], 0x68
	s_lshr_b32 s24, ttmp7, 16
	s_wait_kmcnt 0x0
	s_cmp_ge_u32 s24, s28
	s_cbranch_scc1 .LBB169_35
; %bb.4:
	v_and_b32_e32 v2, 0x3ff, v0
	v_bfe_u32 v3, v0, 10, 10
	s_load_b256 s[4:11], s[0:1], 0x18
	s_lshl_b32 s2, ttmp9, 5
	s_clause 0x2
	s_load_b32 s3, s[0:1], 0x0
	s_load_b128 s[12:15], s[0:1], 0x38
	s_load_b128 s[16:19], s[0:1], 0x50
	v_lshl_add_u32 v4, v3, 4, v2
	s_load_b64 s[26:27], s[0:1], 0x60
	s_lshl_b32 s0, ttmp7, 5
	v_and_b32_e32 v12, 7, v0
	s_and_b32 s0, s0, 0x1fffe0
	v_and_b32_e32 v5, 31, v4
	s_cmp_neq_f32 s22, 0
	v_lshrrev_b32_e32 v9, 3, v4
	v_lshlrev_b32_e32 v8, 2, v12
	v_add_nc_u32_e32 v11, s0, v3
	v_or_b32_e32 v6, s2, v5
	s_cselect_b32 s30, -1, 0
	s_ashr_i32 s1, s2, 31
	v_lshrrev_b32_e32 v13, 5, v4
	v_lshlrev_b32_e32 v4, 2, v5
	v_add_nc_u32_e32 v5, s0, v9
	s_wait_kmcnt 0x0
	v_mul_lo_u32 v7, s7, v6
	v_mad_co_u64_u32 v[0:1], null, s6, v6, 0
	s_wait_alu 0xfffe
	s_mul_i32 s1, s6, s1
	v_cmp_gt_i32_e64 s0, s3, v6
	v_add_nc_u32_e32 v22, 16, v11
	v_lshl_or_b32 v14, v13, 7, v4
	v_lshl_add_u32 v21, v3, 5, 0x400
	s_cmp_neq_f32 s23, 0
	s_wait_alu 0xfffe
	v_add3_u32 v1, v1, s1, v7
	v_lshl_or_b32 v7, v9, 5, v8
	v_mad_co_u64_u32 v[8:9], null, s18, v22, 0
	v_cmp_gt_i64_e64 s29, s[20:21], 0
	s_delay_alu instid0(VALU_DEP_4) | instskip(NEXT) | instid1(VALU_DEP_4)
	v_lshlrev_b64_e32 v[0:1], 2, v[0:1]
	v_add_nc_u32_e32 v15, 0x400, v7
	v_mad_co_u64_u32 v[6:7], null, s18, v11, 0
	v_cmp_gt_i32_e64 s1, s3, v5
	s_cselect_b32 s6, -1, 0
	v_add_co_u32 v16, vcc_lo, s4, v0
	v_lshlrev_b32_e32 v0, 2, v5
	v_add_co_ci_u32_e64 v17, null, s5, v1, vcc_lo
	v_dual_mov_b32 v1, 0 :: v_dual_lshlrev_b32 v20, 2, v2
	s_delay_alu instid0(VALU_DEP_3)
	v_add_co_u32 v18, s4, s10, v0
	v_mov_b32_e32 v0, v7
	v_add_nc_u32_e32 v2, s2, v2
	s_wait_alu 0xf1ff
	v_add_co_ci_u32_e64 v19, null, s11, 0, s4
	s_mov_b32 s25, 0
	v_mad_co_u64_u32 v[3:4], null, s19, v11, v[0:1]
	v_mov_b32_e32 v0, v9
	v_cmp_gt_i32_e32 vcc_lo, s3, v11
	v_cmp_le_i32_e64 s2, v2, v11
	v_add_nc_u32_e32 v4, 16, v2
	v_cmp_gt_i32_e64 s3, s3, v22
	v_mad_co_u64_u32 v[9:10], null, s19, v22, v[0:1]
	v_mov_b32_e32 v7, v3
	s_and_b32 s7, vcc_lo, s2
	v_cmp_le_i32_e64 s2, v4, v11
	v_cmp_le_i32_e64 s4, v2, v22
	;; [unrolled: 1-line block ×3, first 2 shown]
	v_lshlrev_b64_e32 v[6:7], 2, v[6:7]
	v_lshlrev_b64_e32 v[8:9], 2, v[8:9]
	v_ashrrev_i32_e32 v3, 31, v2
	v_ashrrev_i32_e32 v5, 31, v4
	s_and_b32 s10, s30, s29
	s_and_b32 s11, vcc_lo, s2
	s_and_b32 s4, s3, s4
	s_and_b32 s5, s3, s5
	s_branch .LBB169_6
.LBB169_5:                              ;   in Loop: Header=BB169_6 Depth=1
	s_wait_alu 0xfffe
	s_or_b32 exec_lo, exec_lo, s2
	s_add_co_i32 s24, s24, 0x10000
	s_delay_alu instid0(SALU_CYCLE_1)
	s_cmp_lt_u32 s24, s28
	s_cbranch_scc0 .LBB169_35
.LBB169_6:                              ; =>This Loop Header: Depth=1
                                        ;     Child Loop BB169_9 Depth 2
	v_dual_mov_b32 v11, v1 :: v_dual_mov_b32 v10, v1
	v_dual_mov_b32 v23, v1 :: v_dual_mov_b32 v22, v1
	s_wait_alu 0xfffe
	s_and_not1_b32 vcc_lo, exec_lo, s10
	s_wait_alu 0xfffe
	s_cbranch_vccnz .LBB169_15
; %bb.7:                                ;   in Loop: Header=BB169_6 Depth=1
	s_mul_u64 s[2:3], s[8:9], s[24:25]
	s_mul_u64 s[18:19], s[14:15], s[24:25]
	s_wait_alu 0xfffe
	s_lshl_b64 s[2:3], s[2:3], 2
	v_dual_mov_b32 v22, 0 :: v_dual_mov_b32 v23, 0
	s_wait_alu 0xfffe
	v_add_co_u32 v24, vcc_lo, v16, s2
	s_wait_alu 0xfffd
	v_add_co_ci_u32_e64 v25, null, s3, v17, vcc_lo
	s_lshl_b64 s[2:3], s[18:19], 2
	v_dual_mov_b32 v10, 0 :: v_dual_mov_b32 v11, 0
	s_wait_alu 0xfffe
	v_add_co_u32 v26, vcc_lo, v18, s2
	s_wait_alu 0xfffd
	v_add_co_ci_u32_e64 v27, null, s3, v19, vcc_lo
	s_mov_b64 s[2:3], 0
	s_branch .LBB169_9
.LBB169_8:                              ;   in Loop: Header=BB169_9 Depth=2
	s_wait_alu 0xfffe
	s_or_b32 exec_lo, exec_lo, s18
	s_wait_loadcnt 0x0
	ds_store_b32 v15, v29
	s_wait_dscnt 0x0
	s_barrier_signal -1
	s_barrier_wait -1
	global_inv scope:SCOPE_SE
	ds_load_b128 v[28:31], v21
	ds_load_2addr_b32 v[44:45], v20 offset1:16
	ds_load_b128 v[32:35], v21 offset:512
	ds_load_2addr_b32 v[46:47], v20 offset0:32 offset1:48
	ds_load_2addr_b32 v[48:49], v20 offset0:64 offset1:80
	;; [unrolled: 1-line block ×3, first 2 shown]
	ds_load_b128 v[36:39], v21 offset:16
	ds_load_2addr_b32 v[52:53], v20 offset0:128 offset1:144
	ds_load_b128 v[40:43], v21 offset:528
	ds_load_2addr_b32 v[54:55], v20 offset0:160 offset1:176
	s_add_nc_u64 s[2:3], s[2:3], 8
	s_wait_alu 0xfffe
	v_cmp_gt_i64_e64 s18, s[20:21], s[2:3]
	s_and_b32 vcc_lo, exec_lo, s18
	s_wait_dscnt 0x8
	v_fmac_f32_e32 v10, v45, v28
	v_fmac_f32_e32 v11, v44, v28
	s_wait_dscnt 0x7
	v_fmac_f32_e32 v22, v45, v32
	v_fmac_f32_e32 v23, v44, v32
	ds_load_2addr_b32 v[44:45], v20 offset0:192 offset1:208
	s_wait_dscnt 0x7
	v_fmac_f32_e32 v10, v47, v29
	v_fmac_f32_e32 v11, v46, v29
	;; [unrolled: 1-line block ×4, first 2 shown]
	ds_load_2addr_b32 v[28:29], v20 offset0:224 offset1:240
	s_wait_dscnt 0x7
	v_fmac_f32_e32 v10, v49, v30
	v_fmac_f32_e32 v11, v48, v30
	;; [unrolled: 1-line block ×4, first 2 shown]
	s_wait_loadcnt_dscnt 0x0
	v_fmac_f32_e32 v10, v51, v31
	v_fmac_f32_e32 v11, v50, v31
	;; [unrolled: 1-line block ×4, first 2 shown]
	s_barrier_signal -1
	v_fmac_f32_e32 v10, v53, v36
	v_fmac_f32_e32 v11, v52, v36
	;; [unrolled: 1-line block ×4, first 2 shown]
	s_barrier_wait -1
	v_fmac_f32_e32 v10, v55, v37
	v_fmac_f32_e32 v11, v54, v37
	;; [unrolled: 1-line block ×4, first 2 shown]
	global_inv scope:SCOPE_SE
	v_fmac_f32_e32 v10, v45, v38
	v_fmac_f32_e32 v11, v44, v38
	;; [unrolled: 1-line block ×3, first 2 shown]
	s_delay_alu instid0(VALU_DEP_3) | instskip(NEXT) | instid1(VALU_DEP_3)
	v_dual_fmac_f32 v23, v44, v42 :: v_dual_fmac_f32 v10, v29, v39
	v_fmac_f32_e32 v11, v28, v39
	s_delay_alu instid0(VALU_DEP_3) | instskip(NEXT) | instid1(VALU_DEP_3)
	v_fmac_f32_e32 v22, v29, v43
	v_fmac_f32_e32 v23, v28, v43
	s_wait_alu 0xfffe
	s_cbranch_vccz .LBB169_15
.LBB169_9:                              ;   Parent Loop BB169_6 Depth=1
                                        ; =>  This Inner Loop Header: Depth=2
	v_mov_b32_e32 v28, 0
	s_and_saveexec_b32 s18, s0
	s_cbranch_execz .LBB169_13
; %bb.10:                               ;   in Loop: Header=BB169_9 Depth=2
	s_wait_alu 0xfffe
	v_add_nc_u32_e32 v0, s2, v13
	v_mov_b32_e32 v28, 0
	s_mov_b32 s19, exec_lo
	s_delay_alu instid0(VALU_DEP_2)
	v_cmpx_gt_u64_e64 s[20:21], v[0:1]
	s_cbranch_execz .LBB169_12
; %bb.11:                               ;   in Loop: Header=BB169_9 Depth=2
	v_lshlrev_b64_e32 v[28:29], 2, v[0:1]
	s_delay_alu instid0(VALU_DEP_1) | instskip(SKIP_1) | instid1(VALU_DEP_2)
	v_add_co_u32 v28, vcc_lo, v24, v28
	s_wait_alu 0xfffd
	v_add_co_ci_u32_e64 v29, null, v25, v29, vcc_lo
	global_load_b32 v28, v[28:29], off
.LBB169_12:                             ;   in Loop: Header=BB169_9 Depth=2
	s_wait_alu 0xfffe
	s_or_b32 exec_lo, exec_lo, s19
.LBB169_13:                             ;   in Loop: Header=BB169_9 Depth=2
	s_wait_alu 0xfffe
	s_or_b32 exec_lo, exec_lo, s18
	v_dual_mov_b32 v29, 0 :: v_dual_add_nc_u32 v0, s2, v12
	s_wait_loadcnt 0x0
	ds_store_b32 v14, v28
	v_cmp_gt_u64_e32 vcc_lo, s[20:21], v[0:1]
	s_and_b32 s19, vcc_lo, s1
	s_wait_alu 0xfffe
	s_and_saveexec_b32 s18, s19
	s_cbranch_execz .LBB169_8
; %bb.14:                               ;   in Loop: Header=BB169_9 Depth=2
	v_mad_co_u64_u32 v[28:29], null, s12, v0, 0
	s_delay_alu instid0(VALU_DEP_1) | instskip(NEXT) | instid1(VALU_DEP_1)
	v_mad_co_u64_u32 v[29:30], null, s13, v0, v[29:30]
	v_lshlrev_b64_e32 v[28:29], 2, v[28:29]
	s_delay_alu instid0(VALU_DEP_1) | instskip(SKIP_1) | instid1(VALU_DEP_2)
	v_add_co_u32 v28, vcc_lo, v26, v28
	s_wait_alu 0xfffd
	v_add_co_ci_u32_e64 v29, null, v27, v29, vcc_lo
	global_load_b32 v29, v[28:29], off
	s_branch .LBB169_8
.LBB169_15:                             ;   in Loop: Header=BB169_6 Depth=1
	s_mul_u64 s[2:3], s[26:27], s[24:25]
	s_wait_alu 0xfffe
	s_lshl_b64 s[2:3], s[2:3], 2
	s_wait_alu 0xfffe
	s_add_nc_u64 s[2:3], s[16:17], s[2:3]
	s_wait_alu 0xfffe
	v_add_co_u32 v0, vcc_lo, s2, v6
	s_wait_alu 0xfffd
	v_add_co_ci_u32_e64 v24, null, s3, v7, vcc_lo
	s_and_saveexec_b32 s18, s7
	s_cbranch_execz .LBB169_19
; %bb.16:                               ;   in Loop: Header=BB169_6 Depth=1
	v_mul_f32_e32 v11, s22, v11
	s_and_b32 vcc_lo, exec_lo, s6
	s_wait_alu 0xfffe
	s_cbranch_vccz .LBB169_30
; %bb.17:                               ;   in Loop: Header=BB169_6 Depth=1
	v_lshlrev_b64_e32 v[25:26], 2, v[2:3]
	s_delay_alu instid0(VALU_DEP_1) | instskip(SKIP_1) | instid1(VALU_DEP_2)
	v_add_co_u32 v25, vcc_lo, v0, v25
	s_wait_alu 0xfffd
	v_add_co_ci_u32_e64 v26, null, v24, v26, vcc_lo
	global_load_b32 v27, v[25:26], off
	s_wait_loadcnt 0x0
	v_fma_f32 v27, s23, v27, v11
	global_store_b32 v[25:26], v27, off
	s_cbranch_execnz .LBB169_19
.LBB169_18:                             ;   in Loop: Header=BB169_6 Depth=1
	v_lshlrev_b64_e32 v[25:26], 2, v[2:3]
	s_delay_alu instid0(VALU_DEP_1) | instskip(SKIP_1) | instid1(VALU_DEP_2)
	v_add_co_u32 v25, vcc_lo, v0, v25
	s_wait_alu 0xfffd
	v_add_co_ci_u32_e64 v26, null, v24, v26, vcc_lo
	global_store_b32 v[25:26], v11, off
.LBB169_19:                             ;   in Loop: Header=BB169_6 Depth=1
	s_wait_alu 0xfffe
	s_or_b32 exec_lo, exec_lo, s18
	s_and_saveexec_b32 s18, s11
	s_cbranch_execz .LBB169_23
; %bb.20:                               ;   in Loop: Header=BB169_6 Depth=1
	v_mul_f32_e32 v10, s22, v10
	s_and_not1_b32 vcc_lo, exec_lo, s6
	s_wait_alu 0xfffe
	s_cbranch_vccnz .LBB169_31
; %bb.21:                               ;   in Loop: Header=BB169_6 Depth=1
	v_lshlrev_b64_e32 v[25:26], 2, v[4:5]
	s_delay_alu instid0(VALU_DEP_1) | instskip(SKIP_1) | instid1(VALU_DEP_2)
	v_add_co_u32 v25, vcc_lo, v0, v25
	s_wait_alu 0xfffd
	v_add_co_ci_u32_e64 v26, null, v24, v26, vcc_lo
	global_load_b32 v11, v[25:26], off
	s_wait_loadcnt 0x0
	v_fma_f32 v11, s23, v11, v10
	global_store_b32 v[25:26], v11, off
	s_cbranch_execnz .LBB169_23
.LBB169_22:                             ;   in Loop: Header=BB169_6 Depth=1
	v_lshlrev_b64_e32 v[25:26], 2, v[4:5]
	s_delay_alu instid0(VALU_DEP_1) | instskip(SKIP_1) | instid1(VALU_DEP_2)
	v_add_co_u32 v25, vcc_lo, v0, v25
	s_wait_alu 0xfffd
	v_add_co_ci_u32_e64 v26, null, v24, v26, vcc_lo
	global_store_b32 v[25:26], v10, off
.LBB169_23:                             ;   in Loop: Header=BB169_6 Depth=1
	s_wait_alu 0xfffe
	s_or_b32 exec_lo, exec_lo, s18
	v_add_co_u32 v0, vcc_lo, s2, v8
	s_wait_alu 0xfffd
	v_add_co_ci_u32_e64 v24, null, s3, v9, vcc_lo
	s_and_saveexec_b32 s2, s4
	s_cbranch_execz .LBB169_27
; %bb.24:                               ;   in Loop: Header=BB169_6 Depth=1
	v_lshlrev_b64_e32 v[10:11], 2, v[2:3]
	v_mul_f32_e32 v23, s22, v23
	s_and_not1_b32 vcc_lo, exec_lo, s6
	s_wait_alu 0xfffe
	s_cbranch_vccnz .LBB169_32
; %bb.25:                               ;   in Loop: Header=BB169_6 Depth=1
	s_delay_alu instid0(VALU_DEP_2)
	v_add_co_u32 v25, vcc_lo, v0, v10
	s_wait_alu 0xfffd
	v_add_co_ci_u32_e64 v26, null, v24, v11, vcc_lo
	global_load_b32 v27, v[25:26], off
	s_wait_loadcnt 0x0
	v_fma_f32 v27, s23, v27, v23
	global_store_b32 v[25:26], v27, off
	s_cbranch_execnz .LBB169_27
.LBB169_26:                             ;   in Loop: Header=BB169_6 Depth=1
	v_add_co_u32 v10, vcc_lo, v0, v10
	s_wait_alu 0xfffd
	v_add_co_ci_u32_e64 v11, null, v24, v11, vcc_lo
	global_store_b32 v[10:11], v23, off
.LBB169_27:                             ;   in Loop: Header=BB169_6 Depth=1
	s_wait_alu 0xfffe
	s_or_b32 exec_lo, exec_lo, s2
	s_and_saveexec_b32 s2, s5
	s_cbranch_execz .LBB169_5
; %bb.28:                               ;   in Loop: Header=BB169_6 Depth=1
	v_lshlrev_b64_e32 v[10:11], 2, v[4:5]
	v_mul_f32_e32 v22, s22, v22
	s_and_not1_b32 vcc_lo, exec_lo, s6
	s_wait_alu 0xfffe
	s_cbranch_vccnz .LBB169_33
; %bb.29:                               ;   in Loop: Header=BB169_6 Depth=1
	s_delay_alu instid0(VALU_DEP_2)
	v_add_co_u32 v25, vcc_lo, v0, v10
	s_wait_alu 0xfffd
	v_add_co_ci_u32_e64 v26, null, v24, v11, vcc_lo
	global_load_b32 v23, v[25:26], off
	s_wait_loadcnt 0x0
	v_fma_f32 v23, s23, v23, v22
	global_store_b32 v[25:26], v23, off
	s_cbranch_execnz .LBB169_5
	s_branch .LBB169_34
.LBB169_30:                             ;   in Loop: Header=BB169_6 Depth=1
	s_branch .LBB169_18
.LBB169_31:                             ;   in Loop: Header=BB169_6 Depth=1
	s_branch .LBB169_22
.LBB169_32:                             ;   in Loop: Header=BB169_6 Depth=1
	s_branch .LBB169_26
.LBB169_33:                             ;   in Loop: Header=BB169_6 Depth=1
.LBB169_34:                             ;   in Loop: Header=BB169_6 Depth=1
	s_delay_alu instid0(VALU_DEP_2)
	v_add_co_u32 v10, vcc_lo, v0, v10
	s_wait_alu 0xfffd
	v_add_co_ci_u32_e64 v11, null, v24, v11, vcc_lo
	global_store_b32 v[10:11], v22, off
	s_branch .LBB169_5
.LBB169_35:
	s_endpgm
	.section	.rodata,"a",@progbits
	.p2align	6, 0x0
	.amdhsa_kernel _ZL29rocblas_internal_gemmt_kernelIlLi16ELi32ELi8ELc67ELc84ELc85ELb0ELb0EffPKfPfEviT_T9_T10_S3_lS5_S3_lS4_T11_S3_li
		.amdhsa_group_segment_fixed_size 2048
		.amdhsa_private_segment_fixed_size 0
		.amdhsa_kernarg_size 108
		.amdhsa_user_sgpr_count 2
		.amdhsa_user_sgpr_dispatch_ptr 0
		.amdhsa_user_sgpr_queue_ptr 0
		.amdhsa_user_sgpr_kernarg_segment_ptr 1
		.amdhsa_user_sgpr_dispatch_id 0
		.amdhsa_user_sgpr_private_segment_size 0
		.amdhsa_wavefront_size32 1
		.amdhsa_uses_dynamic_stack 0
		.amdhsa_enable_private_segment 0
		.amdhsa_system_sgpr_workgroup_id_x 1
		.amdhsa_system_sgpr_workgroup_id_y 1
		.amdhsa_system_sgpr_workgroup_id_z 1
		.amdhsa_system_sgpr_workgroup_info 0
		.amdhsa_system_vgpr_workitem_id 1
		.amdhsa_next_free_vgpr 56
		.amdhsa_next_free_sgpr 31
		.amdhsa_reserve_vcc 1
		.amdhsa_float_round_mode_32 0
		.amdhsa_float_round_mode_16_64 0
		.amdhsa_float_denorm_mode_32 3
		.amdhsa_float_denorm_mode_16_64 3
		.amdhsa_fp16_overflow 0
		.amdhsa_workgroup_processor_mode 1
		.amdhsa_memory_ordered 1
		.amdhsa_forward_progress 1
		.amdhsa_inst_pref_size 15
		.amdhsa_round_robin_scheduling 0
		.amdhsa_exception_fp_ieee_invalid_op 0
		.amdhsa_exception_fp_denorm_src 0
		.amdhsa_exception_fp_ieee_div_zero 0
		.amdhsa_exception_fp_ieee_overflow 0
		.amdhsa_exception_fp_ieee_underflow 0
		.amdhsa_exception_fp_ieee_inexact 0
		.amdhsa_exception_int_div_zero 0
	.end_amdhsa_kernel
	.section	.text._ZL29rocblas_internal_gemmt_kernelIlLi16ELi32ELi8ELc67ELc84ELc85ELb0ELb0EffPKfPfEviT_T9_T10_S3_lS5_S3_lS4_T11_S3_li,"axG",@progbits,_ZL29rocblas_internal_gemmt_kernelIlLi16ELi32ELi8ELc67ELc84ELc85ELb0ELb0EffPKfPfEviT_T9_T10_S3_lS5_S3_lS4_T11_S3_li,comdat
.Lfunc_end169:
	.size	_ZL29rocblas_internal_gemmt_kernelIlLi16ELi32ELi8ELc67ELc84ELc85ELb0ELb0EffPKfPfEviT_T9_T10_S3_lS5_S3_lS4_T11_S3_li, .Lfunc_end169-_ZL29rocblas_internal_gemmt_kernelIlLi16ELi32ELi8ELc67ELc84ELc85ELb0ELb0EffPKfPfEviT_T9_T10_S3_lS5_S3_lS4_T11_S3_li
                                        ; -- End function
	.set _ZL29rocblas_internal_gemmt_kernelIlLi16ELi32ELi8ELc67ELc84ELc85ELb0ELb0EffPKfPfEviT_T9_T10_S3_lS5_S3_lS4_T11_S3_li.num_vgpr, 56
	.set _ZL29rocblas_internal_gemmt_kernelIlLi16ELi32ELi8ELc67ELc84ELc85ELb0ELb0EffPKfPfEviT_T9_T10_S3_lS5_S3_lS4_T11_S3_li.num_agpr, 0
	.set _ZL29rocblas_internal_gemmt_kernelIlLi16ELi32ELi8ELc67ELc84ELc85ELb0ELb0EffPKfPfEviT_T9_T10_S3_lS5_S3_lS4_T11_S3_li.numbered_sgpr, 31
	.set _ZL29rocblas_internal_gemmt_kernelIlLi16ELi32ELi8ELc67ELc84ELc85ELb0ELb0EffPKfPfEviT_T9_T10_S3_lS5_S3_lS4_T11_S3_li.num_named_barrier, 0
	.set _ZL29rocblas_internal_gemmt_kernelIlLi16ELi32ELi8ELc67ELc84ELc85ELb0ELb0EffPKfPfEviT_T9_T10_S3_lS5_S3_lS4_T11_S3_li.private_seg_size, 0
	.set _ZL29rocblas_internal_gemmt_kernelIlLi16ELi32ELi8ELc67ELc84ELc85ELb0ELb0EffPKfPfEviT_T9_T10_S3_lS5_S3_lS4_T11_S3_li.uses_vcc, 1
	.set _ZL29rocblas_internal_gemmt_kernelIlLi16ELi32ELi8ELc67ELc84ELc85ELb0ELb0EffPKfPfEviT_T9_T10_S3_lS5_S3_lS4_T11_S3_li.uses_flat_scratch, 0
	.set _ZL29rocblas_internal_gemmt_kernelIlLi16ELi32ELi8ELc67ELc84ELc85ELb0ELb0EffPKfPfEviT_T9_T10_S3_lS5_S3_lS4_T11_S3_li.has_dyn_sized_stack, 0
	.set _ZL29rocblas_internal_gemmt_kernelIlLi16ELi32ELi8ELc67ELc84ELc85ELb0ELb0EffPKfPfEviT_T9_T10_S3_lS5_S3_lS4_T11_S3_li.has_recursion, 0
	.set _ZL29rocblas_internal_gemmt_kernelIlLi16ELi32ELi8ELc67ELc84ELc85ELb0ELb0EffPKfPfEviT_T9_T10_S3_lS5_S3_lS4_T11_S3_li.has_indirect_call, 0
	.section	.AMDGPU.csdata,"",@progbits
; Kernel info:
; codeLenInByte = 1876
; TotalNumSgprs: 33
; NumVgprs: 56
; ScratchSize: 0
; MemoryBound: 0
; FloatMode: 240
; IeeeMode: 1
; LDSByteSize: 2048 bytes/workgroup (compile time only)
; SGPRBlocks: 0
; VGPRBlocks: 6
; NumSGPRsForWavesPerEU: 33
; NumVGPRsForWavesPerEU: 56
; Occupancy: 16
; WaveLimiterHint : 0
; COMPUTE_PGM_RSRC2:SCRATCH_EN: 0
; COMPUTE_PGM_RSRC2:USER_SGPR: 2
; COMPUTE_PGM_RSRC2:TRAP_HANDLER: 0
; COMPUTE_PGM_RSRC2:TGID_X_EN: 1
; COMPUTE_PGM_RSRC2:TGID_Y_EN: 1
; COMPUTE_PGM_RSRC2:TGID_Z_EN: 1
; COMPUTE_PGM_RSRC2:TIDIG_COMP_CNT: 1
	.section	.text._ZL29rocblas_internal_gemmt_kernelIlLi16ELi32ELi8ELc67ELc67ELc85ELb0ELb0EffPKfPfEviT_T9_T10_S3_lS5_S3_lS4_T11_S3_li,"axG",@progbits,_ZL29rocblas_internal_gemmt_kernelIlLi16ELi32ELi8ELc67ELc67ELc85ELb0ELb0EffPKfPfEviT_T9_T10_S3_lS5_S3_lS4_T11_S3_li,comdat
	.globl	_ZL29rocblas_internal_gemmt_kernelIlLi16ELi32ELi8ELc67ELc67ELc85ELb0ELb0EffPKfPfEviT_T9_T10_S3_lS5_S3_lS4_T11_S3_li ; -- Begin function _ZL29rocblas_internal_gemmt_kernelIlLi16ELi32ELi8ELc67ELc67ELc85ELb0ELb0EffPKfPfEviT_T9_T10_S3_lS5_S3_lS4_T11_S3_li
	.p2align	8
	.type	_ZL29rocblas_internal_gemmt_kernelIlLi16ELi32ELi8ELc67ELc67ELc85ELb0ELb0EffPKfPfEviT_T9_T10_S3_lS5_S3_lS4_T11_S3_li,@function
_ZL29rocblas_internal_gemmt_kernelIlLi16ELi32ELi8ELc67ELc67ELc85ELb0ELb0EffPKfPfEviT_T9_T10_S3_lS5_S3_lS4_T11_S3_li: ; @_ZL29rocblas_internal_gemmt_kernelIlLi16ELi32ELi8ELc67ELc67ELc85ELb0ELb0EffPKfPfEviT_T9_T10_S3_lS5_S3_lS4_T11_S3_li
; %bb.0:
	s_clause 0x1
	s_load_b32 s23, s[0:1], 0x48
	s_load_b96 s[20:22], s[0:1], 0x8
	s_wait_kmcnt 0x0
	s_cmp_neq_f32 s23, 1.0
	s_cselect_b32 s2, -1, 0
	s_delay_alu instid0(SALU_CYCLE_1)
	s_and_b32 vcc_lo, exec_lo, s2
	s_cbranch_vccnz .LBB170_2
; %bb.1:
	s_cmp_lg_u64 s[20:21], 0
	s_cselect_b32 s2, -1, 0
	s_cmp_neq_f32 s22, 0
	s_cselect_b32 s3, -1, 0
	s_delay_alu instid0(SALU_CYCLE_1)
	s_and_b32 s2, s2, s3
.LBB170_2:
	s_delay_alu instid0(SALU_CYCLE_1)
	s_and_not1_b32 vcc_lo, exec_lo, s2
	s_cbranch_vccnz .LBB170_35
; %bb.3:
	s_load_b32 s28, s[0:1], 0x68
	s_lshr_b32 s24, ttmp7, 16
	s_wait_kmcnt 0x0
	s_cmp_ge_u32 s24, s28
	s_cbranch_scc1 .LBB170_35
; %bb.4:
	v_and_b32_e32 v2, 0x3ff, v0
	v_bfe_u32 v3, v0, 10, 10
	s_load_b256 s[4:11], s[0:1], 0x18
	s_lshl_b32 s2, ttmp9, 5
	s_clause 0x2
	s_load_b32 s3, s[0:1], 0x0
	s_load_b128 s[12:15], s[0:1], 0x38
	s_load_b128 s[16:19], s[0:1], 0x50
	v_lshl_add_u32 v4, v3, 4, v2
	s_load_b64 s[26:27], s[0:1], 0x60
	s_lshl_b32 s0, ttmp7, 5
	v_and_b32_e32 v12, 7, v0
	s_and_b32 s0, s0, 0x1fffe0
	v_and_b32_e32 v5, 31, v4
	s_cmp_neq_f32 s22, 0
	v_lshrrev_b32_e32 v9, 3, v4
	v_lshlrev_b32_e32 v8, 2, v12
	v_add_nc_u32_e32 v11, s0, v3
	v_or_b32_e32 v6, s2, v5
	s_cselect_b32 s30, -1, 0
	s_ashr_i32 s1, s2, 31
	v_lshrrev_b32_e32 v13, 5, v4
	v_lshlrev_b32_e32 v4, 2, v5
	v_add_nc_u32_e32 v5, s0, v9
	s_wait_kmcnt 0x0
	v_mul_lo_u32 v7, s7, v6
	v_mad_co_u64_u32 v[0:1], null, s6, v6, 0
	s_wait_alu 0xfffe
	s_mul_i32 s1, s6, s1
	v_cmp_gt_i32_e64 s0, s3, v6
	v_add_nc_u32_e32 v22, 16, v11
	v_lshl_or_b32 v14, v13, 7, v4
	v_lshl_add_u32 v21, v3, 5, 0x400
	s_cmp_neq_f32 s23, 0
	s_wait_alu 0xfffe
	v_add3_u32 v1, v1, s1, v7
	v_lshl_or_b32 v7, v9, 5, v8
	v_mad_co_u64_u32 v[8:9], null, s18, v22, 0
	v_cmp_gt_i64_e64 s29, s[20:21], 0
	s_delay_alu instid0(VALU_DEP_4) | instskip(NEXT) | instid1(VALU_DEP_4)
	v_lshlrev_b64_e32 v[0:1], 2, v[0:1]
	v_add_nc_u32_e32 v15, 0x400, v7
	v_mad_co_u64_u32 v[6:7], null, s18, v11, 0
	v_cmp_gt_i32_e64 s1, s3, v5
	s_cselect_b32 s6, -1, 0
	v_add_co_u32 v16, vcc_lo, s4, v0
	v_lshlrev_b32_e32 v0, 2, v5
	v_add_co_ci_u32_e64 v17, null, s5, v1, vcc_lo
	v_dual_mov_b32 v1, 0 :: v_dual_lshlrev_b32 v20, 2, v2
	s_delay_alu instid0(VALU_DEP_3)
	v_add_co_u32 v18, s4, s10, v0
	v_mov_b32_e32 v0, v7
	v_add_nc_u32_e32 v2, s2, v2
	s_wait_alu 0xf1ff
	v_add_co_ci_u32_e64 v19, null, s11, 0, s4
	s_mov_b32 s25, 0
	v_mad_co_u64_u32 v[3:4], null, s19, v11, v[0:1]
	v_mov_b32_e32 v0, v9
	v_cmp_gt_i32_e32 vcc_lo, s3, v11
	v_cmp_le_i32_e64 s2, v2, v11
	v_add_nc_u32_e32 v4, 16, v2
	v_cmp_gt_i32_e64 s3, s3, v22
	v_mad_co_u64_u32 v[9:10], null, s19, v22, v[0:1]
	v_mov_b32_e32 v7, v3
	s_and_b32 s7, vcc_lo, s2
	v_cmp_le_i32_e64 s2, v4, v11
	v_cmp_le_i32_e64 s4, v2, v22
	;; [unrolled: 1-line block ×3, first 2 shown]
	v_lshlrev_b64_e32 v[6:7], 2, v[6:7]
	v_lshlrev_b64_e32 v[8:9], 2, v[8:9]
	v_ashrrev_i32_e32 v3, 31, v2
	v_ashrrev_i32_e32 v5, 31, v4
	s_and_b32 s10, s30, s29
	s_and_b32 s11, vcc_lo, s2
	s_and_b32 s4, s3, s4
	s_and_b32 s5, s3, s5
	s_branch .LBB170_6
.LBB170_5:                              ;   in Loop: Header=BB170_6 Depth=1
	s_wait_alu 0xfffe
	s_or_b32 exec_lo, exec_lo, s2
	s_add_co_i32 s24, s24, 0x10000
	s_delay_alu instid0(SALU_CYCLE_1)
	s_cmp_lt_u32 s24, s28
	s_cbranch_scc0 .LBB170_35
.LBB170_6:                              ; =>This Loop Header: Depth=1
                                        ;     Child Loop BB170_9 Depth 2
	v_dual_mov_b32 v11, v1 :: v_dual_mov_b32 v10, v1
	v_dual_mov_b32 v23, v1 :: v_dual_mov_b32 v22, v1
	s_wait_alu 0xfffe
	s_and_not1_b32 vcc_lo, exec_lo, s10
	s_wait_alu 0xfffe
	s_cbranch_vccnz .LBB170_15
; %bb.7:                                ;   in Loop: Header=BB170_6 Depth=1
	s_mul_u64 s[2:3], s[8:9], s[24:25]
	s_mul_u64 s[18:19], s[14:15], s[24:25]
	s_wait_alu 0xfffe
	s_lshl_b64 s[2:3], s[2:3], 2
	v_dual_mov_b32 v22, 0 :: v_dual_mov_b32 v23, 0
	s_wait_alu 0xfffe
	v_add_co_u32 v24, vcc_lo, v16, s2
	s_wait_alu 0xfffd
	v_add_co_ci_u32_e64 v25, null, s3, v17, vcc_lo
	s_lshl_b64 s[2:3], s[18:19], 2
	v_dual_mov_b32 v10, 0 :: v_dual_mov_b32 v11, 0
	s_wait_alu 0xfffe
	v_add_co_u32 v26, vcc_lo, v18, s2
	s_wait_alu 0xfffd
	v_add_co_ci_u32_e64 v27, null, s3, v19, vcc_lo
	s_mov_b64 s[2:3], 0
	s_branch .LBB170_9
.LBB170_8:                              ;   in Loop: Header=BB170_9 Depth=2
	s_wait_alu 0xfffe
	s_or_b32 exec_lo, exec_lo, s18
	s_wait_loadcnt 0x0
	ds_store_b32 v15, v29
	s_wait_dscnt 0x0
	s_barrier_signal -1
	s_barrier_wait -1
	global_inv scope:SCOPE_SE
	ds_load_b128 v[28:31], v21
	ds_load_2addr_b32 v[44:45], v20 offset1:16
	ds_load_b128 v[32:35], v21 offset:512
	ds_load_2addr_b32 v[46:47], v20 offset0:32 offset1:48
	ds_load_2addr_b32 v[48:49], v20 offset0:64 offset1:80
	;; [unrolled: 1-line block ×3, first 2 shown]
	ds_load_b128 v[36:39], v21 offset:16
	ds_load_2addr_b32 v[52:53], v20 offset0:128 offset1:144
	ds_load_b128 v[40:43], v21 offset:528
	ds_load_2addr_b32 v[54:55], v20 offset0:160 offset1:176
	s_add_nc_u64 s[2:3], s[2:3], 8
	s_wait_alu 0xfffe
	v_cmp_gt_i64_e64 s18, s[20:21], s[2:3]
	s_and_b32 vcc_lo, exec_lo, s18
	s_wait_dscnt 0x8
	v_fmac_f32_e32 v10, v45, v28
	v_fmac_f32_e32 v11, v44, v28
	s_wait_dscnt 0x7
	v_fmac_f32_e32 v22, v45, v32
	v_fmac_f32_e32 v23, v44, v32
	ds_load_2addr_b32 v[44:45], v20 offset0:192 offset1:208
	s_wait_dscnt 0x7
	v_fmac_f32_e32 v10, v47, v29
	v_fmac_f32_e32 v11, v46, v29
	;; [unrolled: 1-line block ×4, first 2 shown]
	ds_load_2addr_b32 v[28:29], v20 offset0:224 offset1:240
	s_wait_dscnt 0x7
	v_fmac_f32_e32 v10, v49, v30
	v_fmac_f32_e32 v11, v48, v30
	;; [unrolled: 1-line block ×4, first 2 shown]
	s_wait_loadcnt_dscnt 0x0
	v_fmac_f32_e32 v10, v51, v31
	v_fmac_f32_e32 v11, v50, v31
	;; [unrolled: 1-line block ×4, first 2 shown]
	s_barrier_signal -1
	v_fmac_f32_e32 v10, v53, v36
	v_fmac_f32_e32 v11, v52, v36
	;; [unrolled: 1-line block ×4, first 2 shown]
	s_barrier_wait -1
	v_fmac_f32_e32 v10, v55, v37
	v_fmac_f32_e32 v11, v54, v37
	v_fmac_f32_e32 v22, v55, v41
	v_fmac_f32_e32 v23, v54, v41
	global_inv scope:SCOPE_SE
	v_fmac_f32_e32 v10, v45, v38
	v_fmac_f32_e32 v11, v44, v38
	v_fmac_f32_e32 v22, v45, v42
	s_delay_alu instid0(VALU_DEP_3) | instskip(NEXT) | instid1(VALU_DEP_3)
	v_dual_fmac_f32 v23, v44, v42 :: v_dual_fmac_f32 v10, v29, v39
	v_fmac_f32_e32 v11, v28, v39
	s_delay_alu instid0(VALU_DEP_3) | instskip(NEXT) | instid1(VALU_DEP_3)
	v_fmac_f32_e32 v22, v29, v43
	v_fmac_f32_e32 v23, v28, v43
	s_wait_alu 0xfffe
	s_cbranch_vccz .LBB170_15
.LBB170_9:                              ;   Parent Loop BB170_6 Depth=1
                                        ; =>  This Inner Loop Header: Depth=2
	v_mov_b32_e32 v28, 0
	s_and_saveexec_b32 s18, s0
	s_cbranch_execz .LBB170_13
; %bb.10:                               ;   in Loop: Header=BB170_9 Depth=2
	s_wait_alu 0xfffe
	v_add_nc_u32_e32 v0, s2, v13
	v_mov_b32_e32 v28, 0
	s_mov_b32 s19, exec_lo
	s_delay_alu instid0(VALU_DEP_2)
	v_cmpx_gt_u64_e64 s[20:21], v[0:1]
	s_cbranch_execz .LBB170_12
; %bb.11:                               ;   in Loop: Header=BB170_9 Depth=2
	v_lshlrev_b64_e32 v[28:29], 2, v[0:1]
	s_delay_alu instid0(VALU_DEP_1) | instskip(SKIP_1) | instid1(VALU_DEP_2)
	v_add_co_u32 v28, vcc_lo, v24, v28
	s_wait_alu 0xfffd
	v_add_co_ci_u32_e64 v29, null, v25, v29, vcc_lo
	global_load_b32 v28, v[28:29], off
.LBB170_12:                             ;   in Loop: Header=BB170_9 Depth=2
	s_wait_alu 0xfffe
	s_or_b32 exec_lo, exec_lo, s19
.LBB170_13:                             ;   in Loop: Header=BB170_9 Depth=2
	s_wait_alu 0xfffe
	s_or_b32 exec_lo, exec_lo, s18
	v_dual_mov_b32 v29, 0 :: v_dual_add_nc_u32 v0, s2, v12
	s_wait_loadcnt 0x0
	ds_store_b32 v14, v28
	v_cmp_gt_u64_e32 vcc_lo, s[20:21], v[0:1]
	s_and_b32 s19, vcc_lo, s1
	s_wait_alu 0xfffe
	s_and_saveexec_b32 s18, s19
	s_cbranch_execz .LBB170_8
; %bb.14:                               ;   in Loop: Header=BB170_9 Depth=2
	v_mad_co_u64_u32 v[28:29], null, s12, v0, 0
	s_delay_alu instid0(VALU_DEP_1) | instskip(NEXT) | instid1(VALU_DEP_1)
	v_mad_co_u64_u32 v[29:30], null, s13, v0, v[29:30]
	v_lshlrev_b64_e32 v[28:29], 2, v[28:29]
	s_delay_alu instid0(VALU_DEP_1) | instskip(SKIP_1) | instid1(VALU_DEP_2)
	v_add_co_u32 v28, vcc_lo, v26, v28
	s_wait_alu 0xfffd
	v_add_co_ci_u32_e64 v29, null, v27, v29, vcc_lo
	global_load_b32 v29, v[28:29], off
	s_branch .LBB170_8
.LBB170_15:                             ;   in Loop: Header=BB170_6 Depth=1
	s_mul_u64 s[2:3], s[26:27], s[24:25]
	s_wait_alu 0xfffe
	s_lshl_b64 s[2:3], s[2:3], 2
	s_wait_alu 0xfffe
	s_add_nc_u64 s[2:3], s[16:17], s[2:3]
	s_wait_alu 0xfffe
	v_add_co_u32 v0, vcc_lo, s2, v6
	s_wait_alu 0xfffd
	v_add_co_ci_u32_e64 v24, null, s3, v7, vcc_lo
	s_and_saveexec_b32 s18, s7
	s_cbranch_execz .LBB170_19
; %bb.16:                               ;   in Loop: Header=BB170_6 Depth=1
	v_mul_f32_e32 v11, s22, v11
	s_and_b32 vcc_lo, exec_lo, s6
	s_wait_alu 0xfffe
	s_cbranch_vccz .LBB170_30
; %bb.17:                               ;   in Loop: Header=BB170_6 Depth=1
	v_lshlrev_b64_e32 v[25:26], 2, v[2:3]
	s_delay_alu instid0(VALU_DEP_1) | instskip(SKIP_1) | instid1(VALU_DEP_2)
	v_add_co_u32 v25, vcc_lo, v0, v25
	s_wait_alu 0xfffd
	v_add_co_ci_u32_e64 v26, null, v24, v26, vcc_lo
	global_load_b32 v27, v[25:26], off
	s_wait_loadcnt 0x0
	v_fma_f32 v27, s23, v27, v11
	global_store_b32 v[25:26], v27, off
	s_cbranch_execnz .LBB170_19
.LBB170_18:                             ;   in Loop: Header=BB170_6 Depth=1
	v_lshlrev_b64_e32 v[25:26], 2, v[2:3]
	s_delay_alu instid0(VALU_DEP_1) | instskip(SKIP_1) | instid1(VALU_DEP_2)
	v_add_co_u32 v25, vcc_lo, v0, v25
	s_wait_alu 0xfffd
	v_add_co_ci_u32_e64 v26, null, v24, v26, vcc_lo
	global_store_b32 v[25:26], v11, off
.LBB170_19:                             ;   in Loop: Header=BB170_6 Depth=1
	s_wait_alu 0xfffe
	s_or_b32 exec_lo, exec_lo, s18
	s_and_saveexec_b32 s18, s11
	s_cbranch_execz .LBB170_23
; %bb.20:                               ;   in Loop: Header=BB170_6 Depth=1
	v_mul_f32_e32 v10, s22, v10
	s_and_not1_b32 vcc_lo, exec_lo, s6
	s_wait_alu 0xfffe
	s_cbranch_vccnz .LBB170_31
; %bb.21:                               ;   in Loop: Header=BB170_6 Depth=1
	v_lshlrev_b64_e32 v[25:26], 2, v[4:5]
	s_delay_alu instid0(VALU_DEP_1) | instskip(SKIP_1) | instid1(VALU_DEP_2)
	v_add_co_u32 v25, vcc_lo, v0, v25
	s_wait_alu 0xfffd
	v_add_co_ci_u32_e64 v26, null, v24, v26, vcc_lo
	global_load_b32 v11, v[25:26], off
	s_wait_loadcnt 0x0
	v_fma_f32 v11, s23, v11, v10
	global_store_b32 v[25:26], v11, off
	s_cbranch_execnz .LBB170_23
.LBB170_22:                             ;   in Loop: Header=BB170_6 Depth=1
	v_lshlrev_b64_e32 v[25:26], 2, v[4:5]
	s_delay_alu instid0(VALU_DEP_1) | instskip(SKIP_1) | instid1(VALU_DEP_2)
	v_add_co_u32 v25, vcc_lo, v0, v25
	s_wait_alu 0xfffd
	v_add_co_ci_u32_e64 v26, null, v24, v26, vcc_lo
	global_store_b32 v[25:26], v10, off
.LBB170_23:                             ;   in Loop: Header=BB170_6 Depth=1
	s_wait_alu 0xfffe
	s_or_b32 exec_lo, exec_lo, s18
	v_add_co_u32 v0, vcc_lo, s2, v8
	s_wait_alu 0xfffd
	v_add_co_ci_u32_e64 v24, null, s3, v9, vcc_lo
	s_and_saveexec_b32 s2, s4
	s_cbranch_execz .LBB170_27
; %bb.24:                               ;   in Loop: Header=BB170_6 Depth=1
	v_lshlrev_b64_e32 v[10:11], 2, v[2:3]
	v_mul_f32_e32 v23, s22, v23
	s_and_not1_b32 vcc_lo, exec_lo, s6
	s_wait_alu 0xfffe
	s_cbranch_vccnz .LBB170_32
; %bb.25:                               ;   in Loop: Header=BB170_6 Depth=1
	s_delay_alu instid0(VALU_DEP_2)
	v_add_co_u32 v25, vcc_lo, v0, v10
	s_wait_alu 0xfffd
	v_add_co_ci_u32_e64 v26, null, v24, v11, vcc_lo
	global_load_b32 v27, v[25:26], off
	s_wait_loadcnt 0x0
	v_fma_f32 v27, s23, v27, v23
	global_store_b32 v[25:26], v27, off
	s_cbranch_execnz .LBB170_27
.LBB170_26:                             ;   in Loop: Header=BB170_6 Depth=1
	v_add_co_u32 v10, vcc_lo, v0, v10
	s_wait_alu 0xfffd
	v_add_co_ci_u32_e64 v11, null, v24, v11, vcc_lo
	global_store_b32 v[10:11], v23, off
.LBB170_27:                             ;   in Loop: Header=BB170_6 Depth=1
	s_wait_alu 0xfffe
	s_or_b32 exec_lo, exec_lo, s2
	s_and_saveexec_b32 s2, s5
	s_cbranch_execz .LBB170_5
; %bb.28:                               ;   in Loop: Header=BB170_6 Depth=1
	v_lshlrev_b64_e32 v[10:11], 2, v[4:5]
	v_mul_f32_e32 v22, s22, v22
	s_and_not1_b32 vcc_lo, exec_lo, s6
	s_wait_alu 0xfffe
	s_cbranch_vccnz .LBB170_33
; %bb.29:                               ;   in Loop: Header=BB170_6 Depth=1
	s_delay_alu instid0(VALU_DEP_2)
	v_add_co_u32 v25, vcc_lo, v0, v10
	s_wait_alu 0xfffd
	v_add_co_ci_u32_e64 v26, null, v24, v11, vcc_lo
	global_load_b32 v23, v[25:26], off
	s_wait_loadcnt 0x0
	v_fma_f32 v23, s23, v23, v22
	global_store_b32 v[25:26], v23, off
	s_cbranch_execnz .LBB170_5
	s_branch .LBB170_34
.LBB170_30:                             ;   in Loop: Header=BB170_6 Depth=1
	s_branch .LBB170_18
.LBB170_31:                             ;   in Loop: Header=BB170_6 Depth=1
	s_branch .LBB170_22
.LBB170_32:                             ;   in Loop: Header=BB170_6 Depth=1
	s_branch .LBB170_26
.LBB170_33:                             ;   in Loop: Header=BB170_6 Depth=1
.LBB170_34:                             ;   in Loop: Header=BB170_6 Depth=1
	s_delay_alu instid0(VALU_DEP_2)
	v_add_co_u32 v10, vcc_lo, v0, v10
	s_wait_alu 0xfffd
	v_add_co_ci_u32_e64 v11, null, v24, v11, vcc_lo
	global_store_b32 v[10:11], v22, off
	s_branch .LBB170_5
.LBB170_35:
	s_endpgm
	.section	.rodata,"a",@progbits
	.p2align	6, 0x0
	.amdhsa_kernel _ZL29rocblas_internal_gemmt_kernelIlLi16ELi32ELi8ELc67ELc67ELc85ELb0ELb0EffPKfPfEviT_T9_T10_S3_lS5_S3_lS4_T11_S3_li
		.amdhsa_group_segment_fixed_size 2048
		.amdhsa_private_segment_fixed_size 0
		.amdhsa_kernarg_size 108
		.amdhsa_user_sgpr_count 2
		.amdhsa_user_sgpr_dispatch_ptr 0
		.amdhsa_user_sgpr_queue_ptr 0
		.amdhsa_user_sgpr_kernarg_segment_ptr 1
		.amdhsa_user_sgpr_dispatch_id 0
		.amdhsa_user_sgpr_private_segment_size 0
		.amdhsa_wavefront_size32 1
		.amdhsa_uses_dynamic_stack 0
		.amdhsa_enable_private_segment 0
		.amdhsa_system_sgpr_workgroup_id_x 1
		.amdhsa_system_sgpr_workgroup_id_y 1
		.amdhsa_system_sgpr_workgroup_id_z 1
		.amdhsa_system_sgpr_workgroup_info 0
		.amdhsa_system_vgpr_workitem_id 1
		.amdhsa_next_free_vgpr 56
		.amdhsa_next_free_sgpr 31
		.amdhsa_reserve_vcc 1
		.amdhsa_float_round_mode_32 0
		.amdhsa_float_round_mode_16_64 0
		.amdhsa_float_denorm_mode_32 3
		.amdhsa_float_denorm_mode_16_64 3
		.amdhsa_fp16_overflow 0
		.amdhsa_workgroup_processor_mode 1
		.amdhsa_memory_ordered 1
		.amdhsa_forward_progress 1
		.amdhsa_inst_pref_size 15
		.amdhsa_round_robin_scheduling 0
		.amdhsa_exception_fp_ieee_invalid_op 0
		.amdhsa_exception_fp_denorm_src 0
		.amdhsa_exception_fp_ieee_div_zero 0
		.amdhsa_exception_fp_ieee_overflow 0
		.amdhsa_exception_fp_ieee_underflow 0
		.amdhsa_exception_fp_ieee_inexact 0
		.amdhsa_exception_int_div_zero 0
	.end_amdhsa_kernel
	.section	.text._ZL29rocblas_internal_gemmt_kernelIlLi16ELi32ELi8ELc67ELc67ELc85ELb0ELb0EffPKfPfEviT_T9_T10_S3_lS5_S3_lS4_T11_S3_li,"axG",@progbits,_ZL29rocblas_internal_gemmt_kernelIlLi16ELi32ELi8ELc67ELc67ELc85ELb0ELb0EffPKfPfEviT_T9_T10_S3_lS5_S3_lS4_T11_S3_li,comdat
.Lfunc_end170:
	.size	_ZL29rocblas_internal_gemmt_kernelIlLi16ELi32ELi8ELc67ELc67ELc85ELb0ELb0EffPKfPfEviT_T9_T10_S3_lS5_S3_lS4_T11_S3_li, .Lfunc_end170-_ZL29rocblas_internal_gemmt_kernelIlLi16ELi32ELi8ELc67ELc67ELc85ELb0ELb0EffPKfPfEviT_T9_T10_S3_lS5_S3_lS4_T11_S3_li
                                        ; -- End function
	.set _ZL29rocblas_internal_gemmt_kernelIlLi16ELi32ELi8ELc67ELc67ELc85ELb0ELb0EffPKfPfEviT_T9_T10_S3_lS5_S3_lS4_T11_S3_li.num_vgpr, 56
	.set _ZL29rocblas_internal_gemmt_kernelIlLi16ELi32ELi8ELc67ELc67ELc85ELb0ELb0EffPKfPfEviT_T9_T10_S3_lS5_S3_lS4_T11_S3_li.num_agpr, 0
	.set _ZL29rocblas_internal_gemmt_kernelIlLi16ELi32ELi8ELc67ELc67ELc85ELb0ELb0EffPKfPfEviT_T9_T10_S3_lS5_S3_lS4_T11_S3_li.numbered_sgpr, 31
	.set _ZL29rocblas_internal_gemmt_kernelIlLi16ELi32ELi8ELc67ELc67ELc85ELb0ELb0EffPKfPfEviT_T9_T10_S3_lS5_S3_lS4_T11_S3_li.num_named_barrier, 0
	.set _ZL29rocblas_internal_gemmt_kernelIlLi16ELi32ELi8ELc67ELc67ELc85ELb0ELb0EffPKfPfEviT_T9_T10_S3_lS5_S3_lS4_T11_S3_li.private_seg_size, 0
	.set _ZL29rocblas_internal_gemmt_kernelIlLi16ELi32ELi8ELc67ELc67ELc85ELb0ELb0EffPKfPfEviT_T9_T10_S3_lS5_S3_lS4_T11_S3_li.uses_vcc, 1
	.set _ZL29rocblas_internal_gemmt_kernelIlLi16ELi32ELi8ELc67ELc67ELc85ELb0ELb0EffPKfPfEviT_T9_T10_S3_lS5_S3_lS4_T11_S3_li.uses_flat_scratch, 0
	.set _ZL29rocblas_internal_gemmt_kernelIlLi16ELi32ELi8ELc67ELc67ELc85ELb0ELb0EffPKfPfEviT_T9_T10_S3_lS5_S3_lS4_T11_S3_li.has_dyn_sized_stack, 0
	.set _ZL29rocblas_internal_gemmt_kernelIlLi16ELi32ELi8ELc67ELc67ELc85ELb0ELb0EffPKfPfEviT_T9_T10_S3_lS5_S3_lS4_T11_S3_li.has_recursion, 0
	.set _ZL29rocblas_internal_gemmt_kernelIlLi16ELi32ELi8ELc67ELc67ELc85ELb0ELb0EffPKfPfEviT_T9_T10_S3_lS5_S3_lS4_T11_S3_li.has_indirect_call, 0
	.section	.AMDGPU.csdata,"",@progbits
; Kernel info:
; codeLenInByte = 1876
; TotalNumSgprs: 33
; NumVgprs: 56
; ScratchSize: 0
; MemoryBound: 0
; FloatMode: 240
; IeeeMode: 1
; LDSByteSize: 2048 bytes/workgroup (compile time only)
; SGPRBlocks: 0
; VGPRBlocks: 6
; NumSGPRsForWavesPerEU: 33
; NumVGPRsForWavesPerEU: 56
; Occupancy: 16
; WaveLimiterHint : 0
; COMPUTE_PGM_RSRC2:SCRATCH_EN: 0
; COMPUTE_PGM_RSRC2:USER_SGPR: 2
; COMPUTE_PGM_RSRC2:TRAP_HANDLER: 0
; COMPUTE_PGM_RSRC2:TGID_X_EN: 1
; COMPUTE_PGM_RSRC2:TGID_Y_EN: 1
; COMPUTE_PGM_RSRC2:TGID_Z_EN: 1
; COMPUTE_PGM_RSRC2:TIDIG_COMP_CNT: 1
	.section	.text._ZL29rocblas_internal_gemmt_kernelIlLi16ELi32ELi8ELc78ELc78ELc76ELb0ELb0EffPKfPfEviT_T9_T10_S3_lS5_S3_lS4_T11_S3_li,"axG",@progbits,_ZL29rocblas_internal_gemmt_kernelIlLi16ELi32ELi8ELc78ELc78ELc76ELb0ELb0EffPKfPfEviT_T9_T10_S3_lS5_S3_lS4_T11_S3_li,comdat
	.globl	_ZL29rocblas_internal_gemmt_kernelIlLi16ELi32ELi8ELc78ELc78ELc76ELb0ELb0EffPKfPfEviT_T9_T10_S3_lS5_S3_lS4_T11_S3_li ; -- Begin function _ZL29rocblas_internal_gemmt_kernelIlLi16ELi32ELi8ELc78ELc78ELc76ELb0ELb0EffPKfPfEviT_T9_T10_S3_lS5_S3_lS4_T11_S3_li
	.p2align	8
	.type	_ZL29rocblas_internal_gemmt_kernelIlLi16ELi32ELi8ELc78ELc78ELc76ELb0ELb0EffPKfPfEviT_T9_T10_S3_lS5_S3_lS4_T11_S3_li,@function
_ZL29rocblas_internal_gemmt_kernelIlLi16ELi32ELi8ELc78ELc78ELc76ELb0ELb0EffPKfPfEviT_T9_T10_S3_lS5_S3_lS4_T11_S3_li: ; @_ZL29rocblas_internal_gemmt_kernelIlLi16ELi32ELi8ELc78ELc78ELc76ELb0ELb0EffPKfPfEviT_T9_T10_S3_lS5_S3_lS4_T11_S3_li
; %bb.0:
	s_clause 0x1
	s_load_b32 s23, s[0:1], 0x48
	s_load_b96 s[20:22], s[0:1], 0x8
	s_wait_kmcnt 0x0
	s_cmp_neq_f32 s23, 1.0
	s_cselect_b32 s2, -1, 0
	s_delay_alu instid0(SALU_CYCLE_1)
	s_and_b32 vcc_lo, exec_lo, s2
	s_cbranch_vccnz .LBB171_2
; %bb.1:
	s_cmp_lg_u64 s[20:21], 0
	s_cselect_b32 s2, -1, 0
	s_cmp_neq_f32 s22, 0
	s_cselect_b32 s3, -1, 0
	s_delay_alu instid0(SALU_CYCLE_1)
	s_and_b32 s2, s2, s3
.LBB171_2:
	s_delay_alu instid0(SALU_CYCLE_1)
	s_and_not1_b32 vcc_lo, exec_lo, s2
	s_cbranch_vccnz .LBB171_35
; %bb.3:
	s_load_b32 s28, s[0:1], 0x68
	s_lshr_b32 s24, ttmp7, 16
	s_wait_kmcnt 0x0
	s_cmp_ge_u32 s24, s28
	s_cbranch_scc1 .LBB171_35
; %bb.4:
	v_and_b32_e32 v10, 0x3ff, v0
	v_bfe_u32 v11, v0, 10, 10
	s_clause 0x1
	s_load_b128 s[12:15], s[0:1], 0x38
	s_load_b64 s[26:27], s[0:1], 0x60
	s_lshl_b32 s2, ttmp7, 5
	s_clause 0x2
	s_load_b32 s3, s[0:1], 0x0
	s_load_b256 s[4:11], s[0:1], 0x18
	s_load_b128 s[16:19], s[0:1], 0x50
	v_lshl_add_u32 v2, v11, 4, v10
	s_and_b32 s0, s2, 0x1fffe0
	v_and_b32_e32 v12, 7, v0
	s_lshl_b32 s2, ttmp9, 5
	v_add_nc_u32_e32 v22, s0, v11
	v_lshrrev_b32_e32 v3, 3, v2
	v_and_b32_e32 v5, 31, v2
	v_lshlrev_b32_e32 v4, 2, v12
	v_lshrrev_b32_e32 v14, 5, v2
	v_add_nc_u32_e32 v23, 16, v22
	v_add_nc_u32_e32 v8, s0, v3
	v_or_b32_e32 v2, s2, v5
	v_lshlrev_b32_e32 v9, 2, v5
	v_lshl_or_b32 v16, v3, 5, v4
	s_cmp_neq_f32 s22, 0
	v_cmp_gt_i64_e64 s29, s[20:21], 0
	s_wait_kmcnt 0x0
	v_mad_co_u64_u32 v[0:1], null, s12, v8, 0
	v_ashrrev_i32_e32 v3, 31, v2
	v_mad_co_u64_u32 v[6:7], null, s18, v22, 0
	v_cmp_gt_i32_e64 s0, s3, v2
	v_lshl_or_b32 v15, v14, 7, v9
	s_cselect_b32 s12, -1, 0
	v_mad_co_u64_u32 v[4:5], null, s13, v8, v[1:2]
	v_lshlrev_b64_e32 v[2:3], 2, v[2:3]
	s_cmp_neq_f32 s23, 0
	v_add_nc_u32_e32 v16, 0x400, v16
	v_lshl_add_u32 v21, v11, 5, 0x400
	s_mov_b32 s25, 0
	s_delay_alu instid0(VALU_DEP_4) | instskip(SKIP_2) | instid1(VALU_DEP_3)
	v_mov_b32_e32 v1, v4
	v_dual_mov_b32 v4, v7 :: v_dual_lshlrev_b32 v13, 2, v10
	v_add_co_u32 v17, vcc_lo, s4, v2
	v_lshlrev_b64_e32 v[0:1], 2, v[0:1]
	v_add_co_ci_u32_e64 v18, null, s5, v3, vcc_lo
	s_delay_alu instid0(VALU_DEP_2) | instskip(SKIP_1) | instid1(VALU_DEP_3)
	v_add_co_u32 v19, vcc_lo, s10, v0
	s_wait_alu 0xfffd
	v_add_co_ci_u32_e64 v20, null, s11, v1, vcc_lo
	v_mad_co_u64_u32 v[1:2], null, s19, v22, v[4:5]
	v_add_nc_u32_e32 v0, s2, v10
	s_cselect_b32 s10, -1, 0
	s_wait_alu 0xfffe
	s_and_b32 s12, s12, s29
	s_delay_alu instid0(VALU_DEP_1) | instskip(NEXT) | instid1(VALU_DEP_3)
	v_cmp_gt_i32_e64 s2, s3, v0
	v_mov_b32_e32 v7, v1
	v_cmp_gt_i32_e64 s1, s3, v8
	v_mad_co_u64_u32 v[8:9], null, s18, v23, 0
	v_add_nc_u32_e32 v2, 16, v0
	v_cmp_le_i32_e64 s4, v23, v0
	v_lshlrev_b64_e32 v[6:7], 2, v[6:7]
	v_ashrrev_i32_e32 v1, 31, v0
	s_delay_alu instid0(VALU_DEP_4)
	v_cmp_gt_i32_e64 s3, s3, v2
	v_mov_b32_e32 v3, v9
	v_cmp_le_i32_e64 s5, v23, v2
	s_and_b32 s4, s4, s2
	v_mad_co_u64_u32 v[4:5], null, s19, v23, v[3:4]
	v_ashrrev_i32_e32 v3, 31, v2
	v_mov_b32_e32 v5, 0
	s_and_b32 s5, s5, s3
	s_delay_alu instid0(VALU_DEP_3) | instskip(SKIP_1) | instid1(VALU_DEP_2)
	v_mov_b32_e32 v9, v4
	v_cmp_le_i32_e32 vcc_lo, v22, v0
	v_lshlrev_b64_e32 v[8:9], 2, v[8:9]
	s_and_b32 s11, vcc_lo, s2
	v_cmp_le_i32_e32 vcc_lo, v22, v2
	s_and_b32 s13, vcc_lo, s3
	s_branch .LBB171_6
.LBB171_5:                              ;   in Loop: Header=BB171_6 Depth=1
	s_wait_alu 0xfffe
	s_or_b32 exec_lo, exec_lo, s2
	s_add_co_i32 s24, s24, 0x10000
	s_delay_alu instid0(SALU_CYCLE_1)
	s_cmp_lt_u32 s24, s28
	s_cbranch_scc0 .LBB171_35
.LBB171_6:                              ; =>This Loop Header: Depth=1
                                        ;     Child Loop BB171_9 Depth 2
	v_dual_mov_b32 v11, v5 :: v_dual_mov_b32 v10, v5
	v_dual_mov_b32 v23, v5 :: v_dual_mov_b32 v22, v5
	s_wait_alu 0xfffe
	s_and_not1_b32 vcc_lo, exec_lo, s12
	s_wait_alu 0xfffe
	s_cbranch_vccnz .LBB171_15
; %bb.7:                                ;   in Loop: Header=BB171_6 Depth=1
	s_mul_u64 s[2:3], s[8:9], s[24:25]
	s_mul_u64 s[18:19], s[14:15], s[24:25]
	s_wait_alu 0xfffe
	s_lshl_b64 s[2:3], s[2:3], 2
	v_dual_mov_b32 v22, 0 :: v_dual_mov_b32 v23, 0
	s_wait_alu 0xfffe
	v_add_co_u32 v24, vcc_lo, v17, s2
	s_wait_alu 0xfffd
	v_add_co_ci_u32_e64 v25, null, s3, v18, vcc_lo
	s_lshl_b64 s[2:3], s[18:19], 2
	v_dual_mov_b32 v10, 0 :: v_dual_mov_b32 v11, 0
	s_wait_alu 0xfffe
	v_add_co_u32 v26, vcc_lo, v19, s2
	s_wait_alu 0xfffd
	v_add_co_ci_u32_e64 v27, null, s3, v20, vcc_lo
	s_mov_b64 s[2:3], 0
	s_branch .LBB171_9
.LBB171_8:                              ;   in Loop: Header=BB171_9 Depth=2
	s_wait_alu 0xfffe
	s_or_b32 exec_lo, exec_lo, s18
	s_wait_loadcnt 0x0
	ds_store_b32 v16, v29
	s_wait_dscnt 0x0
	s_barrier_signal -1
	s_barrier_wait -1
	global_inv scope:SCOPE_SE
	ds_load_b128 v[28:31], v21
	ds_load_2addr_b32 v[44:45], v13 offset1:16
	ds_load_b128 v[32:35], v21 offset:512
	ds_load_2addr_b32 v[46:47], v13 offset0:32 offset1:48
	ds_load_2addr_b32 v[48:49], v13 offset0:64 offset1:80
	;; [unrolled: 1-line block ×3, first 2 shown]
	ds_load_b128 v[36:39], v21 offset:16
	ds_load_2addr_b32 v[52:53], v13 offset0:128 offset1:144
	ds_load_b128 v[40:43], v21 offset:528
	ds_load_2addr_b32 v[54:55], v13 offset0:160 offset1:176
	s_add_nc_u64 s[2:3], s[2:3], 8
	s_wait_alu 0xfffe
	v_cmp_gt_i64_e64 s18, s[20:21], s[2:3]
	s_and_b32 vcc_lo, exec_lo, s18
	s_wait_dscnt 0x8
	v_fmac_f32_e32 v10, v45, v28
	v_fmac_f32_e32 v11, v44, v28
	s_wait_dscnt 0x7
	v_fmac_f32_e32 v22, v45, v32
	v_fmac_f32_e32 v23, v44, v32
	ds_load_2addr_b32 v[44:45], v13 offset0:192 offset1:208
	s_wait_dscnt 0x7
	v_fmac_f32_e32 v10, v47, v29
	v_fmac_f32_e32 v11, v46, v29
	v_fmac_f32_e32 v22, v47, v33
	v_fmac_f32_e32 v23, v46, v33
	ds_load_2addr_b32 v[28:29], v13 offset0:224 offset1:240
	s_wait_dscnt 0x7
	v_fmac_f32_e32 v10, v49, v30
	v_fmac_f32_e32 v11, v48, v30
	;; [unrolled: 1-line block ×4, first 2 shown]
	s_wait_loadcnt_dscnt 0x0
	v_fmac_f32_e32 v10, v51, v31
	v_fmac_f32_e32 v11, v50, v31
	;; [unrolled: 1-line block ×4, first 2 shown]
	s_barrier_signal -1
	v_fmac_f32_e32 v10, v53, v36
	v_fmac_f32_e32 v11, v52, v36
	v_fmac_f32_e32 v22, v53, v40
	v_fmac_f32_e32 v23, v52, v40
	s_barrier_wait -1
	v_fmac_f32_e32 v10, v55, v37
	v_fmac_f32_e32 v11, v54, v37
	;; [unrolled: 1-line block ×4, first 2 shown]
	global_inv scope:SCOPE_SE
	v_fmac_f32_e32 v10, v45, v38
	v_fmac_f32_e32 v11, v44, v38
	;; [unrolled: 1-line block ×3, first 2 shown]
	s_delay_alu instid0(VALU_DEP_3) | instskip(NEXT) | instid1(VALU_DEP_3)
	v_dual_fmac_f32 v23, v44, v42 :: v_dual_fmac_f32 v10, v29, v39
	v_fmac_f32_e32 v11, v28, v39
	s_delay_alu instid0(VALU_DEP_3) | instskip(NEXT) | instid1(VALU_DEP_3)
	v_fmac_f32_e32 v22, v29, v43
	v_fmac_f32_e32 v23, v28, v43
	s_wait_alu 0xfffe
	s_cbranch_vccz .LBB171_15
.LBB171_9:                              ;   Parent Loop BB171_6 Depth=1
                                        ; =>  This Inner Loop Header: Depth=2
	v_mov_b32_e32 v28, 0
	s_and_saveexec_b32 s18, s0
	s_cbranch_execz .LBB171_13
; %bb.10:                               ;   in Loop: Header=BB171_9 Depth=2
	s_wait_alu 0xfffe
	v_add_nc_u32_e32 v4, s2, v14
	v_mov_b32_e32 v28, 0
	s_mov_b32 s19, exec_lo
	s_delay_alu instid0(VALU_DEP_2)
	v_cmpx_gt_u64_e64 s[20:21], v[4:5]
	s_cbranch_execz .LBB171_12
; %bb.11:                               ;   in Loop: Header=BB171_9 Depth=2
	v_mad_co_u64_u32 v[28:29], null, s6, v4, 0
	s_delay_alu instid0(VALU_DEP_1) | instskip(NEXT) | instid1(VALU_DEP_1)
	v_mad_co_u64_u32 v[29:30], null, s7, v4, v[29:30]
	v_lshlrev_b64_e32 v[28:29], 2, v[28:29]
	s_delay_alu instid0(VALU_DEP_1) | instskip(SKIP_1) | instid1(VALU_DEP_2)
	v_add_co_u32 v28, vcc_lo, v24, v28
	s_wait_alu 0xfffd
	v_add_co_ci_u32_e64 v29, null, v25, v29, vcc_lo
	global_load_b32 v28, v[28:29], off
.LBB171_12:                             ;   in Loop: Header=BB171_9 Depth=2
	s_wait_alu 0xfffe
	s_or_b32 exec_lo, exec_lo, s19
.LBB171_13:                             ;   in Loop: Header=BB171_9 Depth=2
	s_wait_alu 0xfffe
	s_or_b32 exec_lo, exec_lo, s18
	v_dual_mov_b32 v29, 0 :: v_dual_add_nc_u32 v4, s2, v12
	s_wait_loadcnt 0x0
	ds_store_b32 v15, v28
	v_cmp_gt_u64_e32 vcc_lo, s[20:21], v[4:5]
	s_and_b32 s19, vcc_lo, s1
	s_wait_alu 0xfffe
	s_and_saveexec_b32 s18, s19
	s_cbranch_execz .LBB171_8
; %bb.14:                               ;   in Loop: Header=BB171_9 Depth=2
	v_lshlrev_b64_e32 v[28:29], 2, v[4:5]
	s_delay_alu instid0(VALU_DEP_1) | instskip(SKIP_1) | instid1(VALU_DEP_2)
	v_add_co_u32 v28, vcc_lo, v26, v28
	s_wait_alu 0xfffd
	v_add_co_ci_u32_e64 v29, null, v27, v29, vcc_lo
	global_load_b32 v29, v[28:29], off
	s_branch .LBB171_8
.LBB171_15:                             ;   in Loop: Header=BB171_6 Depth=1
	s_mul_u64 s[2:3], s[26:27], s[24:25]
	s_wait_alu 0xfffe
	s_lshl_b64 s[2:3], s[2:3], 2
	s_wait_alu 0xfffe
	s_add_nc_u64 s[2:3], s[16:17], s[2:3]
	s_wait_alu 0xfffe
	v_add_co_u32 v4, vcc_lo, s2, v6
	s_wait_alu 0xfffd
	v_add_co_ci_u32_e64 v24, null, s3, v7, vcc_lo
	s_and_saveexec_b32 s18, s11
	s_cbranch_execz .LBB171_19
; %bb.16:                               ;   in Loop: Header=BB171_6 Depth=1
	v_mul_f32_e32 v11, s22, v11
	s_and_b32 vcc_lo, exec_lo, s10
	s_wait_alu 0xfffe
	s_cbranch_vccz .LBB171_30
; %bb.17:                               ;   in Loop: Header=BB171_6 Depth=1
	v_lshlrev_b64_e32 v[25:26], 2, v[0:1]
	s_delay_alu instid0(VALU_DEP_1) | instskip(SKIP_1) | instid1(VALU_DEP_2)
	v_add_co_u32 v25, vcc_lo, v4, v25
	s_wait_alu 0xfffd
	v_add_co_ci_u32_e64 v26, null, v24, v26, vcc_lo
	global_load_b32 v27, v[25:26], off
	s_wait_loadcnt 0x0
	v_fma_f32 v27, s23, v27, v11
	global_store_b32 v[25:26], v27, off
	s_cbranch_execnz .LBB171_19
.LBB171_18:                             ;   in Loop: Header=BB171_6 Depth=1
	v_lshlrev_b64_e32 v[25:26], 2, v[0:1]
	s_delay_alu instid0(VALU_DEP_1) | instskip(SKIP_1) | instid1(VALU_DEP_2)
	v_add_co_u32 v25, vcc_lo, v4, v25
	s_wait_alu 0xfffd
	v_add_co_ci_u32_e64 v26, null, v24, v26, vcc_lo
	global_store_b32 v[25:26], v11, off
.LBB171_19:                             ;   in Loop: Header=BB171_6 Depth=1
	s_wait_alu 0xfffe
	s_or_b32 exec_lo, exec_lo, s18
	s_and_saveexec_b32 s18, s13
	s_cbranch_execz .LBB171_23
; %bb.20:                               ;   in Loop: Header=BB171_6 Depth=1
	v_mul_f32_e32 v10, s22, v10
	s_and_not1_b32 vcc_lo, exec_lo, s10
	s_wait_alu 0xfffe
	s_cbranch_vccnz .LBB171_31
; %bb.21:                               ;   in Loop: Header=BB171_6 Depth=1
	v_lshlrev_b64_e32 v[25:26], 2, v[2:3]
	s_delay_alu instid0(VALU_DEP_1) | instskip(SKIP_1) | instid1(VALU_DEP_2)
	v_add_co_u32 v25, vcc_lo, v4, v25
	s_wait_alu 0xfffd
	v_add_co_ci_u32_e64 v26, null, v24, v26, vcc_lo
	global_load_b32 v11, v[25:26], off
	s_wait_loadcnt 0x0
	v_fma_f32 v11, s23, v11, v10
	global_store_b32 v[25:26], v11, off
	s_cbranch_execnz .LBB171_23
.LBB171_22:                             ;   in Loop: Header=BB171_6 Depth=1
	v_lshlrev_b64_e32 v[25:26], 2, v[2:3]
	s_delay_alu instid0(VALU_DEP_1) | instskip(SKIP_1) | instid1(VALU_DEP_2)
	v_add_co_u32 v25, vcc_lo, v4, v25
	s_wait_alu 0xfffd
	v_add_co_ci_u32_e64 v26, null, v24, v26, vcc_lo
	global_store_b32 v[25:26], v10, off
.LBB171_23:                             ;   in Loop: Header=BB171_6 Depth=1
	s_wait_alu 0xfffe
	s_or_b32 exec_lo, exec_lo, s18
	v_add_co_u32 v4, vcc_lo, s2, v8
	s_wait_alu 0xfffd
	v_add_co_ci_u32_e64 v24, null, s3, v9, vcc_lo
	s_and_saveexec_b32 s2, s4
	s_cbranch_execz .LBB171_27
; %bb.24:                               ;   in Loop: Header=BB171_6 Depth=1
	v_lshlrev_b64_e32 v[10:11], 2, v[0:1]
	v_mul_f32_e32 v23, s22, v23
	s_and_not1_b32 vcc_lo, exec_lo, s10
	s_wait_alu 0xfffe
	s_cbranch_vccnz .LBB171_32
; %bb.25:                               ;   in Loop: Header=BB171_6 Depth=1
	s_delay_alu instid0(VALU_DEP_2)
	v_add_co_u32 v25, vcc_lo, v4, v10
	s_wait_alu 0xfffd
	v_add_co_ci_u32_e64 v26, null, v24, v11, vcc_lo
	global_load_b32 v27, v[25:26], off
	s_wait_loadcnt 0x0
	v_fma_f32 v27, s23, v27, v23
	global_store_b32 v[25:26], v27, off
	s_cbranch_execnz .LBB171_27
.LBB171_26:                             ;   in Loop: Header=BB171_6 Depth=1
	v_add_co_u32 v10, vcc_lo, v4, v10
	s_wait_alu 0xfffd
	v_add_co_ci_u32_e64 v11, null, v24, v11, vcc_lo
	global_store_b32 v[10:11], v23, off
.LBB171_27:                             ;   in Loop: Header=BB171_6 Depth=1
	s_wait_alu 0xfffe
	s_or_b32 exec_lo, exec_lo, s2
	s_and_saveexec_b32 s2, s5
	s_cbranch_execz .LBB171_5
; %bb.28:                               ;   in Loop: Header=BB171_6 Depth=1
	v_lshlrev_b64_e32 v[10:11], 2, v[2:3]
	v_mul_f32_e32 v22, s22, v22
	s_and_not1_b32 vcc_lo, exec_lo, s10
	s_wait_alu 0xfffe
	s_cbranch_vccnz .LBB171_33
; %bb.29:                               ;   in Loop: Header=BB171_6 Depth=1
	s_delay_alu instid0(VALU_DEP_2)
	v_add_co_u32 v25, vcc_lo, v4, v10
	s_wait_alu 0xfffd
	v_add_co_ci_u32_e64 v26, null, v24, v11, vcc_lo
	global_load_b32 v23, v[25:26], off
	s_wait_loadcnt 0x0
	v_fma_f32 v23, s23, v23, v22
	global_store_b32 v[25:26], v23, off
	s_cbranch_execnz .LBB171_5
	s_branch .LBB171_34
.LBB171_30:                             ;   in Loop: Header=BB171_6 Depth=1
	s_branch .LBB171_18
.LBB171_31:                             ;   in Loop: Header=BB171_6 Depth=1
	s_branch .LBB171_22
.LBB171_32:                             ;   in Loop: Header=BB171_6 Depth=1
	s_branch .LBB171_26
.LBB171_33:                             ;   in Loop: Header=BB171_6 Depth=1
.LBB171_34:                             ;   in Loop: Header=BB171_6 Depth=1
	s_delay_alu instid0(VALU_DEP_2)
	v_add_co_u32 v10, vcc_lo, v4, v10
	s_wait_alu 0xfffd
	v_add_co_ci_u32_e64 v11, null, v24, v11, vcc_lo
	global_store_b32 v[10:11], v22, off
	s_branch .LBB171_5
.LBB171_35:
	s_endpgm
	.section	.rodata,"a",@progbits
	.p2align	6, 0x0
	.amdhsa_kernel _ZL29rocblas_internal_gemmt_kernelIlLi16ELi32ELi8ELc78ELc78ELc76ELb0ELb0EffPKfPfEviT_T9_T10_S3_lS5_S3_lS4_T11_S3_li
		.amdhsa_group_segment_fixed_size 2048
		.amdhsa_private_segment_fixed_size 0
		.amdhsa_kernarg_size 108
		.amdhsa_user_sgpr_count 2
		.amdhsa_user_sgpr_dispatch_ptr 0
		.amdhsa_user_sgpr_queue_ptr 0
		.amdhsa_user_sgpr_kernarg_segment_ptr 1
		.amdhsa_user_sgpr_dispatch_id 0
		.amdhsa_user_sgpr_private_segment_size 0
		.amdhsa_wavefront_size32 1
		.amdhsa_uses_dynamic_stack 0
		.amdhsa_enable_private_segment 0
		.amdhsa_system_sgpr_workgroup_id_x 1
		.amdhsa_system_sgpr_workgroup_id_y 1
		.amdhsa_system_sgpr_workgroup_id_z 1
		.amdhsa_system_sgpr_workgroup_info 0
		.amdhsa_system_vgpr_workitem_id 1
		.amdhsa_next_free_vgpr 56
		.amdhsa_next_free_sgpr 30
		.amdhsa_reserve_vcc 1
		.amdhsa_float_round_mode_32 0
		.amdhsa_float_round_mode_16_64 0
		.amdhsa_float_denorm_mode_32 3
		.amdhsa_float_denorm_mode_16_64 3
		.amdhsa_fp16_overflow 0
		.amdhsa_workgroup_processor_mode 1
		.amdhsa_memory_ordered 1
		.amdhsa_forward_progress 1
		.amdhsa_inst_pref_size 15
		.amdhsa_round_robin_scheduling 0
		.amdhsa_exception_fp_ieee_invalid_op 0
		.amdhsa_exception_fp_denorm_src 0
		.amdhsa_exception_fp_ieee_div_zero 0
		.amdhsa_exception_fp_ieee_overflow 0
		.amdhsa_exception_fp_ieee_underflow 0
		.amdhsa_exception_fp_ieee_inexact 0
		.amdhsa_exception_int_div_zero 0
	.end_amdhsa_kernel
	.section	.text._ZL29rocblas_internal_gemmt_kernelIlLi16ELi32ELi8ELc78ELc78ELc76ELb0ELb0EffPKfPfEviT_T9_T10_S3_lS5_S3_lS4_T11_S3_li,"axG",@progbits,_ZL29rocblas_internal_gemmt_kernelIlLi16ELi32ELi8ELc78ELc78ELc76ELb0ELb0EffPKfPfEviT_T9_T10_S3_lS5_S3_lS4_T11_S3_li,comdat
.Lfunc_end171:
	.size	_ZL29rocblas_internal_gemmt_kernelIlLi16ELi32ELi8ELc78ELc78ELc76ELb0ELb0EffPKfPfEviT_T9_T10_S3_lS5_S3_lS4_T11_S3_li, .Lfunc_end171-_ZL29rocblas_internal_gemmt_kernelIlLi16ELi32ELi8ELc78ELc78ELc76ELb0ELb0EffPKfPfEviT_T9_T10_S3_lS5_S3_lS4_T11_S3_li
                                        ; -- End function
	.set _ZL29rocblas_internal_gemmt_kernelIlLi16ELi32ELi8ELc78ELc78ELc76ELb0ELb0EffPKfPfEviT_T9_T10_S3_lS5_S3_lS4_T11_S3_li.num_vgpr, 56
	.set _ZL29rocblas_internal_gemmt_kernelIlLi16ELi32ELi8ELc78ELc78ELc76ELb0ELb0EffPKfPfEviT_T9_T10_S3_lS5_S3_lS4_T11_S3_li.num_agpr, 0
	.set _ZL29rocblas_internal_gemmt_kernelIlLi16ELi32ELi8ELc78ELc78ELc76ELb0ELb0EffPKfPfEviT_T9_T10_S3_lS5_S3_lS4_T11_S3_li.numbered_sgpr, 30
	.set _ZL29rocblas_internal_gemmt_kernelIlLi16ELi32ELi8ELc78ELc78ELc76ELb0ELb0EffPKfPfEviT_T9_T10_S3_lS5_S3_lS4_T11_S3_li.num_named_barrier, 0
	.set _ZL29rocblas_internal_gemmt_kernelIlLi16ELi32ELi8ELc78ELc78ELc76ELb0ELb0EffPKfPfEviT_T9_T10_S3_lS5_S3_lS4_T11_S3_li.private_seg_size, 0
	.set _ZL29rocblas_internal_gemmt_kernelIlLi16ELi32ELi8ELc78ELc78ELc76ELb0ELb0EffPKfPfEviT_T9_T10_S3_lS5_S3_lS4_T11_S3_li.uses_vcc, 1
	.set _ZL29rocblas_internal_gemmt_kernelIlLi16ELi32ELi8ELc78ELc78ELc76ELb0ELb0EffPKfPfEviT_T9_T10_S3_lS5_S3_lS4_T11_S3_li.uses_flat_scratch, 0
	.set _ZL29rocblas_internal_gemmt_kernelIlLi16ELi32ELi8ELc78ELc78ELc76ELb0ELb0EffPKfPfEviT_T9_T10_S3_lS5_S3_lS4_T11_S3_li.has_dyn_sized_stack, 0
	.set _ZL29rocblas_internal_gemmt_kernelIlLi16ELi32ELi8ELc78ELc78ELc76ELb0ELb0EffPKfPfEviT_T9_T10_S3_lS5_S3_lS4_T11_S3_li.has_recursion, 0
	.set _ZL29rocblas_internal_gemmt_kernelIlLi16ELi32ELi8ELc78ELc78ELc76ELb0ELb0EffPKfPfEviT_T9_T10_S3_lS5_S3_lS4_T11_S3_li.has_indirect_call, 0
	.section	.AMDGPU.csdata,"",@progbits
; Kernel info:
; codeLenInByte = 1880
; TotalNumSgprs: 32
; NumVgprs: 56
; ScratchSize: 0
; MemoryBound: 0
; FloatMode: 240
; IeeeMode: 1
; LDSByteSize: 2048 bytes/workgroup (compile time only)
; SGPRBlocks: 0
; VGPRBlocks: 6
; NumSGPRsForWavesPerEU: 32
; NumVGPRsForWavesPerEU: 56
; Occupancy: 16
; WaveLimiterHint : 0
; COMPUTE_PGM_RSRC2:SCRATCH_EN: 0
; COMPUTE_PGM_RSRC2:USER_SGPR: 2
; COMPUTE_PGM_RSRC2:TRAP_HANDLER: 0
; COMPUTE_PGM_RSRC2:TGID_X_EN: 1
; COMPUTE_PGM_RSRC2:TGID_Y_EN: 1
; COMPUTE_PGM_RSRC2:TGID_Z_EN: 1
; COMPUTE_PGM_RSRC2:TIDIG_COMP_CNT: 1
	.section	.text._ZL29rocblas_internal_gemmt_kernelIlLi16ELi32ELi8ELc78ELc84ELc76ELb0ELb0EffPKfPfEviT_T9_T10_S3_lS5_S3_lS4_T11_S3_li,"axG",@progbits,_ZL29rocblas_internal_gemmt_kernelIlLi16ELi32ELi8ELc78ELc84ELc76ELb0ELb0EffPKfPfEviT_T9_T10_S3_lS5_S3_lS4_T11_S3_li,comdat
	.globl	_ZL29rocblas_internal_gemmt_kernelIlLi16ELi32ELi8ELc78ELc84ELc76ELb0ELb0EffPKfPfEviT_T9_T10_S3_lS5_S3_lS4_T11_S3_li ; -- Begin function _ZL29rocblas_internal_gemmt_kernelIlLi16ELi32ELi8ELc78ELc84ELc76ELb0ELb0EffPKfPfEviT_T9_T10_S3_lS5_S3_lS4_T11_S3_li
	.p2align	8
	.type	_ZL29rocblas_internal_gemmt_kernelIlLi16ELi32ELi8ELc78ELc84ELc76ELb0ELb0EffPKfPfEviT_T9_T10_S3_lS5_S3_lS4_T11_S3_li,@function
_ZL29rocblas_internal_gemmt_kernelIlLi16ELi32ELi8ELc78ELc84ELc76ELb0ELb0EffPKfPfEviT_T9_T10_S3_lS5_S3_lS4_T11_S3_li: ; @_ZL29rocblas_internal_gemmt_kernelIlLi16ELi32ELi8ELc78ELc84ELc76ELb0ELb0EffPKfPfEviT_T9_T10_S3_lS5_S3_lS4_T11_S3_li
; %bb.0:
	s_clause 0x1
	s_load_b32 s23, s[0:1], 0x48
	s_load_b96 s[20:22], s[0:1], 0x8
	s_wait_kmcnt 0x0
	s_cmp_neq_f32 s23, 1.0
	s_cselect_b32 s2, -1, 0
	s_delay_alu instid0(SALU_CYCLE_1)
	s_and_b32 vcc_lo, exec_lo, s2
	s_cbranch_vccnz .LBB172_2
; %bb.1:
	s_cmp_lg_u64 s[20:21], 0
	s_cselect_b32 s2, -1, 0
	s_cmp_neq_f32 s22, 0
	s_cselect_b32 s3, -1, 0
	s_delay_alu instid0(SALU_CYCLE_1)
	s_and_b32 s2, s2, s3
.LBB172_2:
	s_delay_alu instid0(SALU_CYCLE_1)
	s_and_not1_b32 vcc_lo, exec_lo, s2
	s_cbranch_vccnz .LBB172_35
; %bb.3:
	s_load_b32 s28, s[0:1], 0x68
	s_lshr_b32 s24, ttmp7, 16
	s_wait_kmcnt 0x0
	s_cmp_ge_u32 s24, s28
	s_cbranch_scc1 .LBB172_35
; %bb.4:
	v_and_b32_e32 v3, 0x3ff, v0
	v_bfe_u32 v4, v0, 10, 10
	s_lshl_b32 s2, ttmp9, 5
	s_clause 0x3
	s_load_b256 s[4:11], s[0:1], 0x18
	s_load_b128 s[12:15], s[0:1], 0x38
	s_load_b128 s[16:19], s[0:1], 0x50
	s_load_b64 s[26:27], s[0:1], 0x60
	v_and_b32_e32 v12, 7, v0
	s_load_b32 s3, s[0:1], 0x0
	v_lshl_add_u32 v2, v4, 4, v3
	s_lshl_b32 s0, ttmp7, 5
	v_lshl_add_u32 v21, v4, 5, 0x400
	s_and_b32 s0, s0, 0x1fffe0
	s_cmp_neq_f32 s22, 0
	v_and_b32_e32 v5, 31, v2
	v_lshrrev_b32_e32 v7, 3, v2
	v_lshrrev_b32_e32 v13, 5, v2
	v_add_nc_u32_e32 v11, s0, v4
	s_cselect_b32 s30, -1, 0
	v_or_b32_e32 v0, s2, v5
	v_add_nc_u32_e32 v8, s0, v7
	s_cmp_neq_f32 s23, 0
	v_add_nc_u32_e32 v22, 16, v11
	v_cmp_gt_i64_e64 s29, s[20:21], 0
	v_ashrrev_i32_e32 v1, 31, v0
	s_mov_b32 s25, 0
	s_wait_kmcnt 0x0
	v_cmp_gt_i32_e64 s0, s3, v0
	s_delay_alu instid0(VALU_DEP_2) | instskip(SKIP_3) | instid1(VALU_DEP_4)
	v_lshlrev_b64_e32 v[1:2], 2, v[0:1]
	v_lshlrev_b32_e32 v0, 2, v8
	v_cmp_gt_i32_e64 s1, s3, v8
	v_mad_co_u64_u32 v[8:9], null, s18, v22, 0
	v_add_co_u32 v15, vcc_lo, s4, v1
	v_dual_mov_b32 v1, 0 :: v_dual_lshlrev_b32 v6, 2, v12
	v_add_co_u32 v18, s4, s10, v0
	v_add_co_ci_u32_e64 v16, null, s5, v2, vcc_lo
	s_delay_alu instid0(VALU_DEP_3)
	v_lshl_or_b32 v6, v7, 5, v6
	s_wait_alu 0xf1ff
	v_add_co_ci_u32_e64 v19, null, s11, 0, s4
	s_cselect_b32 s10, -1, 0
	v_add_nc_u32_e32 v17, 0x400, v6
	v_mad_co_u64_u32 v[6:7], null, s18, v11, 0
	s_and_b32 s18, s30, s29
	v_mov_b32_e32 v0, v7
	v_lshlrev_b32_e32 v20, 2, v3
	v_add_nc_u32_e32 v2, s2, v3
	s_delay_alu instid0(VALU_DEP_3) | instskip(SKIP_1) | instid1(VALU_DEP_3)
	v_mad_co_u64_u32 v[3:4], null, s19, v11, v[0:1]
	v_mov_b32_e32 v0, v9
	v_cmp_le_i32_e32 vcc_lo, v11, v2
	v_cmp_gt_i32_e64 s2, s3, v2
	v_add_nc_u32_e32 v4, 16, v2
	v_lshlrev_b32_e32 v5, 2, v5
	v_mad_co_u64_u32 v[9:10], null, s19, v22, v[0:1]
	v_mov_b32_e32 v7, v3
	s_and_b32 s11, vcc_lo, s2
	v_cmp_le_i32_e32 vcc_lo, v11, v4
	v_cmp_gt_i32_e64 s3, s3, v4
	v_cmp_le_i32_e64 s4, v22, v2
	v_cmp_le_i32_e64 s5, v22, v4
	v_lshlrev_b64_e32 v[6:7], 2, v[6:7]
	v_lshlrev_b64_e32 v[8:9], 2, v[8:9]
	v_lshl_or_b32 v14, v13, 7, v5
	v_ashrrev_i32_e32 v3, 31, v2
	v_ashrrev_i32_e32 v5, 31, v4
	s_and_b32 s19, vcc_lo, s3
	s_and_b32 s4, s4, s2
	s_and_b32 s5, s5, s3
	s_branch .LBB172_6
.LBB172_5:                              ;   in Loop: Header=BB172_6 Depth=1
	s_wait_alu 0xfffe
	s_or_b32 exec_lo, exec_lo, s2
	s_add_co_i32 s24, s24, 0x10000
	s_delay_alu instid0(SALU_CYCLE_1)
	s_cmp_lt_u32 s24, s28
	s_cbranch_scc0 .LBB172_35
.LBB172_6:                              ; =>This Loop Header: Depth=1
                                        ;     Child Loop BB172_9 Depth 2
	v_dual_mov_b32 v11, v1 :: v_dual_mov_b32 v10, v1
	v_dual_mov_b32 v23, v1 :: v_dual_mov_b32 v22, v1
	s_wait_alu 0xfffe
	s_and_not1_b32 vcc_lo, exec_lo, s18
	s_wait_alu 0xfffe
	s_cbranch_vccnz .LBB172_15
; %bb.7:                                ;   in Loop: Header=BB172_6 Depth=1
	s_mul_u64 s[2:3], s[8:9], s[24:25]
	s_mul_u64 s[30:31], s[14:15], s[24:25]
	s_wait_alu 0xfffe
	s_lshl_b64 s[2:3], s[2:3], 2
	v_dual_mov_b32 v22, 0 :: v_dual_mov_b32 v23, 0
	s_wait_alu 0xfffe
	v_add_co_u32 v24, vcc_lo, v15, s2
	s_wait_alu 0xfffd
	v_add_co_ci_u32_e64 v25, null, s3, v16, vcc_lo
	s_lshl_b64 s[2:3], s[30:31], 2
	v_dual_mov_b32 v10, 0 :: v_dual_mov_b32 v11, 0
	s_wait_alu 0xfffe
	v_add_co_u32 v26, vcc_lo, v18, s2
	s_wait_alu 0xfffd
	v_add_co_ci_u32_e64 v27, null, s3, v19, vcc_lo
	s_mov_b64 s[2:3], 0
	s_branch .LBB172_9
.LBB172_8:                              ;   in Loop: Header=BB172_9 Depth=2
	s_or_b32 exec_lo, exec_lo, s29
	s_wait_loadcnt 0x0
	ds_store_b32 v17, v29
	s_wait_dscnt 0x0
	s_barrier_signal -1
	s_barrier_wait -1
	global_inv scope:SCOPE_SE
	ds_load_b128 v[28:31], v21
	ds_load_2addr_b32 v[44:45], v20 offset1:16
	ds_load_b128 v[32:35], v21 offset:512
	ds_load_2addr_b32 v[46:47], v20 offset0:32 offset1:48
	ds_load_2addr_b32 v[48:49], v20 offset0:64 offset1:80
	;; [unrolled: 1-line block ×3, first 2 shown]
	ds_load_b128 v[36:39], v21 offset:16
	ds_load_2addr_b32 v[52:53], v20 offset0:128 offset1:144
	ds_load_b128 v[40:43], v21 offset:528
	ds_load_2addr_b32 v[54:55], v20 offset0:160 offset1:176
	s_add_nc_u64 s[2:3], s[2:3], 8
	s_wait_alu 0xfffe
	v_cmp_gt_i64_e64 s29, s[20:21], s[2:3]
	s_and_b32 vcc_lo, exec_lo, s29
	s_wait_dscnt 0x8
	v_fmac_f32_e32 v10, v45, v28
	v_fmac_f32_e32 v11, v44, v28
	s_wait_dscnt 0x7
	v_fmac_f32_e32 v22, v45, v32
	v_fmac_f32_e32 v23, v44, v32
	ds_load_2addr_b32 v[44:45], v20 offset0:192 offset1:208
	s_wait_dscnt 0x7
	v_fmac_f32_e32 v10, v47, v29
	v_fmac_f32_e32 v11, v46, v29
	;; [unrolled: 1-line block ×4, first 2 shown]
	ds_load_2addr_b32 v[28:29], v20 offset0:224 offset1:240
	s_wait_dscnt 0x7
	v_fmac_f32_e32 v10, v49, v30
	v_fmac_f32_e32 v11, v48, v30
	;; [unrolled: 1-line block ×4, first 2 shown]
	s_wait_loadcnt_dscnt 0x0
	v_fmac_f32_e32 v10, v51, v31
	v_fmac_f32_e32 v11, v50, v31
	;; [unrolled: 1-line block ×4, first 2 shown]
	s_barrier_signal -1
	v_fmac_f32_e32 v10, v53, v36
	v_fmac_f32_e32 v11, v52, v36
	;; [unrolled: 1-line block ×4, first 2 shown]
	s_barrier_wait -1
	v_fmac_f32_e32 v10, v55, v37
	v_fmac_f32_e32 v11, v54, v37
	;; [unrolled: 1-line block ×4, first 2 shown]
	global_inv scope:SCOPE_SE
	v_fmac_f32_e32 v10, v45, v38
	v_fmac_f32_e32 v11, v44, v38
	;; [unrolled: 1-line block ×3, first 2 shown]
	s_delay_alu instid0(VALU_DEP_3) | instskip(NEXT) | instid1(VALU_DEP_3)
	v_dual_fmac_f32 v23, v44, v42 :: v_dual_fmac_f32 v10, v29, v39
	v_fmac_f32_e32 v11, v28, v39
	s_delay_alu instid0(VALU_DEP_3) | instskip(NEXT) | instid1(VALU_DEP_3)
	v_fmac_f32_e32 v22, v29, v43
	v_fmac_f32_e32 v23, v28, v43
	s_wait_alu 0xfffe
	s_cbranch_vccz .LBB172_15
.LBB172_9:                              ;   Parent Loop BB172_6 Depth=1
                                        ; =>  This Inner Loop Header: Depth=2
	v_mov_b32_e32 v28, 0
	s_and_saveexec_b32 s29, s0
	s_cbranch_execz .LBB172_13
; %bb.10:                               ;   in Loop: Header=BB172_9 Depth=2
	s_wait_alu 0xfffe
	v_add_nc_u32_e32 v0, s2, v13
	v_mov_b32_e32 v28, 0
	s_mov_b32 s30, exec_lo
	s_delay_alu instid0(VALU_DEP_2)
	v_cmpx_gt_u64_e64 s[20:21], v[0:1]
	s_cbranch_execz .LBB172_12
; %bb.11:                               ;   in Loop: Header=BB172_9 Depth=2
	v_mad_co_u64_u32 v[28:29], null, s6, v0, 0
	s_delay_alu instid0(VALU_DEP_1) | instskip(NEXT) | instid1(VALU_DEP_1)
	v_mad_co_u64_u32 v[29:30], null, s7, v0, v[29:30]
	v_lshlrev_b64_e32 v[28:29], 2, v[28:29]
	s_delay_alu instid0(VALU_DEP_1) | instskip(SKIP_1) | instid1(VALU_DEP_2)
	v_add_co_u32 v28, vcc_lo, v24, v28
	s_wait_alu 0xfffd
	v_add_co_ci_u32_e64 v29, null, v25, v29, vcc_lo
	global_load_b32 v28, v[28:29], off
.LBB172_12:                             ;   in Loop: Header=BB172_9 Depth=2
	s_or_b32 exec_lo, exec_lo, s30
.LBB172_13:                             ;   in Loop: Header=BB172_9 Depth=2
	s_delay_alu instid0(SALU_CYCLE_1)
	s_or_b32 exec_lo, exec_lo, s29
	s_wait_alu 0xfffe
	v_dual_mov_b32 v29, 0 :: v_dual_add_nc_u32 v0, s2, v12
	s_wait_loadcnt 0x0
	ds_store_b32 v14, v28
	v_cmp_gt_u64_e32 vcc_lo, s[20:21], v[0:1]
	s_and_b32 s30, vcc_lo, s1
	s_delay_alu instid0(SALU_CYCLE_1)
	s_and_saveexec_b32 s29, s30
	s_cbranch_execz .LBB172_8
; %bb.14:                               ;   in Loop: Header=BB172_9 Depth=2
	v_mad_co_u64_u32 v[28:29], null, s12, v0, 0
	s_delay_alu instid0(VALU_DEP_1) | instskip(NEXT) | instid1(VALU_DEP_1)
	v_mad_co_u64_u32 v[29:30], null, s13, v0, v[29:30]
	v_lshlrev_b64_e32 v[28:29], 2, v[28:29]
	s_delay_alu instid0(VALU_DEP_1) | instskip(SKIP_1) | instid1(VALU_DEP_2)
	v_add_co_u32 v28, vcc_lo, v26, v28
	s_wait_alu 0xfffd
	v_add_co_ci_u32_e64 v29, null, v27, v29, vcc_lo
	global_load_b32 v29, v[28:29], off
	s_branch .LBB172_8
.LBB172_15:                             ;   in Loop: Header=BB172_6 Depth=1
	s_mul_u64 s[2:3], s[26:27], s[24:25]
	s_wait_alu 0xfffe
	s_lshl_b64 s[2:3], s[2:3], 2
	s_wait_alu 0xfffe
	s_add_nc_u64 s[2:3], s[16:17], s[2:3]
	s_wait_alu 0xfffe
	v_add_co_u32 v0, vcc_lo, s2, v6
	s_wait_alu 0xfffd
	v_add_co_ci_u32_e64 v24, null, s3, v7, vcc_lo
	s_and_saveexec_b32 s29, s11
	s_cbranch_execz .LBB172_19
; %bb.16:                               ;   in Loop: Header=BB172_6 Depth=1
	v_mul_f32_e32 v11, s22, v11
	s_and_b32 vcc_lo, exec_lo, s10
	s_wait_alu 0xfffe
	s_cbranch_vccz .LBB172_30
; %bb.17:                               ;   in Loop: Header=BB172_6 Depth=1
	v_lshlrev_b64_e32 v[25:26], 2, v[2:3]
	s_delay_alu instid0(VALU_DEP_1) | instskip(SKIP_1) | instid1(VALU_DEP_2)
	v_add_co_u32 v25, vcc_lo, v0, v25
	s_wait_alu 0xfffd
	v_add_co_ci_u32_e64 v26, null, v24, v26, vcc_lo
	global_load_b32 v27, v[25:26], off
	s_wait_loadcnt 0x0
	v_fma_f32 v27, s23, v27, v11
	global_store_b32 v[25:26], v27, off
	s_cbranch_execnz .LBB172_19
.LBB172_18:                             ;   in Loop: Header=BB172_6 Depth=1
	v_lshlrev_b64_e32 v[25:26], 2, v[2:3]
	s_delay_alu instid0(VALU_DEP_1) | instskip(SKIP_1) | instid1(VALU_DEP_2)
	v_add_co_u32 v25, vcc_lo, v0, v25
	s_wait_alu 0xfffd
	v_add_co_ci_u32_e64 v26, null, v24, v26, vcc_lo
	global_store_b32 v[25:26], v11, off
.LBB172_19:                             ;   in Loop: Header=BB172_6 Depth=1
	s_or_b32 exec_lo, exec_lo, s29
	s_and_saveexec_b32 s29, s19
	s_cbranch_execz .LBB172_23
; %bb.20:                               ;   in Loop: Header=BB172_6 Depth=1
	v_mul_f32_e32 v10, s22, v10
	s_and_not1_b32 vcc_lo, exec_lo, s10
	s_wait_alu 0xfffe
	s_cbranch_vccnz .LBB172_31
; %bb.21:                               ;   in Loop: Header=BB172_6 Depth=1
	v_lshlrev_b64_e32 v[25:26], 2, v[4:5]
	s_delay_alu instid0(VALU_DEP_1) | instskip(SKIP_1) | instid1(VALU_DEP_2)
	v_add_co_u32 v25, vcc_lo, v0, v25
	s_wait_alu 0xfffd
	v_add_co_ci_u32_e64 v26, null, v24, v26, vcc_lo
	global_load_b32 v11, v[25:26], off
	s_wait_loadcnt 0x0
	v_fma_f32 v11, s23, v11, v10
	global_store_b32 v[25:26], v11, off
	s_cbranch_execnz .LBB172_23
.LBB172_22:                             ;   in Loop: Header=BB172_6 Depth=1
	v_lshlrev_b64_e32 v[25:26], 2, v[4:5]
	s_delay_alu instid0(VALU_DEP_1) | instskip(SKIP_1) | instid1(VALU_DEP_2)
	v_add_co_u32 v25, vcc_lo, v0, v25
	s_wait_alu 0xfffd
	v_add_co_ci_u32_e64 v26, null, v24, v26, vcc_lo
	global_store_b32 v[25:26], v10, off
.LBB172_23:                             ;   in Loop: Header=BB172_6 Depth=1
	s_or_b32 exec_lo, exec_lo, s29
	v_add_co_u32 v0, vcc_lo, s2, v8
	s_wait_alu 0xfffd
	v_add_co_ci_u32_e64 v24, null, s3, v9, vcc_lo
	s_and_saveexec_b32 s2, s4
	s_cbranch_execz .LBB172_27
; %bb.24:                               ;   in Loop: Header=BB172_6 Depth=1
	v_lshlrev_b64_e32 v[10:11], 2, v[2:3]
	v_mul_f32_e32 v23, s22, v23
	s_and_not1_b32 vcc_lo, exec_lo, s10
	s_wait_alu 0xfffe
	s_cbranch_vccnz .LBB172_32
; %bb.25:                               ;   in Loop: Header=BB172_6 Depth=1
	s_delay_alu instid0(VALU_DEP_2)
	v_add_co_u32 v25, vcc_lo, v0, v10
	s_wait_alu 0xfffd
	v_add_co_ci_u32_e64 v26, null, v24, v11, vcc_lo
	global_load_b32 v27, v[25:26], off
	s_wait_loadcnt 0x0
	v_fma_f32 v27, s23, v27, v23
	global_store_b32 v[25:26], v27, off
	s_cbranch_execnz .LBB172_27
.LBB172_26:                             ;   in Loop: Header=BB172_6 Depth=1
	v_add_co_u32 v10, vcc_lo, v0, v10
	s_wait_alu 0xfffd
	v_add_co_ci_u32_e64 v11, null, v24, v11, vcc_lo
	global_store_b32 v[10:11], v23, off
.LBB172_27:                             ;   in Loop: Header=BB172_6 Depth=1
	s_wait_alu 0xfffe
	s_or_b32 exec_lo, exec_lo, s2
	s_and_saveexec_b32 s2, s5
	s_cbranch_execz .LBB172_5
; %bb.28:                               ;   in Loop: Header=BB172_6 Depth=1
	v_lshlrev_b64_e32 v[10:11], 2, v[4:5]
	v_mul_f32_e32 v22, s22, v22
	s_and_not1_b32 vcc_lo, exec_lo, s10
	s_wait_alu 0xfffe
	s_cbranch_vccnz .LBB172_33
; %bb.29:                               ;   in Loop: Header=BB172_6 Depth=1
	s_delay_alu instid0(VALU_DEP_2)
	v_add_co_u32 v25, vcc_lo, v0, v10
	s_wait_alu 0xfffd
	v_add_co_ci_u32_e64 v26, null, v24, v11, vcc_lo
	global_load_b32 v23, v[25:26], off
	s_wait_loadcnt 0x0
	v_fma_f32 v23, s23, v23, v22
	global_store_b32 v[25:26], v23, off
	s_cbranch_execnz .LBB172_5
	s_branch .LBB172_34
.LBB172_30:                             ;   in Loop: Header=BB172_6 Depth=1
	s_branch .LBB172_18
.LBB172_31:                             ;   in Loop: Header=BB172_6 Depth=1
	s_branch .LBB172_22
.LBB172_32:                             ;   in Loop: Header=BB172_6 Depth=1
	s_branch .LBB172_26
.LBB172_33:                             ;   in Loop: Header=BB172_6 Depth=1
.LBB172_34:                             ;   in Loop: Header=BB172_6 Depth=1
	s_delay_alu instid0(VALU_DEP_2)
	v_add_co_u32 v10, vcc_lo, v0, v10
	s_wait_alu 0xfffd
	v_add_co_ci_u32_e64 v11, null, v24, v11, vcc_lo
	global_store_b32 v[10:11], v22, off
	s_branch .LBB172_5
.LBB172_35:
	s_endpgm
	.section	.rodata,"a",@progbits
	.p2align	6, 0x0
	.amdhsa_kernel _ZL29rocblas_internal_gemmt_kernelIlLi16ELi32ELi8ELc78ELc84ELc76ELb0ELb0EffPKfPfEviT_T9_T10_S3_lS5_S3_lS4_T11_S3_li
		.amdhsa_group_segment_fixed_size 2048
		.amdhsa_private_segment_fixed_size 0
		.amdhsa_kernarg_size 108
		.amdhsa_user_sgpr_count 2
		.amdhsa_user_sgpr_dispatch_ptr 0
		.amdhsa_user_sgpr_queue_ptr 0
		.amdhsa_user_sgpr_kernarg_segment_ptr 1
		.amdhsa_user_sgpr_dispatch_id 0
		.amdhsa_user_sgpr_private_segment_size 0
		.amdhsa_wavefront_size32 1
		.amdhsa_uses_dynamic_stack 0
		.amdhsa_enable_private_segment 0
		.amdhsa_system_sgpr_workgroup_id_x 1
		.amdhsa_system_sgpr_workgroup_id_y 1
		.amdhsa_system_sgpr_workgroup_id_z 1
		.amdhsa_system_sgpr_workgroup_info 0
		.amdhsa_system_vgpr_workitem_id 1
		.amdhsa_next_free_vgpr 56
		.amdhsa_next_free_sgpr 32
		.amdhsa_reserve_vcc 1
		.amdhsa_float_round_mode_32 0
		.amdhsa_float_round_mode_16_64 0
		.amdhsa_float_denorm_mode_32 3
		.amdhsa_float_denorm_mode_16_64 3
		.amdhsa_fp16_overflow 0
		.amdhsa_workgroup_processor_mode 1
		.amdhsa_memory_ordered 1
		.amdhsa_forward_progress 1
		.amdhsa_inst_pref_size 15
		.amdhsa_round_robin_scheduling 0
		.amdhsa_exception_fp_ieee_invalid_op 0
		.amdhsa_exception_fp_denorm_src 0
		.amdhsa_exception_fp_ieee_div_zero 0
		.amdhsa_exception_fp_ieee_overflow 0
		.amdhsa_exception_fp_ieee_underflow 0
		.amdhsa_exception_fp_ieee_inexact 0
		.amdhsa_exception_int_div_zero 0
	.end_amdhsa_kernel
	.section	.text._ZL29rocblas_internal_gemmt_kernelIlLi16ELi32ELi8ELc78ELc84ELc76ELb0ELb0EffPKfPfEviT_T9_T10_S3_lS5_S3_lS4_T11_S3_li,"axG",@progbits,_ZL29rocblas_internal_gemmt_kernelIlLi16ELi32ELi8ELc78ELc84ELc76ELb0ELb0EffPKfPfEviT_T9_T10_S3_lS5_S3_lS4_T11_S3_li,comdat
.Lfunc_end172:
	.size	_ZL29rocblas_internal_gemmt_kernelIlLi16ELi32ELi8ELc78ELc84ELc76ELb0ELb0EffPKfPfEviT_T9_T10_S3_lS5_S3_lS4_T11_S3_li, .Lfunc_end172-_ZL29rocblas_internal_gemmt_kernelIlLi16ELi32ELi8ELc78ELc84ELc76ELb0ELb0EffPKfPfEviT_T9_T10_S3_lS5_S3_lS4_T11_S3_li
                                        ; -- End function
	.set _ZL29rocblas_internal_gemmt_kernelIlLi16ELi32ELi8ELc78ELc84ELc76ELb0ELb0EffPKfPfEviT_T9_T10_S3_lS5_S3_lS4_T11_S3_li.num_vgpr, 56
	.set _ZL29rocblas_internal_gemmt_kernelIlLi16ELi32ELi8ELc78ELc84ELc76ELb0ELb0EffPKfPfEviT_T9_T10_S3_lS5_S3_lS4_T11_S3_li.num_agpr, 0
	.set _ZL29rocblas_internal_gemmt_kernelIlLi16ELi32ELi8ELc78ELc84ELc76ELb0ELb0EffPKfPfEviT_T9_T10_S3_lS5_S3_lS4_T11_S3_li.numbered_sgpr, 32
	.set _ZL29rocblas_internal_gemmt_kernelIlLi16ELi32ELi8ELc78ELc84ELc76ELb0ELb0EffPKfPfEviT_T9_T10_S3_lS5_S3_lS4_T11_S3_li.num_named_barrier, 0
	.set _ZL29rocblas_internal_gemmt_kernelIlLi16ELi32ELi8ELc78ELc84ELc76ELb0ELb0EffPKfPfEviT_T9_T10_S3_lS5_S3_lS4_T11_S3_li.private_seg_size, 0
	.set _ZL29rocblas_internal_gemmt_kernelIlLi16ELi32ELi8ELc78ELc84ELc76ELb0ELb0EffPKfPfEviT_T9_T10_S3_lS5_S3_lS4_T11_S3_li.uses_vcc, 1
	.set _ZL29rocblas_internal_gemmt_kernelIlLi16ELi32ELi8ELc78ELc84ELc76ELb0ELb0EffPKfPfEviT_T9_T10_S3_lS5_S3_lS4_T11_S3_li.uses_flat_scratch, 0
	.set _ZL29rocblas_internal_gemmt_kernelIlLi16ELi32ELi8ELc78ELc84ELc76ELb0ELb0EffPKfPfEviT_T9_T10_S3_lS5_S3_lS4_T11_S3_li.has_dyn_sized_stack, 0
	.set _ZL29rocblas_internal_gemmt_kernelIlLi16ELi32ELi8ELc78ELc84ELc76ELb0ELb0EffPKfPfEviT_T9_T10_S3_lS5_S3_lS4_T11_S3_li.has_recursion, 0
	.set _ZL29rocblas_internal_gemmt_kernelIlLi16ELi32ELi8ELc78ELc84ELc76ELb0ELb0EffPKfPfEviT_T9_T10_S3_lS5_S3_lS4_T11_S3_li.has_indirect_call, 0
	.section	.AMDGPU.csdata,"",@progbits
; Kernel info:
; codeLenInByte = 1848
; TotalNumSgprs: 34
; NumVgprs: 56
; ScratchSize: 0
; MemoryBound: 0
; FloatMode: 240
; IeeeMode: 1
; LDSByteSize: 2048 bytes/workgroup (compile time only)
; SGPRBlocks: 0
; VGPRBlocks: 6
; NumSGPRsForWavesPerEU: 34
; NumVGPRsForWavesPerEU: 56
; Occupancy: 16
; WaveLimiterHint : 0
; COMPUTE_PGM_RSRC2:SCRATCH_EN: 0
; COMPUTE_PGM_RSRC2:USER_SGPR: 2
; COMPUTE_PGM_RSRC2:TRAP_HANDLER: 0
; COMPUTE_PGM_RSRC2:TGID_X_EN: 1
; COMPUTE_PGM_RSRC2:TGID_Y_EN: 1
; COMPUTE_PGM_RSRC2:TGID_Z_EN: 1
; COMPUTE_PGM_RSRC2:TIDIG_COMP_CNT: 1
	.section	.text._ZL29rocblas_internal_gemmt_kernelIlLi16ELi32ELi8ELc78ELc67ELc76ELb0ELb0EffPKfPfEviT_T9_T10_S3_lS5_S3_lS4_T11_S3_li,"axG",@progbits,_ZL29rocblas_internal_gemmt_kernelIlLi16ELi32ELi8ELc78ELc67ELc76ELb0ELb0EffPKfPfEviT_T9_T10_S3_lS5_S3_lS4_T11_S3_li,comdat
	.globl	_ZL29rocblas_internal_gemmt_kernelIlLi16ELi32ELi8ELc78ELc67ELc76ELb0ELb0EffPKfPfEviT_T9_T10_S3_lS5_S3_lS4_T11_S3_li ; -- Begin function _ZL29rocblas_internal_gemmt_kernelIlLi16ELi32ELi8ELc78ELc67ELc76ELb0ELb0EffPKfPfEviT_T9_T10_S3_lS5_S3_lS4_T11_S3_li
	.p2align	8
	.type	_ZL29rocblas_internal_gemmt_kernelIlLi16ELi32ELi8ELc78ELc67ELc76ELb0ELb0EffPKfPfEviT_T9_T10_S3_lS5_S3_lS4_T11_S3_li,@function
_ZL29rocblas_internal_gemmt_kernelIlLi16ELi32ELi8ELc78ELc67ELc76ELb0ELb0EffPKfPfEviT_T9_T10_S3_lS5_S3_lS4_T11_S3_li: ; @_ZL29rocblas_internal_gemmt_kernelIlLi16ELi32ELi8ELc78ELc67ELc76ELb0ELb0EffPKfPfEviT_T9_T10_S3_lS5_S3_lS4_T11_S3_li
; %bb.0:
	s_clause 0x1
	s_load_b32 s23, s[0:1], 0x48
	s_load_b96 s[20:22], s[0:1], 0x8
	s_wait_kmcnt 0x0
	s_cmp_neq_f32 s23, 1.0
	s_cselect_b32 s2, -1, 0
	s_delay_alu instid0(SALU_CYCLE_1)
	s_and_b32 vcc_lo, exec_lo, s2
	s_cbranch_vccnz .LBB173_2
; %bb.1:
	s_cmp_lg_u64 s[20:21], 0
	s_cselect_b32 s2, -1, 0
	s_cmp_neq_f32 s22, 0
	s_cselect_b32 s3, -1, 0
	s_delay_alu instid0(SALU_CYCLE_1)
	s_and_b32 s2, s2, s3
.LBB173_2:
	s_delay_alu instid0(SALU_CYCLE_1)
	s_and_not1_b32 vcc_lo, exec_lo, s2
	s_cbranch_vccnz .LBB173_35
; %bb.3:
	s_load_b32 s28, s[0:1], 0x68
	s_lshr_b32 s24, ttmp7, 16
	s_wait_kmcnt 0x0
	s_cmp_ge_u32 s24, s28
	s_cbranch_scc1 .LBB173_35
; %bb.4:
	v_and_b32_e32 v3, 0x3ff, v0
	v_bfe_u32 v4, v0, 10, 10
	s_lshl_b32 s2, ttmp9, 5
	s_clause 0x3
	s_load_b256 s[4:11], s[0:1], 0x18
	s_load_b128 s[12:15], s[0:1], 0x38
	s_load_b128 s[16:19], s[0:1], 0x50
	s_load_b64 s[26:27], s[0:1], 0x60
	v_and_b32_e32 v12, 7, v0
	s_load_b32 s3, s[0:1], 0x0
	v_lshl_add_u32 v2, v4, 4, v3
	s_lshl_b32 s0, ttmp7, 5
	v_lshl_add_u32 v21, v4, 5, 0x400
	s_and_b32 s0, s0, 0x1fffe0
	s_cmp_neq_f32 s22, 0
	v_and_b32_e32 v5, 31, v2
	v_lshrrev_b32_e32 v7, 3, v2
	v_lshrrev_b32_e32 v13, 5, v2
	v_add_nc_u32_e32 v11, s0, v4
	s_cselect_b32 s30, -1, 0
	v_or_b32_e32 v0, s2, v5
	v_add_nc_u32_e32 v8, s0, v7
	s_cmp_neq_f32 s23, 0
	v_add_nc_u32_e32 v22, 16, v11
	v_cmp_gt_i64_e64 s29, s[20:21], 0
	v_ashrrev_i32_e32 v1, 31, v0
	s_mov_b32 s25, 0
	s_wait_kmcnt 0x0
	v_cmp_gt_i32_e64 s0, s3, v0
	s_delay_alu instid0(VALU_DEP_2) | instskip(SKIP_3) | instid1(VALU_DEP_4)
	v_lshlrev_b64_e32 v[1:2], 2, v[0:1]
	v_lshlrev_b32_e32 v0, 2, v8
	v_cmp_gt_i32_e64 s1, s3, v8
	v_mad_co_u64_u32 v[8:9], null, s18, v22, 0
	v_add_co_u32 v15, vcc_lo, s4, v1
	v_dual_mov_b32 v1, 0 :: v_dual_lshlrev_b32 v6, 2, v12
	v_add_co_u32 v18, s4, s10, v0
	v_add_co_ci_u32_e64 v16, null, s5, v2, vcc_lo
	s_delay_alu instid0(VALU_DEP_3)
	v_lshl_or_b32 v6, v7, 5, v6
	s_wait_alu 0xf1ff
	v_add_co_ci_u32_e64 v19, null, s11, 0, s4
	s_cselect_b32 s10, -1, 0
	v_add_nc_u32_e32 v17, 0x400, v6
	v_mad_co_u64_u32 v[6:7], null, s18, v11, 0
	s_and_b32 s18, s30, s29
	v_mov_b32_e32 v0, v7
	v_lshlrev_b32_e32 v20, 2, v3
	v_add_nc_u32_e32 v2, s2, v3
	s_delay_alu instid0(VALU_DEP_3) | instskip(SKIP_1) | instid1(VALU_DEP_3)
	v_mad_co_u64_u32 v[3:4], null, s19, v11, v[0:1]
	v_mov_b32_e32 v0, v9
	v_cmp_le_i32_e32 vcc_lo, v11, v2
	v_cmp_gt_i32_e64 s2, s3, v2
	v_add_nc_u32_e32 v4, 16, v2
	v_lshlrev_b32_e32 v5, 2, v5
	v_mad_co_u64_u32 v[9:10], null, s19, v22, v[0:1]
	v_mov_b32_e32 v7, v3
	s_and_b32 s11, vcc_lo, s2
	v_cmp_le_i32_e32 vcc_lo, v11, v4
	v_cmp_gt_i32_e64 s3, s3, v4
	v_cmp_le_i32_e64 s4, v22, v2
	v_cmp_le_i32_e64 s5, v22, v4
	v_lshlrev_b64_e32 v[6:7], 2, v[6:7]
	v_lshlrev_b64_e32 v[8:9], 2, v[8:9]
	v_lshl_or_b32 v14, v13, 7, v5
	v_ashrrev_i32_e32 v3, 31, v2
	v_ashrrev_i32_e32 v5, 31, v4
	s_and_b32 s19, vcc_lo, s3
	s_and_b32 s4, s4, s2
	s_and_b32 s5, s5, s3
	s_branch .LBB173_6
.LBB173_5:                              ;   in Loop: Header=BB173_6 Depth=1
	s_wait_alu 0xfffe
	s_or_b32 exec_lo, exec_lo, s2
	s_add_co_i32 s24, s24, 0x10000
	s_delay_alu instid0(SALU_CYCLE_1)
	s_cmp_lt_u32 s24, s28
	s_cbranch_scc0 .LBB173_35
.LBB173_6:                              ; =>This Loop Header: Depth=1
                                        ;     Child Loop BB173_9 Depth 2
	v_dual_mov_b32 v11, v1 :: v_dual_mov_b32 v10, v1
	v_dual_mov_b32 v23, v1 :: v_dual_mov_b32 v22, v1
	s_wait_alu 0xfffe
	s_and_not1_b32 vcc_lo, exec_lo, s18
	s_wait_alu 0xfffe
	s_cbranch_vccnz .LBB173_15
; %bb.7:                                ;   in Loop: Header=BB173_6 Depth=1
	s_mul_u64 s[2:3], s[8:9], s[24:25]
	s_mul_u64 s[30:31], s[14:15], s[24:25]
	s_wait_alu 0xfffe
	s_lshl_b64 s[2:3], s[2:3], 2
	v_dual_mov_b32 v22, 0 :: v_dual_mov_b32 v23, 0
	s_wait_alu 0xfffe
	v_add_co_u32 v24, vcc_lo, v15, s2
	s_wait_alu 0xfffd
	v_add_co_ci_u32_e64 v25, null, s3, v16, vcc_lo
	s_lshl_b64 s[2:3], s[30:31], 2
	v_dual_mov_b32 v10, 0 :: v_dual_mov_b32 v11, 0
	s_wait_alu 0xfffe
	v_add_co_u32 v26, vcc_lo, v18, s2
	s_wait_alu 0xfffd
	v_add_co_ci_u32_e64 v27, null, s3, v19, vcc_lo
	s_mov_b64 s[2:3], 0
	s_branch .LBB173_9
.LBB173_8:                              ;   in Loop: Header=BB173_9 Depth=2
	s_or_b32 exec_lo, exec_lo, s29
	s_wait_loadcnt 0x0
	ds_store_b32 v17, v29
	s_wait_dscnt 0x0
	s_barrier_signal -1
	s_barrier_wait -1
	global_inv scope:SCOPE_SE
	ds_load_b128 v[28:31], v21
	ds_load_2addr_b32 v[44:45], v20 offset1:16
	ds_load_b128 v[32:35], v21 offset:512
	ds_load_2addr_b32 v[46:47], v20 offset0:32 offset1:48
	ds_load_2addr_b32 v[48:49], v20 offset0:64 offset1:80
	ds_load_2addr_b32 v[50:51], v20 offset0:96 offset1:112
	ds_load_b128 v[36:39], v21 offset:16
	ds_load_2addr_b32 v[52:53], v20 offset0:128 offset1:144
	ds_load_b128 v[40:43], v21 offset:528
	ds_load_2addr_b32 v[54:55], v20 offset0:160 offset1:176
	s_add_nc_u64 s[2:3], s[2:3], 8
	s_wait_alu 0xfffe
	v_cmp_gt_i64_e64 s29, s[20:21], s[2:3]
	s_and_b32 vcc_lo, exec_lo, s29
	s_wait_dscnt 0x8
	v_fmac_f32_e32 v10, v45, v28
	v_fmac_f32_e32 v11, v44, v28
	s_wait_dscnt 0x7
	v_fmac_f32_e32 v22, v45, v32
	v_fmac_f32_e32 v23, v44, v32
	ds_load_2addr_b32 v[44:45], v20 offset0:192 offset1:208
	s_wait_dscnt 0x7
	v_fmac_f32_e32 v10, v47, v29
	v_fmac_f32_e32 v11, v46, v29
	;; [unrolled: 1-line block ×4, first 2 shown]
	ds_load_2addr_b32 v[28:29], v20 offset0:224 offset1:240
	s_wait_dscnt 0x7
	v_fmac_f32_e32 v10, v49, v30
	v_fmac_f32_e32 v11, v48, v30
	;; [unrolled: 1-line block ×4, first 2 shown]
	s_wait_loadcnt_dscnt 0x0
	v_fmac_f32_e32 v10, v51, v31
	v_fmac_f32_e32 v11, v50, v31
	v_fmac_f32_e32 v22, v51, v35
	v_fmac_f32_e32 v23, v50, v35
	s_barrier_signal -1
	v_fmac_f32_e32 v10, v53, v36
	v_fmac_f32_e32 v11, v52, v36
	;; [unrolled: 1-line block ×4, first 2 shown]
	s_barrier_wait -1
	v_fmac_f32_e32 v10, v55, v37
	v_fmac_f32_e32 v11, v54, v37
	;; [unrolled: 1-line block ×4, first 2 shown]
	global_inv scope:SCOPE_SE
	v_fmac_f32_e32 v10, v45, v38
	v_fmac_f32_e32 v11, v44, v38
	;; [unrolled: 1-line block ×3, first 2 shown]
	s_delay_alu instid0(VALU_DEP_3) | instskip(NEXT) | instid1(VALU_DEP_3)
	v_dual_fmac_f32 v23, v44, v42 :: v_dual_fmac_f32 v10, v29, v39
	v_fmac_f32_e32 v11, v28, v39
	s_delay_alu instid0(VALU_DEP_3) | instskip(NEXT) | instid1(VALU_DEP_3)
	v_fmac_f32_e32 v22, v29, v43
	v_fmac_f32_e32 v23, v28, v43
	s_wait_alu 0xfffe
	s_cbranch_vccz .LBB173_15
.LBB173_9:                              ;   Parent Loop BB173_6 Depth=1
                                        ; =>  This Inner Loop Header: Depth=2
	v_mov_b32_e32 v28, 0
	s_and_saveexec_b32 s29, s0
	s_cbranch_execz .LBB173_13
; %bb.10:                               ;   in Loop: Header=BB173_9 Depth=2
	s_wait_alu 0xfffe
	v_add_nc_u32_e32 v0, s2, v13
	v_mov_b32_e32 v28, 0
	s_mov_b32 s30, exec_lo
	s_delay_alu instid0(VALU_DEP_2)
	v_cmpx_gt_u64_e64 s[20:21], v[0:1]
	s_cbranch_execz .LBB173_12
; %bb.11:                               ;   in Loop: Header=BB173_9 Depth=2
	v_mad_co_u64_u32 v[28:29], null, s6, v0, 0
	s_delay_alu instid0(VALU_DEP_1) | instskip(NEXT) | instid1(VALU_DEP_1)
	v_mad_co_u64_u32 v[29:30], null, s7, v0, v[29:30]
	v_lshlrev_b64_e32 v[28:29], 2, v[28:29]
	s_delay_alu instid0(VALU_DEP_1) | instskip(SKIP_1) | instid1(VALU_DEP_2)
	v_add_co_u32 v28, vcc_lo, v24, v28
	s_wait_alu 0xfffd
	v_add_co_ci_u32_e64 v29, null, v25, v29, vcc_lo
	global_load_b32 v28, v[28:29], off
.LBB173_12:                             ;   in Loop: Header=BB173_9 Depth=2
	s_or_b32 exec_lo, exec_lo, s30
.LBB173_13:                             ;   in Loop: Header=BB173_9 Depth=2
	s_delay_alu instid0(SALU_CYCLE_1)
	s_or_b32 exec_lo, exec_lo, s29
	s_wait_alu 0xfffe
	v_dual_mov_b32 v29, 0 :: v_dual_add_nc_u32 v0, s2, v12
	s_wait_loadcnt 0x0
	ds_store_b32 v14, v28
	v_cmp_gt_u64_e32 vcc_lo, s[20:21], v[0:1]
	s_and_b32 s30, vcc_lo, s1
	s_delay_alu instid0(SALU_CYCLE_1)
	s_and_saveexec_b32 s29, s30
	s_cbranch_execz .LBB173_8
; %bb.14:                               ;   in Loop: Header=BB173_9 Depth=2
	v_mad_co_u64_u32 v[28:29], null, s12, v0, 0
	s_delay_alu instid0(VALU_DEP_1) | instskip(NEXT) | instid1(VALU_DEP_1)
	v_mad_co_u64_u32 v[29:30], null, s13, v0, v[29:30]
	v_lshlrev_b64_e32 v[28:29], 2, v[28:29]
	s_delay_alu instid0(VALU_DEP_1) | instskip(SKIP_1) | instid1(VALU_DEP_2)
	v_add_co_u32 v28, vcc_lo, v26, v28
	s_wait_alu 0xfffd
	v_add_co_ci_u32_e64 v29, null, v27, v29, vcc_lo
	global_load_b32 v29, v[28:29], off
	s_branch .LBB173_8
.LBB173_15:                             ;   in Loop: Header=BB173_6 Depth=1
	s_mul_u64 s[2:3], s[26:27], s[24:25]
	s_wait_alu 0xfffe
	s_lshl_b64 s[2:3], s[2:3], 2
	s_wait_alu 0xfffe
	s_add_nc_u64 s[2:3], s[16:17], s[2:3]
	s_wait_alu 0xfffe
	v_add_co_u32 v0, vcc_lo, s2, v6
	s_wait_alu 0xfffd
	v_add_co_ci_u32_e64 v24, null, s3, v7, vcc_lo
	s_and_saveexec_b32 s29, s11
	s_cbranch_execz .LBB173_19
; %bb.16:                               ;   in Loop: Header=BB173_6 Depth=1
	v_mul_f32_e32 v11, s22, v11
	s_and_b32 vcc_lo, exec_lo, s10
	s_wait_alu 0xfffe
	s_cbranch_vccz .LBB173_30
; %bb.17:                               ;   in Loop: Header=BB173_6 Depth=1
	v_lshlrev_b64_e32 v[25:26], 2, v[2:3]
	s_delay_alu instid0(VALU_DEP_1) | instskip(SKIP_1) | instid1(VALU_DEP_2)
	v_add_co_u32 v25, vcc_lo, v0, v25
	s_wait_alu 0xfffd
	v_add_co_ci_u32_e64 v26, null, v24, v26, vcc_lo
	global_load_b32 v27, v[25:26], off
	s_wait_loadcnt 0x0
	v_fma_f32 v27, s23, v27, v11
	global_store_b32 v[25:26], v27, off
	s_cbranch_execnz .LBB173_19
.LBB173_18:                             ;   in Loop: Header=BB173_6 Depth=1
	v_lshlrev_b64_e32 v[25:26], 2, v[2:3]
	s_delay_alu instid0(VALU_DEP_1) | instskip(SKIP_1) | instid1(VALU_DEP_2)
	v_add_co_u32 v25, vcc_lo, v0, v25
	s_wait_alu 0xfffd
	v_add_co_ci_u32_e64 v26, null, v24, v26, vcc_lo
	global_store_b32 v[25:26], v11, off
.LBB173_19:                             ;   in Loop: Header=BB173_6 Depth=1
	s_or_b32 exec_lo, exec_lo, s29
	s_and_saveexec_b32 s29, s19
	s_cbranch_execz .LBB173_23
; %bb.20:                               ;   in Loop: Header=BB173_6 Depth=1
	v_mul_f32_e32 v10, s22, v10
	s_and_not1_b32 vcc_lo, exec_lo, s10
	s_wait_alu 0xfffe
	s_cbranch_vccnz .LBB173_31
; %bb.21:                               ;   in Loop: Header=BB173_6 Depth=1
	v_lshlrev_b64_e32 v[25:26], 2, v[4:5]
	s_delay_alu instid0(VALU_DEP_1) | instskip(SKIP_1) | instid1(VALU_DEP_2)
	v_add_co_u32 v25, vcc_lo, v0, v25
	s_wait_alu 0xfffd
	v_add_co_ci_u32_e64 v26, null, v24, v26, vcc_lo
	global_load_b32 v11, v[25:26], off
	s_wait_loadcnt 0x0
	v_fma_f32 v11, s23, v11, v10
	global_store_b32 v[25:26], v11, off
	s_cbranch_execnz .LBB173_23
.LBB173_22:                             ;   in Loop: Header=BB173_6 Depth=1
	v_lshlrev_b64_e32 v[25:26], 2, v[4:5]
	s_delay_alu instid0(VALU_DEP_1) | instskip(SKIP_1) | instid1(VALU_DEP_2)
	v_add_co_u32 v25, vcc_lo, v0, v25
	s_wait_alu 0xfffd
	v_add_co_ci_u32_e64 v26, null, v24, v26, vcc_lo
	global_store_b32 v[25:26], v10, off
.LBB173_23:                             ;   in Loop: Header=BB173_6 Depth=1
	s_or_b32 exec_lo, exec_lo, s29
	v_add_co_u32 v0, vcc_lo, s2, v8
	s_wait_alu 0xfffd
	v_add_co_ci_u32_e64 v24, null, s3, v9, vcc_lo
	s_and_saveexec_b32 s2, s4
	s_cbranch_execz .LBB173_27
; %bb.24:                               ;   in Loop: Header=BB173_6 Depth=1
	v_lshlrev_b64_e32 v[10:11], 2, v[2:3]
	v_mul_f32_e32 v23, s22, v23
	s_and_not1_b32 vcc_lo, exec_lo, s10
	s_wait_alu 0xfffe
	s_cbranch_vccnz .LBB173_32
; %bb.25:                               ;   in Loop: Header=BB173_6 Depth=1
	s_delay_alu instid0(VALU_DEP_2)
	v_add_co_u32 v25, vcc_lo, v0, v10
	s_wait_alu 0xfffd
	v_add_co_ci_u32_e64 v26, null, v24, v11, vcc_lo
	global_load_b32 v27, v[25:26], off
	s_wait_loadcnt 0x0
	v_fma_f32 v27, s23, v27, v23
	global_store_b32 v[25:26], v27, off
	s_cbranch_execnz .LBB173_27
.LBB173_26:                             ;   in Loop: Header=BB173_6 Depth=1
	v_add_co_u32 v10, vcc_lo, v0, v10
	s_wait_alu 0xfffd
	v_add_co_ci_u32_e64 v11, null, v24, v11, vcc_lo
	global_store_b32 v[10:11], v23, off
.LBB173_27:                             ;   in Loop: Header=BB173_6 Depth=1
	s_wait_alu 0xfffe
	s_or_b32 exec_lo, exec_lo, s2
	s_and_saveexec_b32 s2, s5
	s_cbranch_execz .LBB173_5
; %bb.28:                               ;   in Loop: Header=BB173_6 Depth=1
	v_lshlrev_b64_e32 v[10:11], 2, v[4:5]
	v_mul_f32_e32 v22, s22, v22
	s_and_not1_b32 vcc_lo, exec_lo, s10
	s_wait_alu 0xfffe
	s_cbranch_vccnz .LBB173_33
; %bb.29:                               ;   in Loop: Header=BB173_6 Depth=1
	s_delay_alu instid0(VALU_DEP_2)
	v_add_co_u32 v25, vcc_lo, v0, v10
	s_wait_alu 0xfffd
	v_add_co_ci_u32_e64 v26, null, v24, v11, vcc_lo
	global_load_b32 v23, v[25:26], off
	s_wait_loadcnt 0x0
	v_fma_f32 v23, s23, v23, v22
	global_store_b32 v[25:26], v23, off
	s_cbranch_execnz .LBB173_5
	s_branch .LBB173_34
.LBB173_30:                             ;   in Loop: Header=BB173_6 Depth=1
	s_branch .LBB173_18
.LBB173_31:                             ;   in Loop: Header=BB173_6 Depth=1
	s_branch .LBB173_22
.LBB173_32:                             ;   in Loop: Header=BB173_6 Depth=1
	s_branch .LBB173_26
.LBB173_33:                             ;   in Loop: Header=BB173_6 Depth=1
.LBB173_34:                             ;   in Loop: Header=BB173_6 Depth=1
	s_delay_alu instid0(VALU_DEP_2)
	v_add_co_u32 v10, vcc_lo, v0, v10
	s_wait_alu 0xfffd
	v_add_co_ci_u32_e64 v11, null, v24, v11, vcc_lo
	global_store_b32 v[10:11], v22, off
	s_branch .LBB173_5
.LBB173_35:
	s_endpgm
	.section	.rodata,"a",@progbits
	.p2align	6, 0x0
	.amdhsa_kernel _ZL29rocblas_internal_gemmt_kernelIlLi16ELi32ELi8ELc78ELc67ELc76ELb0ELb0EffPKfPfEviT_T9_T10_S3_lS5_S3_lS4_T11_S3_li
		.amdhsa_group_segment_fixed_size 2048
		.amdhsa_private_segment_fixed_size 0
		.amdhsa_kernarg_size 108
		.amdhsa_user_sgpr_count 2
		.amdhsa_user_sgpr_dispatch_ptr 0
		.amdhsa_user_sgpr_queue_ptr 0
		.amdhsa_user_sgpr_kernarg_segment_ptr 1
		.amdhsa_user_sgpr_dispatch_id 0
		.amdhsa_user_sgpr_private_segment_size 0
		.amdhsa_wavefront_size32 1
		.amdhsa_uses_dynamic_stack 0
		.amdhsa_enable_private_segment 0
		.amdhsa_system_sgpr_workgroup_id_x 1
		.amdhsa_system_sgpr_workgroup_id_y 1
		.amdhsa_system_sgpr_workgroup_id_z 1
		.amdhsa_system_sgpr_workgroup_info 0
		.amdhsa_system_vgpr_workitem_id 1
		.amdhsa_next_free_vgpr 56
		.amdhsa_next_free_sgpr 32
		.amdhsa_reserve_vcc 1
		.amdhsa_float_round_mode_32 0
		.amdhsa_float_round_mode_16_64 0
		.amdhsa_float_denorm_mode_32 3
		.amdhsa_float_denorm_mode_16_64 3
		.amdhsa_fp16_overflow 0
		.amdhsa_workgroup_processor_mode 1
		.amdhsa_memory_ordered 1
		.amdhsa_forward_progress 1
		.amdhsa_inst_pref_size 15
		.amdhsa_round_robin_scheduling 0
		.amdhsa_exception_fp_ieee_invalid_op 0
		.amdhsa_exception_fp_denorm_src 0
		.amdhsa_exception_fp_ieee_div_zero 0
		.amdhsa_exception_fp_ieee_overflow 0
		.amdhsa_exception_fp_ieee_underflow 0
		.amdhsa_exception_fp_ieee_inexact 0
		.amdhsa_exception_int_div_zero 0
	.end_amdhsa_kernel
	.section	.text._ZL29rocblas_internal_gemmt_kernelIlLi16ELi32ELi8ELc78ELc67ELc76ELb0ELb0EffPKfPfEviT_T9_T10_S3_lS5_S3_lS4_T11_S3_li,"axG",@progbits,_ZL29rocblas_internal_gemmt_kernelIlLi16ELi32ELi8ELc78ELc67ELc76ELb0ELb0EffPKfPfEviT_T9_T10_S3_lS5_S3_lS4_T11_S3_li,comdat
.Lfunc_end173:
	.size	_ZL29rocblas_internal_gemmt_kernelIlLi16ELi32ELi8ELc78ELc67ELc76ELb0ELb0EffPKfPfEviT_T9_T10_S3_lS5_S3_lS4_T11_S3_li, .Lfunc_end173-_ZL29rocblas_internal_gemmt_kernelIlLi16ELi32ELi8ELc78ELc67ELc76ELb0ELb0EffPKfPfEviT_T9_T10_S3_lS5_S3_lS4_T11_S3_li
                                        ; -- End function
	.set _ZL29rocblas_internal_gemmt_kernelIlLi16ELi32ELi8ELc78ELc67ELc76ELb0ELb0EffPKfPfEviT_T9_T10_S3_lS5_S3_lS4_T11_S3_li.num_vgpr, 56
	.set _ZL29rocblas_internal_gemmt_kernelIlLi16ELi32ELi8ELc78ELc67ELc76ELb0ELb0EffPKfPfEviT_T9_T10_S3_lS5_S3_lS4_T11_S3_li.num_agpr, 0
	.set _ZL29rocblas_internal_gemmt_kernelIlLi16ELi32ELi8ELc78ELc67ELc76ELb0ELb0EffPKfPfEviT_T9_T10_S3_lS5_S3_lS4_T11_S3_li.numbered_sgpr, 32
	.set _ZL29rocblas_internal_gemmt_kernelIlLi16ELi32ELi8ELc78ELc67ELc76ELb0ELb0EffPKfPfEviT_T9_T10_S3_lS5_S3_lS4_T11_S3_li.num_named_barrier, 0
	.set _ZL29rocblas_internal_gemmt_kernelIlLi16ELi32ELi8ELc78ELc67ELc76ELb0ELb0EffPKfPfEviT_T9_T10_S3_lS5_S3_lS4_T11_S3_li.private_seg_size, 0
	.set _ZL29rocblas_internal_gemmt_kernelIlLi16ELi32ELi8ELc78ELc67ELc76ELb0ELb0EffPKfPfEviT_T9_T10_S3_lS5_S3_lS4_T11_S3_li.uses_vcc, 1
	.set _ZL29rocblas_internal_gemmt_kernelIlLi16ELi32ELi8ELc78ELc67ELc76ELb0ELb0EffPKfPfEviT_T9_T10_S3_lS5_S3_lS4_T11_S3_li.uses_flat_scratch, 0
	.set _ZL29rocblas_internal_gemmt_kernelIlLi16ELi32ELi8ELc78ELc67ELc76ELb0ELb0EffPKfPfEviT_T9_T10_S3_lS5_S3_lS4_T11_S3_li.has_dyn_sized_stack, 0
	.set _ZL29rocblas_internal_gemmt_kernelIlLi16ELi32ELi8ELc78ELc67ELc76ELb0ELb0EffPKfPfEviT_T9_T10_S3_lS5_S3_lS4_T11_S3_li.has_recursion, 0
	.set _ZL29rocblas_internal_gemmt_kernelIlLi16ELi32ELi8ELc78ELc67ELc76ELb0ELb0EffPKfPfEviT_T9_T10_S3_lS5_S3_lS4_T11_S3_li.has_indirect_call, 0
	.section	.AMDGPU.csdata,"",@progbits
; Kernel info:
; codeLenInByte = 1848
; TotalNumSgprs: 34
; NumVgprs: 56
; ScratchSize: 0
; MemoryBound: 0
; FloatMode: 240
; IeeeMode: 1
; LDSByteSize: 2048 bytes/workgroup (compile time only)
; SGPRBlocks: 0
; VGPRBlocks: 6
; NumSGPRsForWavesPerEU: 34
; NumVGPRsForWavesPerEU: 56
; Occupancy: 16
; WaveLimiterHint : 0
; COMPUTE_PGM_RSRC2:SCRATCH_EN: 0
; COMPUTE_PGM_RSRC2:USER_SGPR: 2
; COMPUTE_PGM_RSRC2:TRAP_HANDLER: 0
; COMPUTE_PGM_RSRC2:TGID_X_EN: 1
; COMPUTE_PGM_RSRC2:TGID_Y_EN: 1
; COMPUTE_PGM_RSRC2:TGID_Z_EN: 1
; COMPUTE_PGM_RSRC2:TIDIG_COMP_CNT: 1
	.section	.text._ZL29rocblas_internal_gemmt_kernelIlLi16ELi32ELi8ELc84ELc78ELc76ELb0ELb0EffPKfPfEviT_T9_T10_S3_lS5_S3_lS4_T11_S3_li,"axG",@progbits,_ZL29rocblas_internal_gemmt_kernelIlLi16ELi32ELi8ELc84ELc78ELc76ELb0ELb0EffPKfPfEviT_T9_T10_S3_lS5_S3_lS4_T11_S3_li,comdat
	.globl	_ZL29rocblas_internal_gemmt_kernelIlLi16ELi32ELi8ELc84ELc78ELc76ELb0ELb0EffPKfPfEviT_T9_T10_S3_lS5_S3_lS4_T11_S3_li ; -- Begin function _ZL29rocblas_internal_gemmt_kernelIlLi16ELi32ELi8ELc84ELc78ELc76ELb0ELb0EffPKfPfEviT_T9_T10_S3_lS5_S3_lS4_T11_S3_li
	.p2align	8
	.type	_ZL29rocblas_internal_gemmt_kernelIlLi16ELi32ELi8ELc84ELc78ELc76ELb0ELb0EffPKfPfEviT_T9_T10_S3_lS5_S3_lS4_T11_S3_li,@function
_ZL29rocblas_internal_gemmt_kernelIlLi16ELi32ELi8ELc84ELc78ELc76ELb0ELb0EffPKfPfEviT_T9_T10_S3_lS5_S3_lS4_T11_S3_li: ; @_ZL29rocblas_internal_gemmt_kernelIlLi16ELi32ELi8ELc84ELc78ELc76ELb0ELb0EffPKfPfEviT_T9_T10_S3_lS5_S3_lS4_T11_S3_li
; %bb.0:
	s_clause 0x1
	s_load_b32 s23, s[0:1], 0x48
	s_load_b96 s[20:22], s[0:1], 0x8
	s_wait_kmcnt 0x0
	s_cmp_neq_f32 s23, 1.0
	s_cselect_b32 s2, -1, 0
	s_delay_alu instid0(SALU_CYCLE_1)
	s_and_b32 vcc_lo, exec_lo, s2
	s_cbranch_vccnz .LBB174_2
; %bb.1:
	s_cmp_lg_u64 s[20:21], 0
	s_cselect_b32 s2, -1, 0
	s_cmp_neq_f32 s22, 0
	s_cselect_b32 s3, -1, 0
	s_delay_alu instid0(SALU_CYCLE_1)
	s_and_b32 s2, s2, s3
.LBB174_2:
	s_delay_alu instid0(SALU_CYCLE_1)
	s_and_not1_b32 vcc_lo, exec_lo, s2
	s_cbranch_vccnz .LBB174_35
; %bb.3:
	s_load_b32 s28, s[0:1], 0x68
	s_lshr_b32 s24, ttmp7, 16
	s_wait_kmcnt 0x0
	s_cmp_ge_u32 s24, s28
	s_cbranch_scc1 .LBB174_35
; %bb.4:
	v_and_b32_e32 v10, 0x3ff, v0
	v_bfe_u32 v11, v0, 10, 10
	s_clause 0x4
	s_load_b256 s[4:11], s[0:1], 0x18
	s_load_b32 s3, s[0:1], 0x0
	s_load_b128 s[16:19], s[0:1], 0x50
	s_load_b128 s[12:15], s[0:1], 0x38
	s_load_b64 s[26:27], s[0:1], 0x60
	s_lshl_b32 s2, ttmp7, 5
	v_lshl_add_u32 v4, v11, 4, v10
	s_and_b32 s0, s2, 0x1fffe0
	s_lshl_b32 s2, ttmp9, 5
	s_cmp_neq_f32 s22, 0
	v_add_nc_u32_e32 v22, s0, v11
	v_and_b32_e32 v8, 31, v4
	v_lshrrev_b32_e32 v6, 3, v4
	v_and_b32_e32 v12, 7, v0
	v_lshrrev_b32_e32 v13, 5, v4
	v_add_nc_u32_e32 v23, 16, v22
	v_or_b32_e32 v9, s2, v8
	v_add_nc_u32_e32 v7, s0, v6
	v_lshlrev_b32_e32 v14, 2, v12
	v_cmp_gt_i64_e64 s29, s[20:21], 0
	v_lshl_add_u32 v21, v11, 5, 0x400
	s_wait_kmcnt 0x0
	v_mul_lo_u32 v15, s7, v9
	v_mad_co_u64_u32 v[2:3], null, s6, v9, 0
	v_mad_co_u64_u32 v[0:1], null, s12, v7, 0
	s_cselect_b32 s12, -1, 0
	s_ashr_i32 s0, s2, 31
	v_cmp_gt_i32_e64 s1, s3, v7
	s_wait_alu 0xfffe
	s_mul_i32 s0, s6, s0
	s_cmp_neq_f32 s23, 0
	s_wait_alu 0xfffe
	v_add3_u32 v3, v3, s0, v15
	v_mad_co_u64_u32 v[4:5], null, s13, v7, v[1:2]
	v_lshlrev_b32_e32 v1, 2, v8
	v_cmp_gt_i32_e64 s0, s3, v9
	s_delay_alu instid0(VALU_DEP_4)
	v_lshlrev_b64_e32 v[2:3], 2, v[2:3]
	v_mad_co_u64_u32 v[8:9], null, s18, v23, 0
	v_lshl_or_b32 v5, v6, 5, v14
	v_lshl_or_b32 v14, v13, 7, v1
	v_mov_b32_e32 v1, v4
	v_add_co_u32 v16, vcc_lo, s4, v2
	s_delay_alu instid0(VALU_DEP_1)
	v_add_co_ci_u32_e64 v17, null, s5, v3, vcc_lo
	v_mov_b32_e32 v3, v9
	v_add_nc_u32_e32 v15, 0x400, v5
	v_lshlrev_b64_e32 v[0:1], 2, v[0:1]
	s_cselect_b32 s6, -1, 0
	v_lshlrev_b32_e32 v20, 2, v10
	v_mad_co_u64_u32 v[4:5], null, s19, v23, v[3:4]
	v_mov_b32_e32 v5, 0
	s_delay_alu instid0(VALU_DEP_4) | instskip(SKIP_2) | instid1(VALU_DEP_4)
	v_add_co_u32 v18, vcc_lo, s10, v0
	s_wait_alu 0xfffd
	v_add_co_ci_u32_e64 v19, null, s11, v1, vcc_lo
	v_dual_mov_b32 v9, v4 :: v_dual_add_nc_u32 v0, s2, v10
	v_mad_co_u64_u32 v[6:7], null, s18, v22, 0
	s_mov_b32 s25, 0
	v_cmp_le_i32_e32 vcc_lo, v22, v0
	v_cmp_gt_i32_e64 s2, s3, v0
	v_cmp_le_i32_e64 s4, v23, v0
	v_lshlrev_b64_e32 v[8:9], 2, v[8:9]
	s_and_b32 s10, s12, s29
	v_mov_b32_e32 v1, v7
	s_and_b32 s7, vcc_lo, s2
	s_and_b32 s4, s4, s2
	s_delay_alu instid0(VALU_DEP_1) | instskip(SKIP_1) | instid1(VALU_DEP_1)
	v_mad_co_u64_u32 v[1:2], null, s19, v22, v[1:2]
	v_add_nc_u32_e32 v2, 16, v0
	v_cmp_le_i32_e32 vcc_lo, v22, v2
	s_delay_alu instid0(VALU_DEP_3)
	v_mov_b32_e32 v7, v1
	v_cmp_gt_i32_e64 s3, s3, v2
	v_cmp_le_i32_e64 s5, v23, v2
	v_ashrrev_i32_e32 v1, 31, v0
	v_ashrrev_i32_e32 v3, 31, v2
	v_lshlrev_b64_e32 v[6:7], 2, v[6:7]
	s_and_b32 s11, vcc_lo, s3
	s_and_b32 s5, s5, s3
	s_branch .LBB174_6
.LBB174_5:                              ;   in Loop: Header=BB174_6 Depth=1
	s_wait_alu 0xfffe
	s_or_b32 exec_lo, exec_lo, s2
	s_add_co_i32 s24, s24, 0x10000
	s_delay_alu instid0(SALU_CYCLE_1)
	s_cmp_lt_u32 s24, s28
	s_cbranch_scc0 .LBB174_35
.LBB174_6:                              ; =>This Loop Header: Depth=1
                                        ;     Child Loop BB174_9 Depth 2
	v_dual_mov_b32 v11, v5 :: v_dual_mov_b32 v10, v5
	v_dual_mov_b32 v23, v5 :: v_dual_mov_b32 v22, v5
	s_wait_alu 0xfffe
	s_and_not1_b32 vcc_lo, exec_lo, s10
	s_wait_alu 0xfffe
	s_cbranch_vccnz .LBB174_15
; %bb.7:                                ;   in Loop: Header=BB174_6 Depth=1
	s_mul_u64 s[2:3], s[8:9], s[24:25]
	s_mul_u64 s[12:13], s[14:15], s[24:25]
	s_wait_alu 0xfffe
	s_lshl_b64 s[2:3], s[2:3], 2
	v_dual_mov_b32 v22, 0 :: v_dual_mov_b32 v23, 0
	s_wait_alu 0xfffe
	v_add_co_u32 v24, vcc_lo, v16, s2
	s_wait_alu 0xfffd
	v_add_co_ci_u32_e64 v25, null, s3, v17, vcc_lo
	s_lshl_b64 s[2:3], s[12:13], 2
	v_dual_mov_b32 v10, 0 :: v_dual_mov_b32 v11, 0
	s_wait_alu 0xfffe
	v_add_co_u32 v26, vcc_lo, v18, s2
	s_wait_alu 0xfffd
	v_add_co_ci_u32_e64 v27, null, s3, v19, vcc_lo
	s_mov_b64 s[2:3], 0
	s_branch .LBB174_9
.LBB174_8:                              ;   in Loop: Header=BB174_9 Depth=2
	s_wait_alu 0xfffe
	s_or_b32 exec_lo, exec_lo, s12
	s_wait_loadcnt 0x0
	ds_store_b32 v15, v29
	s_wait_dscnt 0x0
	s_barrier_signal -1
	s_barrier_wait -1
	global_inv scope:SCOPE_SE
	ds_load_b128 v[28:31], v21
	ds_load_2addr_b32 v[44:45], v20 offset1:16
	ds_load_b128 v[32:35], v21 offset:512
	ds_load_2addr_b32 v[46:47], v20 offset0:32 offset1:48
	ds_load_2addr_b32 v[48:49], v20 offset0:64 offset1:80
	;; [unrolled: 1-line block ×3, first 2 shown]
	ds_load_b128 v[36:39], v21 offset:16
	ds_load_2addr_b32 v[52:53], v20 offset0:128 offset1:144
	ds_load_b128 v[40:43], v21 offset:528
	ds_load_2addr_b32 v[54:55], v20 offset0:160 offset1:176
	s_add_nc_u64 s[2:3], s[2:3], 8
	s_wait_alu 0xfffe
	v_cmp_gt_i64_e64 s12, s[20:21], s[2:3]
	s_and_b32 vcc_lo, exec_lo, s12
	s_wait_dscnt 0x8
	v_fmac_f32_e32 v10, v45, v28
	v_fmac_f32_e32 v11, v44, v28
	s_wait_dscnt 0x7
	v_fmac_f32_e32 v22, v45, v32
	v_fmac_f32_e32 v23, v44, v32
	ds_load_2addr_b32 v[44:45], v20 offset0:192 offset1:208
	s_wait_dscnt 0x7
	v_fmac_f32_e32 v10, v47, v29
	v_fmac_f32_e32 v11, v46, v29
	;; [unrolled: 1-line block ×4, first 2 shown]
	ds_load_2addr_b32 v[28:29], v20 offset0:224 offset1:240
	s_wait_dscnt 0x7
	v_fmac_f32_e32 v10, v49, v30
	v_fmac_f32_e32 v11, v48, v30
	;; [unrolled: 1-line block ×4, first 2 shown]
	s_wait_loadcnt_dscnt 0x0
	v_fmac_f32_e32 v10, v51, v31
	v_fmac_f32_e32 v11, v50, v31
	;; [unrolled: 1-line block ×4, first 2 shown]
	s_barrier_signal -1
	v_fmac_f32_e32 v10, v53, v36
	v_fmac_f32_e32 v11, v52, v36
	;; [unrolled: 1-line block ×4, first 2 shown]
	s_barrier_wait -1
	v_fmac_f32_e32 v10, v55, v37
	v_fmac_f32_e32 v11, v54, v37
	;; [unrolled: 1-line block ×4, first 2 shown]
	global_inv scope:SCOPE_SE
	v_fmac_f32_e32 v10, v45, v38
	v_fmac_f32_e32 v11, v44, v38
	;; [unrolled: 1-line block ×3, first 2 shown]
	s_delay_alu instid0(VALU_DEP_3) | instskip(NEXT) | instid1(VALU_DEP_3)
	v_dual_fmac_f32 v23, v44, v42 :: v_dual_fmac_f32 v10, v29, v39
	v_fmac_f32_e32 v11, v28, v39
	s_delay_alu instid0(VALU_DEP_3) | instskip(NEXT) | instid1(VALU_DEP_3)
	v_fmac_f32_e32 v22, v29, v43
	v_fmac_f32_e32 v23, v28, v43
	s_wait_alu 0xfffe
	s_cbranch_vccz .LBB174_15
.LBB174_9:                              ;   Parent Loop BB174_6 Depth=1
                                        ; =>  This Inner Loop Header: Depth=2
	v_mov_b32_e32 v28, 0
	s_and_saveexec_b32 s12, s0
	s_cbranch_execz .LBB174_13
; %bb.10:                               ;   in Loop: Header=BB174_9 Depth=2
	s_wait_alu 0xfffe
	v_add_nc_u32_e32 v4, s2, v13
	v_mov_b32_e32 v28, 0
	s_mov_b32 s13, exec_lo
	s_delay_alu instid0(VALU_DEP_2)
	v_cmpx_gt_u64_e64 s[20:21], v[4:5]
	s_cbranch_execz .LBB174_12
; %bb.11:                               ;   in Loop: Header=BB174_9 Depth=2
	v_lshlrev_b64_e32 v[28:29], 2, v[4:5]
	s_delay_alu instid0(VALU_DEP_1) | instskip(SKIP_1) | instid1(VALU_DEP_2)
	v_add_co_u32 v28, vcc_lo, v24, v28
	s_wait_alu 0xfffd
	v_add_co_ci_u32_e64 v29, null, v25, v29, vcc_lo
	global_load_b32 v28, v[28:29], off
.LBB174_12:                             ;   in Loop: Header=BB174_9 Depth=2
	s_wait_alu 0xfffe
	s_or_b32 exec_lo, exec_lo, s13
.LBB174_13:                             ;   in Loop: Header=BB174_9 Depth=2
	s_wait_alu 0xfffe
	s_or_b32 exec_lo, exec_lo, s12
	v_dual_mov_b32 v29, 0 :: v_dual_add_nc_u32 v4, s2, v12
	s_wait_loadcnt 0x0
	ds_store_b32 v14, v28
	v_cmp_gt_u64_e32 vcc_lo, s[20:21], v[4:5]
	s_and_b32 s13, vcc_lo, s1
	s_wait_alu 0xfffe
	s_and_saveexec_b32 s12, s13
	s_cbranch_execz .LBB174_8
; %bb.14:                               ;   in Loop: Header=BB174_9 Depth=2
	v_lshlrev_b64_e32 v[28:29], 2, v[4:5]
	s_delay_alu instid0(VALU_DEP_1) | instskip(SKIP_1) | instid1(VALU_DEP_2)
	v_add_co_u32 v28, vcc_lo, v26, v28
	s_wait_alu 0xfffd
	v_add_co_ci_u32_e64 v29, null, v27, v29, vcc_lo
	global_load_b32 v29, v[28:29], off
	s_branch .LBB174_8
.LBB174_15:                             ;   in Loop: Header=BB174_6 Depth=1
	s_mul_u64 s[2:3], s[26:27], s[24:25]
	s_wait_alu 0xfffe
	s_lshl_b64 s[2:3], s[2:3], 2
	s_wait_alu 0xfffe
	s_add_nc_u64 s[2:3], s[16:17], s[2:3]
	s_wait_alu 0xfffe
	v_add_co_u32 v4, vcc_lo, s2, v6
	s_wait_alu 0xfffd
	v_add_co_ci_u32_e64 v24, null, s3, v7, vcc_lo
	s_and_saveexec_b32 s12, s7
	s_cbranch_execz .LBB174_19
; %bb.16:                               ;   in Loop: Header=BB174_6 Depth=1
	v_mul_f32_e32 v11, s22, v11
	s_and_b32 vcc_lo, exec_lo, s6
	s_wait_alu 0xfffe
	s_cbranch_vccz .LBB174_30
; %bb.17:                               ;   in Loop: Header=BB174_6 Depth=1
	v_lshlrev_b64_e32 v[25:26], 2, v[0:1]
	s_delay_alu instid0(VALU_DEP_1) | instskip(SKIP_1) | instid1(VALU_DEP_2)
	v_add_co_u32 v25, vcc_lo, v4, v25
	s_wait_alu 0xfffd
	v_add_co_ci_u32_e64 v26, null, v24, v26, vcc_lo
	global_load_b32 v27, v[25:26], off
	s_wait_loadcnt 0x0
	v_fma_f32 v27, s23, v27, v11
	global_store_b32 v[25:26], v27, off
	s_cbranch_execnz .LBB174_19
.LBB174_18:                             ;   in Loop: Header=BB174_6 Depth=1
	v_lshlrev_b64_e32 v[25:26], 2, v[0:1]
	s_delay_alu instid0(VALU_DEP_1) | instskip(SKIP_1) | instid1(VALU_DEP_2)
	v_add_co_u32 v25, vcc_lo, v4, v25
	s_wait_alu 0xfffd
	v_add_co_ci_u32_e64 v26, null, v24, v26, vcc_lo
	global_store_b32 v[25:26], v11, off
.LBB174_19:                             ;   in Loop: Header=BB174_6 Depth=1
	s_wait_alu 0xfffe
	s_or_b32 exec_lo, exec_lo, s12
	s_and_saveexec_b32 s12, s11
	s_cbranch_execz .LBB174_23
; %bb.20:                               ;   in Loop: Header=BB174_6 Depth=1
	v_mul_f32_e32 v10, s22, v10
	s_and_not1_b32 vcc_lo, exec_lo, s6
	s_wait_alu 0xfffe
	s_cbranch_vccnz .LBB174_31
; %bb.21:                               ;   in Loop: Header=BB174_6 Depth=1
	v_lshlrev_b64_e32 v[25:26], 2, v[2:3]
	s_delay_alu instid0(VALU_DEP_1) | instskip(SKIP_1) | instid1(VALU_DEP_2)
	v_add_co_u32 v25, vcc_lo, v4, v25
	s_wait_alu 0xfffd
	v_add_co_ci_u32_e64 v26, null, v24, v26, vcc_lo
	global_load_b32 v11, v[25:26], off
	s_wait_loadcnt 0x0
	v_fma_f32 v11, s23, v11, v10
	global_store_b32 v[25:26], v11, off
	s_cbranch_execnz .LBB174_23
.LBB174_22:                             ;   in Loop: Header=BB174_6 Depth=1
	v_lshlrev_b64_e32 v[25:26], 2, v[2:3]
	s_delay_alu instid0(VALU_DEP_1) | instskip(SKIP_1) | instid1(VALU_DEP_2)
	v_add_co_u32 v25, vcc_lo, v4, v25
	s_wait_alu 0xfffd
	v_add_co_ci_u32_e64 v26, null, v24, v26, vcc_lo
	global_store_b32 v[25:26], v10, off
.LBB174_23:                             ;   in Loop: Header=BB174_6 Depth=1
	s_wait_alu 0xfffe
	s_or_b32 exec_lo, exec_lo, s12
	v_add_co_u32 v4, vcc_lo, s2, v8
	s_wait_alu 0xfffd
	v_add_co_ci_u32_e64 v24, null, s3, v9, vcc_lo
	s_and_saveexec_b32 s2, s4
	s_cbranch_execz .LBB174_27
; %bb.24:                               ;   in Loop: Header=BB174_6 Depth=1
	v_lshlrev_b64_e32 v[10:11], 2, v[0:1]
	v_mul_f32_e32 v23, s22, v23
	s_and_not1_b32 vcc_lo, exec_lo, s6
	s_wait_alu 0xfffe
	s_cbranch_vccnz .LBB174_32
; %bb.25:                               ;   in Loop: Header=BB174_6 Depth=1
	s_delay_alu instid0(VALU_DEP_2)
	v_add_co_u32 v25, vcc_lo, v4, v10
	s_wait_alu 0xfffd
	v_add_co_ci_u32_e64 v26, null, v24, v11, vcc_lo
	global_load_b32 v27, v[25:26], off
	s_wait_loadcnt 0x0
	v_fma_f32 v27, s23, v27, v23
	global_store_b32 v[25:26], v27, off
	s_cbranch_execnz .LBB174_27
.LBB174_26:                             ;   in Loop: Header=BB174_6 Depth=1
	v_add_co_u32 v10, vcc_lo, v4, v10
	s_wait_alu 0xfffd
	v_add_co_ci_u32_e64 v11, null, v24, v11, vcc_lo
	global_store_b32 v[10:11], v23, off
.LBB174_27:                             ;   in Loop: Header=BB174_6 Depth=1
	s_wait_alu 0xfffe
	s_or_b32 exec_lo, exec_lo, s2
	s_and_saveexec_b32 s2, s5
	s_cbranch_execz .LBB174_5
; %bb.28:                               ;   in Loop: Header=BB174_6 Depth=1
	v_lshlrev_b64_e32 v[10:11], 2, v[2:3]
	v_mul_f32_e32 v22, s22, v22
	s_and_not1_b32 vcc_lo, exec_lo, s6
	s_wait_alu 0xfffe
	s_cbranch_vccnz .LBB174_33
; %bb.29:                               ;   in Loop: Header=BB174_6 Depth=1
	s_delay_alu instid0(VALU_DEP_2)
	v_add_co_u32 v25, vcc_lo, v4, v10
	s_wait_alu 0xfffd
	v_add_co_ci_u32_e64 v26, null, v24, v11, vcc_lo
	global_load_b32 v23, v[25:26], off
	s_wait_loadcnt 0x0
	v_fma_f32 v23, s23, v23, v22
	global_store_b32 v[25:26], v23, off
	s_cbranch_execnz .LBB174_5
	s_branch .LBB174_34
.LBB174_30:                             ;   in Loop: Header=BB174_6 Depth=1
	s_branch .LBB174_18
.LBB174_31:                             ;   in Loop: Header=BB174_6 Depth=1
	s_branch .LBB174_22
.LBB174_32:                             ;   in Loop: Header=BB174_6 Depth=1
	s_branch .LBB174_26
.LBB174_33:                             ;   in Loop: Header=BB174_6 Depth=1
.LBB174_34:                             ;   in Loop: Header=BB174_6 Depth=1
	s_delay_alu instid0(VALU_DEP_2)
	v_add_co_u32 v10, vcc_lo, v4, v10
	s_wait_alu 0xfffd
	v_add_co_ci_u32_e64 v11, null, v24, v11, vcc_lo
	global_store_b32 v[10:11], v22, off
	s_branch .LBB174_5
.LBB174_35:
	s_endpgm
	.section	.rodata,"a",@progbits
	.p2align	6, 0x0
	.amdhsa_kernel _ZL29rocblas_internal_gemmt_kernelIlLi16ELi32ELi8ELc84ELc78ELc76ELb0ELb0EffPKfPfEviT_T9_T10_S3_lS5_S3_lS4_T11_S3_li
		.amdhsa_group_segment_fixed_size 2048
		.amdhsa_private_segment_fixed_size 0
		.amdhsa_kernarg_size 108
		.amdhsa_user_sgpr_count 2
		.amdhsa_user_sgpr_dispatch_ptr 0
		.amdhsa_user_sgpr_queue_ptr 0
		.amdhsa_user_sgpr_kernarg_segment_ptr 1
		.amdhsa_user_sgpr_dispatch_id 0
		.amdhsa_user_sgpr_private_segment_size 0
		.amdhsa_wavefront_size32 1
		.amdhsa_uses_dynamic_stack 0
		.amdhsa_enable_private_segment 0
		.amdhsa_system_sgpr_workgroup_id_x 1
		.amdhsa_system_sgpr_workgroup_id_y 1
		.amdhsa_system_sgpr_workgroup_id_z 1
		.amdhsa_system_sgpr_workgroup_info 0
		.amdhsa_system_vgpr_workitem_id 1
		.amdhsa_next_free_vgpr 56
		.amdhsa_next_free_sgpr 30
		.amdhsa_reserve_vcc 1
		.amdhsa_float_round_mode_32 0
		.amdhsa_float_round_mode_16_64 0
		.amdhsa_float_denorm_mode_32 3
		.amdhsa_float_denorm_mode_16_64 3
		.amdhsa_fp16_overflow 0
		.amdhsa_workgroup_processor_mode 1
		.amdhsa_memory_ordered 1
		.amdhsa_forward_progress 1
		.amdhsa_inst_pref_size 15
		.amdhsa_round_robin_scheduling 0
		.amdhsa_exception_fp_ieee_invalid_op 0
		.amdhsa_exception_fp_denorm_src 0
		.amdhsa_exception_fp_ieee_div_zero 0
		.amdhsa_exception_fp_ieee_overflow 0
		.amdhsa_exception_fp_ieee_underflow 0
		.amdhsa_exception_fp_ieee_inexact 0
		.amdhsa_exception_int_div_zero 0
	.end_amdhsa_kernel
	.section	.text._ZL29rocblas_internal_gemmt_kernelIlLi16ELi32ELi8ELc84ELc78ELc76ELb0ELb0EffPKfPfEviT_T9_T10_S3_lS5_S3_lS4_T11_S3_li,"axG",@progbits,_ZL29rocblas_internal_gemmt_kernelIlLi16ELi32ELi8ELc84ELc78ELc76ELb0ELb0EffPKfPfEviT_T9_T10_S3_lS5_S3_lS4_T11_S3_li,comdat
.Lfunc_end174:
	.size	_ZL29rocblas_internal_gemmt_kernelIlLi16ELi32ELi8ELc84ELc78ELc76ELb0ELb0EffPKfPfEviT_T9_T10_S3_lS5_S3_lS4_T11_S3_li, .Lfunc_end174-_ZL29rocblas_internal_gemmt_kernelIlLi16ELi32ELi8ELc84ELc78ELc76ELb0ELb0EffPKfPfEviT_T9_T10_S3_lS5_S3_lS4_T11_S3_li
                                        ; -- End function
	.set _ZL29rocblas_internal_gemmt_kernelIlLi16ELi32ELi8ELc84ELc78ELc76ELb0ELb0EffPKfPfEviT_T9_T10_S3_lS5_S3_lS4_T11_S3_li.num_vgpr, 56
	.set _ZL29rocblas_internal_gemmt_kernelIlLi16ELi32ELi8ELc84ELc78ELc76ELb0ELb0EffPKfPfEviT_T9_T10_S3_lS5_S3_lS4_T11_S3_li.num_agpr, 0
	.set _ZL29rocblas_internal_gemmt_kernelIlLi16ELi32ELi8ELc84ELc78ELc76ELb0ELb0EffPKfPfEviT_T9_T10_S3_lS5_S3_lS4_T11_S3_li.numbered_sgpr, 30
	.set _ZL29rocblas_internal_gemmt_kernelIlLi16ELi32ELi8ELc84ELc78ELc76ELb0ELb0EffPKfPfEviT_T9_T10_S3_lS5_S3_lS4_T11_S3_li.num_named_barrier, 0
	.set _ZL29rocblas_internal_gemmt_kernelIlLi16ELi32ELi8ELc84ELc78ELc76ELb0ELb0EffPKfPfEviT_T9_T10_S3_lS5_S3_lS4_T11_S3_li.private_seg_size, 0
	.set _ZL29rocblas_internal_gemmt_kernelIlLi16ELi32ELi8ELc84ELc78ELc76ELb0ELb0EffPKfPfEviT_T9_T10_S3_lS5_S3_lS4_T11_S3_li.uses_vcc, 1
	.set _ZL29rocblas_internal_gemmt_kernelIlLi16ELi32ELi8ELc84ELc78ELc76ELb0ELb0EffPKfPfEviT_T9_T10_S3_lS5_S3_lS4_T11_S3_li.uses_flat_scratch, 0
	.set _ZL29rocblas_internal_gemmt_kernelIlLi16ELi32ELi8ELc84ELc78ELc76ELb0ELb0EffPKfPfEviT_T9_T10_S3_lS5_S3_lS4_T11_S3_li.has_dyn_sized_stack, 0
	.set _ZL29rocblas_internal_gemmt_kernelIlLi16ELi32ELi8ELc84ELc78ELc76ELb0ELb0EffPKfPfEviT_T9_T10_S3_lS5_S3_lS4_T11_S3_li.has_recursion, 0
	.set _ZL29rocblas_internal_gemmt_kernelIlLi16ELi32ELi8ELc84ELc78ELc76ELb0ELb0EffPKfPfEviT_T9_T10_S3_lS5_S3_lS4_T11_S3_li.has_indirect_call, 0
	.section	.AMDGPU.csdata,"",@progbits
; Kernel info:
; codeLenInByte = 1888
; TotalNumSgprs: 32
; NumVgprs: 56
; ScratchSize: 0
; MemoryBound: 0
; FloatMode: 240
; IeeeMode: 1
; LDSByteSize: 2048 bytes/workgroup (compile time only)
; SGPRBlocks: 0
; VGPRBlocks: 6
; NumSGPRsForWavesPerEU: 32
; NumVGPRsForWavesPerEU: 56
; Occupancy: 16
; WaveLimiterHint : 0
; COMPUTE_PGM_RSRC2:SCRATCH_EN: 0
; COMPUTE_PGM_RSRC2:USER_SGPR: 2
; COMPUTE_PGM_RSRC2:TRAP_HANDLER: 0
; COMPUTE_PGM_RSRC2:TGID_X_EN: 1
; COMPUTE_PGM_RSRC2:TGID_Y_EN: 1
; COMPUTE_PGM_RSRC2:TGID_Z_EN: 1
; COMPUTE_PGM_RSRC2:TIDIG_COMP_CNT: 1
	.section	.text._ZL29rocblas_internal_gemmt_kernelIlLi16ELi32ELi8ELc84ELc84ELc76ELb0ELb0EffPKfPfEviT_T9_T10_S3_lS5_S3_lS4_T11_S3_li,"axG",@progbits,_ZL29rocblas_internal_gemmt_kernelIlLi16ELi32ELi8ELc84ELc84ELc76ELb0ELb0EffPKfPfEviT_T9_T10_S3_lS5_S3_lS4_T11_S3_li,comdat
	.globl	_ZL29rocblas_internal_gemmt_kernelIlLi16ELi32ELi8ELc84ELc84ELc76ELb0ELb0EffPKfPfEviT_T9_T10_S3_lS5_S3_lS4_T11_S3_li ; -- Begin function _ZL29rocblas_internal_gemmt_kernelIlLi16ELi32ELi8ELc84ELc84ELc76ELb0ELb0EffPKfPfEviT_T9_T10_S3_lS5_S3_lS4_T11_S3_li
	.p2align	8
	.type	_ZL29rocblas_internal_gemmt_kernelIlLi16ELi32ELi8ELc84ELc84ELc76ELb0ELb0EffPKfPfEviT_T9_T10_S3_lS5_S3_lS4_T11_S3_li,@function
_ZL29rocblas_internal_gemmt_kernelIlLi16ELi32ELi8ELc84ELc84ELc76ELb0ELb0EffPKfPfEviT_T9_T10_S3_lS5_S3_lS4_T11_S3_li: ; @_ZL29rocblas_internal_gemmt_kernelIlLi16ELi32ELi8ELc84ELc84ELc76ELb0ELb0EffPKfPfEviT_T9_T10_S3_lS5_S3_lS4_T11_S3_li
; %bb.0:
	s_clause 0x1
	s_load_b32 s23, s[0:1], 0x48
	s_load_b96 s[20:22], s[0:1], 0x8
	s_wait_kmcnt 0x0
	s_cmp_neq_f32 s23, 1.0
	s_cselect_b32 s2, -1, 0
	s_delay_alu instid0(SALU_CYCLE_1)
	s_and_b32 vcc_lo, exec_lo, s2
	s_cbranch_vccnz .LBB175_2
; %bb.1:
	s_cmp_lg_u64 s[20:21], 0
	s_cselect_b32 s2, -1, 0
	s_cmp_neq_f32 s22, 0
	s_cselect_b32 s3, -1, 0
	s_delay_alu instid0(SALU_CYCLE_1)
	s_and_b32 s2, s2, s3
.LBB175_2:
	s_delay_alu instid0(SALU_CYCLE_1)
	s_and_not1_b32 vcc_lo, exec_lo, s2
	s_cbranch_vccnz .LBB175_35
; %bb.3:
	s_load_b32 s28, s[0:1], 0x68
	s_lshr_b32 s24, ttmp7, 16
	s_wait_kmcnt 0x0
	s_cmp_ge_u32 s24, s28
	s_cbranch_scc1 .LBB175_35
; %bb.4:
	v_and_b32_e32 v2, 0x3ff, v0
	v_bfe_u32 v3, v0, 10, 10
	s_load_b256 s[4:11], s[0:1], 0x18
	s_lshl_b32 s2, ttmp9, 5
	s_clause 0x2
	s_load_b32 s3, s[0:1], 0x0
	s_load_b128 s[12:15], s[0:1], 0x38
	s_load_b128 s[16:19], s[0:1], 0x50
	v_lshl_add_u32 v4, v3, 4, v2
	s_load_b64 s[26:27], s[0:1], 0x60
	s_lshl_b32 s0, ttmp7, 5
	v_and_b32_e32 v12, 7, v0
	s_and_b32 s0, s0, 0x1fffe0
	v_and_b32_e32 v5, 31, v4
	s_cmp_neq_f32 s22, 0
	v_lshrrev_b32_e32 v9, 3, v4
	v_lshlrev_b32_e32 v8, 2, v12
	v_add_nc_u32_e32 v11, s0, v3
	v_or_b32_e32 v6, s2, v5
	s_cselect_b32 s30, -1, 0
	s_ashr_i32 s1, s2, 31
	v_lshrrev_b32_e32 v13, 5, v4
	v_lshlrev_b32_e32 v4, 2, v5
	v_add_nc_u32_e32 v5, s0, v9
	s_wait_kmcnt 0x0
	v_mul_lo_u32 v7, s7, v6
	v_mad_co_u64_u32 v[0:1], null, s6, v6, 0
	s_wait_alu 0xfffe
	s_mul_i32 s1, s6, s1
	v_cmp_gt_i32_e64 s0, s3, v6
	v_add_nc_u32_e32 v22, 16, v11
	v_lshl_or_b32 v14, v13, 7, v4
	v_lshl_add_u32 v21, v3, 5, 0x400
	s_cmp_neq_f32 s23, 0
	s_wait_alu 0xfffe
	v_add3_u32 v1, v1, s1, v7
	v_lshl_or_b32 v7, v9, 5, v8
	v_mad_co_u64_u32 v[8:9], null, s18, v22, 0
	v_cmp_gt_i64_e64 s29, s[20:21], 0
	s_delay_alu instid0(VALU_DEP_4) | instskip(NEXT) | instid1(VALU_DEP_4)
	v_lshlrev_b64_e32 v[0:1], 2, v[0:1]
	v_add_nc_u32_e32 v15, 0x400, v7
	v_mad_co_u64_u32 v[6:7], null, s18, v11, 0
	v_cmp_gt_i32_e64 s1, s3, v5
	s_cselect_b32 s6, -1, 0
	v_add_co_u32 v16, vcc_lo, s4, v0
	v_lshlrev_b32_e32 v0, 2, v5
	v_add_co_ci_u32_e64 v17, null, s5, v1, vcc_lo
	v_dual_mov_b32 v1, 0 :: v_dual_lshlrev_b32 v20, 2, v2
	s_delay_alu instid0(VALU_DEP_3)
	v_add_co_u32 v18, s4, s10, v0
	v_mov_b32_e32 v0, v7
	v_add_nc_u32_e32 v2, s2, v2
	s_wait_alu 0xf1ff
	v_add_co_ci_u32_e64 v19, null, s11, 0, s4
	s_mov_b32 s25, 0
	v_mad_co_u64_u32 v[3:4], null, s19, v11, v[0:1]
	v_mov_b32_e32 v0, v9
	v_cmp_le_i32_e32 vcc_lo, v11, v2
	v_cmp_gt_i32_e64 s2, s3, v2
	v_add_nc_u32_e32 v4, 16, v2
	v_cmp_le_i32_e64 s4, v22, v2
	v_mad_co_u64_u32 v[9:10], null, s19, v22, v[0:1]
	v_mov_b32_e32 v7, v3
	s_and_b32 s7, vcc_lo, s2
	v_cmp_le_i32_e32 vcc_lo, v11, v4
	v_cmp_gt_i32_e64 s3, s3, v4
	v_cmp_le_i32_e64 s5, v22, v4
	v_lshlrev_b64_e32 v[6:7], 2, v[6:7]
	v_lshlrev_b64_e32 v[8:9], 2, v[8:9]
	v_ashrrev_i32_e32 v3, 31, v2
	v_ashrrev_i32_e32 v5, 31, v4
	s_and_b32 s10, s30, s29
	s_and_b32 s11, vcc_lo, s3
	s_and_b32 s4, s4, s2
	s_and_b32 s5, s5, s3
	s_branch .LBB175_6
.LBB175_5:                              ;   in Loop: Header=BB175_6 Depth=1
	s_wait_alu 0xfffe
	s_or_b32 exec_lo, exec_lo, s2
	s_add_co_i32 s24, s24, 0x10000
	s_delay_alu instid0(SALU_CYCLE_1)
	s_cmp_lt_u32 s24, s28
	s_cbranch_scc0 .LBB175_35
.LBB175_6:                              ; =>This Loop Header: Depth=1
                                        ;     Child Loop BB175_9 Depth 2
	v_dual_mov_b32 v11, v1 :: v_dual_mov_b32 v10, v1
	v_dual_mov_b32 v23, v1 :: v_dual_mov_b32 v22, v1
	s_wait_alu 0xfffe
	s_and_not1_b32 vcc_lo, exec_lo, s10
	s_wait_alu 0xfffe
	s_cbranch_vccnz .LBB175_15
; %bb.7:                                ;   in Loop: Header=BB175_6 Depth=1
	s_mul_u64 s[2:3], s[8:9], s[24:25]
	s_mul_u64 s[18:19], s[14:15], s[24:25]
	s_wait_alu 0xfffe
	s_lshl_b64 s[2:3], s[2:3], 2
	v_dual_mov_b32 v22, 0 :: v_dual_mov_b32 v23, 0
	s_wait_alu 0xfffe
	v_add_co_u32 v24, vcc_lo, v16, s2
	s_wait_alu 0xfffd
	v_add_co_ci_u32_e64 v25, null, s3, v17, vcc_lo
	s_lshl_b64 s[2:3], s[18:19], 2
	v_dual_mov_b32 v10, 0 :: v_dual_mov_b32 v11, 0
	s_wait_alu 0xfffe
	v_add_co_u32 v26, vcc_lo, v18, s2
	s_wait_alu 0xfffd
	v_add_co_ci_u32_e64 v27, null, s3, v19, vcc_lo
	s_mov_b64 s[2:3], 0
	s_branch .LBB175_9
.LBB175_8:                              ;   in Loop: Header=BB175_9 Depth=2
	s_wait_alu 0xfffe
	s_or_b32 exec_lo, exec_lo, s18
	s_wait_loadcnt 0x0
	ds_store_b32 v15, v29
	s_wait_dscnt 0x0
	s_barrier_signal -1
	s_barrier_wait -1
	global_inv scope:SCOPE_SE
	ds_load_b128 v[28:31], v21
	ds_load_2addr_b32 v[44:45], v20 offset1:16
	ds_load_b128 v[32:35], v21 offset:512
	ds_load_2addr_b32 v[46:47], v20 offset0:32 offset1:48
	ds_load_2addr_b32 v[48:49], v20 offset0:64 offset1:80
	;; [unrolled: 1-line block ×3, first 2 shown]
	ds_load_b128 v[36:39], v21 offset:16
	ds_load_2addr_b32 v[52:53], v20 offset0:128 offset1:144
	ds_load_b128 v[40:43], v21 offset:528
	ds_load_2addr_b32 v[54:55], v20 offset0:160 offset1:176
	s_add_nc_u64 s[2:3], s[2:3], 8
	s_wait_alu 0xfffe
	v_cmp_gt_i64_e64 s18, s[20:21], s[2:3]
	s_and_b32 vcc_lo, exec_lo, s18
	s_wait_dscnt 0x8
	v_fmac_f32_e32 v10, v45, v28
	v_fmac_f32_e32 v11, v44, v28
	s_wait_dscnt 0x7
	v_fmac_f32_e32 v22, v45, v32
	v_fmac_f32_e32 v23, v44, v32
	ds_load_2addr_b32 v[44:45], v20 offset0:192 offset1:208
	s_wait_dscnt 0x7
	v_fmac_f32_e32 v10, v47, v29
	v_fmac_f32_e32 v11, v46, v29
	;; [unrolled: 1-line block ×4, first 2 shown]
	ds_load_2addr_b32 v[28:29], v20 offset0:224 offset1:240
	s_wait_dscnt 0x7
	v_fmac_f32_e32 v10, v49, v30
	v_fmac_f32_e32 v11, v48, v30
	;; [unrolled: 1-line block ×4, first 2 shown]
	s_wait_loadcnt_dscnt 0x0
	v_fmac_f32_e32 v10, v51, v31
	v_fmac_f32_e32 v11, v50, v31
	v_fmac_f32_e32 v22, v51, v35
	v_fmac_f32_e32 v23, v50, v35
	s_barrier_signal -1
	v_fmac_f32_e32 v10, v53, v36
	v_fmac_f32_e32 v11, v52, v36
	;; [unrolled: 1-line block ×4, first 2 shown]
	s_barrier_wait -1
	v_fmac_f32_e32 v10, v55, v37
	v_fmac_f32_e32 v11, v54, v37
	;; [unrolled: 1-line block ×4, first 2 shown]
	global_inv scope:SCOPE_SE
	v_fmac_f32_e32 v10, v45, v38
	v_fmac_f32_e32 v11, v44, v38
	;; [unrolled: 1-line block ×3, first 2 shown]
	s_delay_alu instid0(VALU_DEP_3) | instskip(NEXT) | instid1(VALU_DEP_3)
	v_dual_fmac_f32 v23, v44, v42 :: v_dual_fmac_f32 v10, v29, v39
	v_fmac_f32_e32 v11, v28, v39
	s_delay_alu instid0(VALU_DEP_3) | instskip(NEXT) | instid1(VALU_DEP_3)
	v_fmac_f32_e32 v22, v29, v43
	v_fmac_f32_e32 v23, v28, v43
	s_wait_alu 0xfffe
	s_cbranch_vccz .LBB175_15
.LBB175_9:                              ;   Parent Loop BB175_6 Depth=1
                                        ; =>  This Inner Loop Header: Depth=2
	v_mov_b32_e32 v28, 0
	s_and_saveexec_b32 s18, s0
	s_cbranch_execz .LBB175_13
; %bb.10:                               ;   in Loop: Header=BB175_9 Depth=2
	s_wait_alu 0xfffe
	v_add_nc_u32_e32 v0, s2, v13
	v_mov_b32_e32 v28, 0
	s_mov_b32 s19, exec_lo
	s_delay_alu instid0(VALU_DEP_2)
	v_cmpx_gt_u64_e64 s[20:21], v[0:1]
	s_cbranch_execz .LBB175_12
; %bb.11:                               ;   in Loop: Header=BB175_9 Depth=2
	v_lshlrev_b64_e32 v[28:29], 2, v[0:1]
	s_delay_alu instid0(VALU_DEP_1) | instskip(SKIP_1) | instid1(VALU_DEP_2)
	v_add_co_u32 v28, vcc_lo, v24, v28
	s_wait_alu 0xfffd
	v_add_co_ci_u32_e64 v29, null, v25, v29, vcc_lo
	global_load_b32 v28, v[28:29], off
.LBB175_12:                             ;   in Loop: Header=BB175_9 Depth=2
	s_wait_alu 0xfffe
	s_or_b32 exec_lo, exec_lo, s19
.LBB175_13:                             ;   in Loop: Header=BB175_9 Depth=2
	s_wait_alu 0xfffe
	s_or_b32 exec_lo, exec_lo, s18
	v_dual_mov_b32 v29, 0 :: v_dual_add_nc_u32 v0, s2, v12
	s_wait_loadcnt 0x0
	ds_store_b32 v14, v28
	v_cmp_gt_u64_e32 vcc_lo, s[20:21], v[0:1]
	s_and_b32 s19, vcc_lo, s1
	s_wait_alu 0xfffe
	s_and_saveexec_b32 s18, s19
	s_cbranch_execz .LBB175_8
; %bb.14:                               ;   in Loop: Header=BB175_9 Depth=2
	v_mad_co_u64_u32 v[28:29], null, s12, v0, 0
	s_delay_alu instid0(VALU_DEP_1) | instskip(NEXT) | instid1(VALU_DEP_1)
	v_mad_co_u64_u32 v[29:30], null, s13, v0, v[29:30]
	v_lshlrev_b64_e32 v[28:29], 2, v[28:29]
	s_delay_alu instid0(VALU_DEP_1) | instskip(SKIP_1) | instid1(VALU_DEP_2)
	v_add_co_u32 v28, vcc_lo, v26, v28
	s_wait_alu 0xfffd
	v_add_co_ci_u32_e64 v29, null, v27, v29, vcc_lo
	global_load_b32 v29, v[28:29], off
	s_branch .LBB175_8
.LBB175_15:                             ;   in Loop: Header=BB175_6 Depth=1
	s_mul_u64 s[2:3], s[26:27], s[24:25]
	s_wait_alu 0xfffe
	s_lshl_b64 s[2:3], s[2:3], 2
	s_wait_alu 0xfffe
	s_add_nc_u64 s[2:3], s[16:17], s[2:3]
	s_wait_alu 0xfffe
	v_add_co_u32 v0, vcc_lo, s2, v6
	s_wait_alu 0xfffd
	v_add_co_ci_u32_e64 v24, null, s3, v7, vcc_lo
	s_and_saveexec_b32 s18, s7
	s_cbranch_execz .LBB175_19
; %bb.16:                               ;   in Loop: Header=BB175_6 Depth=1
	v_mul_f32_e32 v11, s22, v11
	s_and_b32 vcc_lo, exec_lo, s6
	s_wait_alu 0xfffe
	s_cbranch_vccz .LBB175_30
; %bb.17:                               ;   in Loop: Header=BB175_6 Depth=1
	v_lshlrev_b64_e32 v[25:26], 2, v[2:3]
	s_delay_alu instid0(VALU_DEP_1) | instskip(SKIP_1) | instid1(VALU_DEP_2)
	v_add_co_u32 v25, vcc_lo, v0, v25
	s_wait_alu 0xfffd
	v_add_co_ci_u32_e64 v26, null, v24, v26, vcc_lo
	global_load_b32 v27, v[25:26], off
	s_wait_loadcnt 0x0
	v_fma_f32 v27, s23, v27, v11
	global_store_b32 v[25:26], v27, off
	s_cbranch_execnz .LBB175_19
.LBB175_18:                             ;   in Loop: Header=BB175_6 Depth=1
	v_lshlrev_b64_e32 v[25:26], 2, v[2:3]
	s_delay_alu instid0(VALU_DEP_1) | instskip(SKIP_1) | instid1(VALU_DEP_2)
	v_add_co_u32 v25, vcc_lo, v0, v25
	s_wait_alu 0xfffd
	v_add_co_ci_u32_e64 v26, null, v24, v26, vcc_lo
	global_store_b32 v[25:26], v11, off
.LBB175_19:                             ;   in Loop: Header=BB175_6 Depth=1
	s_wait_alu 0xfffe
	s_or_b32 exec_lo, exec_lo, s18
	s_and_saveexec_b32 s18, s11
	s_cbranch_execz .LBB175_23
; %bb.20:                               ;   in Loop: Header=BB175_6 Depth=1
	v_mul_f32_e32 v10, s22, v10
	s_and_not1_b32 vcc_lo, exec_lo, s6
	s_wait_alu 0xfffe
	s_cbranch_vccnz .LBB175_31
; %bb.21:                               ;   in Loop: Header=BB175_6 Depth=1
	v_lshlrev_b64_e32 v[25:26], 2, v[4:5]
	s_delay_alu instid0(VALU_DEP_1) | instskip(SKIP_1) | instid1(VALU_DEP_2)
	v_add_co_u32 v25, vcc_lo, v0, v25
	s_wait_alu 0xfffd
	v_add_co_ci_u32_e64 v26, null, v24, v26, vcc_lo
	global_load_b32 v11, v[25:26], off
	s_wait_loadcnt 0x0
	v_fma_f32 v11, s23, v11, v10
	global_store_b32 v[25:26], v11, off
	s_cbranch_execnz .LBB175_23
.LBB175_22:                             ;   in Loop: Header=BB175_6 Depth=1
	v_lshlrev_b64_e32 v[25:26], 2, v[4:5]
	s_delay_alu instid0(VALU_DEP_1) | instskip(SKIP_1) | instid1(VALU_DEP_2)
	v_add_co_u32 v25, vcc_lo, v0, v25
	s_wait_alu 0xfffd
	v_add_co_ci_u32_e64 v26, null, v24, v26, vcc_lo
	global_store_b32 v[25:26], v10, off
.LBB175_23:                             ;   in Loop: Header=BB175_6 Depth=1
	s_wait_alu 0xfffe
	s_or_b32 exec_lo, exec_lo, s18
	v_add_co_u32 v0, vcc_lo, s2, v8
	s_wait_alu 0xfffd
	v_add_co_ci_u32_e64 v24, null, s3, v9, vcc_lo
	s_and_saveexec_b32 s2, s4
	s_cbranch_execz .LBB175_27
; %bb.24:                               ;   in Loop: Header=BB175_6 Depth=1
	v_lshlrev_b64_e32 v[10:11], 2, v[2:3]
	v_mul_f32_e32 v23, s22, v23
	s_and_not1_b32 vcc_lo, exec_lo, s6
	s_wait_alu 0xfffe
	s_cbranch_vccnz .LBB175_32
; %bb.25:                               ;   in Loop: Header=BB175_6 Depth=1
	s_delay_alu instid0(VALU_DEP_2)
	v_add_co_u32 v25, vcc_lo, v0, v10
	s_wait_alu 0xfffd
	v_add_co_ci_u32_e64 v26, null, v24, v11, vcc_lo
	global_load_b32 v27, v[25:26], off
	s_wait_loadcnt 0x0
	v_fma_f32 v27, s23, v27, v23
	global_store_b32 v[25:26], v27, off
	s_cbranch_execnz .LBB175_27
.LBB175_26:                             ;   in Loop: Header=BB175_6 Depth=1
	v_add_co_u32 v10, vcc_lo, v0, v10
	s_wait_alu 0xfffd
	v_add_co_ci_u32_e64 v11, null, v24, v11, vcc_lo
	global_store_b32 v[10:11], v23, off
.LBB175_27:                             ;   in Loop: Header=BB175_6 Depth=1
	s_wait_alu 0xfffe
	s_or_b32 exec_lo, exec_lo, s2
	s_and_saveexec_b32 s2, s5
	s_cbranch_execz .LBB175_5
; %bb.28:                               ;   in Loop: Header=BB175_6 Depth=1
	v_lshlrev_b64_e32 v[10:11], 2, v[4:5]
	v_mul_f32_e32 v22, s22, v22
	s_and_not1_b32 vcc_lo, exec_lo, s6
	s_wait_alu 0xfffe
	s_cbranch_vccnz .LBB175_33
; %bb.29:                               ;   in Loop: Header=BB175_6 Depth=1
	s_delay_alu instid0(VALU_DEP_2)
	v_add_co_u32 v25, vcc_lo, v0, v10
	s_wait_alu 0xfffd
	v_add_co_ci_u32_e64 v26, null, v24, v11, vcc_lo
	global_load_b32 v23, v[25:26], off
	s_wait_loadcnt 0x0
	v_fma_f32 v23, s23, v23, v22
	global_store_b32 v[25:26], v23, off
	s_cbranch_execnz .LBB175_5
	s_branch .LBB175_34
.LBB175_30:                             ;   in Loop: Header=BB175_6 Depth=1
	s_branch .LBB175_18
.LBB175_31:                             ;   in Loop: Header=BB175_6 Depth=1
	s_branch .LBB175_22
.LBB175_32:                             ;   in Loop: Header=BB175_6 Depth=1
	s_branch .LBB175_26
.LBB175_33:                             ;   in Loop: Header=BB175_6 Depth=1
.LBB175_34:                             ;   in Loop: Header=BB175_6 Depth=1
	s_delay_alu instid0(VALU_DEP_2)
	v_add_co_u32 v10, vcc_lo, v0, v10
	s_wait_alu 0xfffd
	v_add_co_ci_u32_e64 v11, null, v24, v11, vcc_lo
	global_store_b32 v[10:11], v22, off
	s_branch .LBB175_5
.LBB175_35:
	s_endpgm
	.section	.rodata,"a",@progbits
	.p2align	6, 0x0
	.amdhsa_kernel _ZL29rocblas_internal_gemmt_kernelIlLi16ELi32ELi8ELc84ELc84ELc76ELb0ELb0EffPKfPfEviT_T9_T10_S3_lS5_S3_lS4_T11_S3_li
		.amdhsa_group_segment_fixed_size 2048
		.amdhsa_private_segment_fixed_size 0
		.amdhsa_kernarg_size 108
		.amdhsa_user_sgpr_count 2
		.amdhsa_user_sgpr_dispatch_ptr 0
		.amdhsa_user_sgpr_queue_ptr 0
		.amdhsa_user_sgpr_kernarg_segment_ptr 1
		.amdhsa_user_sgpr_dispatch_id 0
		.amdhsa_user_sgpr_private_segment_size 0
		.amdhsa_wavefront_size32 1
		.amdhsa_uses_dynamic_stack 0
		.amdhsa_enable_private_segment 0
		.amdhsa_system_sgpr_workgroup_id_x 1
		.amdhsa_system_sgpr_workgroup_id_y 1
		.amdhsa_system_sgpr_workgroup_id_z 1
		.amdhsa_system_sgpr_workgroup_info 0
		.amdhsa_system_vgpr_workitem_id 1
		.amdhsa_next_free_vgpr 56
		.amdhsa_next_free_sgpr 31
		.amdhsa_reserve_vcc 1
		.amdhsa_float_round_mode_32 0
		.amdhsa_float_round_mode_16_64 0
		.amdhsa_float_denorm_mode_32 3
		.amdhsa_float_denorm_mode_16_64 3
		.amdhsa_fp16_overflow 0
		.amdhsa_workgroup_processor_mode 1
		.amdhsa_memory_ordered 1
		.amdhsa_forward_progress 1
		.amdhsa_inst_pref_size 15
		.amdhsa_round_robin_scheduling 0
		.amdhsa_exception_fp_ieee_invalid_op 0
		.amdhsa_exception_fp_denorm_src 0
		.amdhsa_exception_fp_ieee_div_zero 0
		.amdhsa_exception_fp_ieee_overflow 0
		.amdhsa_exception_fp_ieee_underflow 0
		.amdhsa_exception_fp_ieee_inexact 0
		.amdhsa_exception_int_div_zero 0
	.end_amdhsa_kernel
	.section	.text._ZL29rocblas_internal_gemmt_kernelIlLi16ELi32ELi8ELc84ELc84ELc76ELb0ELb0EffPKfPfEviT_T9_T10_S3_lS5_S3_lS4_T11_S3_li,"axG",@progbits,_ZL29rocblas_internal_gemmt_kernelIlLi16ELi32ELi8ELc84ELc84ELc76ELb0ELb0EffPKfPfEviT_T9_T10_S3_lS5_S3_lS4_T11_S3_li,comdat
.Lfunc_end175:
	.size	_ZL29rocblas_internal_gemmt_kernelIlLi16ELi32ELi8ELc84ELc84ELc76ELb0ELb0EffPKfPfEviT_T9_T10_S3_lS5_S3_lS4_T11_S3_li, .Lfunc_end175-_ZL29rocblas_internal_gemmt_kernelIlLi16ELi32ELi8ELc84ELc84ELc76ELb0ELb0EffPKfPfEviT_T9_T10_S3_lS5_S3_lS4_T11_S3_li
                                        ; -- End function
	.set _ZL29rocblas_internal_gemmt_kernelIlLi16ELi32ELi8ELc84ELc84ELc76ELb0ELb0EffPKfPfEviT_T9_T10_S3_lS5_S3_lS4_T11_S3_li.num_vgpr, 56
	.set _ZL29rocblas_internal_gemmt_kernelIlLi16ELi32ELi8ELc84ELc84ELc76ELb0ELb0EffPKfPfEviT_T9_T10_S3_lS5_S3_lS4_T11_S3_li.num_agpr, 0
	.set _ZL29rocblas_internal_gemmt_kernelIlLi16ELi32ELi8ELc84ELc84ELc76ELb0ELb0EffPKfPfEviT_T9_T10_S3_lS5_S3_lS4_T11_S3_li.numbered_sgpr, 31
	.set _ZL29rocblas_internal_gemmt_kernelIlLi16ELi32ELi8ELc84ELc84ELc76ELb0ELb0EffPKfPfEviT_T9_T10_S3_lS5_S3_lS4_T11_S3_li.num_named_barrier, 0
	.set _ZL29rocblas_internal_gemmt_kernelIlLi16ELi32ELi8ELc84ELc84ELc76ELb0ELb0EffPKfPfEviT_T9_T10_S3_lS5_S3_lS4_T11_S3_li.private_seg_size, 0
	.set _ZL29rocblas_internal_gemmt_kernelIlLi16ELi32ELi8ELc84ELc84ELc76ELb0ELb0EffPKfPfEviT_T9_T10_S3_lS5_S3_lS4_T11_S3_li.uses_vcc, 1
	.set _ZL29rocblas_internal_gemmt_kernelIlLi16ELi32ELi8ELc84ELc84ELc76ELb0ELb0EffPKfPfEviT_T9_T10_S3_lS5_S3_lS4_T11_S3_li.uses_flat_scratch, 0
	.set _ZL29rocblas_internal_gemmt_kernelIlLi16ELi32ELi8ELc84ELc84ELc76ELb0ELb0EffPKfPfEviT_T9_T10_S3_lS5_S3_lS4_T11_S3_li.has_dyn_sized_stack, 0
	.set _ZL29rocblas_internal_gemmt_kernelIlLi16ELi32ELi8ELc84ELc84ELc76ELb0ELb0EffPKfPfEviT_T9_T10_S3_lS5_S3_lS4_T11_S3_li.has_recursion, 0
	.set _ZL29rocblas_internal_gemmt_kernelIlLi16ELi32ELi8ELc84ELc84ELc76ELb0ELb0EffPKfPfEviT_T9_T10_S3_lS5_S3_lS4_T11_S3_li.has_indirect_call, 0
	.section	.AMDGPU.csdata,"",@progbits
; Kernel info:
; codeLenInByte = 1872
; TotalNumSgprs: 33
; NumVgprs: 56
; ScratchSize: 0
; MemoryBound: 0
; FloatMode: 240
; IeeeMode: 1
; LDSByteSize: 2048 bytes/workgroup (compile time only)
; SGPRBlocks: 0
; VGPRBlocks: 6
; NumSGPRsForWavesPerEU: 33
; NumVGPRsForWavesPerEU: 56
; Occupancy: 16
; WaveLimiterHint : 0
; COMPUTE_PGM_RSRC2:SCRATCH_EN: 0
; COMPUTE_PGM_RSRC2:USER_SGPR: 2
; COMPUTE_PGM_RSRC2:TRAP_HANDLER: 0
; COMPUTE_PGM_RSRC2:TGID_X_EN: 1
; COMPUTE_PGM_RSRC2:TGID_Y_EN: 1
; COMPUTE_PGM_RSRC2:TGID_Z_EN: 1
; COMPUTE_PGM_RSRC2:TIDIG_COMP_CNT: 1
	.section	.text._ZL29rocblas_internal_gemmt_kernelIlLi16ELi32ELi8ELc84ELc67ELc76ELb0ELb0EffPKfPfEviT_T9_T10_S3_lS5_S3_lS4_T11_S3_li,"axG",@progbits,_ZL29rocblas_internal_gemmt_kernelIlLi16ELi32ELi8ELc84ELc67ELc76ELb0ELb0EffPKfPfEviT_T9_T10_S3_lS5_S3_lS4_T11_S3_li,comdat
	.globl	_ZL29rocblas_internal_gemmt_kernelIlLi16ELi32ELi8ELc84ELc67ELc76ELb0ELb0EffPKfPfEviT_T9_T10_S3_lS5_S3_lS4_T11_S3_li ; -- Begin function _ZL29rocblas_internal_gemmt_kernelIlLi16ELi32ELi8ELc84ELc67ELc76ELb0ELb0EffPKfPfEviT_T9_T10_S3_lS5_S3_lS4_T11_S3_li
	.p2align	8
	.type	_ZL29rocblas_internal_gemmt_kernelIlLi16ELi32ELi8ELc84ELc67ELc76ELb0ELb0EffPKfPfEviT_T9_T10_S3_lS5_S3_lS4_T11_S3_li,@function
_ZL29rocblas_internal_gemmt_kernelIlLi16ELi32ELi8ELc84ELc67ELc76ELb0ELb0EffPKfPfEviT_T9_T10_S3_lS5_S3_lS4_T11_S3_li: ; @_ZL29rocblas_internal_gemmt_kernelIlLi16ELi32ELi8ELc84ELc67ELc76ELb0ELb0EffPKfPfEviT_T9_T10_S3_lS5_S3_lS4_T11_S3_li
; %bb.0:
	s_clause 0x1
	s_load_b32 s23, s[0:1], 0x48
	s_load_b96 s[20:22], s[0:1], 0x8
	s_wait_kmcnt 0x0
	s_cmp_neq_f32 s23, 1.0
	s_cselect_b32 s2, -1, 0
	s_delay_alu instid0(SALU_CYCLE_1)
	s_and_b32 vcc_lo, exec_lo, s2
	s_cbranch_vccnz .LBB176_2
; %bb.1:
	s_cmp_lg_u64 s[20:21], 0
	s_cselect_b32 s2, -1, 0
	s_cmp_neq_f32 s22, 0
	s_cselect_b32 s3, -1, 0
	s_delay_alu instid0(SALU_CYCLE_1)
	s_and_b32 s2, s2, s3
.LBB176_2:
	s_delay_alu instid0(SALU_CYCLE_1)
	s_and_not1_b32 vcc_lo, exec_lo, s2
	s_cbranch_vccnz .LBB176_35
; %bb.3:
	s_load_b32 s28, s[0:1], 0x68
	s_lshr_b32 s24, ttmp7, 16
	s_wait_kmcnt 0x0
	s_cmp_ge_u32 s24, s28
	s_cbranch_scc1 .LBB176_35
; %bb.4:
	v_and_b32_e32 v2, 0x3ff, v0
	v_bfe_u32 v3, v0, 10, 10
	s_load_b256 s[4:11], s[0:1], 0x18
	s_lshl_b32 s2, ttmp9, 5
	s_clause 0x2
	s_load_b32 s3, s[0:1], 0x0
	s_load_b128 s[12:15], s[0:1], 0x38
	s_load_b128 s[16:19], s[0:1], 0x50
	v_lshl_add_u32 v4, v3, 4, v2
	s_load_b64 s[26:27], s[0:1], 0x60
	s_lshl_b32 s0, ttmp7, 5
	v_and_b32_e32 v12, 7, v0
	s_and_b32 s0, s0, 0x1fffe0
	v_and_b32_e32 v5, 31, v4
	s_cmp_neq_f32 s22, 0
	v_lshrrev_b32_e32 v9, 3, v4
	v_lshlrev_b32_e32 v8, 2, v12
	v_add_nc_u32_e32 v11, s0, v3
	v_or_b32_e32 v6, s2, v5
	s_cselect_b32 s30, -1, 0
	s_ashr_i32 s1, s2, 31
	v_lshrrev_b32_e32 v13, 5, v4
	v_lshlrev_b32_e32 v4, 2, v5
	v_add_nc_u32_e32 v5, s0, v9
	s_wait_kmcnt 0x0
	v_mul_lo_u32 v7, s7, v6
	v_mad_co_u64_u32 v[0:1], null, s6, v6, 0
	s_wait_alu 0xfffe
	s_mul_i32 s1, s6, s1
	v_cmp_gt_i32_e64 s0, s3, v6
	v_add_nc_u32_e32 v22, 16, v11
	v_lshl_or_b32 v14, v13, 7, v4
	v_lshl_add_u32 v21, v3, 5, 0x400
	s_cmp_neq_f32 s23, 0
	s_wait_alu 0xfffe
	v_add3_u32 v1, v1, s1, v7
	v_lshl_or_b32 v7, v9, 5, v8
	v_mad_co_u64_u32 v[8:9], null, s18, v22, 0
	v_cmp_gt_i64_e64 s29, s[20:21], 0
	s_delay_alu instid0(VALU_DEP_4) | instskip(NEXT) | instid1(VALU_DEP_4)
	v_lshlrev_b64_e32 v[0:1], 2, v[0:1]
	v_add_nc_u32_e32 v15, 0x400, v7
	v_mad_co_u64_u32 v[6:7], null, s18, v11, 0
	v_cmp_gt_i32_e64 s1, s3, v5
	s_cselect_b32 s6, -1, 0
	v_add_co_u32 v16, vcc_lo, s4, v0
	v_lshlrev_b32_e32 v0, 2, v5
	v_add_co_ci_u32_e64 v17, null, s5, v1, vcc_lo
	v_dual_mov_b32 v1, 0 :: v_dual_lshlrev_b32 v20, 2, v2
	s_delay_alu instid0(VALU_DEP_3)
	v_add_co_u32 v18, s4, s10, v0
	v_mov_b32_e32 v0, v7
	v_add_nc_u32_e32 v2, s2, v2
	s_wait_alu 0xf1ff
	v_add_co_ci_u32_e64 v19, null, s11, 0, s4
	s_mov_b32 s25, 0
	v_mad_co_u64_u32 v[3:4], null, s19, v11, v[0:1]
	v_mov_b32_e32 v0, v9
	v_cmp_le_i32_e32 vcc_lo, v11, v2
	v_cmp_gt_i32_e64 s2, s3, v2
	v_add_nc_u32_e32 v4, 16, v2
	v_cmp_le_i32_e64 s4, v22, v2
	v_mad_co_u64_u32 v[9:10], null, s19, v22, v[0:1]
	v_mov_b32_e32 v7, v3
	s_and_b32 s7, vcc_lo, s2
	v_cmp_le_i32_e32 vcc_lo, v11, v4
	v_cmp_gt_i32_e64 s3, s3, v4
	v_cmp_le_i32_e64 s5, v22, v4
	v_lshlrev_b64_e32 v[6:7], 2, v[6:7]
	v_lshlrev_b64_e32 v[8:9], 2, v[8:9]
	v_ashrrev_i32_e32 v3, 31, v2
	v_ashrrev_i32_e32 v5, 31, v4
	s_and_b32 s10, s30, s29
	s_and_b32 s11, vcc_lo, s3
	s_and_b32 s4, s4, s2
	s_and_b32 s5, s5, s3
	s_branch .LBB176_6
.LBB176_5:                              ;   in Loop: Header=BB176_6 Depth=1
	s_wait_alu 0xfffe
	s_or_b32 exec_lo, exec_lo, s2
	s_add_co_i32 s24, s24, 0x10000
	s_delay_alu instid0(SALU_CYCLE_1)
	s_cmp_lt_u32 s24, s28
	s_cbranch_scc0 .LBB176_35
.LBB176_6:                              ; =>This Loop Header: Depth=1
                                        ;     Child Loop BB176_9 Depth 2
	v_dual_mov_b32 v11, v1 :: v_dual_mov_b32 v10, v1
	v_dual_mov_b32 v23, v1 :: v_dual_mov_b32 v22, v1
	s_wait_alu 0xfffe
	s_and_not1_b32 vcc_lo, exec_lo, s10
	s_wait_alu 0xfffe
	s_cbranch_vccnz .LBB176_15
; %bb.7:                                ;   in Loop: Header=BB176_6 Depth=1
	s_mul_u64 s[2:3], s[8:9], s[24:25]
	s_mul_u64 s[18:19], s[14:15], s[24:25]
	s_wait_alu 0xfffe
	s_lshl_b64 s[2:3], s[2:3], 2
	v_dual_mov_b32 v22, 0 :: v_dual_mov_b32 v23, 0
	s_wait_alu 0xfffe
	v_add_co_u32 v24, vcc_lo, v16, s2
	s_wait_alu 0xfffd
	v_add_co_ci_u32_e64 v25, null, s3, v17, vcc_lo
	s_lshl_b64 s[2:3], s[18:19], 2
	v_dual_mov_b32 v10, 0 :: v_dual_mov_b32 v11, 0
	s_wait_alu 0xfffe
	v_add_co_u32 v26, vcc_lo, v18, s2
	s_wait_alu 0xfffd
	v_add_co_ci_u32_e64 v27, null, s3, v19, vcc_lo
	s_mov_b64 s[2:3], 0
	s_branch .LBB176_9
.LBB176_8:                              ;   in Loop: Header=BB176_9 Depth=2
	s_wait_alu 0xfffe
	s_or_b32 exec_lo, exec_lo, s18
	s_wait_loadcnt 0x0
	ds_store_b32 v15, v29
	s_wait_dscnt 0x0
	s_barrier_signal -1
	s_barrier_wait -1
	global_inv scope:SCOPE_SE
	ds_load_b128 v[28:31], v21
	ds_load_2addr_b32 v[44:45], v20 offset1:16
	ds_load_b128 v[32:35], v21 offset:512
	ds_load_2addr_b32 v[46:47], v20 offset0:32 offset1:48
	ds_load_2addr_b32 v[48:49], v20 offset0:64 offset1:80
	;; [unrolled: 1-line block ×3, first 2 shown]
	ds_load_b128 v[36:39], v21 offset:16
	ds_load_2addr_b32 v[52:53], v20 offset0:128 offset1:144
	ds_load_b128 v[40:43], v21 offset:528
	ds_load_2addr_b32 v[54:55], v20 offset0:160 offset1:176
	s_add_nc_u64 s[2:3], s[2:3], 8
	s_wait_alu 0xfffe
	v_cmp_gt_i64_e64 s18, s[20:21], s[2:3]
	s_and_b32 vcc_lo, exec_lo, s18
	s_wait_dscnt 0x8
	v_fmac_f32_e32 v10, v45, v28
	v_fmac_f32_e32 v11, v44, v28
	s_wait_dscnt 0x7
	v_fmac_f32_e32 v22, v45, v32
	v_fmac_f32_e32 v23, v44, v32
	ds_load_2addr_b32 v[44:45], v20 offset0:192 offset1:208
	s_wait_dscnt 0x7
	v_fmac_f32_e32 v10, v47, v29
	v_fmac_f32_e32 v11, v46, v29
	;; [unrolled: 1-line block ×4, first 2 shown]
	ds_load_2addr_b32 v[28:29], v20 offset0:224 offset1:240
	s_wait_dscnt 0x7
	v_fmac_f32_e32 v10, v49, v30
	v_fmac_f32_e32 v11, v48, v30
	;; [unrolled: 1-line block ×4, first 2 shown]
	s_wait_loadcnt_dscnt 0x0
	v_fmac_f32_e32 v10, v51, v31
	v_fmac_f32_e32 v11, v50, v31
	;; [unrolled: 1-line block ×4, first 2 shown]
	s_barrier_signal -1
	v_fmac_f32_e32 v10, v53, v36
	v_fmac_f32_e32 v11, v52, v36
	;; [unrolled: 1-line block ×4, first 2 shown]
	s_barrier_wait -1
	v_fmac_f32_e32 v10, v55, v37
	v_fmac_f32_e32 v11, v54, v37
	;; [unrolled: 1-line block ×4, first 2 shown]
	global_inv scope:SCOPE_SE
	v_fmac_f32_e32 v10, v45, v38
	v_fmac_f32_e32 v11, v44, v38
	;; [unrolled: 1-line block ×3, first 2 shown]
	s_delay_alu instid0(VALU_DEP_3) | instskip(NEXT) | instid1(VALU_DEP_3)
	v_dual_fmac_f32 v23, v44, v42 :: v_dual_fmac_f32 v10, v29, v39
	v_fmac_f32_e32 v11, v28, v39
	s_delay_alu instid0(VALU_DEP_3) | instskip(NEXT) | instid1(VALU_DEP_3)
	v_fmac_f32_e32 v22, v29, v43
	v_fmac_f32_e32 v23, v28, v43
	s_wait_alu 0xfffe
	s_cbranch_vccz .LBB176_15
.LBB176_9:                              ;   Parent Loop BB176_6 Depth=1
                                        ; =>  This Inner Loop Header: Depth=2
	v_mov_b32_e32 v28, 0
	s_and_saveexec_b32 s18, s0
	s_cbranch_execz .LBB176_13
; %bb.10:                               ;   in Loop: Header=BB176_9 Depth=2
	s_wait_alu 0xfffe
	v_add_nc_u32_e32 v0, s2, v13
	v_mov_b32_e32 v28, 0
	s_mov_b32 s19, exec_lo
	s_delay_alu instid0(VALU_DEP_2)
	v_cmpx_gt_u64_e64 s[20:21], v[0:1]
	s_cbranch_execz .LBB176_12
; %bb.11:                               ;   in Loop: Header=BB176_9 Depth=2
	v_lshlrev_b64_e32 v[28:29], 2, v[0:1]
	s_delay_alu instid0(VALU_DEP_1) | instskip(SKIP_1) | instid1(VALU_DEP_2)
	v_add_co_u32 v28, vcc_lo, v24, v28
	s_wait_alu 0xfffd
	v_add_co_ci_u32_e64 v29, null, v25, v29, vcc_lo
	global_load_b32 v28, v[28:29], off
.LBB176_12:                             ;   in Loop: Header=BB176_9 Depth=2
	s_wait_alu 0xfffe
	s_or_b32 exec_lo, exec_lo, s19
.LBB176_13:                             ;   in Loop: Header=BB176_9 Depth=2
	s_wait_alu 0xfffe
	s_or_b32 exec_lo, exec_lo, s18
	v_dual_mov_b32 v29, 0 :: v_dual_add_nc_u32 v0, s2, v12
	s_wait_loadcnt 0x0
	ds_store_b32 v14, v28
	v_cmp_gt_u64_e32 vcc_lo, s[20:21], v[0:1]
	s_and_b32 s19, vcc_lo, s1
	s_wait_alu 0xfffe
	s_and_saveexec_b32 s18, s19
	s_cbranch_execz .LBB176_8
; %bb.14:                               ;   in Loop: Header=BB176_9 Depth=2
	v_mad_co_u64_u32 v[28:29], null, s12, v0, 0
	s_delay_alu instid0(VALU_DEP_1) | instskip(NEXT) | instid1(VALU_DEP_1)
	v_mad_co_u64_u32 v[29:30], null, s13, v0, v[29:30]
	v_lshlrev_b64_e32 v[28:29], 2, v[28:29]
	s_delay_alu instid0(VALU_DEP_1) | instskip(SKIP_1) | instid1(VALU_DEP_2)
	v_add_co_u32 v28, vcc_lo, v26, v28
	s_wait_alu 0xfffd
	v_add_co_ci_u32_e64 v29, null, v27, v29, vcc_lo
	global_load_b32 v29, v[28:29], off
	s_branch .LBB176_8
.LBB176_15:                             ;   in Loop: Header=BB176_6 Depth=1
	s_mul_u64 s[2:3], s[26:27], s[24:25]
	s_wait_alu 0xfffe
	s_lshl_b64 s[2:3], s[2:3], 2
	s_wait_alu 0xfffe
	s_add_nc_u64 s[2:3], s[16:17], s[2:3]
	s_wait_alu 0xfffe
	v_add_co_u32 v0, vcc_lo, s2, v6
	s_wait_alu 0xfffd
	v_add_co_ci_u32_e64 v24, null, s3, v7, vcc_lo
	s_and_saveexec_b32 s18, s7
	s_cbranch_execz .LBB176_19
; %bb.16:                               ;   in Loop: Header=BB176_6 Depth=1
	v_mul_f32_e32 v11, s22, v11
	s_and_b32 vcc_lo, exec_lo, s6
	s_wait_alu 0xfffe
	s_cbranch_vccz .LBB176_30
; %bb.17:                               ;   in Loop: Header=BB176_6 Depth=1
	v_lshlrev_b64_e32 v[25:26], 2, v[2:3]
	s_delay_alu instid0(VALU_DEP_1) | instskip(SKIP_1) | instid1(VALU_DEP_2)
	v_add_co_u32 v25, vcc_lo, v0, v25
	s_wait_alu 0xfffd
	v_add_co_ci_u32_e64 v26, null, v24, v26, vcc_lo
	global_load_b32 v27, v[25:26], off
	s_wait_loadcnt 0x0
	v_fma_f32 v27, s23, v27, v11
	global_store_b32 v[25:26], v27, off
	s_cbranch_execnz .LBB176_19
.LBB176_18:                             ;   in Loop: Header=BB176_6 Depth=1
	v_lshlrev_b64_e32 v[25:26], 2, v[2:3]
	s_delay_alu instid0(VALU_DEP_1) | instskip(SKIP_1) | instid1(VALU_DEP_2)
	v_add_co_u32 v25, vcc_lo, v0, v25
	s_wait_alu 0xfffd
	v_add_co_ci_u32_e64 v26, null, v24, v26, vcc_lo
	global_store_b32 v[25:26], v11, off
.LBB176_19:                             ;   in Loop: Header=BB176_6 Depth=1
	s_wait_alu 0xfffe
	s_or_b32 exec_lo, exec_lo, s18
	s_and_saveexec_b32 s18, s11
	s_cbranch_execz .LBB176_23
; %bb.20:                               ;   in Loop: Header=BB176_6 Depth=1
	v_mul_f32_e32 v10, s22, v10
	s_and_not1_b32 vcc_lo, exec_lo, s6
	s_wait_alu 0xfffe
	s_cbranch_vccnz .LBB176_31
; %bb.21:                               ;   in Loop: Header=BB176_6 Depth=1
	v_lshlrev_b64_e32 v[25:26], 2, v[4:5]
	s_delay_alu instid0(VALU_DEP_1) | instskip(SKIP_1) | instid1(VALU_DEP_2)
	v_add_co_u32 v25, vcc_lo, v0, v25
	s_wait_alu 0xfffd
	v_add_co_ci_u32_e64 v26, null, v24, v26, vcc_lo
	global_load_b32 v11, v[25:26], off
	s_wait_loadcnt 0x0
	v_fma_f32 v11, s23, v11, v10
	global_store_b32 v[25:26], v11, off
	s_cbranch_execnz .LBB176_23
.LBB176_22:                             ;   in Loop: Header=BB176_6 Depth=1
	v_lshlrev_b64_e32 v[25:26], 2, v[4:5]
	s_delay_alu instid0(VALU_DEP_1) | instskip(SKIP_1) | instid1(VALU_DEP_2)
	v_add_co_u32 v25, vcc_lo, v0, v25
	s_wait_alu 0xfffd
	v_add_co_ci_u32_e64 v26, null, v24, v26, vcc_lo
	global_store_b32 v[25:26], v10, off
.LBB176_23:                             ;   in Loop: Header=BB176_6 Depth=1
	s_wait_alu 0xfffe
	s_or_b32 exec_lo, exec_lo, s18
	v_add_co_u32 v0, vcc_lo, s2, v8
	s_wait_alu 0xfffd
	v_add_co_ci_u32_e64 v24, null, s3, v9, vcc_lo
	s_and_saveexec_b32 s2, s4
	s_cbranch_execz .LBB176_27
; %bb.24:                               ;   in Loop: Header=BB176_6 Depth=1
	v_lshlrev_b64_e32 v[10:11], 2, v[2:3]
	v_mul_f32_e32 v23, s22, v23
	s_and_not1_b32 vcc_lo, exec_lo, s6
	s_wait_alu 0xfffe
	s_cbranch_vccnz .LBB176_32
; %bb.25:                               ;   in Loop: Header=BB176_6 Depth=1
	s_delay_alu instid0(VALU_DEP_2)
	v_add_co_u32 v25, vcc_lo, v0, v10
	s_wait_alu 0xfffd
	v_add_co_ci_u32_e64 v26, null, v24, v11, vcc_lo
	global_load_b32 v27, v[25:26], off
	s_wait_loadcnt 0x0
	v_fma_f32 v27, s23, v27, v23
	global_store_b32 v[25:26], v27, off
	s_cbranch_execnz .LBB176_27
.LBB176_26:                             ;   in Loop: Header=BB176_6 Depth=1
	v_add_co_u32 v10, vcc_lo, v0, v10
	s_wait_alu 0xfffd
	v_add_co_ci_u32_e64 v11, null, v24, v11, vcc_lo
	global_store_b32 v[10:11], v23, off
.LBB176_27:                             ;   in Loop: Header=BB176_6 Depth=1
	s_wait_alu 0xfffe
	s_or_b32 exec_lo, exec_lo, s2
	s_and_saveexec_b32 s2, s5
	s_cbranch_execz .LBB176_5
; %bb.28:                               ;   in Loop: Header=BB176_6 Depth=1
	v_lshlrev_b64_e32 v[10:11], 2, v[4:5]
	v_mul_f32_e32 v22, s22, v22
	s_and_not1_b32 vcc_lo, exec_lo, s6
	s_wait_alu 0xfffe
	s_cbranch_vccnz .LBB176_33
; %bb.29:                               ;   in Loop: Header=BB176_6 Depth=1
	s_delay_alu instid0(VALU_DEP_2)
	v_add_co_u32 v25, vcc_lo, v0, v10
	s_wait_alu 0xfffd
	v_add_co_ci_u32_e64 v26, null, v24, v11, vcc_lo
	global_load_b32 v23, v[25:26], off
	s_wait_loadcnt 0x0
	v_fma_f32 v23, s23, v23, v22
	global_store_b32 v[25:26], v23, off
	s_cbranch_execnz .LBB176_5
	s_branch .LBB176_34
.LBB176_30:                             ;   in Loop: Header=BB176_6 Depth=1
	s_branch .LBB176_18
.LBB176_31:                             ;   in Loop: Header=BB176_6 Depth=1
	s_branch .LBB176_22
.LBB176_32:                             ;   in Loop: Header=BB176_6 Depth=1
	s_branch .LBB176_26
.LBB176_33:                             ;   in Loop: Header=BB176_6 Depth=1
.LBB176_34:                             ;   in Loop: Header=BB176_6 Depth=1
	s_delay_alu instid0(VALU_DEP_2)
	v_add_co_u32 v10, vcc_lo, v0, v10
	s_wait_alu 0xfffd
	v_add_co_ci_u32_e64 v11, null, v24, v11, vcc_lo
	global_store_b32 v[10:11], v22, off
	s_branch .LBB176_5
.LBB176_35:
	s_endpgm
	.section	.rodata,"a",@progbits
	.p2align	6, 0x0
	.amdhsa_kernel _ZL29rocblas_internal_gemmt_kernelIlLi16ELi32ELi8ELc84ELc67ELc76ELb0ELb0EffPKfPfEviT_T9_T10_S3_lS5_S3_lS4_T11_S3_li
		.amdhsa_group_segment_fixed_size 2048
		.amdhsa_private_segment_fixed_size 0
		.amdhsa_kernarg_size 108
		.amdhsa_user_sgpr_count 2
		.amdhsa_user_sgpr_dispatch_ptr 0
		.amdhsa_user_sgpr_queue_ptr 0
		.amdhsa_user_sgpr_kernarg_segment_ptr 1
		.amdhsa_user_sgpr_dispatch_id 0
		.amdhsa_user_sgpr_private_segment_size 0
		.amdhsa_wavefront_size32 1
		.amdhsa_uses_dynamic_stack 0
		.amdhsa_enable_private_segment 0
		.amdhsa_system_sgpr_workgroup_id_x 1
		.amdhsa_system_sgpr_workgroup_id_y 1
		.amdhsa_system_sgpr_workgroup_id_z 1
		.amdhsa_system_sgpr_workgroup_info 0
		.amdhsa_system_vgpr_workitem_id 1
		.amdhsa_next_free_vgpr 56
		.amdhsa_next_free_sgpr 31
		.amdhsa_reserve_vcc 1
		.amdhsa_float_round_mode_32 0
		.amdhsa_float_round_mode_16_64 0
		.amdhsa_float_denorm_mode_32 3
		.amdhsa_float_denorm_mode_16_64 3
		.amdhsa_fp16_overflow 0
		.amdhsa_workgroup_processor_mode 1
		.amdhsa_memory_ordered 1
		.amdhsa_forward_progress 1
		.amdhsa_inst_pref_size 15
		.amdhsa_round_robin_scheduling 0
		.amdhsa_exception_fp_ieee_invalid_op 0
		.amdhsa_exception_fp_denorm_src 0
		.amdhsa_exception_fp_ieee_div_zero 0
		.amdhsa_exception_fp_ieee_overflow 0
		.amdhsa_exception_fp_ieee_underflow 0
		.amdhsa_exception_fp_ieee_inexact 0
		.amdhsa_exception_int_div_zero 0
	.end_amdhsa_kernel
	.section	.text._ZL29rocblas_internal_gemmt_kernelIlLi16ELi32ELi8ELc84ELc67ELc76ELb0ELb0EffPKfPfEviT_T9_T10_S3_lS5_S3_lS4_T11_S3_li,"axG",@progbits,_ZL29rocblas_internal_gemmt_kernelIlLi16ELi32ELi8ELc84ELc67ELc76ELb0ELb0EffPKfPfEviT_T9_T10_S3_lS5_S3_lS4_T11_S3_li,comdat
.Lfunc_end176:
	.size	_ZL29rocblas_internal_gemmt_kernelIlLi16ELi32ELi8ELc84ELc67ELc76ELb0ELb0EffPKfPfEviT_T9_T10_S3_lS5_S3_lS4_T11_S3_li, .Lfunc_end176-_ZL29rocblas_internal_gemmt_kernelIlLi16ELi32ELi8ELc84ELc67ELc76ELb0ELb0EffPKfPfEviT_T9_T10_S3_lS5_S3_lS4_T11_S3_li
                                        ; -- End function
	.set _ZL29rocblas_internal_gemmt_kernelIlLi16ELi32ELi8ELc84ELc67ELc76ELb0ELb0EffPKfPfEviT_T9_T10_S3_lS5_S3_lS4_T11_S3_li.num_vgpr, 56
	.set _ZL29rocblas_internal_gemmt_kernelIlLi16ELi32ELi8ELc84ELc67ELc76ELb0ELb0EffPKfPfEviT_T9_T10_S3_lS5_S3_lS4_T11_S3_li.num_agpr, 0
	.set _ZL29rocblas_internal_gemmt_kernelIlLi16ELi32ELi8ELc84ELc67ELc76ELb0ELb0EffPKfPfEviT_T9_T10_S3_lS5_S3_lS4_T11_S3_li.numbered_sgpr, 31
	.set _ZL29rocblas_internal_gemmt_kernelIlLi16ELi32ELi8ELc84ELc67ELc76ELb0ELb0EffPKfPfEviT_T9_T10_S3_lS5_S3_lS4_T11_S3_li.num_named_barrier, 0
	.set _ZL29rocblas_internal_gemmt_kernelIlLi16ELi32ELi8ELc84ELc67ELc76ELb0ELb0EffPKfPfEviT_T9_T10_S3_lS5_S3_lS4_T11_S3_li.private_seg_size, 0
	.set _ZL29rocblas_internal_gemmt_kernelIlLi16ELi32ELi8ELc84ELc67ELc76ELb0ELb0EffPKfPfEviT_T9_T10_S3_lS5_S3_lS4_T11_S3_li.uses_vcc, 1
	.set _ZL29rocblas_internal_gemmt_kernelIlLi16ELi32ELi8ELc84ELc67ELc76ELb0ELb0EffPKfPfEviT_T9_T10_S3_lS5_S3_lS4_T11_S3_li.uses_flat_scratch, 0
	.set _ZL29rocblas_internal_gemmt_kernelIlLi16ELi32ELi8ELc84ELc67ELc76ELb0ELb0EffPKfPfEviT_T9_T10_S3_lS5_S3_lS4_T11_S3_li.has_dyn_sized_stack, 0
	.set _ZL29rocblas_internal_gemmt_kernelIlLi16ELi32ELi8ELc84ELc67ELc76ELb0ELb0EffPKfPfEviT_T9_T10_S3_lS5_S3_lS4_T11_S3_li.has_recursion, 0
	.set _ZL29rocblas_internal_gemmt_kernelIlLi16ELi32ELi8ELc84ELc67ELc76ELb0ELb0EffPKfPfEviT_T9_T10_S3_lS5_S3_lS4_T11_S3_li.has_indirect_call, 0
	.section	.AMDGPU.csdata,"",@progbits
; Kernel info:
; codeLenInByte = 1872
; TotalNumSgprs: 33
; NumVgprs: 56
; ScratchSize: 0
; MemoryBound: 0
; FloatMode: 240
; IeeeMode: 1
; LDSByteSize: 2048 bytes/workgroup (compile time only)
; SGPRBlocks: 0
; VGPRBlocks: 6
; NumSGPRsForWavesPerEU: 33
; NumVGPRsForWavesPerEU: 56
; Occupancy: 16
; WaveLimiterHint : 0
; COMPUTE_PGM_RSRC2:SCRATCH_EN: 0
; COMPUTE_PGM_RSRC2:USER_SGPR: 2
; COMPUTE_PGM_RSRC2:TRAP_HANDLER: 0
; COMPUTE_PGM_RSRC2:TGID_X_EN: 1
; COMPUTE_PGM_RSRC2:TGID_Y_EN: 1
; COMPUTE_PGM_RSRC2:TGID_Z_EN: 1
; COMPUTE_PGM_RSRC2:TIDIG_COMP_CNT: 1
	.section	.text._ZL29rocblas_internal_gemmt_kernelIlLi16ELi32ELi8ELc67ELc78ELc76ELb0ELb0EffPKfPfEviT_T9_T10_S3_lS5_S3_lS4_T11_S3_li,"axG",@progbits,_ZL29rocblas_internal_gemmt_kernelIlLi16ELi32ELi8ELc67ELc78ELc76ELb0ELb0EffPKfPfEviT_T9_T10_S3_lS5_S3_lS4_T11_S3_li,comdat
	.globl	_ZL29rocblas_internal_gemmt_kernelIlLi16ELi32ELi8ELc67ELc78ELc76ELb0ELb0EffPKfPfEviT_T9_T10_S3_lS5_S3_lS4_T11_S3_li ; -- Begin function _ZL29rocblas_internal_gemmt_kernelIlLi16ELi32ELi8ELc67ELc78ELc76ELb0ELb0EffPKfPfEviT_T9_T10_S3_lS5_S3_lS4_T11_S3_li
	.p2align	8
	.type	_ZL29rocblas_internal_gemmt_kernelIlLi16ELi32ELi8ELc67ELc78ELc76ELb0ELb0EffPKfPfEviT_T9_T10_S3_lS5_S3_lS4_T11_S3_li,@function
_ZL29rocblas_internal_gemmt_kernelIlLi16ELi32ELi8ELc67ELc78ELc76ELb0ELb0EffPKfPfEviT_T9_T10_S3_lS5_S3_lS4_T11_S3_li: ; @_ZL29rocblas_internal_gemmt_kernelIlLi16ELi32ELi8ELc67ELc78ELc76ELb0ELb0EffPKfPfEviT_T9_T10_S3_lS5_S3_lS4_T11_S3_li
; %bb.0:
	s_clause 0x1
	s_load_b32 s23, s[0:1], 0x48
	s_load_b96 s[20:22], s[0:1], 0x8
	s_wait_kmcnt 0x0
	s_cmp_neq_f32 s23, 1.0
	s_cselect_b32 s2, -1, 0
	s_delay_alu instid0(SALU_CYCLE_1)
	s_and_b32 vcc_lo, exec_lo, s2
	s_cbranch_vccnz .LBB177_2
; %bb.1:
	s_cmp_lg_u64 s[20:21], 0
	s_cselect_b32 s2, -1, 0
	s_cmp_neq_f32 s22, 0
	s_cselect_b32 s3, -1, 0
	s_delay_alu instid0(SALU_CYCLE_1)
	s_and_b32 s2, s2, s3
.LBB177_2:
	s_delay_alu instid0(SALU_CYCLE_1)
	s_and_not1_b32 vcc_lo, exec_lo, s2
	s_cbranch_vccnz .LBB177_35
; %bb.3:
	s_load_b32 s28, s[0:1], 0x68
	s_lshr_b32 s24, ttmp7, 16
	s_wait_kmcnt 0x0
	s_cmp_ge_u32 s24, s28
	s_cbranch_scc1 .LBB177_35
; %bb.4:
	v_and_b32_e32 v10, 0x3ff, v0
	v_bfe_u32 v11, v0, 10, 10
	s_clause 0x4
	s_load_b256 s[4:11], s[0:1], 0x18
	s_load_b32 s3, s[0:1], 0x0
	s_load_b128 s[16:19], s[0:1], 0x50
	s_load_b128 s[12:15], s[0:1], 0x38
	s_load_b64 s[26:27], s[0:1], 0x60
	s_lshl_b32 s2, ttmp7, 5
	v_lshl_add_u32 v4, v11, 4, v10
	s_and_b32 s0, s2, 0x1fffe0
	s_lshl_b32 s2, ttmp9, 5
	s_cmp_neq_f32 s22, 0
	v_add_nc_u32_e32 v22, s0, v11
	v_and_b32_e32 v8, 31, v4
	v_lshrrev_b32_e32 v6, 3, v4
	v_and_b32_e32 v12, 7, v0
	v_lshrrev_b32_e32 v13, 5, v4
	v_add_nc_u32_e32 v23, 16, v22
	v_or_b32_e32 v9, s2, v8
	v_add_nc_u32_e32 v7, s0, v6
	v_lshlrev_b32_e32 v14, 2, v12
	v_cmp_gt_i64_e64 s29, s[20:21], 0
	v_lshl_add_u32 v21, v11, 5, 0x400
	s_wait_kmcnt 0x0
	v_mul_lo_u32 v15, s7, v9
	v_mad_co_u64_u32 v[2:3], null, s6, v9, 0
	v_mad_co_u64_u32 v[0:1], null, s12, v7, 0
	s_cselect_b32 s12, -1, 0
	s_ashr_i32 s0, s2, 31
	v_cmp_gt_i32_e64 s1, s3, v7
	s_wait_alu 0xfffe
	s_mul_i32 s0, s6, s0
	s_cmp_neq_f32 s23, 0
	s_wait_alu 0xfffe
	v_add3_u32 v3, v3, s0, v15
	v_mad_co_u64_u32 v[4:5], null, s13, v7, v[1:2]
	v_lshlrev_b32_e32 v1, 2, v8
	v_cmp_gt_i32_e64 s0, s3, v9
	s_delay_alu instid0(VALU_DEP_4)
	v_lshlrev_b64_e32 v[2:3], 2, v[2:3]
	v_mad_co_u64_u32 v[8:9], null, s18, v23, 0
	v_lshl_or_b32 v5, v6, 5, v14
	v_lshl_or_b32 v14, v13, 7, v1
	v_mov_b32_e32 v1, v4
	v_add_co_u32 v16, vcc_lo, s4, v2
	s_delay_alu instid0(VALU_DEP_1)
	v_add_co_ci_u32_e64 v17, null, s5, v3, vcc_lo
	v_mov_b32_e32 v3, v9
	v_add_nc_u32_e32 v15, 0x400, v5
	v_lshlrev_b64_e32 v[0:1], 2, v[0:1]
	s_cselect_b32 s6, -1, 0
	v_lshlrev_b32_e32 v20, 2, v10
	v_mad_co_u64_u32 v[4:5], null, s19, v23, v[3:4]
	v_mov_b32_e32 v5, 0
	s_delay_alu instid0(VALU_DEP_4) | instskip(SKIP_2) | instid1(VALU_DEP_4)
	v_add_co_u32 v18, vcc_lo, s10, v0
	s_wait_alu 0xfffd
	v_add_co_ci_u32_e64 v19, null, s11, v1, vcc_lo
	v_dual_mov_b32 v9, v4 :: v_dual_add_nc_u32 v0, s2, v10
	v_mad_co_u64_u32 v[6:7], null, s18, v22, 0
	s_mov_b32 s25, 0
	v_cmp_le_i32_e32 vcc_lo, v22, v0
	v_cmp_gt_i32_e64 s2, s3, v0
	v_cmp_le_i32_e64 s4, v23, v0
	v_lshlrev_b64_e32 v[8:9], 2, v[8:9]
	s_and_b32 s10, s12, s29
	v_mov_b32_e32 v1, v7
	s_and_b32 s7, vcc_lo, s2
	s_and_b32 s4, s4, s2
	s_delay_alu instid0(VALU_DEP_1) | instskip(SKIP_1) | instid1(VALU_DEP_1)
	v_mad_co_u64_u32 v[1:2], null, s19, v22, v[1:2]
	v_add_nc_u32_e32 v2, 16, v0
	v_cmp_le_i32_e32 vcc_lo, v22, v2
	s_delay_alu instid0(VALU_DEP_3)
	v_mov_b32_e32 v7, v1
	v_cmp_gt_i32_e64 s3, s3, v2
	v_cmp_le_i32_e64 s5, v23, v2
	v_ashrrev_i32_e32 v1, 31, v0
	v_ashrrev_i32_e32 v3, 31, v2
	v_lshlrev_b64_e32 v[6:7], 2, v[6:7]
	s_and_b32 s11, vcc_lo, s3
	s_and_b32 s5, s5, s3
	s_branch .LBB177_6
.LBB177_5:                              ;   in Loop: Header=BB177_6 Depth=1
	s_wait_alu 0xfffe
	s_or_b32 exec_lo, exec_lo, s2
	s_add_co_i32 s24, s24, 0x10000
	s_delay_alu instid0(SALU_CYCLE_1)
	s_cmp_lt_u32 s24, s28
	s_cbranch_scc0 .LBB177_35
.LBB177_6:                              ; =>This Loop Header: Depth=1
                                        ;     Child Loop BB177_9 Depth 2
	v_dual_mov_b32 v11, v5 :: v_dual_mov_b32 v10, v5
	v_dual_mov_b32 v23, v5 :: v_dual_mov_b32 v22, v5
	s_wait_alu 0xfffe
	s_and_not1_b32 vcc_lo, exec_lo, s10
	s_wait_alu 0xfffe
	s_cbranch_vccnz .LBB177_15
; %bb.7:                                ;   in Loop: Header=BB177_6 Depth=1
	s_mul_u64 s[2:3], s[8:9], s[24:25]
	s_mul_u64 s[12:13], s[14:15], s[24:25]
	s_wait_alu 0xfffe
	s_lshl_b64 s[2:3], s[2:3], 2
	v_dual_mov_b32 v22, 0 :: v_dual_mov_b32 v23, 0
	s_wait_alu 0xfffe
	v_add_co_u32 v24, vcc_lo, v16, s2
	s_wait_alu 0xfffd
	v_add_co_ci_u32_e64 v25, null, s3, v17, vcc_lo
	s_lshl_b64 s[2:3], s[12:13], 2
	v_dual_mov_b32 v10, 0 :: v_dual_mov_b32 v11, 0
	s_wait_alu 0xfffe
	v_add_co_u32 v26, vcc_lo, v18, s2
	s_wait_alu 0xfffd
	v_add_co_ci_u32_e64 v27, null, s3, v19, vcc_lo
	s_mov_b64 s[2:3], 0
	s_branch .LBB177_9
.LBB177_8:                              ;   in Loop: Header=BB177_9 Depth=2
	s_wait_alu 0xfffe
	s_or_b32 exec_lo, exec_lo, s12
	s_wait_loadcnt 0x0
	ds_store_b32 v15, v29
	s_wait_dscnt 0x0
	s_barrier_signal -1
	s_barrier_wait -1
	global_inv scope:SCOPE_SE
	ds_load_b128 v[28:31], v21
	ds_load_2addr_b32 v[44:45], v20 offset1:16
	ds_load_b128 v[32:35], v21 offset:512
	ds_load_2addr_b32 v[46:47], v20 offset0:32 offset1:48
	ds_load_2addr_b32 v[48:49], v20 offset0:64 offset1:80
	;; [unrolled: 1-line block ×3, first 2 shown]
	ds_load_b128 v[36:39], v21 offset:16
	ds_load_2addr_b32 v[52:53], v20 offset0:128 offset1:144
	ds_load_b128 v[40:43], v21 offset:528
	ds_load_2addr_b32 v[54:55], v20 offset0:160 offset1:176
	s_add_nc_u64 s[2:3], s[2:3], 8
	s_wait_alu 0xfffe
	v_cmp_gt_i64_e64 s12, s[20:21], s[2:3]
	s_and_b32 vcc_lo, exec_lo, s12
	s_wait_dscnt 0x8
	v_fmac_f32_e32 v10, v45, v28
	v_fmac_f32_e32 v11, v44, v28
	s_wait_dscnt 0x7
	v_fmac_f32_e32 v22, v45, v32
	v_fmac_f32_e32 v23, v44, v32
	ds_load_2addr_b32 v[44:45], v20 offset0:192 offset1:208
	s_wait_dscnt 0x7
	v_fmac_f32_e32 v10, v47, v29
	v_fmac_f32_e32 v11, v46, v29
	v_fmac_f32_e32 v22, v47, v33
	v_fmac_f32_e32 v23, v46, v33
	ds_load_2addr_b32 v[28:29], v20 offset0:224 offset1:240
	s_wait_dscnt 0x7
	v_fmac_f32_e32 v10, v49, v30
	v_fmac_f32_e32 v11, v48, v30
	;; [unrolled: 1-line block ×4, first 2 shown]
	s_wait_loadcnt_dscnt 0x0
	v_fmac_f32_e32 v10, v51, v31
	v_fmac_f32_e32 v11, v50, v31
	;; [unrolled: 1-line block ×4, first 2 shown]
	s_barrier_signal -1
	v_fmac_f32_e32 v10, v53, v36
	v_fmac_f32_e32 v11, v52, v36
	;; [unrolled: 1-line block ×4, first 2 shown]
	s_barrier_wait -1
	v_fmac_f32_e32 v10, v55, v37
	v_fmac_f32_e32 v11, v54, v37
	;; [unrolled: 1-line block ×4, first 2 shown]
	global_inv scope:SCOPE_SE
	v_fmac_f32_e32 v10, v45, v38
	v_fmac_f32_e32 v11, v44, v38
	;; [unrolled: 1-line block ×3, first 2 shown]
	s_delay_alu instid0(VALU_DEP_3) | instskip(NEXT) | instid1(VALU_DEP_3)
	v_dual_fmac_f32 v23, v44, v42 :: v_dual_fmac_f32 v10, v29, v39
	v_fmac_f32_e32 v11, v28, v39
	s_delay_alu instid0(VALU_DEP_3) | instskip(NEXT) | instid1(VALU_DEP_3)
	v_fmac_f32_e32 v22, v29, v43
	v_fmac_f32_e32 v23, v28, v43
	s_wait_alu 0xfffe
	s_cbranch_vccz .LBB177_15
.LBB177_9:                              ;   Parent Loop BB177_6 Depth=1
                                        ; =>  This Inner Loop Header: Depth=2
	v_mov_b32_e32 v28, 0
	s_and_saveexec_b32 s12, s0
	s_cbranch_execz .LBB177_13
; %bb.10:                               ;   in Loop: Header=BB177_9 Depth=2
	s_wait_alu 0xfffe
	v_add_nc_u32_e32 v4, s2, v13
	v_mov_b32_e32 v28, 0
	s_mov_b32 s13, exec_lo
	s_delay_alu instid0(VALU_DEP_2)
	v_cmpx_gt_u64_e64 s[20:21], v[4:5]
	s_cbranch_execz .LBB177_12
; %bb.11:                               ;   in Loop: Header=BB177_9 Depth=2
	v_lshlrev_b64_e32 v[28:29], 2, v[4:5]
	s_delay_alu instid0(VALU_DEP_1) | instskip(SKIP_1) | instid1(VALU_DEP_2)
	v_add_co_u32 v28, vcc_lo, v24, v28
	s_wait_alu 0xfffd
	v_add_co_ci_u32_e64 v29, null, v25, v29, vcc_lo
	global_load_b32 v28, v[28:29], off
.LBB177_12:                             ;   in Loop: Header=BB177_9 Depth=2
	s_wait_alu 0xfffe
	s_or_b32 exec_lo, exec_lo, s13
.LBB177_13:                             ;   in Loop: Header=BB177_9 Depth=2
	s_wait_alu 0xfffe
	s_or_b32 exec_lo, exec_lo, s12
	v_dual_mov_b32 v29, 0 :: v_dual_add_nc_u32 v4, s2, v12
	s_wait_loadcnt 0x0
	ds_store_b32 v14, v28
	v_cmp_gt_u64_e32 vcc_lo, s[20:21], v[4:5]
	s_and_b32 s13, vcc_lo, s1
	s_wait_alu 0xfffe
	s_and_saveexec_b32 s12, s13
	s_cbranch_execz .LBB177_8
; %bb.14:                               ;   in Loop: Header=BB177_9 Depth=2
	v_lshlrev_b64_e32 v[28:29], 2, v[4:5]
	s_delay_alu instid0(VALU_DEP_1) | instskip(SKIP_1) | instid1(VALU_DEP_2)
	v_add_co_u32 v28, vcc_lo, v26, v28
	s_wait_alu 0xfffd
	v_add_co_ci_u32_e64 v29, null, v27, v29, vcc_lo
	global_load_b32 v29, v[28:29], off
	s_branch .LBB177_8
.LBB177_15:                             ;   in Loop: Header=BB177_6 Depth=1
	s_mul_u64 s[2:3], s[26:27], s[24:25]
	s_wait_alu 0xfffe
	s_lshl_b64 s[2:3], s[2:3], 2
	s_wait_alu 0xfffe
	s_add_nc_u64 s[2:3], s[16:17], s[2:3]
	s_wait_alu 0xfffe
	v_add_co_u32 v4, vcc_lo, s2, v6
	s_wait_alu 0xfffd
	v_add_co_ci_u32_e64 v24, null, s3, v7, vcc_lo
	s_and_saveexec_b32 s12, s7
	s_cbranch_execz .LBB177_19
; %bb.16:                               ;   in Loop: Header=BB177_6 Depth=1
	v_mul_f32_e32 v11, s22, v11
	s_and_b32 vcc_lo, exec_lo, s6
	s_wait_alu 0xfffe
	s_cbranch_vccz .LBB177_30
; %bb.17:                               ;   in Loop: Header=BB177_6 Depth=1
	v_lshlrev_b64_e32 v[25:26], 2, v[0:1]
	s_delay_alu instid0(VALU_DEP_1) | instskip(SKIP_1) | instid1(VALU_DEP_2)
	v_add_co_u32 v25, vcc_lo, v4, v25
	s_wait_alu 0xfffd
	v_add_co_ci_u32_e64 v26, null, v24, v26, vcc_lo
	global_load_b32 v27, v[25:26], off
	s_wait_loadcnt 0x0
	v_fma_f32 v27, s23, v27, v11
	global_store_b32 v[25:26], v27, off
	s_cbranch_execnz .LBB177_19
.LBB177_18:                             ;   in Loop: Header=BB177_6 Depth=1
	v_lshlrev_b64_e32 v[25:26], 2, v[0:1]
	s_delay_alu instid0(VALU_DEP_1) | instskip(SKIP_1) | instid1(VALU_DEP_2)
	v_add_co_u32 v25, vcc_lo, v4, v25
	s_wait_alu 0xfffd
	v_add_co_ci_u32_e64 v26, null, v24, v26, vcc_lo
	global_store_b32 v[25:26], v11, off
.LBB177_19:                             ;   in Loop: Header=BB177_6 Depth=1
	s_wait_alu 0xfffe
	s_or_b32 exec_lo, exec_lo, s12
	s_and_saveexec_b32 s12, s11
	s_cbranch_execz .LBB177_23
; %bb.20:                               ;   in Loop: Header=BB177_6 Depth=1
	v_mul_f32_e32 v10, s22, v10
	s_and_not1_b32 vcc_lo, exec_lo, s6
	s_wait_alu 0xfffe
	s_cbranch_vccnz .LBB177_31
; %bb.21:                               ;   in Loop: Header=BB177_6 Depth=1
	v_lshlrev_b64_e32 v[25:26], 2, v[2:3]
	s_delay_alu instid0(VALU_DEP_1) | instskip(SKIP_1) | instid1(VALU_DEP_2)
	v_add_co_u32 v25, vcc_lo, v4, v25
	s_wait_alu 0xfffd
	v_add_co_ci_u32_e64 v26, null, v24, v26, vcc_lo
	global_load_b32 v11, v[25:26], off
	s_wait_loadcnt 0x0
	v_fma_f32 v11, s23, v11, v10
	global_store_b32 v[25:26], v11, off
	s_cbranch_execnz .LBB177_23
.LBB177_22:                             ;   in Loop: Header=BB177_6 Depth=1
	v_lshlrev_b64_e32 v[25:26], 2, v[2:3]
	s_delay_alu instid0(VALU_DEP_1) | instskip(SKIP_1) | instid1(VALU_DEP_2)
	v_add_co_u32 v25, vcc_lo, v4, v25
	s_wait_alu 0xfffd
	v_add_co_ci_u32_e64 v26, null, v24, v26, vcc_lo
	global_store_b32 v[25:26], v10, off
.LBB177_23:                             ;   in Loop: Header=BB177_6 Depth=1
	s_wait_alu 0xfffe
	s_or_b32 exec_lo, exec_lo, s12
	v_add_co_u32 v4, vcc_lo, s2, v8
	s_wait_alu 0xfffd
	v_add_co_ci_u32_e64 v24, null, s3, v9, vcc_lo
	s_and_saveexec_b32 s2, s4
	s_cbranch_execz .LBB177_27
; %bb.24:                               ;   in Loop: Header=BB177_6 Depth=1
	v_lshlrev_b64_e32 v[10:11], 2, v[0:1]
	v_mul_f32_e32 v23, s22, v23
	s_and_not1_b32 vcc_lo, exec_lo, s6
	s_wait_alu 0xfffe
	s_cbranch_vccnz .LBB177_32
; %bb.25:                               ;   in Loop: Header=BB177_6 Depth=1
	s_delay_alu instid0(VALU_DEP_2)
	v_add_co_u32 v25, vcc_lo, v4, v10
	s_wait_alu 0xfffd
	v_add_co_ci_u32_e64 v26, null, v24, v11, vcc_lo
	global_load_b32 v27, v[25:26], off
	s_wait_loadcnt 0x0
	v_fma_f32 v27, s23, v27, v23
	global_store_b32 v[25:26], v27, off
	s_cbranch_execnz .LBB177_27
.LBB177_26:                             ;   in Loop: Header=BB177_6 Depth=1
	v_add_co_u32 v10, vcc_lo, v4, v10
	s_wait_alu 0xfffd
	v_add_co_ci_u32_e64 v11, null, v24, v11, vcc_lo
	global_store_b32 v[10:11], v23, off
.LBB177_27:                             ;   in Loop: Header=BB177_6 Depth=1
	s_wait_alu 0xfffe
	s_or_b32 exec_lo, exec_lo, s2
	s_and_saveexec_b32 s2, s5
	s_cbranch_execz .LBB177_5
; %bb.28:                               ;   in Loop: Header=BB177_6 Depth=1
	v_lshlrev_b64_e32 v[10:11], 2, v[2:3]
	v_mul_f32_e32 v22, s22, v22
	s_and_not1_b32 vcc_lo, exec_lo, s6
	s_wait_alu 0xfffe
	s_cbranch_vccnz .LBB177_33
; %bb.29:                               ;   in Loop: Header=BB177_6 Depth=1
	s_delay_alu instid0(VALU_DEP_2)
	v_add_co_u32 v25, vcc_lo, v4, v10
	s_wait_alu 0xfffd
	v_add_co_ci_u32_e64 v26, null, v24, v11, vcc_lo
	global_load_b32 v23, v[25:26], off
	s_wait_loadcnt 0x0
	v_fma_f32 v23, s23, v23, v22
	global_store_b32 v[25:26], v23, off
	s_cbranch_execnz .LBB177_5
	s_branch .LBB177_34
.LBB177_30:                             ;   in Loop: Header=BB177_6 Depth=1
	s_branch .LBB177_18
.LBB177_31:                             ;   in Loop: Header=BB177_6 Depth=1
	s_branch .LBB177_22
.LBB177_32:                             ;   in Loop: Header=BB177_6 Depth=1
	s_branch .LBB177_26
.LBB177_33:                             ;   in Loop: Header=BB177_6 Depth=1
.LBB177_34:                             ;   in Loop: Header=BB177_6 Depth=1
	s_delay_alu instid0(VALU_DEP_2)
	v_add_co_u32 v10, vcc_lo, v4, v10
	s_wait_alu 0xfffd
	v_add_co_ci_u32_e64 v11, null, v24, v11, vcc_lo
	global_store_b32 v[10:11], v22, off
	s_branch .LBB177_5
.LBB177_35:
	s_endpgm
	.section	.rodata,"a",@progbits
	.p2align	6, 0x0
	.amdhsa_kernel _ZL29rocblas_internal_gemmt_kernelIlLi16ELi32ELi8ELc67ELc78ELc76ELb0ELb0EffPKfPfEviT_T9_T10_S3_lS5_S3_lS4_T11_S3_li
		.amdhsa_group_segment_fixed_size 2048
		.amdhsa_private_segment_fixed_size 0
		.amdhsa_kernarg_size 108
		.amdhsa_user_sgpr_count 2
		.amdhsa_user_sgpr_dispatch_ptr 0
		.amdhsa_user_sgpr_queue_ptr 0
		.amdhsa_user_sgpr_kernarg_segment_ptr 1
		.amdhsa_user_sgpr_dispatch_id 0
		.amdhsa_user_sgpr_private_segment_size 0
		.amdhsa_wavefront_size32 1
		.amdhsa_uses_dynamic_stack 0
		.amdhsa_enable_private_segment 0
		.amdhsa_system_sgpr_workgroup_id_x 1
		.amdhsa_system_sgpr_workgroup_id_y 1
		.amdhsa_system_sgpr_workgroup_id_z 1
		.amdhsa_system_sgpr_workgroup_info 0
		.amdhsa_system_vgpr_workitem_id 1
		.amdhsa_next_free_vgpr 56
		.amdhsa_next_free_sgpr 30
		.amdhsa_reserve_vcc 1
		.amdhsa_float_round_mode_32 0
		.amdhsa_float_round_mode_16_64 0
		.amdhsa_float_denorm_mode_32 3
		.amdhsa_float_denorm_mode_16_64 3
		.amdhsa_fp16_overflow 0
		.amdhsa_workgroup_processor_mode 1
		.amdhsa_memory_ordered 1
		.amdhsa_forward_progress 1
		.amdhsa_inst_pref_size 15
		.amdhsa_round_robin_scheduling 0
		.amdhsa_exception_fp_ieee_invalid_op 0
		.amdhsa_exception_fp_denorm_src 0
		.amdhsa_exception_fp_ieee_div_zero 0
		.amdhsa_exception_fp_ieee_overflow 0
		.amdhsa_exception_fp_ieee_underflow 0
		.amdhsa_exception_fp_ieee_inexact 0
		.amdhsa_exception_int_div_zero 0
	.end_amdhsa_kernel
	.section	.text._ZL29rocblas_internal_gemmt_kernelIlLi16ELi32ELi8ELc67ELc78ELc76ELb0ELb0EffPKfPfEviT_T9_T10_S3_lS5_S3_lS4_T11_S3_li,"axG",@progbits,_ZL29rocblas_internal_gemmt_kernelIlLi16ELi32ELi8ELc67ELc78ELc76ELb0ELb0EffPKfPfEviT_T9_T10_S3_lS5_S3_lS4_T11_S3_li,comdat
.Lfunc_end177:
	.size	_ZL29rocblas_internal_gemmt_kernelIlLi16ELi32ELi8ELc67ELc78ELc76ELb0ELb0EffPKfPfEviT_T9_T10_S3_lS5_S3_lS4_T11_S3_li, .Lfunc_end177-_ZL29rocblas_internal_gemmt_kernelIlLi16ELi32ELi8ELc67ELc78ELc76ELb0ELb0EffPKfPfEviT_T9_T10_S3_lS5_S3_lS4_T11_S3_li
                                        ; -- End function
	.set _ZL29rocblas_internal_gemmt_kernelIlLi16ELi32ELi8ELc67ELc78ELc76ELb0ELb0EffPKfPfEviT_T9_T10_S3_lS5_S3_lS4_T11_S3_li.num_vgpr, 56
	.set _ZL29rocblas_internal_gemmt_kernelIlLi16ELi32ELi8ELc67ELc78ELc76ELb0ELb0EffPKfPfEviT_T9_T10_S3_lS5_S3_lS4_T11_S3_li.num_agpr, 0
	.set _ZL29rocblas_internal_gemmt_kernelIlLi16ELi32ELi8ELc67ELc78ELc76ELb0ELb0EffPKfPfEviT_T9_T10_S3_lS5_S3_lS4_T11_S3_li.numbered_sgpr, 30
	.set _ZL29rocblas_internal_gemmt_kernelIlLi16ELi32ELi8ELc67ELc78ELc76ELb0ELb0EffPKfPfEviT_T9_T10_S3_lS5_S3_lS4_T11_S3_li.num_named_barrier, 0
	.set _ZL29rocblas_internal_gemmt_kernelIlLi16ELi32ELi8ELc67ELc78ELc76ELb0ELb0EffPKfPfEviT_T9_T10_S3_lS5_S3_lS4_T11_S3_li.private_seg_size, 0
	.set _ZL29rocblas_internal_gemmt_kernelIlLi16ELi32ELi8ELc67ELc78ELc76ELb0ELb0EffPKfPfEviT_T9_T10_S3_lS5_S3_lS4_T11_S3_li.uses_vcc, 1
	.set _ZL29rocblas_internal_gemmt_kernelIlLi16ELi32ELi8ELc67ELc78ELc76ELb0ELb0EffPKfPfEviT_T9_T10_S3_lS5_S3_lS4_T11_S3_li.uses_flat_scratch, 0
	.set _ZL29rocblas_internal_gemmt_kernelIlLi16ELi32ELi8ELc67ELc78ELc76ELb0ELb0EffPKfPfEviT_T9_T10_S3_lS5_S3_lS4_T11_S3_li.has_dyn_sized_stack, 0
	.set _ZL29rocblas_internal_gemmt_kernelIlLi16ELi32ELi8ELc67ELc78ELc76ELb0ELb0EffPKfPfEviT_T9_T10_S3_lS5_S3_lS4_T11_S3_li.has_recursion, 0
	.set _ZL29rocblas_internal_gemmt_kernelIlLi16ELi32ELi8ELc67ELc78ELc76ELb0ELb0EffPKfPfEviT_T9_T10_S3_lS5_S3_lS4_T11_S3_li.has_indirect_call, 0
	.section	.AMDGPU.csdata,"",@progbits
; Kernel info:
; codeLenInByte = 1888
; TotalNumSgprs: 32
; NumVgprs: 56
; ScratchSize: 0
; MemoryBound: 0
; FloatMode: 240
; IeeeMode: 1
; LDSByteSize: 2048 bytes/workgroup (compile time only)
; SGPRBlocks: 0
; VGPRBlocks: 6
; NumSGPRsForWavesPerEU: 32
; NumVGPRsForWavesPerEU: 56
; Occupancy: 16
; WaveLimiterHint : 0
; COMPUTE_PGM_RSRC2:SCRATCH_EN: 0
; COMPUTE_PGM_RSRC2:USER_SGPR: 2
; COMPUTE_PGM_RSRC2:TRAP_HANDLER: 0
; COMPUTE_PGM_RSRC2:TGID_X_EN: 1
; COMPUTE_PGM_RSRC2:TGID_Y_EN: 1
; COMPUTE_PGM_RSRC2:TGID_Z_EN: 1
; COMPUTE_PGM_RSRC2:TIDIG_COMP_CNT: 1
	.section	.text._ZL29rocblas_internal_gemmt_kernelIlLi16ELi32ELi8ELc67ELc84ELc76ELb0ELb0EffPKfPfEviT_T9_T10_S3_lS5_S3_lS4_T11_S3_li,"axG",@progbits,_ZL29rocblas_internal_gemmt_kernelIlLi16ELi32ELi8ELc67ELc84ELc76ELb0ELb0EffPKfPfEviT_T9_T10_S3_lS5_S3_lS4_T11_S3_li,comdat
	.globl	_ZL29rocblas_internal_gemmt_kernelIlLi16ELi32ELi8ELc67ELc84ELc76ELb0ELb0EffPKfPfEviT_T9_T10_S3_lS5_S3_lS4_T11_S3_li ; -- Begin function _ZL29rocblas_internal_gemmt_kernelIlLi16ELi32ELi8ELc67ELc84ELc76ELb0ELb0EffPKfPfEviT_T9_T10_S3_lS5_S3_lS4_T11_S3_li
	.p2align	8
	.type	_ZL29rocblas_internal_gemmt_kernelIlLi16ELi32ELi8ELc67ELc84ELc76ELb0ELb0EffPKfPfEviT_T9_T10_S3_lS5_S3_lS4_T11_S3_li,@function
_ZL29rocblas_internal_gemmt_kernelIlLi16ELi32ELi8ELc67ELc84ELc76ELb0ELb0EffPKfPfEviT_T9_T10_S3_lS5_S3_lS4_T11_S3_li: ; @_ZL29rocblas_internal_gemmt_kernelIlLi16ELi32ELi8ELc67ELc84ELc76ELb0ELb0EffPKfPfEviT_T9_T10_S3_lS5_S3_lS4_T11_S3_li
; %bb.0:
	s_clause 0x1
	s_load_b32 s23, s[0:1], 0x48
	s_load_b96 s[20:22], s[0:1], 0x8
	s_wait_kmcnt 0x0
	s_cmp_neq_f32 s23, 1.0
	s_cselect_b32 s2, -1, 0
	s_delay_alu instid0(SALU_CYCLE_1)
	s_and_b32 vcc_lo, exec_lo, s2
	s_cbranch_vccnz .LBB178_2
; %bb.1:
	s_cmp_lg_u64 s[20:21], 0
	s_cselect_b32 s2, -1, 0
	s_cmp_neq_f32 s22, 0
	s_cselect_b32 s3, -1, 0
	s_delay_alu instid0(SALU_CYCLE_1)
	s_and_b32 s2, s2, s3
.LBB178_2:
	s_delay_alu instid0(SALU_CYCLE_1)
	s_and_not1_b32 vcc_lo, exec_lo, s2
	s_cbranch_vccnz .LBB178_35
; %bb.3:
	s_load_b32 s28, s[0:1], 0x68
	s_lshr_b32 s24, ttmp7, 16
	s_wait_kmcnt 0x0
	s_cmp_ge_u32 s24, s28
	s_cbranch_scc1 .LBB178_35
; %bb.4:
	v_and_b32_e32 v2, 0x3ff, v0
	v_bfe_u32 v3, v0, 10, 10
	s_load_b256 s[4:11], s[0:1], 0x18
	s_lshl_b32 s2, ttmp9, 5
	s_clause 0x2
	s_load_b32 s3, s[0:1], 0x0
	s_load_b128 s[12:15], s[0:1], 0x38
	s_load_b128 s[16:19], s[0:1], 0x50
	v_lshl_add_u32 v4, v3, 4, v2
	s_load_b64 s[26:27], s[0:1], 0x60
	s_lshl_b32 s0, ttmp7, 5
	v_and_b32_e32 v12, 7, v0
	s_and_b32 s0, s0, 0x1fffe0
	v_and_b32_e32 v5, 31, v4
	s_cmp_neq_f32 s22, 0
	v_lshrrev_b32_e32 v9, 3, v4
	v_lshlrev_b32_e32 v8, 2, v12
	v_add_nc_u32_e32 v11, s0, v3
	v_or_b32_e32 v6, s2, v5
	s_cselect_b32 s30, -1, 0
	s_ashr_i32 s1, s2, 31
	v_lshrrev_b32_e32 v13, 5, v4
	v_lshlrev_b32_e32 v4, 2, v5
	v_add_nc_u32_e32 v5, s0, v9
	s_wait_kmcnt 0x0
	v_mul_lo_u32 v7, s7, v6
	v_mad_co_u64_u32 v[0:1], null, s6, v6, 0
	s_wait_alu 0xfffe
	s_mul_i32 s1, s6, s1
	v_cmp_gt_i32_e64 s0, s3, v6
	v_add_nc_u32_e32 v22, 16, v11
	v_lshl_or_b32 v14, v13, 7, v4
	v_lshl_add_u32 v21, v3, 5, 0x400
	s_cmp_neq_f32 s23, 0
	s_wait_alu 0xfffe
	v_add3_u32 v1, v1, s1, v7
	v_lshl_or_b32 v7, v9, 5, v8
	v_mad_co_u64_u32 v[8:9], null, s18, v22, 0
	v_cmp_gt_i64_e64 s29, s[20:21], 0
	s_delay_alu instid0(VALU_DEP_4) | instskip(NEXT) | instid1(VALU_DEP_4)
	v_lshlrev_b64_e32 v[0:1], 2, v[0:1]
	v_add_nc_u32_e32 v15, 0x400, v7
	v_mad_co_u64_u32 v[6:7], null, s18, v11, 0
	v_cmp_gt_i32_e64 s1, s3, v5
	s_cselect_b32 s6, -1, 0
	v_add_co_u32 v16, vcc_lo, s4, v0
	v_lshlrev_b32_e32 v0, 2, v5
	v_add_co_ci_u32_e64 v17, null, s5, v1, vcc_lo
	v_dual_mov_b32 v1, 0 :: v_dual_lshlrev_b32 v20, 2, v2
	s_delay_alu instid0(VALU_DEP_3)
	v_add_co_u32 v18, s4, s10, v0
	v_mov_b32_e32 v0, v7
	v_add_nc_u32_e32 v2, s2, v2
	s_wait_alu 0xf1ff
	v_add_co_ci_u32_e64 v19, null, s11, 0, s4
	s_mov_b32 s25, 0
	v_mad_co_u64_u32 v[3:4], null, s19, v11, v[0:1]
	v_mov_b32_e32 v0, v9
	v_cmp_le_i32_e32 vcc_lo, v11, v2
	v_cmp_gt_i32_e64 s2, s3, v2
	v_add_nc_u32_e32 v4, 16, v2
	v_cmp_le_i32_e64 s4, v22, v2
	v_mad_co_u64_u32 v[9:10], null, s19, v22, v[0:1]
	v_mov_b32_e32 v7, v3
	s_and_b32 s7, vcc_lo, s2
	v_cmp_le_i32_e32 vcc_lo, v11, v4
	v_cmp_gt_i32_e64 s3, s3, v4
	v_cmp_le_i32_e64 s5, v22, v4
	v_lshlrev_b64_e32 v[6:7], 2, v[6:7]
	v_lshlrev_b64_e32 v[8:9], 2, v[8:9]
	v_ashrrev_i32_e32 v3, 31, v2
	v_ashrrev_i32_e32 v5, 31, v4
	s_and_b32 s10, s30, s29
	s_and_b32 s11, vcc_lo, s3
	s_and_b32 s4, s4, s2
	s_and_b32 s5, s5, s3
	s_branch .LBB178_6
.LBB178_5:                              ;   in Loop: Header=BB178_6 Depth=1
	s_wait_alu 0xfffe
	s_or_b32 exec_lo, exec_lo, s2
	s_add_co_i32 s24, s24, 0x10000
	s_delay_alu instid0(SALU_CYCLE_1)
	s_cmp_lt_u32 s24, s28
	s_cbranch_scc0 .LBB178_35
.LBB178_6:                              ; =>This Loop Header: Depth=1
                                        ;     Child Loop BB178_9 Depth 2
	v_dual_mov_b32 v11, v1 :: v_dual_mov_b32 v10, v1
	v_dual_mov_b32 v23, v1 :: v_dual_mov_b32 v22, v1
	s_wait_alu 0xfffe
	s_and_not1_b32 vcc_lo, exec_lo, s10
	s_wait_alu 0xfffe
	s_cbranch_vccnz .LBB178_15
; %bb.7:                                ;   in Loop: Header=BB178_6 Depth=1
	s_mul_u64 s[2:3], s[8:9], s[24:25]
	s_mul_u64 s[18:19], s[14:15], s[24:25]
	s_wait_alu 0xfffe
	s_lshl_b64 s[2:3], s[2:3], 2
	v_dual_mov_b32 v22, 0 :: v_dual_mov_b32 v23, 0
	s_wait_alu 0xfffe
	v_add_co_u32 v24, vcc_lo, v16, s2
	s_wait_alu 0xfffd
	v_add_co_ci_u32_e64 v25, null, s3, v17, vcc_lo
	s_lshl_b64 s[2:3], s[18:19], 2
	v_dual_mov_b32 v10, 0 :: v_dual_mov_b32 v11, 0
	s_wait_alu 0xfffe
	v_add_co_u32 v26, vcc_lo, v18, s2
	s_wait_alu 0xfffd
	v_add_co_ci_u32_e64 v27, null, s3, v19, vcc_lo
	s_mov_b64 s[2:3], 0
	s_branch .LBB178_9
.LBB178_8:                              ;   in Loop: Header=BB178_9 Depth=2
	s_wait_alu 0xfffe
	s_or_b32 exec_lo, exec_lo, s18
	s_wait_loadcnt 0x0
	ds_store_b32 v15, v29
	s_wait_dscnt 0x0
	s_barrier_signal -1
	s_barrier_wait -1
	global_inv scope:SCOPE_SE
	ds_load_b128 v[28:31], v21
	ds_load_2addr_b32 v[44:45], v20 offset1:16
	ds_load_b128 v[32:35], v21 offset:512
	ds_load_2addr_b32 v[46:47], v20 offset0:32 offset1:48
	ds_load_2addr_b32 v[48:49], v20 offset0:64 offset1:80
	;; [unrolled: 1-line block ×3, first 2 shown]
	ds_load_b128 v[36:39], v21 offset:16
	ds_load_2addr_b32 v[52:53], v20 offset0:128 offset1:144
	ds_load_b128 v[40:43], v21 offset:528
	ds_load_2addr_b32 v[54:55], v20 offset0:160 offset1:176
	s_add_nc_u64 s[2:3], s[2:3], 8
	s_wait_alu 0xfffe
	v_cmp_gt_i64_e64 s18, s[20:21], s[2:3]
	s_and_b32 vcc_lo, exec_lo, s18
	s_wait_dscnt 0x8
	v_fmac_f32_e32 v10, v45, v28
	v_fmac_f32_e32 v11, v44, v28
	s_wait_dscnt 0x7
	v_fmac_f32_e32 v22, v45, v32
	v_fmac_f32_e32 v23, v44, v32
	ds_load_2addr_b32 v[44:45], v20 offset0:192 offset1:208
	s_wait_dscnt 0x7
	v_fmac_f32_e32 v10, v47, v29
	v_fmac_f32_e32 v11, v46, v29
	;; [unrolled: 1-line block ×4, first 2 shown]
	ds_load_2addr_b32 v[28:29], v20 offset0:224 offset1:240
	s_wait_dscnt 0x7
	v_fmac_f32_e32 v10, v49, v30
	v_fmac_f32_e32 v11, v48, v30
	;; [unrolled: 1-line block ×4, first 2 shown]
	s_wait_loadcnt_dscnt 0x0
	v_fmac_f32_e32 v10, v51, v31
	v_fmac_f32_e32 v11, v50, v31
	;; [unrolled: 1-line block ×4, first 2 shown]
	s_barrier_signal -1
	v_fmac_f32_e32 v10, v53, v36
	v_fmac_f32_e32 v11, v52, v36
	;; [unrolled: 1-line block ×4, first 2 shown]
	s_barrier_wait -1
	v_fmac_f32_e32 v10, v55, v37
	v_fmac_f32_e32 v11, v54, v37
	;; [unrolled: 1-line block ×4, first 2 shown]
	global_inv scope:SCOPE_SE
	v_fmac_f32_e32 v10, v45, v38
	v_fmac_f32_e32 v11, v44, v38
	;; [unrolled: 1-line block ×3, first 2 shown]
	s_delay_alu instid0(VALU_DEP_3) | instskip(NEXT) | instid1(VALU_DEP_3)
	v_dual_fmac_f32 v23, v44, v42 :: v_dual_fmac_f32 v10, v29, v39
	v_fmac_f32_e32 v11, v28, v39
	s_delay_alu instid0(VALU_DEP_3) | instskip(NEXT) | instid1(VALU_DEP_3)
	v_fmac_f32_e32 v22, v29, v43
	v_fmac_f32_e32 v23, v28, v43
	s_wait_alu 0xfffe
	s_cbranch_vccz .LBB178_15
.LBB178_9:                              ;   Parent Loop BB178_6 Depth=1
                                        ; =>  This Inner Loop Header: Depth=2
	v_mov_b32_e32 v28, 0
	s_and_saveexec_b32 s18, s0
	s_cbranch_execz .LBB178_13
; %bb.10:                               ;   in Loop: Header=BB178_9 Depth=2
	s_wait_alu 0xfffe
	v_add_nc_u32_e32 v0, s2, v13
	v_mov_b32_e32 v28, 0
	s_mov_b32 s19, exec_lo
	s_delay_alu instid0(VALU_DEP_2)
	v_cmpx_gt_u64_e64 s[20:21], v[0:1]
	s_cbranch_execz .LBB178_12
; %bb.11:                               ;   in Loop: Header=BB178_9 Depth=2
	v_lshlrev_b64_e32 v[28:29], 2, v[0:1]
	s_delay_alu instid0(VALU_DEP_1) | instskip(SKIP_1) | instid1(VALU_DEP_2)
	v_add_co_u32 v28, vcc_lo, v24, v28
	s_wait_alu 0xfffd
	v_add_co_ci_u32_e64 v29, null, v25, v29, vcc_lo
	global_load_b32 v28, v[28:29], off
.LBB178_12:                             ;   in Loop: Header=BB178_9 Depth=2
	s_wait_alu 0xfffe
	s_or_b32 exec_lo, exec_lo, s19
.LBB178_13:                             ;   in Loop: Header=BB178_9 Depth=2
	s_wait_alu 0xfffe
	s_or_b32 exec_lo, exec_lo, s18
	v_dual_mov_b32 v29, 0 :: v_dual_add_nc_u32 v0, s2, v12
	s_wait_loadcnt 0x0
	ds_store_b32 v14, v28
	v_cmp_gt_u64_e32 vcc_lo, s[20:21], v[0:1]
	s_and_b32 s19, vcc_lo, s1
	s_wait_alu 0xfffe
	s_and_saveexec_b32 s18, s19
	s_cbranch_execz .LBB178_8
; %bb.14:                               ;   in Loop: Header=BB178_9 Depth=2
	v_mad_co_u64_u32 v[28:29], null, s12, v0, 0
	s_delay_alu instid0(VALU_DEP_1) | instskip(NEXT) | instid1(VALU_DEP_1)
	v_mad_co_u64_u32 v[29:30], null, s13, v0, v[29:30]
	v_lshlrev_b64_e32 v[28:29], 2, v[28:29]
	s_delay_alu instid0(VALU_DEP_1) | instskip(SKIP_1) | instid1(VALU_DEP_2)
	v_add_co_u32 v28, vcc_lo, v26, v28
	s_wait_alu 0xfffd
	v_add_co_ci_u32_e64 v29, null, v27, v29, vcc_lo
	global_load_b32 v29, v[28:29], off
	s_branch .LBB178_8
.LBB178_15:                             ;   in Loop: Header=BB178_6 Depth=1
	s_mul_u64 s[2:3], s[26:27], s[24:25]
	s_wait_alu 0xfffe
	s_lshl_b64 s[2:3], s[2:3], 2
	s_wait_alu 0xfffe
	s_add_nc_u64 s[2:3], s[16:17], s[2:3]
	s_wait_alu 0xfffe
	v_add_co_u32 v0, vcc_lo, s2, v6
	s_wait_alu 0xfffd
	v_add_co_ci_u32_e64 v24, null, s3, v7, vcc_lo
	s_and_saveexec_b32 s18, s7
	s_cbranch_execz .LBB178_19
; %bb.16:                               ;   in Loop: Header=BB178_6 Depth=1
	v_mul_f32_e32 v11, s22, v11
	s_and_b32 vcc_lo, exec_lo, s6
	s_wait_alu 0xfffe
	s_cbranch_vccz .LBB178_30
; %bb.17:                               ;   in Loop: Header=BB178_6 Depth=1
	v_lshlrev_b64_e32 v[25:26], 2, v[2:3]
	s_delay_alu instid0(VALU_DEP_1) | instskip(SKIP_1) | instid1(VALU_DEP_2)
	v_add_co_u32 v25, vcc_lo, v0, v25
	s_wait_alu 0xfffd
	v_add_co_ci_u32_e64 v26, null, v24, v26, vcc_lo
	global_load_b32 v27, v[25:26], off
	s_wait_loadcnt 0x0
	v_fma_f32 v27, s23, v27, v11
	global_store_b32 v[25:26], v27, off
	s_cbranch_execnz .LBB178_19
.LBB178_18:                             ;   in Loop: Header=BB178_6 Depth=1
	v_lshlrev_b64_e32 v[25:26], 2, v[2:3]
	s_delay_alu instid0(VALU_DEP_1) | instskip(SKIP_1) | instid1(VALU_DEP_2)
	v_add_co_u32 v25, vcc_lo, v0, v25
	s_wait_alu 0xfffd
	v_add_co_ci_u32_e64 v26, null, v24, v26, vcc_lo
	global_store_b32 v[25:26], v11, off
.LBB178_19:                             ;   in Loop: Header=BB178_6 Depth=1
	s_wait_alu 0xfffe
	s_or_b32 exec_lo, exec_lo, s18
	s_and_saveexec_b32 s18, s11
	s_cbranch_execz .LBB178_23
; %bb.20:                               ;   in Loop: Header=BB178_6 Depth=1
	v_mul_f32_e32 v10, s22, v10
	s_and_not1_b32 vcc_lo, exec_lo, s6
	s_wait_alu 0xfffe
	s_cbranch_vccnz .LBB178_31
; %bb.21:                               ;   in Loop: Header=BB178_6 Depth=1
	v_lshlrev_b64_e32 v[25:26], 2, v[4:5]
	s_delay_alu instid0(VALU_DEP_1) | instskip(SKIP_1) | instid1(VALU_DEP_2)
	v_add_co_u32 v25, vcc_lo, v0, v25
	s_wait_alu 0xfffd
	v_add_co_ci_u32_e64 v26, null, v24, v26, vcc_lo
	global_load_b32 v11, v[25:26], off
	s_wait_loadcnt 0x0
	v_fma_f32 v11, s23, v11, v10
	global_store_b32 v[25:26], v11, off
	s_cbranch_execnz .LBB178_23
.LBB178_22:                             ;   in Loop: Header=BB178_6 Depth=1
	v_lshlrev_b64_e32 v[25:26], 2, v[4:5]
	s_delay_alu instid0(VALU_DEP_1) | instskip(SKIP_1) | instid1(VALU_DEP_2)
	v_add_co_u32 v25, vcc_lo, v0, v25
	s_wait_alu 0xfffd
	v_add_co_ci_u32_e64 v26, null, v24, v26, vcc_lo
	global_store_b32 v[25:26], v10, off
.LBB178_23:                             ;   in Loop: Header=BB178_6 Depth=1
	s_wait_alu 0xfffe
	s_or_b32 exec_lo, exec_lo, s18
	v_add_co_u32 v0, vcc_lo, s2, v8
	s_wait_alu 0xfffd
	v_add_co_ci_u32_e64 v24, null, s3, v9, vcc_lo
	s_and_saveexec_b32 s2, s4
	s_cbranch_execz .LBB178_27
; %bb.24:                               ;   in Loop: Header=BB178_6 Depth=1
	v_lshlrev_b64_e32 v[10:11], 2, v[2:3]
	v_mul_f32_e32 v23, s22, v23
	s_and_not1_b32 vcc_lo, exec_lo, s6
	s_wait_alu 0xfffe
	s_cbranch_vccnz .LBB178_32
; %bb.25:                               ;   in Loop: Header=BB178_6 Depth=1
	s_delay_alu instid0(VALU_DEP_2)
	v_add_co_u32 v25, vcc_lo, v0, v10
	s_wait_alu 0xfffd
	v_add_co_ci_u32_e64 v26, null, v24, v11, vcc_lo
	global_load_b32 v27, v[25:26], off
	s_wait_loadcnt 0x0
	v_fma_f32 v27, s23, v27, v23
	global_store_b32 v[25:26], v27, off
	s_cbranch_execnz .LBB178_27
.LBB178_26:                             ;   in Loop: Header=BB178_6 Depth=1
	v_add_co_u32 v10, vcc_lo, v0, v10
	s_wait_alu 0xfffd
	v_add_co_ci_u32_e64 v11, null, v24, v11, vcc_lo
	global_store_b32 v[10:11], v23, off
.LBB178_27:                             ;   in Loop: Header=BB178_6 Depth=1
	s_wait_alu 0xfffe
	s_or_b32 exec_lo, exec_lo, s2
	s_and_saveexec_b32 s2, s5
	s_cbranch_execz .LBB178_5
; %bb.28:                               ;   in Loop: Header=BB178_6 Depth=1
	v_lshlrev_b64_e32 v[10:11], 2, v[4:5]
	v_mul_f32_e32 v22, s22, v22
	s_and_not1_b32 vcc_lo, exec_lo, s6
	s_wait_alu 0xfffe
	s_cbranch_vccnz .LBB178_33
; %bb.29:                               ;   in Loop: Header=BB178_6 Depth=1
	s_delay_alu instid0(VALU_DEP_2)
	v_add_co_u32 v25, vcc_lo, v0, v10
	s_wait_alu 0xfffd
	v_add_co_ci_u32_e64 v26, null, v24, v11, vcc_lo
	global_load_b32 v23, v[25:26], off
	s_wait_loadcnt 0x0
	v_fma_f32 v23, s23, v23, v22
	global_store_b32 v[25:26], v23, off
	s_cbranch_execnz .LBB178_5
	s_branch .LBB178_34
.LBB178_30:                             ;   in Loop: Header=BB178_6 Depth=1
	s_branch .LBB178_18
.LBB178_31:                             ;   in Loop: Header=BB178_6 Depth=1
	s_branch .LBB178_22
.LBB178_32:                             ;   in Loop: Header=BB178_6 Depth=1
	s_branch .LBB178_26
.LBB178_33:                             ;   in Loop: Header=BB178_6 Depth=1
.LBB178_34:                             ;   in Loop: Header=BB178_6 Depth=1
	s_delay_alu instid0(VALU_DEP_2)
	v_add_co_u32 v10, vcc_lo, v0, v10
	s_wait_alu 0xfffd
	v_add_co_ci_u32_e64 v11, null, v24, v11, vcc_lo
	global_store_b32 v[10:11], v22, off
	s_branch .LBB178_5
.LBB178_35:
	s_endpgm
	.section	.rodata,"a",@progbits
	.p2align	6, 0x0
	.amdhsa_kernel _ZL29rocblas_internal_gemmt_kernelIlLi16ELi32ELi8ELc67ELc84ELc76ELb0ELb0EffPKfPfEviT_T9_T10_S3_lS5_S3_lS4_T11_S3_li
		.amdhsa_group_segment_fixed_size 2048
		.amdhsa_private_segment_fixed_size 0
		.amdhsa_kernarg_size 108
		.amdhsa_user_sgpr_count 2
		.amdhsa_user_sgpr_dispatch_ptr 0
		.amdhsa_user_sgpr_queue_ptr 0
		.amdhsa_user_sgpr_kernarg_segment_ptr 1
		.amdhsa_user_sgpr_dispatch_id 0
		.amdhsa_user_sgpr_private_segment_size 0
		.amdhsa_wavefront_size32 1
		.amdhsa_uses_dynamic_stack 0
		.amdhsa_enable_private_segment 0
		.amdhsa_system_sgpr_workgroup_id_x 1
		.amdhsa_system_sgpr_workgroup_id_y 1
		.amdhsa_system_sgpr_workgroup_id_z 1
		.amdhsa_system_sgpr_workgroup_info 0
		.amdhsa_system_vgpr_workitem_id 1
		.amdhsa_next_free_vgpr 56
		.amdhsa_next_free_sgpr 31
		.amdhsa_reserve_vcc 1
		.amdhsa_float_round_mode_32 0
		.amdhsa_float_round_mode_16_64 0
		.amdhsa_float_denorm_mode_32 3
		.amdhsa_float_denorm_mode_16_64 3
		.amdhsa_fp16_overflow 0
		.amdhsa_workgroup_processor_mode 1
		.amdhsa_memory_ordered 1
		.amdhsa_forward_progress 1
		.amdhsa_inst_pref_size 15
		.amdhsa_round_robin_scheduling 0
		.amdhsa_exception_fp_ieee_invalid_op 0
		.amdhsa_exception_fp_denorm_src 0
		.amdhsa_exception_fp_ieee_div_zero 0
		.amdhsa_exception_fp_ieee_overflow 0
		.amdhsa_exception_fp_ieee_underflow 0
		.amdhsa_exception_fp_ieee_inexact 0
		.amdhsa_exception_int_div_zero 0
	.end_amdhsa_kernel
	.section	.text._ZL29rocblas_internal_gemmt_kernelIlLi16ELi32ELi8ELc67ELc84ELc76ELb0ELb0EffPKfPfEviT_T9_T10_S3_lS5_S3_lS4_T11_S3_li,"axG",@progbits,_ZL29rocblas_internal_gemmt_kernelIlLi16ELi32ELi8ELc67ELc84ELc76ELb0ELb0EffPKfPfEviT_T9_T10_S3_lS5_S3_lS4_T11_S3_li,comdat
.Lfunc_end178:
	.size	_ZL29rocblas_internal_gemmt_kernelIlLi16ELi32ELi8ELc67ELc84ELc76ELb0ELb0EffPKfPfEviT_T9_T10_S3_lS5_S3_lS4_T11_S3_li, .Lfunc_end178-_ZL29rocblas_internal_gemmt_kernelIlLi16ELi32ELi8ELc67ELc84ELc76ELb0ELb0EffPKfPfEviT_T9_T10_S3_lS5_S3_lS4_T11_S3_li
                                        ; -- End function
	.set _ZL29rocblas_internal_gemmt_kernelIlLi16ELi32ELi8ELc67ELc84ELc76ELb0ELb0EffPKfPfEviT_T9_T10_S3_lS5_S3_lS4_T11_S3_li.num_vgpr, 56
	.set _ZL29rocblas_internal_gemmt_kernelIlLi16ELi32ELi8ELc67ELc84ELc76ELb0ELb0EffPKfPfEviT_T9_T10_S3_lS5_S3_lS4_T11_S3_li.num_agpr, 0
	.set _ZL29rocblas_internal_gemmt_kernelIlLi16ELi32ELi8ELc67ELc84ELc76ELb0ELb0EffPKfPfEviT_T9_T10_S3_lS5_S3_lS4_T11_S3_li.numbered_sgpr, 31
	.set _ZL29rocblas_internal_gemmt_kernelIlLi16ELi32ELi8ELc67ELc84ELc76ELb0ELb0EffPKfPfEviT_T9_T10_S3_lS5_S3_lS4_T11_S3_li.num_named_barrier, 0
	.set _ZL29rocblas_internal_gemmt_kernelIlLi16ELi32ELi8ELc67ELc84ELc76ELb0ELb0EffPKfPfEviT_T9_T10_S3_lS5_S3_lS4_T11_S3_li.private_seg_size, 0
	.set _ZL29rocblas_internal_gemmt_kernelIlLi16ELi32ELi8ELc67ELc84ELc76ELb0ELb0EffPKfPfEviT_T9_T10_S3_lS5_S3_lS4_T11_S3_li.uses_vcc, 1
	.set _ZL29rocblas_internal_gemmt_kernelIlLi16ELi32ELi8ELc67ELc84ELc76ELb0ELb0EffPKfPfEviT_T9_T10_S3_lS5_S3_lS4_T11_S3_li.uses_flat_scratch, 0
	.set _ZL29rocblas_internal_gemmt_kernelIlLi16ELi32ELi8ELc67ELc84ELc76ELb0ELb0EffPKfPfEviT_T9_T10_S3_lS5_S3_lS4_T11_S3_li.has_dyn_sized_stack, 0
	.set _ZL29rocblas_internal_gemmt_kernelIlLi16ELi32ELi8ELc67ELc84ELc76ELb0ELb0EffPKfPfEviT_T9_T10_S3_lS5_S3_lS4_T11_S3_li.has_recursion, 0
	.set _ZL29rocblas_internal_gemmt_kernelIlLi16ELi32ELi8ELc67ELc84ELc76ELb0ELb0EffPKfPfEviT_T9_T10_S3_lS5_S3_lS4_T11_S3_li.has_indirect_call, 0
	.section	.AMDGPU.csdata,"",@progbits
; Kernel info:
; codeLenInByte = 1872
; TotalNumSgprs: 33
; NumVgprs: 56
; ScratchSize: 0
; MemoryBound: 0
; FloatMode: 240
; IeeeMode: 1
; LDSByteSize: 2048 bytes/workgroup (compile time only)
; SGPRBlocks: 0
; VGPRBlocks: 6
; NumSGPRsForWavesPerEU: 33
; NumVGPRsForWavesPerEU: 56
; Occupancy: 16
; WaveLimiterHint : 0
; COMPUTE_PGM_RSRC2:SCRATCH_EN: 0
; COMPUTE_PGM_RSRC2:USER_SGPR: 2
; COMPUTE_PGM_RSRC2:TRAP_HANDLER: 0
; COMPUTE_PGM_RSRC2:TGID_X_EN: 1
; COMPUTE_PGM_RSRC2:TGID_Y_EN: 1
; COMPUTE_PGM_RSRC2:TGID_Z_EN: 1
; COMPUTE_PGM_RSRC2:TIDIG_COMP_CNT: 1
	.section	.text._ZL29rocblas_internal_gemmt_kernelIlLi16ELi32ELi8ELc67ELc67ELc76ELb0ELb0EffPKfPfEviT_T9_T10_S3_lS5_S3_lS4_T11_S3_li,"axG",@progbits,_ZL29rocblas_internal_gemmt_kernelIlLi16ELi32ELi8ELc67ELc67ELc76ELb0ELb0EffPKfPfEviT_T9_T10_S3_lS5_S3_lS4_T11_S3_li,comdat
	.globl	_ZL29rocblas_internal_gemmt_kernelIlLi16ELi32ELi8ELc67ELc67ELc76ELb0ELb0EffPKfPfEviT_T9_T10_S3_lS5_S3_lS4_T11_S3_li ; -- Begin function _ZL29rocblas_internal_gemmt_kernelIlLi16ELi32ELi8ELc67ELc67ELc76ELb0ELb0EffPKfPfEviT_T9_T10_S3_lS5_S3_lS4_T11_S3_li
	.p2align	8
	.type	_ZL29rocblas_internal_gemmt_kernelIlLi16ELi32ELi8ELc67ELc67ELc76ELb0ELb0EffPKfPfEviT_T9_T10_S3_lS5_S3_lS4_T11_S3_li,@function
_ZL29rocblas_internal_gemmt_kernelIlLi16ELi32ELi8ELc67ELc67ELc76ELb0ELb0EffPKfPfEviT_T9_T10_S3_lS5_S3_lS4_T11_S3_li: ; @_ZL29rocblas_internal_gemmt_kernelIlLi16ELi32ELi8ELc67ELc67ELc76ELb0ELb0EffPKfPfEviT_T9_T10_S3_lS5_S3_lS4_T11_S3_li
; %bb.0:
	s_clause 0x1
	s_load_b32 s23, s[0:1], 0x48
	s_load_b96 s[20:22], s[0:1], 0x8
	s_wait_kmcnt 0x0
	s_cmp_neq_f32 s23, 1.0
	s_cselect_b32 s2, -1, 0
	s_delay_alu instid0(SALU_CYCLE_1)
	s_and_b32 vcc_lo, exec_lo, s2
	s_cbranch_vccnz .LBB179_2
; %bb.1:
	s_cmp_lg_u64 s[20:21], 0
	s_cselect_b32 s2, -1, 0
	s_cmp_neq_f32 s22, 0
	s_cselect_b32 s3, -1, 0
	s_delay_alu instid0(SALU_CYCLE_1)
	s_and_b32 s2, s2, s3
.LBB179_2:
	s_delay_alu instid0(SALU_CYCLE_1)
	s_and_not1_b32 vcc_lo, exec_lo, s2
	s_cbranch_vccnz .LBB179_35
; %bb.3:
	s_load_b32 s28, s[0:1], 0x68
	s_lshr_b32 s24, ttmp7, 16
	s_wait_kmcnt 0x0
	s_cmp_ge_u32 s24, s28
	s_cbranch_scc1 .LBB179_35
; %bb.4:
	v_and_b32_e32 v2, 0x3ff, v0
	v_bfe_u32 v3, v0, 10, 10
	s_load_b256 s[4:11], s[0:1], 0x18
	s_lshl_b32 s2, ttmp9, 5
	s_clause 0x2
	s_load_b32 s3, s[0:1], 0x0
	s_load_b128 s[12:15], s[0:1], 0x38
	s_load_b128 s[16:19], s[0:1], 0x50
	v_lshl_add_u32 v4, v3, 4, v2
	s_load_b64 s[26:27], s[0:1], 0x60
	s_lshl_b32 s0, ttmp7, 5
	v_and_b32_e32 v12, 7, v0
	s_and_b32 s0, s0, 0x1fffe0
	v_and_b32_e32 v5, 31, v4
	s_cmp_neq_f32 s22, 0
	v_lshrrev_b32_e32 v9, 3, v4
	v_lshlrev_b32_e32 v8, 2, v12
	v_add_nc_u32_e32 v11, s0, v3
	v_or_b32_e32 v6, s2, v5
	s_cselect_b32 s30, -1, 0
	s_ashr_i32 s1, s2, 31
	v_lshrrev_b32_e32 v13, 5, v4
	v_lshlrev_b32_e32 v4, 2, v5
	v_add_nc_u32_e32 v5, s0, v9
	s_wait_kmcnt 0x0
	v_mul_lo_u32 v7, s7, v6
	v_mad_co_u64_u32 v[0:1], null, s6, v6, 0
	s_wait_alu 0xfffe
	s_mul_i32 s1, s6, s1
	v_cmp_gt_i32_e64 s0, s3, v6
	v_add_nc_u32_e32 v22, 16, v11
	v_lshl_or_b32 v14, v13, 7, v4
	v_lshl_add_u32 v21, v3, 5, 0x400
	s_cmp_neq_f32 s23, 0
	s_wait_alu 0xfffe
	v_add3_u32 v1, v1, s1, v7
	v_lshl_or_b32 v7, v9, 5, v8
	v_mad_co_u64_u32 v[8:9], null, s18, v22, 0
	v_cmp_gt_i64_e64 s29, s[20:21], 0
	s_delay_alu instid0(VALU_DEP_4) | instskip(NEXT) | instid1(VALU_DEP_4)
	v_lshlrev_b64_e32 v[0:1], 2, v[0:1]
	v_add_nc_u32_e32 v15, 0x400, v7
	v_mad_co_u64_u32 v[6:7], null, s18, v11, 0
	v_cmp_gt_i32_e64 s1, s3, v5
	s_cselect_b32 s6, -1, 0
	v_add_co_u32 v16, vcc_lo, s4, v0
	v_lshlrev_b32_e32 v0, 2, v5
	v_add_co_ci_u32_e64 v17, null, s5, v1, vcc_lo
	v_dual_mov_b32 v1, 0 :: v_dual_lshlrev_b32 v20, 2, v2
	s_delay_alu instid0(VALU_DEP_3)
	v_add_co_u32 v18, s4, s10, v0
	v_mov_b32_e32 v0, v7
	v_add_nc_u32_e32 v2, s2, v2
	s_wait_alu 0xf1ff
	v_add_co_ci_u32_e64 v19, null, s11, 0, s4
	s_mov_b32 s25, 0
	v_mad_co_u64_u32 v[3:4], null, s19, v11, v[0:1]
	v_mov_b32_e32 v0, v9
	v_cmp_le_i32_e32 vcc_lo, v11, v2
	v_cmp_gt_i32_e64 s2, s3, v2
	v_add_nc_u32_e32 v4, 16, v2
	v_cmp_le_i32_e64 s4, v22, v2
	v_mad_co_u64_u32 v[9:10], null, s19, v22, v[0:1]
	v_mov_b32_e32 v7, v3
	s_and_b32 s7, vcc_lo, s2
	v_cmp_le_i32_e32 vcc_lo, v11, v4
	v_cmp_gt_i32_e64 s3, s3, v4
	v_cmp_le_i32_e64 s5, v22, v4
	v_lshlrev_b64_e32 v[6:7], 2, v[6:7]
	v_lshlrev_b64_e32 v[8:9], 2, v[8:9]
	v_ashrrev_i32_e32 v3, 31, v2
	v_ashrrev_i32_e32 v5, 31, v4
	s_and_b32 s10, s30, s29
	s_and_b32 s11, vcc_lo, s3
	s_and_b32 s4, s4, s2
	s_and_b32 s5, s5, s3
	s_branch .LBB179_6
.LBB179_5:                              ;   in Loop: Header=BB179_6 Depth=1
	s_wait_alu 0xfffe
	s_or_b32 exec_lo, exec_lo, s2
	s_add_co_i32 s24, s24, 0x10000
	s_delay_alu instid0(SALU_CYCLE_1)
	s_cmp_lt_u32 s24, s28
	s_cbranch_scc0 .LBB179_35
.LBB179_6:                              ; =>This Loop Header: Depth=1
                                        ;     Child Loop BB179_9 Depth 2
	v_dual_mov_b32 v11, v1 :: v_dual_mov_b32 v10, v1
	v_dual_mov_b32 v23, v1 :: v_dual_mov_b32 v22, v1
	s_wait_alu 0xfffe
	s_and_not1_b32 vcc_lo, exec_lo, s10
	s_wait_alu 0xfffe
	s_cbranch_vccnz .LBB179_15
; %bb.7:                                ;   in Loop: Header=BB179_6 Depth=1
	s_mul_u64 s[2:3], s[8:9], s[24:25]
	s_mul_u64 s[18:19], s[14:15], s[24:25]
	s_wait_alu 0xfffe
	s_lshl_b64 s[2:3], s[2:3], 2
	v_dual_mov_b32 v22, 0 :: v_dual_mov_b32 v23, 0
	s_wait_alu 0xfffe
	v_add_co_u32 v24, vcc_lo, v16, s2
	s_wait_alu 0xfffd
	v_add_co_ci_u32_e64 v25, null, s3, v17, vcc_lo
	s_lshl_b64 s[2:3], s[18:19], 2
	v_dual_mov_b32 v10, 0 :: v_dual_mov_b32 v11, 0
	s_wait_alu 0xfffe
	v_add_co_u32 v26, vcc_lo, v18, s2
	s_wait_alu 0xfffd
	v_add_co_ci_u32_e64 v27, null, s3, v19, vcc_lo
	s_mov_b64 s[2:3], 0
	s_branch .LBB179_9
.LBB179_8:                              ;   in Loop: Header=BB179_9 Depth=2
	s_wait_alu 0xfffe
	s_or_b32 exec_lo, exec_lo, s18
	s_wait_loadcnt 0x0
	ds_store_b32 v15, v29
	s_wait_dscnt 0x0
	s_barrier_signal -1
	s_barrier_wait -1
	global_inv scope:SCOPE_SE
	ds_load_b128 v[28:31], v21
	ds_load_2addr_b32 v[44:45], v20 offset1:16
	ds_load_b128 v[32:35], v21 offset:512
	ds_load_2addr_b32 v[46:47], v20 offset0:32 offset1:48
	ds_load_2addr_b32 v[48:49], v20 offset0:64 offset1:80
	ds_load_2addr_b32 v[50:51], v20 offset0:96 offset1:112
	ds_load_b128 v[36:39], v21 offset:16
	ds_load_2addr_b32 v[52:53], v20 offset0:128 offset1:144
	ds_load_b128 v[40:43], v21 offset:528
	ds_load_2addr_b32 v[54:55], v20 offset0:160 offset1:176
	s_add_nc_u64 s[2:3], s[2:3], 8
	s_wait_alu 0xfffe
	v_cmp_gt_i64_e64 s18, s[20:21], s[2:3]
	s_and_b32 vcc_lo, exec_lo, s18
	s_wait_dscnt 0x8
	v_fmac_f32_e32 v10, v45, v28
	v_fmac_f32_e32 v11, v44, v28
	s_wait_dscnt 0x7
	v_fmac_f32_e32 v22, v45, v32
	v_fmac_f32_e32 v23, v44, v32
	ds_load_2addr_b32 v[44:45], v20 offset0:192 offset1:208
	s_wait_dscnt 0x7
	v_fmac_f32_e32 v10, v47, v29
	v_fmac_f32_e32 v11, v46, v29
	;; [unrolled: 1-line block ×4, first 2 shown]
	ds_load_2addr_b32 v[28:29], v20 offset0:224 offset1:240
	s_wait_dscnt 0x7
	v_fmac_f32_e32 v10, v49, v30
	v_fmac_f32_e32 v11, v48, v30
	;; [unrolled: 1-line block ×4, first 2 shown]
	s_wait_loadcnt_dscnt 0x0
	v_fmac_f32_e32 v10, v51, v31
	v_fmac_f32_e32 v11, v50, v31
	;; [unrolled: 1-line block ×4, first 2 shown]
	s_barrier_signal -1
	v_fmac_f32_e32 v10, v53, v36
	v_fmac_f32_e32 v11, v52, v36
	v_fmac_f32_e32 v22, v53, v40
	v_fmac_f32_e32 v23, v52, v40
	s_barrier_wait -1
	v_fmac_f32_e32 v10, v55, v37
	v_fmac_f32_e32 v11, v54, v37
	v_fmac_f32_e32 v22, v55, v41
	v_fmac_f32_e32 v23, v54, v41
	global_inv scope:SCOPE_SE
	v_fmac_f32_e32 v10, v45, v38
	v_fmac_f32_e32 v11, v44, v38
	;; [unrolled: 1-line block ×3, first 2 shown]
	s_delay_alu instid0(VALU_DEP_3) | instskip(NEXT) | instid1(VALU_DEP_3)
	v_dual_fmac_f32 v23, v44, v42 :: v_dual_fmac_f32 v10, v29, v39
	v_fmac_f32_e32 v11, v28, v39
	s_delay_alu instid0(VALU_DEP_3) | instskip(NEXT) | instid1(VALU_DEP_3)
	v_fmac_f32_e32 v22, v29, v43
	v_fmac_f32_e32 v23, v28, v43
	s_wait_alu 0xfffe
	s_cbranch_vccz .LBB179_15
.LBB179_9:                              ;   Parent Loop BB179_6 Depth=1
                                        ; =>  This Inner Loop Header: Depth=2
	v_mov_b32_e32 v28, 0
	s_and_saveexec_b32 s18, s0
	s_cbranch_execz .LBB179_13
; %bb.10:                               ;   in Loop: Header=BB179_9 Depth=2
	s_wait_alu 0xfffe
	v_add_nc_u32_e32 v0, s2, v13
	v_mov_b32_e32 v28, 0
	s_mov_b32 s19, exec_lo
	s_delay_alu instid0(VALU_DEP_2)
	v_cmpx_gt_u64_e64 s[20:21], v[0:1]
	s_cbranch_execz .LBB179_12
; %bb.11:                               ;   in Loop: Header=BB179_9 Depth=2
	v_lshlrev_b64_e32 v[28:29], 2, v[0:1]
	s_delay_alu instid0(VALU_DEP_1) | instskip(SKIP_1) | instid1(VALU_DEP_2)
	v_add_co_u32 v28, vcc_lo, v24, v28
	s_wait_alu 0xfffd
	v_add_co_ci_u32_e64 v29, null, v25, v29, vcc_lo
	global_load_b32 v28, v[28:29], off
.LBB179_12:                             ;   in Loop: Header=BB179_9 Depth=2
	s_wait_alu 0xfffe
	s_or_b32 exec_lo, exec_lo, s19
.LBB179_13:                             ;   in Loop: Header=BB179_9 Depth=2
	s_wait_alu 0xfffe
	s_or_b32 exec_lo, exec_lo, s18
	v_dual_mov_b32 v29, 0 :: v_dual_add_nc_u32 v0, s2, v12
	s_wait_loadcnt 0x0
	ds_store_b32 v14, v28
	v_cmp_gt_u64_e32 vcc_lo, s[20:21], v[0:1]
	s_and_b32 s19, vcc_lo, s1
	s_wait_alu 0xfffe
	s_and_saveexec_b32 s18, s19
	s_cbranch_execz .LBB179_8
; %bb.14:                               ;   in Loop: Header=BB179_9 Depth=2
	v_mad_co_u64_u32 v[28:29], null, s12, v0, 0
	s_delay_alu instid0(VALU_DEP_1) | instskip(NEXT) | instid1(VALU_DEP_1)
	v_mad_co_u64_u32 v[29:30], null, s13, v0, v[29:30]
	v_lshlrev_b64_e32 v[28:29], 2, v[28:29]
	s_delay_alu instid0(VALU_DEP_1) | instskip(SKIP_1) | instid1(VALU_DEP_2)
	v_add_co_u32 v28, vcc_lo, v26, v28
	s_wait_alu 0xfffd
	v_add_co_ci_u32_e64 v29, null, v27, v29, vcc_lo
	global_load_b32 v29, v[28:29], off
	s_branch .LBB179_8
.LBB179_15:                             ;   in Loop: Header=BB179_6 Depth=1
	s_mul_u64 s[2:3], s[26:27], s[24:25]
	s_wait_alu 0xfffe
	s_lshl_b64 s[2:3], s[2:3], 2
	s_wait_alu 0xfffe
	s_add_nc_u64 s[2:3], s[16:17], s[2:3]
	s_wait_alu 0xfffe
	v_add_co_u32 v0, vcc_lo, s2, v6
	s_wait_alu 0xfffd
	v_add_co_ci_u32_e64 v24, null, s3, v7, vcc_lo
	s_and_saveexec_b32 s18, s7
	s_cbranch_execz .LBB179_19
; %bb.16:                               ;   in Loop: Header=BB179_6 Depth=1
	v_mul_f32_e32 v11, s22, v11
	s_and_b32 vcc_lo, exec_lo, s6
	s_wait_alu 0xfffe
	s_cbranch_vccz .LBB179_30
; %bb.17:                               ;   in Loop: Header=BB179_6 Depth=1
	v_lshlrev_b64_e32 v[25:26], 2, v[2:3]
	s_delay_alu instid0(VALU_DEP_1) | instskip(SKIP_1) | instid1(VALU_DEP_2)
	v_add_co_u32 v25, vcc_lo, v0, v25
	s_wait_alu 0xfffd
	v_add_co_ci_u32_e64 v26, null, v24, v26, vcc_lo
	global_load_b32 v27, v[25:26], off
	s_wait_loadcnt 0x0
	v_fma_f32 v27, s23, v27, v11
	global_store_b32 v[25:26], v27, off
	s_cbranch_execnz .LBB179_19
.LBB179_18:                             ;   in Loop: Header=BB179_6 Depth=1
	v_lshlrev_b64_e32 v[25:26], 2, v[2:3]
	s_delay_alu instid0(VALU_DEP_1) | instskip(SKIP_1) | instid1(VALU_DEP_2)
	v_add_co_u32 v25, vcc_lo, v0, v25
	s_wait_alu 0xfffd
	v_add_co_ci_u32_e64 v26, null, v24, v26, vcc_lo
	global_store_b32 v[25:26], v11, off
.LBB179_19:                             ;   in Loop: Header=BB179_6 Depth=1
	s_wait_alu 0xfffe
	s_or_b32 exec_lo, exec_lo, s18
	s_and_saveexec_b32 s18, s11
	s_cbranch_execz .LBB179_23
; %bb.20:                               ;   in Loop: Header=BB179_6 Depth=1
	v_mul_f32_e32 v10, s22, v10
	s_and_not1_b32 vcc_lo, exec_lo, s6
	s_wait_alu 0xfffe
	s_cbranch_vccnz .LBB179_31
; %bb.21:                               ;   in Loop: Header=BB179_6 Depth=1
	v_lshlrev_b64_e32 v[25:26], 2, v[4:5]
	s_delay_alu instid0(VALU_DEP_1) | instskip(SKIP_1) | instid1(VALU_DEP_2)
	v_add_co_u32 v25, vcc_lo, v0, v25
	s_wait_alu 0xfffd
	v_add_co_ci_u32_e64 v26, null, v24, v26, vcc_lo
	global_load_b32 v11, v[25:26], off
	s_wait_loadcnt 0x0
	v_fma_f32 v11, s23, v11, v10
	global_store_b32 v[25:26], v11, off
	s_cbranch_execnz .LBB179_23
.LBB179_22:                             ;   in Loop: Header=BB179_6 Depth=1
	v_lshlrev_b64_e32 v[25:26], 2, v[4:5]
	s_delay_alu instid0(VALU_DEP_1) | instskip(SKIP_1) | instid1(VALU_DEP_2)
	v_add_co_u32 v25, vcc_lo, v0, v25
	s_wait_alu 0xfffd
	v_add_co_ci_u32_e64 v26, null, v24, v26, vcc_lo
	global_store_b32 v[25:26], v10, off
.LBB179_23:                             ;   in Loop: Header=BB179_6 Depth=1
	s_wait_alu 0xfffe
	s_or_b32 exec_lo, exec_lo, s18
	v_add_co_u32 v0, vcc_lo, s2, v8
	s_wait_alu 0xfffd
	v_add_co_ci_u32_e64 v24, null, s3, v9, vcc_lo
	s_and_saveexec_b32 s2, s4
	s_cbranch_execz .LBB179_27
; %bb.24:                               ;   in Loop: Header=BB179_6 Depth=1
	v_lshlrev_b64_e32 v[10:11], 2, v[2:3]
	v_mul_f32_e32 v23, s22, v23
	s_and_not1_b32 vcc_lo, exec_lo, s6
	s_wait_alu 0xfffe
	s_cbranch_vccnz .LBB179_32
; %bb.25:                               ;   in Loop: Header=BB179_6 Depth=1
	s_delay_alu instid0(VALU_DEP_2)
	v_add_co_u32 v25, vcc_lo, v0, v10
	s_wait_alu 0xfffd
	v_add_co_ci_u32_e64 v26, null, v24, v11, vcc_lo
	global_load_b32 v27, v[25:26], off
	s_wait_loadcnt 0x0
	v_fma_f32 v27, s23, v27, v23
	global_store_b32 v[25:26], v27, off
	s_cbranch_execnz .LBB179_27
.LBB179_26:                             ;   in Loop: Header=BB179_6 Depth=1
	v_add_co_u32 v10, vcc_lo, v0, v10
	s_wait_alu 0xfffd
	v_add_co_ci_u32_e64 v11, null, v24, v11, vcc_lo
	global_store_b32 v[10:11], v23, off
.LBB179_27:                             ;   in Loop: Header=BB179_6 Depth=1
	s_wait_alu 0xfffe
	s_or_b32 exec_lo, exec_lo, s2
	s_and_saveexec_b32 s2, s5
	s_cbranch_execz .LBB179_5
; %bb.28:                               ;   in Loop: Header=BB179_6 Depth=1
	v_lshlrev_b64_e32 v[10:11], 2, v[4:5]
	v_mul_f32_e32 v22, s22, v22
	s_and_not1_b32 vcc_lo, exec_lo, s6
	s_wait_alu 0xfffe
	s_cbranch_vccnz .LBB179_33
; %bb.29:                               ;   in Loop: Header=BB179_6 Depth=1
	s_delay_alu instid0(VALU_DEP_2)
	v_add_co_u32 v25, vcc_lo, v0, v10
	s_wait_alu 0xfffd
	v_add_co_ci_u32_e64 v26, null, v24, v11, vcc_lo
	global_load_b32 v23, v[25:26], off
	s_wait_loadcnt 0x0
	v_fma_f32 v23, s23, v23, v22
	global_store_b32 v[25:26], v23, off
	s_cbranch_execnz .LBB179_5
	s_branch .LBB179_34
.LBB179_30:                             ;   in Loop: Header=BB179_6 Depth=1
	s_branch .LBB179_18
.LBB179_31:                             ;   in Loop: Header=BB179_6 Depth=1
	s_branch .LBB179_22
.LBB179_32:                             ;   in Loop: Header=BB179_6 Depth=1
	s_branch .LBB179_26
.LBB179_33:                             ;   in Loop: Header=BB179_6 Depth=1
.LBB179_34:                             ;   in Loop: Header=BB179_6 Depth=1
	s_delay_alu instid0(VALU_DEP_2)
	v_add_co_u32 v10, vcc_lo, v0, v10
	s_wait_alu 0xfffd
	v_add_co_ci_u32_e64 v11, null, v24, v11, vcc_lo
	global_store_b32 v[10:11], v22, off
	s_branch .LBB179_5
.LBB179_35:
	s_endpgm
	.section	.rodata,"a",@progbits
	.p2align	6, 0x0
	.amdhsa_kernel _ZL29rocblas_internal_gemmt_kernelIlLi16ELi32ELi8ELc67ELc67ELc76ELb0ELb0EffPKfPfEviT_T9_T10_S3_lS5_S3_lS4_T11_S3_li
		.amdhsa_group_segment_fixed_size 2048
		.amdhsa_private_segment_fixed_size 0
		.amdhsa_kernarg_size 108
		.amdhsa_user_sgpr_count 2
		.amdhsa_user_sgpr_dispatch_ptr 0
		.amdhsa_user_sgpr_queue_ptr 0
		.amdhsa_user_sgpr_kernarg_segment_ptr 1
		.amdhsa_user_sgpr_dispatch_id 0
		.amdhsa_user_sgpr_private_segment_size 0
		.amdhsa_wavefront_size32 1
		.amdhsa_uses_dynamic_stack 0
		.amdhsa_enable_private_segment 0
		.amdhsa_system_sgpr_workgroup_id_x 1
		.amdhsa_system_sgpr_workgroup_id_y 1
		.amdhsa_system_sgpr_workgroup_id_z 1
		.amdhsa_system_sgpr_workgroup_info 0
		.amdhsa_system_vgpr_workitem_id 1
		.amdhsa_next_free_vgpr 56
		.amdhsa_next_free_sgpr 31
		.amdhsa_reserve_vcc 1
		.amdhsa_float_round_mode_32 0
		.amdhsa_float_round_mode_16_64 0
		.amdhsa_float_denorm_mode_32 3
		.amdhsa_float_denorm_mode_16_64 3
		.amdhsa_fp16_overflow 0
		.amdhsa_workgroup_processor_mode 1
		.amdhsa_memory_ordered 1
		.amdhsa_forward_progress 1
		.amdhsa_inst_pref_size 15
		.amdhsa_round_robin_scheduling 0
		.amdhsa_exception_fp_ieee_invalid_op 0
		.amdhsa_exception_fp_denorm_src 0
		.amdhsa_exception_fp_ieee_div_zero 0
		.amdhsa_exception_fp_ieee_overflow 0
		.amdhsa_exception_fp_ieee_underflow 0
		.amdhsa_exception_fp_ieee_inexact 0
		.amdhsa_exception_int_div_zero 0
	.end_amdhsa_kernel
	.section	.text._ZL29rocblas_internal_gemmt_kernelIlLi16ELi32ELi8ELc67ELc67ELc76ELb0ELb0EffPKfPfEviT_T9_T10_S3_lS5_S3_lS4_T11_S3_li,"axG",@progbits,_ZL29rocblas_internal_gemmt_kernelIlLi16ELi32ELi8ELc67ELc67ELc76ELb0ELb0EffPKfPfEviT_T9_T10_S3_lS5_S3_lS4_T11_S3_li,comdat
.Lfunc_end179:
	.size	_ZL29rocblas_internal_gemmt_kernelIlLi16ELi32ELi8ELc67ELc67ELc76ELb0ELb0EffPKfPfEviT_T9_T10_S3_lS5_S3_lS4_T11_S3_li, .Lfunc_end179-_ZL29rocblas_internal_gemmt_kernelIlLi16ELi32ELi8ELc67ELc67ELc76ELb0ELb0EffPKfPfEviT_T9_T10_S3_lS5_S3_lS4_T11_S3_li
                                        ; -- End function
	.set _ZL29rocblas_internal_gemmt_kernelIlLi16ELi32ELi8ELc67ELc67ELc76ELb0ELb0EffPKfPfEviT_T9_T10_S3_lS5_S3_lS4_T11_S3_li.num_vgpr, 56
	.set _ZL29rocblas_internal_gemmt_kernelIlLi16ELi32ELi8ELc67ELc67ELc76ELb0ELb0EffPKfPfEviT_T9_T10_S3_lS5_S3_lS4_T11_S3_li.num_agpr, 0
	.set _ZL29rocblas_internal_gemmt_kernelIlLi16ELi32ELi8ELc67ELc67ELc76ELb0ELb0EffPKfPfEviT_T9_T10_S3_lS5_S3_lS4_T11_S3_li.numbered_sgpr, 31
	.set _ZL29rocblas_internal_gemmt_kernelIlLi16ELi32ELi8ELc67ELc67ELc76ELb0ELb0EffPKfPfEviT_T9_T10_S3_lS5_S3_lS4_T11_S3_li.num_named_barrier, 0
	.set _ZL29rocblas_internal_gemmt_kernelIlLi16ELi32ELi8ELc67ELc67ELc76ELb0ELb0EffPKfPfEviT_T9_T10_S3_lS5_S3_lS4_T11_S3_li.private_seg_size, 0
	.set _ZL29rocblas_internal_gemmt_kernelIlLi16ELi32ELi8ELc67ELc67ELc76ELb0ELb0EffPKfPfEviT_T9_T10_S3_lS5_S3_lS4_T11_S3_li.uses_vcc, 1
	.set _ZL29rocblas_internal_gemmt_kernelIlLi16ELi32ELi8ELc67ELc67ELc76ELb0ELb0EffPKfPfEviT_T9_T10_S3_lS5_S3_lS4_T11_S3_li.uses_flat_scratch, 0
	.set _ZL29rocblas_internal_gemmt_kernelIlLi16ELi32ELi8ELc67ELc67ELc76ELb0ELb0EffPKfPfEviT_T9_T10_S3_lS5_S3_lS4_T11_S3_li.has_dyn_sized_stack, 0
	.set _ZL29rocblas_internal_gemmt_kernelIlLi16ELi32ELi8ELc67ELc67ELc76ELb0ELb0EffPKfPfEviT_T9_T10_S3_lS5_S3_lS4_T11_S3_li.has_recursion, 0
	.set _ZL29rocblas_internal_gemmt_kernelIlLi16ELi32ELi8ELc67ELc67ELc76ELb0ELb0EffPKfPfEviT_T9_T10_S3_lS5_S3_lS4_T11_S3_li.has_indirect_call, 0
	.section	.AMDGPU.csdata,"",@progbits
; Kernel info:
; codeLenInByte = 1872
; TotalNumSgprs: 33
; NumVgprs: 56
; ScratchSize: 0
; MemoryBound: 0
; FloatMode: 240
; IeeeMode: 1
; LDSByteSize: 2048 bytes/workgroup (compile time only)
; SGPRBlocks: 0
; VGPRBlocks: 6
; NumSGPRsForWavesPerEU: 33
; NumVGPRsForWavesPerEU: 56
; Occupancy: 16
; WaveLimiterHint : 0
; COMPUTE_PGM_RSRC2:SCRATCH_EN: 0
; COMPUTE_PGM_RSRC2:USER_SGPR: 2
; COMPUTE_PGM_RSRC2:TRAP_HANDLER: 0
; COMPUTE_PGM_RSRC2:TGID_X_EN: 1
; COMPUTE_PGM_RSRC2:TGID_Y_EN: 1
; COMPUTE_PGM_RSRC2:TGID_Z_EN: 1
; COMPUTE_PGM_RSRC2:TIDIG_COMP_CNT: 1
	.section	.text._ZL29rocblas_internal_gemmt_kernelIlLi16ELi32ELi8ELc78ELc78ELc85ELb0ELb0EdPKdS1_PdEviT_T9_T10_S3_lS5_S3_lS4_T11_S3_li,"axG",@progbits,_ZL29rocblas_internal_gemmt_kernelIlLi16ELi32ELi8ELc78ELc78ELc85ELb0ELb0EdPKdS1_PdEviT_T9_T10_S3_lS5_S3_lS4_T11_S3_li,comdat
	.globl	_ZL29rocblas_internal_gemmt_kernelIlLi16ELi32ELi8ELc78ELc78ELc85ELb0ELb0EdPKdS1_PdEviT_T9_T10_S3_lS5_S3_lS4_T11_S3_li ; -- Begin function _ZL29rocblas_internal_gemmt_kernelIlLi16ELi32ELi8ELc78ELc78ELc85ELb0ELb0EdPKdS1_PdEviT_T9_T10_S3_lS5_S3_lS4_T11_S3_li
	.p2align	8
	.type	_ZL29rocblas_internal_gemmt_kernelIlLi16ELi32ELi8ELc78ELc78ELc85ELb0ELb0EdPKdS1_PdEviT_T9_T10_S3_lS5_S3_lS4_T11_S3_li,@function
_ZL29rocblas_internal_gemmt_kernelIlLi16ELi32ELi8ELc78ELc78ELc85ELb0ELb0EdPKdS1_PdEviT_T9_T10_S3_lS5_S3_lS4_T11_S3_li: ; @_ZL29rocblas_internal_gemmt_kernelIlLi16ELi32ELi8ELc78ELc78ELc85ELb0ELb0EdPKdS1_PdEviT_T9_T10_S3_lS5_S3_lS4_T11_S3_li
; %bb.0:
	s_clause 0x1
	s_load_b256 s[20:27], s[0:1], 0x48
	s_load_b512 s[4:19], s[0:1], 0x8
	s_wait_kmcnt 0x0
	s_load_b64 s[20:21], s[20:21], 0x0
	s_load_b64 s[6:7], s[6:7], 0x0
	s_wait_kmcnt 0x0
	v_cmp_neq_f64_e64 s2, s[20:21], 1.0
	s_and_b32 vcc_lo, exec_lo, s2
	s_cbranch_vccnz .LBB180_2
; %bb.1:
	v_cmp_neq_f64_e64 s2, s[6:7], 0
	s_cmp_lg_u64 s[4:5], 0
	s_cselect_b32 s3, -1, 0
	s_delay_alu instid0(SALU_CYCLE_1)
	s_and_b32 s2, s3, s2
.LBB180_2:
	s_delay_alu instid0(SALU_CYCLE_1)
	s_and_not1_b32 vcc_lo, exec_lo, s2
	s_cbranch_vccnz .LBB180_35
; %bb.3:
	s_load_b32 s30, s[0:1], 0x68
	s_lshr_b32 s28, ttmp7, 16
	s_wait_kmcnt 0x0
	s_cmp_ge_u32 s28, s30
	s_cbranch_scc1 .LBB180_35
; %bb.4:
	v_and_b32_e32 v1, 0x3ff, v0
	v_bfe_u32 v14, v0, 10, 10
	s_load_b32 s29, s[0:1], 0x0
	s_lshl_b32 s1, ttmp7, 5
	s_lshl_b32 s0, ttmp9, 5
	s_and_b32 s1, s1, 0x1fffe0
	v_lshl_add_u32 v2, v14, 4, v1
	v_add_nc_u32_e32 v15, s1, v14
	v_lshlrev_b32_e32 v23, 3, v1
	v_cmp_neq_f64_e64 s33, s[6:7], 0
	v_cmp_neq_f64_e64 s31, s[20:21], 0
	v_lshrrev_b32_e32 v5, 3, v2
	v_mad_co_u64_u32 v[6:7], null, s24, v15, 0
	v_and_b32_e32 v10, 31, v2
	v_add_nc_u32_e32 v16, 16, v15
	s_delay_alu instid0(VALU_DEP_4)
	v_add_nc_u32_e32 v12, s1, v5
	v_lshrrev_b32_e32 v24, 5, v2
	v_cmp_gt_i64_e64 s34, s[4:5], 0
	v_or_b32_e32 v8, s0, v10
	v_lshlrev_b32_e32 v13, 3, v10
	v_mad_co_u64_u32 v[3:4], null, s16, v12, 0
	v_and_b32_e32 v22, 7, v0
	v_mad_co_u64_u32 v[10:11], null, s24, v16, 0
	v_add_nc_u32_e32 v0, s0, v1
	s_wait_kmcnt 0x0
	v_cmp_gt_i32_e64 s0, s29, v8
	v_lshl_or_b32 v25, v24, 8, v13
	v_mov_b32_e32 v1, v4
	v_lshlrev_b32_e32 v9, 3, v22
	v_add_nc_u32_e32 v2, 16, v0
	v_lshl_add_u32 v31, v14, 6, 0x800
	s_delay_alu instid0(VALU_DEP_3) | instskip(NEXT) | instid1(VALU_DEP_3)
	v_lshl_or_b32 v17, v5, 6, v9
	v_mad_co_u64_u32 v[4:5], null, s17, v12, v[1:2]
	v_ashrrev_i32_e32 v9, 31, v8
	v_mov_b32_e32 v1, v7
	v_cmp_gt_i32_e64 s1, s29, v12
	v_add_nc_u32_e32 v26, 0x800, v17
	s_delay_alu instid0(VALU_DEP_4)
	v_lshlrev_b64_e32 v[7:8], 3, v[8:9]
	v_lshlrev_b64_e32 v[3:4], 3, v[3:4]
	v_mad_co_u64_u32 v[12:13], null, s25, v15, v[1:2]
	v_mov_b32_e32 v1, v11
	v_cmp_le_i32_e64 s2, v0, v15
	v_add_co_u32 v27, vcc_lo, s8, v7
	s_delay_alu instid0(VALU_DEP_1)
	v_add_co_ci_u32_e64 v28, null, s9, v8, vcc_lo
	v_add_co_u32 v29, vcc_lo, s14, v3
	s_wait_alu 0xfffd
	v_add_co_ci_u32_e64 v30, null, s15, v4, vcc_lo
	v_mad_co_u64_u32 v[4:5], null, s25, v16, v[1:2]
	v_cmp_gt_i32_e32 vcc_lo, s29, v15
	v_mov_b32_e32 v7, v12
	v_mov_b32_e32 v5, 0
	v_ashrrev_i32_e32 v1, 31, v0
	s_and_b32 s14, s33, s34
	s_and_b32 s8, vcc_lo, s2
	v_mov_b32_e32 v11, v4
	v_cmp_le_i32_e64 s3, v2, v15
	v_cmp_le_i32_e64 s2, v0, v16
	v_lshlrev_b64_e32 v[6:7], 3, v[6:7]
	v_ashrrev_i32_e32 v3, 31, v2
	v_lshlrev_b64_e32 v[8:9], 3, v[10:11]
	s_and_b32 s9, vcc_lo, s3
	v_cmp_gt_i32_e32 vcc_lo, s29, v16
	v_cmp_le_i32_e64 s3, v2, v16
	s_mov_b32 s29, 0
	s_and_b32 s15, vcc_lo, s2
	s_and_b32 s16, vcc_lo, s3
	s_branch .LBB180_6
.LBB180_5:                              ;   in Loop: Header=BB180_6 Depth=1
	s_wait_alu 0xfffe
	s_or_b32 exec_lo, exec_lo, s2
	s_add_co_i32 s28, s28, 0x10000
	s_wait_alu 0xfffe
	s_cmp_lt_u32 s28, s30
	s_cbranch_scc0 .LBB180_35
.LBB180_6:                              ; =>This Loop Header: Depth=1
                                        ;     Child Loop BB180_9 Depth 2
	v_mov_b32_e32 v16, 0
	v_dual_mov_b32 v12, 0 :: v_dual_mov_b32 v17, 0
	v_dual_mov_b32 v14, 0 :: v_dual_mov_b32 v13, 0
	;; [unrolled: 1-line block ×3, first 2 shown]
	v_mov_b32_e32 v11, 0
	s_wait_alu 0xfffe
	s_and_not1_b32 vcc_lo, exec_lo, s14
	s_wait_alu 0xfffe
	s_cbranch_vccnz .LBB180_15
; %bb.7:                                ;   in Loop: Header=BB180_6 Depth=1
	s_mul_u64 s[2:3], s[12:13], s[28:29]
	s_mul_u64 s[24:25], s[18:19], s[28:29]
	s_wait_alu 0xfffe
	s_lshl_b64 s[2:3], s[2:3], 3
	v_mov_b32_e32 v10, 0
	s_wait_alu 0xfffe
	v_add_co_u32 v32, vcc_lo, v27, s2
	s_wait_alu 0xfffd
	v_add_co_ci_u32_e64 v33, null, s3, v28, vcc_lo
	s_lshl_b64 s[2:3], s[24:25], 3
	v_mov_b32_e32 v14, 0
	s_wait_alu 0xfffe
	v_add_co_u32 v34, vcc_lo, v29, s2
	v_dual_mov_b32 v11, 0 :: v_dual_mov_b32 v12, 0
	v_dual_mov_b32 v15, 0 :: v_dual_mov_b32 v16, 0
	v_mov_b32_e32 v13, 0
	v_mov_b32_e32 v17, 0
	s_wait_alu 0xfffd
	v_add_co_ci_u32_e64 v35, null, s3, v30, vcc_lo
	s_mov_b64 s[2:3], 0
	s_branch .LBB180_9
.LBB180_8:                              ;   in Loop: Header=BB180_9 Depth=2
	s_wait_alu 0xfffe
	s_or_b32 exec_lo, exec_lo, s17
	s_wait_loadcnt 0x0
	ds_store_b64 v26, v[20:21]
	s_wait_dscnt 0x0
	s_barrier_signal -1
	s_barrier_wait -1
	global_inv scope:SCOPE_SE
	ds_load_b128 v[18:21], v31
	ds_load_2addr_b64 v[36:39], v23 offset1:16
	ds_load_b128 v[40:43], v31 offset:1024
	ds_load_b128 v[44:47], v31 offset:16
	;; [unrolled: 1-line block ×3, first 2 shown]
	s_add_nc_u64 s[2:3], s[2:3], 8
	s_wait_alu 0xfffe
	v_cmp_gt_i64_e64 s17, s[4:5], s[2:3]
	s_and_b32 vcc_lo, exec_lo, s17
	s_wait_dscnt 0x3
	v_fma_f64 v[16:17], v[36:37], v[18:19], v[16:17]
	v_fma_f64 v[14:15], v[38:39], v[18:19], v[14:15]
	s_wait_dscnt 0x2
	v_fma_f64 v[18:19], v[36:37], v[40:41], v[12:13]
	v_fma_f64 v[36:37], v[38:39], v[40:41], v[10:11]
	ds_load_2addr_b64 v[10:13], v23 offset0:32 offset1:48
	s_wait_dscnt 0x0
	v_fma_f64 v[16:17], v[10:11], v[20:21], v[16:17]
	v_fma_f64 v[14:15], v[12:13], v[20:21], v[14:15]
	v_fma_f64 v[18:19], v[10:11], v[42:43], v[18:19]
	v_fma_f64 v[20:21], v[12:13], v[42:43], v[36:37]
	ds_load_2addr_b64 v[10:13], v23 offset0:64 offset1:80
	s_wait_dscnt 0x0
	v_fma_f64 v[16:17], v[10:11], v[44:45], v[16:17]
	v_fma_f64 v[14:15], v[12:13], v[44:45], v[14:15]
	;; [unrolled: 6-line block ×3, first 2 shown]
	v_fma_f64 v[48:49], v[10:11], v[50:51], v[18:19]
	v_fma_f64 v[50:51], v[12:13], v[50:51], v[20:21]
	ds_load_b128 v[10:13], v31 offset:32
	ds_load_2addr_b64 v[14:17], v23 offset0:128 offset1:144
	ds_load_b128 v[18:21], v31 offset:1056
	ds_load_b128 v[36:39], v31 offset:48
	;; [unrolled: 1-line block ×3, first 2 shown]
	s_wait_dscnt 0x3
	v_fma_f64 v[44:45], v[14:15], v[10:11], v[44:45]
	v_fma_f64 v[10:11], v[16:17], v[10:11], v[46:47]
	s_wait_dscnt 0x2
	v_fma_f64 v[46:47], v[14:15], v[18:19], v[48:49]
	v_fma_f64 v[18:19], v[16:17], v[18:19], v[50:51]
	ds_load_2addr_b64 v[14:17], v23 offset0:160 offset1:176
	s_wait_dscnt 0x0
	v_fma_f64 v[44:45], v[14:15], v[12:13], v[44:45]
	v_fma_f64 v[48:49], v[16:17], v[12:13], v[10:11]
	;; [unrolled: 1-line block ×4, first 2 shown]
	ds_load_2addr_b64 v[10:13], v23 offset0:192 offset1:208
	ds_load_2addr_b64 v[18:21], v23 offset0:224 offset1:240
	s_wait_loadcnt_dscnt 0x0
	s_barrier_signal -1
	s_barrier_wait -1
	global_inv scope:SCOPE_SE
	v_fma_f64 v[44:45], v[10:11], v[36:37], v[44:45]
	v_fma_f64 v[36:37], v[12:13], v[36:37], v[48:49]
	;; [unrolled: 1-line block ×4, first 2 shown]
	s_delay_alu instid0(VALU_DEP_4) | instskip(NEXT) | instid1(VALU_DEP_4)
	v_fma_f64 v[16:17], v[18:19], v[38:39], v[44:45]
	v_fma_f64 v[14:15], v[20:21], v[38:39], v[36:37]
	s_delay_alu instid0(VALU_DEP_4) | instskip(NEXT) | instid1(VALU_DEP_4)
	v_fma_f64 v[12:13], v[18:19], v[42:43], v[10:11]
	v_fma_f64 v[10:11], v[20:21], v[42:43], v[40:41]
	s_wait_alu 0xfffe
	s_cbranch_vccz .LBB180_15
.LBB180_9:                              ;   Parent Loop BB180_6 Depth=1
                                        ; =>  This Inner Loop Header: Depth=2
	v_mov_b32_e32 v18, 0
	v_mov_b32_e32 v19, 0
	s_and_saveexec_b32 s17, s0
	s_cbranch_execz .LBB180_13
; %bb.10:                               ;   in Loop: Header=BB180_9 Depth=2
	v_mov_b32_e32 v18, 0
	s_wait_alu 0xfffe
	v_dual_mov_b32 v19, 0 :: v_dual_add_nc_u32 v4, s2, v24
	s_mov_b32 s24, exec_lo
	s_delay_alu instid0(VALU_DEP_1)
	v_cmpx_gt_u64_e64 s[4:5], v[4:5]
	s_cbranch_execz .LBB180_12
; %bb.11:                               ;   in Loop: Header=BB180_9 Depth=2
	v_mad_co_u64_u32 v[18:19], null, s10, v4, 0
	s_delay_alu instid0(VALU_DEP_1) | instskip(NEXT) | instid1(VALU_DEP_1)
	v_mad_co_u64_u32 v[19:20], null, s11, v4, v[19:20]
	v_lshlrev_b64_e32 v[18:19], 3, v[18:19]
	s_delay_alu instid0(VALU_DEP_1) | instskip(SKIP_1) | instid1(VALU_DEP_2)
	v_add_co_u32 v18, vcc_lo, v32, v18
	s_wait_alu 0xfffd
	v_add_co_ci_u32_e64 v19, null, v33, v19, vcc_lo
	global_load_b64 v[18:19], v[18:19], off
.LBB180_12:                             ;   in Loop: Header=BB180_9 Depth=2
	s_wait_alu 0xfffe
	s_or_b32 exec_lo, exec_lo, s24
.LBB180_13:                             ;   in Loop: Header=BB180_9 Depth=2
	s_wait_alu 0xfffe
	s_or_b32 exec_lo, exec_lo, s17
	v_add_nc_u32_e32 v4, s2, v22
	v_mov_b32_e32 v20, 0
	v_mov_b32_e32 v21, 0
	s_wait_loadcnt 0x0
	ds_store_b64 v25, v[18:19]
	v_cmp_gt_u64_e32 vcc_lo, s[4:5], v[4:5]
	s_and_b32 s24, vcc_lo, s1
	s_wait_alu 0xfffe
	s_and_saveexec_b32 s17, s24
	s_cbranch_execz .LBB180_8
; %bb.14:                               ;   in Loop: Header=BB180_9 Depth=2
	v_lshlrev_b64_e32 v[18:19], 3, v[4:5]
	s_delay_alu instid0(VALU_DEP_1) | instskip(SKIP_1) | instid1(VALU_DEP_2)
	v_add_co_u32 v18, vcc_lo, v34, v18
	s_wait_alu 0xfffd
	v_add_co_ci_u32_e64 v19, null, v35, v19, vcc_lo
	global_load_b64 v[20:21], v[18:19], off
	s_branch .LBB180_8
.LBB180_15:                             ;   in Loop: Header=BB180_6 Depth=1
	s_mul_u64 s[2:3], s[26:27], s[28:29]
	s_wait_alu 0xfffe
	s_lshl_b64 s[2:3], s[2:3], 3
	s_wait_alu 0xfffe
	s_add_nc_u64 s[2:3], s[22:23], s[2:3]
	s_wait_alu 0xfffe
	v_add_co_u32 v4, vcc_lo, s2, v6
	s_wait_alu 0xfffd
	v_add_co_ci_u32_e64 v18, null, s3, v7, vcc_lo
	s_and_saveexec_b32 s17, s8
	s_cbranch_execz .LBB180_19
; %bb.16:                               ;   in Loop: Header=BB180_6 Depth=1
	v_mul_f64_e32 v[16:17], s[6:7], v[16:17]
	s_and_b32 vcc_lo, exec_lo, s31
	s_wait_alu 0xfffe
	s_cbranch_vccz .LBB180_30
; %bb.17:                               ;   in Loop: Header=BB180_6 Depth=1
	v_lshlrev_b64_e32 v[19:20], 3, v[0:1]
	s_delay_alu instid0(VALU_DEP_1) | instskip(SKIP_1) | instid1(VALU_DEP_2)
	v_add_co_u32 v19, vcc_lo, v4, v19
	s_wait_alu 0xfffd
	v_add_co_ci_u32_e64 v20, null, v18, v20, vcc_lo
	global_load_b64 v[32:33], v[19:20], off
	s_wait_loadcnt 0x0
	v_fma_f64 v[32:33], s[20:21], v[32:33], v[16:17]
	global_store_b64 v[19:20], v[32:33], off
	s_cbranch_execnz .LBB180_19
.LBB180_18:                             ;   in Loop: Header=BB180_6 Depth=1
	v_lshlrev_b64_e32 v[19:20], 3, v[0:1]
	s_delay_alu instid0(VALU_DEP_1) | instskip(SKIP_1) | instid1(VALU_DEP_2)
	v_add_co_u32 v19, vcc_lo, v4, v19
	s_wait_alu 0xfffd
	v_add_co_ci_u32_e64 v20, null, v18, v20, vcc_lo
	global_store_b64 v[19:20], v[16:17], off
.LBB180_19:                             ;   in Loop: Header=BB180_6 Depth=1
	s_wait_alu 0xfffe
	s_or_b32 exec_lo, exec_lo, s17
	s_and_saveexec_b32 s17, s9
	s_cbranch_execz .LBB180_23
; %bb.20:                               ;   in Loop: Header=BB180_6 Depth=1
	v_mul_f64_e32 v[14:15], s[6:7], v[14:15]
	s_and_not1_b32 vcc_lo, exec_lo, s31
	s_wait_alu 0xfffe
	s_cbranch_vccnz .LBB180_31
; %bb.21:                               ;   in Loop: Header=BB180_6 Depth=1
	v_lshlrev_b64_e32 v[16:17], 3, v[2:3]
	s_delay_alu instid0(VALU_DEP_1) | instskip(SKIP_1) | instid1(VALU_DEP_2)
	v_add_co_u32 v16, vcc_lo, v4, v16
	s_wait_alu 0xfffd
	v_add_co_ci_u32_e64 v17, null, v18, v17, vcc_lo
	global_load_b64 v[19:20], v[16:17], off
	s_wait_loadcnt 0x0
	v_fma_f64 v[19:20], s[20:21], v[19:20], v[14:15]
	global_store_b64 v[16:17], v[19:20], off
	s_cbranch_execnz .LBB180_23
.LBB180_22:                             ;   in Loop: Header=BB180_6 Depth=1
	v_lshlrev_b64_e32 v[16:17], 3, v[2:3]
	s_delay_alu instid0(VALU_DEP_1) | instskip(SKIP_1) | instid1(VALU_DEP_2)
	v_add_co_u32 v16, vcc_lo, v4, v16
	s_wait_alu 0xfffd
	v_add_co_ci_u32_e64 v17, null, v18, v17, vcc_lo
	global_store_b64 v[16:17], v[14:15], off
.LBB180_23:                             ;   in Loop: Header=BB180_6 Depth=1
	s_wait_alu 0xfffe
	s_or_b32 exec_lo, exec_lo, s17
	v_add_co_u32 v4, vcc_lo, s2, v8
	s_wait_alu 0xfffd
	v_add_co_ci_u32_e64 v16, null, s3, v9, vcc_lo
	s_and_saveexec_b32 s2, s15
	s_cbranch_execz .LBB180_27
; %bb.24:                               ;   in Loop: Header=BB180_6 Depth=1
	v_mul_f64_e32 v[12:13], s[6:7], v[12:13]
	v_lshlrev_b64_e32 v[14:15], 3, v[0:1]
	s_and_not1_b32 vcc_lo, exec_lo, s31
	s_wait_alu 0xfffe
	s_cbranch_vccnz .LBB180_32
; %bb.25:                               ;   in Loop: Header=BB180_6 Depth=1
	s_delay_alu instid0(VALU_DEP_1)
	v_add_co_u32 v17, vcc_lo, v4, v14
	s_wait_alu 0xfffd
	v_add_co_ci_u32_e64 v18, null, v16, v15, vcc_lo
	global_load_b64 v[19:20], v[17:18], off
	s_wait_loadcnt 0x0
	v_fma_f64 v[19:20], s[20:21], v[19:20], v[12:13]
	global_store_b64 v[17:18], v[19:20], off
	s_cbranch_execnz .LBB180_27
.LBB180_26:                             ;   in Loop: Header=BB180_6 Depth=1
	s_delay_alu instid0(VALU_DEP_1)
	v_add_co_u32 v14, vcc_lo, v4, v14
	s_wait_alu 0xfffd
	v_add_co_ci_u32_e64 v15, null, v16, v15, vcc_lo
	global_store_b64 v[14:15], v[12:13], off
.LBB180_27:                             ;   in Loop: Header=BB180_6 Depth=1
	s_wait_alu 0xfffe
	s_or_b32 exec_lo, exec_lo, s2
	s_and_saveexec_b32 s2, s16
	s_cbranch_execz .LBB180_5
; %bb.28:                               ;   in Loop: Header=BB180_6 Depth=1
	v_mul_f64_e32 v[10:11], s[6:7], v[10:11]
	v_lshlrev_b64_e32 v[12:13], 3, v[2:3]
	s_and_not1_b32 vcc_lo, exec_lo, s31
	s_wait_alu 0xfffe
	s_cbranch_vccnz .LBB180_33
; %bb.29:                               ;   in Loop: Header=BB180_6 Depth=1
	s_delay_alu instid0(VALU_DEP_1)
	v_add_co_u32 v14, vcc_lo, v4, v12
	s_wait_alu 0xfffd
	v_add_co_ci_u32_e64 v15, null, v16, v13, vcc_lo
	global_load_b64 v[17:18], v[14:15], off
	s_wait_loadcnt 0x0
	v_fma_f64 v[17:18], s[20:21], v[17:18], v[10:11]
	global_store_b64 v[14:15], v[17:18], off
	s_cbranch_execnz .LBB180_5
	s_branch .LBB180_34
.LBB180_30:                             ;   in Loop: Header=BB180_6 Depth=1
	s_branch .LBB180_18
.LBB180_31:                             ;   in Loop: Header=BB180_6 Depth=1
	s_branch .LBB180_22
.LBB180_32:                             ;   in Loop: Header=BB180_6 Depth=1
	s_branch .LBB180_26
.LBB180_33:                             ;   in Loop: Header=BB180_6 Depth=1
.LBB180_34:                             ;   in Loop: Header=BB180_6 Depth=1
	s_delay_alu instid0(VALU_DEP_1)
	v_add_co_u32 v12, vcc_lo, v4, v12
	s_wait_alu 0xfffd
	v_add_co_ci_u32_e64 v13, null, v16, v13, vcc_lo
	global_store_b64 v[12:13], v[10:11], off
	s_branch .LBB180_5
.LBB180_35:
	s_endpgm
	.section	.rodata,"a",@progbits
	.p2align	6, 0x0
	.amdhsa_kernel _ZL29rocblas_internal_gemmt_kernelIlLi16ELi32ELi8ELc78ELc78ELc85ELb0ELb0EdPKdS1_PdEviT_T9_T10_S3_lS5_S3_lS4_T11_S3_li
		.amdhsa_group_segment_fixed_size 4096
		.amdhsa_private_segment_fixed_size 0
		.amdhsa_kernarg_size 108
		.amdhsa_user_sgpr_count 2
		.amdhsa_user_sgpr_dispatch_ptr 0
		.amdhsa_user_sgpr_queue_ptr 0
		.amdhsa_user_sgpr_kernarg_segment_ptr 1
		.amdhsa_user_sgpr_dispatch_id 0
		.amdhsa_user_sgpr_private_segment_size 0
		.amdhsa_wavefront_size32 1
		.amdhsa_uses_dynamic_stack 0
		.amdhsa_enable_private_segment 0
		.amdhsa_system_sgpr_workgroup_id_x 1
		.amdhsa_system_sgpr_workgroup_id_y 1
		.amdhsa_system_sgpr_workgroup_id_z 1
		.amdhsa_system_sgpr_workgroup_info 0
		.amdhsa_system_vgpr_workitem_id 1
		.amdhsa_next_free_vgpr 52
		.amdhsa_next_free_sgpr 35
		.amdhsa_reserve_vcc 1
		.amdhsa_float_round_mode_32 0
		.amdhsa_float_round_mode_16_64 0
		.amdhsa_float_denorm_mode_32 3
		.amdhsa_float_denorm_mode_16_64 3
		.amdhsa_fp16_overflow 0
		.amdhsa_workgroup_processor_mode 1
		.amdhsa_memory_ordered 1
		.amdhsa_forward_progress 1
		.amdhsa_inst_pref_size 17
		.amdhsa_round_robin_scheduling 0
		.amdhsa_exception_fp_ieee_invalid_op 0
		.amdhsa_exception_fp_denorm_src 0
		.amdhsa_exception_fp_ieee_div_zero 0
		.amdhsa_exception_fp_ieee_overflow 0
		.amdhsa_exception_fp_ieee_underflow 0
		.amdhsa_exception_fp_ieee_inexact 0
		.amdhsa_exception_int_div_zero 0
	.end_amdhsa_kernel
	.section	.text._ZL29rocblas_internal_gemmt_kernelIlLi16ELi32ELi8ELc78ELc78ELc85ELb0ELb0EdPKdS1_PdEviT_T9_T10_S3_lS5_S3_lS4_T11_S3_li,"axG",@progbits,_ZL29rocblas_internal_gemmt_kernelIlLi16ELi32ELi8ELc78ELc78ELc85ELb0ELb0EdPKdS1_PdEviT_T9_T10_S3_lS5_S3_lS4_T11_S3_li,comdat
.Lfunc_end180:
	.size	_ZL29rocblas_internal_gemmt_kernelIlLi16ELi32ELi8ELc78ELc78ELc85ELb0ELb0EdPKdS1_PdEviT_T9_T10_S3_lS5_S3_lS4_T11_S3_li, .Lfunc_end180-_ZL29rocblas_internal_gemmt_kernelIlLi16ELi32ELi8ELc78ELc78ELc85ELb0ELb0EdPKdS1_PdEviT_T9_T10_S3_lS5_S3_lS4_T11_S3_li
                                        ; -- End function
	.set _ZL29rocblas_internal_gemmt_kernelIlLi16ELi32ELi8ELc78ELc78ELc85ELb0ELb0EdPKdS1_PdEviT_T9_T10_S3_lS5_S3_lS4_T11_S3_li.num_vgpr, 52
	.set _ZL29rocblas_internal_gemmt_kernelIlLi16ELi32ELi8ELc78ELc78ELc85ELb0ELb0EdPKdS1_PdEviT_T9_T10_S3_lS5_S3_lS4_T11_S3_li.num_agpr, 0
	.set _ZL29rocblas_internal_gemmt_kernelIlLi16ELi32ELi8ELc78ELc78ELc85ELb0ELb0EdPKdS1_PdEviT_T9_T10_S3_lS5_S3_lS4_T11_S3_li.numbered_sgpr, 35
	.set _ZL29rocblas_internal_gemmt_kernelIlLi16ELi32ELi8ELc78ELc78ELc85ELb0ELb0EdPKdS1_PdEviT_T9_T10_S3_lS5_S3_lS4_T11_S3_li.num_named_barrier, 0
	.set _ZL29rocblas_internal_gemmt_kernelIlLi16ELi32ELi8ELc78ELc78ELc85ELb0ELb0EdPKdS1_PdEviT_T9_T10_S3_lS5_S3_lS4_T11_S3_li.private_seg_size, 0
	.set _ZL29rocblas_internal_gemmt_kernelIlLi16ELi32ELi8ELc78ELc78ELc85ELb0ELb0EdPKdS1_PdEviT_T9_T10_S3_lS5_S3_lS4_T11_S3_li.uses_vcc, 1
	.set _ZL29rocblas_internal_gemmt_kernelIlLi16ELi32ELi8ELc78ELc78ELc85ELb0ELb0EdPKdS1_PdEviT_T9_T10_S3_lS5_S3_lS4_T11_S3_li.uses_flat_scratch, 0
	.set _ZL29rocblas_internal_gemmt_kernelIlLi16ELi32ELi8ELc78ELc78ELc85ELb0ELb0EdPKdS1_PdEviT_T9_T10_S3_lS5_S3_lS4_T11_S3_li.has_dyn_sized_stack, 0
	.set _ZL29rocblas_internal_gemmt_kernelIlLi16ELi32ELi8ELc78ELc78ELc85ELb0ELb0EdPKdS1_PdEviT_T9_T10_S3_lS5_S3_lS4_T11_S3_li.has_recursion, 0
	.set _ZL29rocblas_internal_gemmt_kernelIlLi16ELi32ELi8ELc78ELc78ELc85ELb0ELb0EdPKdS1_PdEviT_T9_T10_S3_lS5_S3_lS4_T11_S3_li.has_indirect_call, 0
	.section	.AMDGPU.csdata,"",@progbits
; Kernel info:
; codeLenInByte = 2072
; TotalNumSgprs: 37
; NumVgprs: 52
; ScratchSize: 0
; MemoryBound: 0
; FloatMode: 240
; IeeeMode: 1
; LDSByteSize: 4096 bytes/workgroup (compile time only)
; SGPRBlocks: 0
; VGPRBlocks: 6
; NumSGPRsForWavesPerEU: 37
; NumVGPRsForWavesPerEU: 52
; Occupancy: 16
; WaveLimiterHint : 0
; COMPUTE_PGM_RSRC2:SCRATCH_EN: 0
; COMPUTE_PGM_RSRC2:USER_SGPR: 2
; COMPUTE_PGM_RSRC2:TRAP_HANDLER: 0
; COMPUTE_PGM_RSRC2:TGID_X_EN: 1
; COMPUTE_PGM_RSRC2:TGID_Y_EN: 1
; COMPUTE_PGM_RSRC2:TGID_Z_EN: 1
; COMPUTE_PGM_RSRC2:TIDIG_COMP_CNT: 1
	.section	.text._ZL29rocblas_internal_gemmt_kernelIlLi16ELi32ELi8ELc78ELc84ELc85ELb0ELb0EdPKdS1_PdEviT_T9_T10_S3_lS5_S3_lS4_T11_S3_li,"axG",@progbits,_ZL29rocblas_internal_gemmt_kernelIlLi16ELi32ELi8ELc78ELc84ELc85ELb0ELb0EdPKdS1_PdEviT_T9_T10_S3_lS5_S3_lS4_T11_S3_li,comdat
	.globl	_ZL29rocblas_internal_gemmt_kernelIlLi16ELi32ELi8ELc78ELc84ELc85ELb0ELb0EdPKdS1_PdEviT_T9_T10_S3_lS5_S3_lS4_T11_S3_li ; -- Begin function _ZL29rocblas_internal_gemmt_kernelIlLi16ELi32ELi8ELc78ELc84ELc85ELb0ELb0EdPKdS1_PdEviT_T9_T10_S3_lS5_S3_lS4_T11_S3_li
	.p2align	8
	.type	_ZL29rocblas_internal_gemmt_kernelIlLi16ELi32ELi8ELc78ELc84ELc85ELb0ELb0EdPKdS1_PdEviT_T9_T10_S3_lS5_S3_lS4_T11_S3_li,@function
_ZL29rocblas_internal_gemmt_kernelIlLi16ELi32ELi8ELc78ELc84ELc85ELb0ELb0EdPKdS1_PdEviT_T9_T10_S3_lS5_S3_lS4_T11_S3_li: ; @_ZL29rocblas_internal_gemmt_kernelIlLi16ELi32ELi8ELc78ELc84ELc85ELb0ELb0EdPKdS1_PdEviT_T9_T10_S3_lS5_S3_lS4_T11_S3_li
; %bb.0:
	s_clause 0x1
	s_load_b256 s[20:27], s[0:1], 0x48
	s_load_b512 s[4:19], s[0:1], 0x8
	s_wait_kmcnt 0x0
	s_load_b64 s[20:21], s[20:21], 0x0
	s_load_b64 s[6:7], s[6:7], 0x0
	s_wait_kmcnt 0x0
	v_cmp_neq_f64_e64 s2, s[20:21], 1.0
	s_and_b32 vcc_lo, exec_lo, s2
	s_cbranch_vccnz .LBB181_2
; %bb.1:
	v_cmp_neq_f64_e64 s2, s[6:7], 0
	s_cmp_lg_u64 s[4:5], 0
	s_cselect_b32 s3, -1, 0
	s_delay_alu instid0(SALU_CYCLE_1)
	s_and_b32 s2, s3, s2
.LBB181_2:
	s_delay_alu instid0(SALU_CYCLE_1)
	s_and_not1_b32 vcc_lo, exec_lo, s2
	s_cbranch_vccnz .LBB181_35
; %bb.3:
	s_load_b32 s30, s[0:1], 0x68
	s_lshr_b32 s28, ttmp7, 16
	s_wait_kmcnt 0x0
	s_cmp_ge_u32 s28, s30
	s_cbranch_scc1 .LBB181_35
; %bb.4:
	v_and_b32_e32 v2, 0x3ff, v0
	v_bfe_u32 v3, v0, 10, 10
	s_load_b32 s29, s[0:1], 0x0
	s_lshl_b32 s2, ttmp9, 5
	v_and_b32_e32 v22, 7, v0
	s_lshl_b32 s0, ttmp7, 5
	v_lshl_add_u32 v1, v3, 4, v2
	s_and_b32 s0, s0, 0x1fffe0
	v_cmp_neq_f64_e64 s31, s[6:7], 0
	v_add_nc_u32_e32 v12, s0, v3
	v_cmp_gt_i64_e64 s33, s[4:5], 0
	v_and_b32_e32 v6, 31, v1
	v_lshrrev_b32_e32 v23, 5, v1
	v_lshrrev_b32_e32 v8, 3, v1
	v_mad_co_u64_u32 v[4:5], null, s24, v12, 0
	s_delay_alu instid0(VALU_DEP_4) | instskip(SKIP_1) | instid1(VALU_DEP_4)
	v_or_b32_e32 v0, s2, v6
	v_lshlrev_b32_e32 v7, 3, v22
	v_add_nc_u32_e32 v9, s0, v8
	v_lshlrev_b32_e32 v6, 3, v6
	v_add_nc_u32_e32 v13, 16, v12
	v_ashrrev_i32_e32 v1, 31, v0
	s_wait_kmcnt 0x0
	v_cmp_gt_i32_e64 s0, s29, v0
	v_cmp_gt_i32_e64 s1, s29, v9
	v_lshl_or_b32 v24, v23, 8, v6
	v_lshl_add_u32 v31, v3, 6, 0x800
	v_lshlrev_b64_e32 v[0:1], 3, v[0:1]
	s_delay_alu instid0(VALU_DEP_1)
	v_add_co_u32 v26, vcc_lo, s8, v0
	v_cmp_neq_f64_e64 s8, s[20:21], 0
	v_mov_b32_e32 v0, v5
	v_lshl_or_b32 v7, v8, 6, v7
	v_add_co_ci_u32_e64 v27, null, s9, v1, vcc_lo
	v_dual_mov_b32 v1, 0 :: v_dual_lshlrev_b32 v8, 3, v9
	s_delay_alu instid0(VALU_DEP_3) | instskip(SKIP_1) | instid1(VALU_DEP_3)
	v_add_nc_u32_e32 v25, 0x800, v7
	v_mad_co_u64_u32 v[6:7], null, s24, v13, 0
	v_mad_co_u64_u32 v[9:10], null, s25, v12, v[0:1]
	s_delay_alu instid0(VALU_DEP_4)
	v_add_co_u32 v28, s3, s14, v8
	v_add_nc_u32_e32 v8, s2, v2
	v_lshlrev_b32_e32 v30, 3, v2
	v_mov_b32_e32 v0, v7
	s_wait_alu 0xf1ff
	v_add_co_ci_u32_e64 v29, null, s15, 0, s3
	v_add_nc_u32_e32 v2, 16, v8
	v_cmp_gt_i32_e32 vcc_lo, s29, v12
	v_mad_co_u64_u32 v[10:11], null, s25, v13, v[0:1]
	v_cmp_le_i32_e64 s2, v8, v12
	s_delay_alu instid0(VALU_DEP_4)
	v_cmp_le_i32_e64 s3, v2, v12
	v_mov_b32_e32 v5, v9
	v_ashrrev_i32_e32 v9, 31, v8
	v_ashrrev_i32_e32 v3, 31, v2
	s_and_b32 s9, vcc_lo, s2
	v_mov_b32_e32 v7, v10
	s_and_b32 s14, vcc_lo, s3
	v_cmp_gt_i32_e32 vcc_lo, s29, v13
	v_cmp_le_i32_e64 s2, v8, v13
	v_cmp_le_i32_e64 s3, v2, v13
	v_lshlrev_b64_e32 v[4:5], 3, v[4:5]
	v_lshlrev_b64_e32 v[6:7], 3, v[6:7]
	;; [unrolled: 1-line block ×3, first 2 shown]
	s_and_b32 s15, s31, s33
	s_and_b32 s24, vcc_lo, s2
	s_and_b32 s25, vcc_lo, s3
	s_mov_b32 s29, 0
	s_branch .LBB181_6
.LBB181_5:                              ;   in Loop: Header=BB181_6 Depth=1
	s_wait_alu 0xfffe
	s_or_b32 exec_lo, exec_lo, s2
	s_add_co_i32 s28, s28, 0x10000
	s_wait_alu 0xfffe
	s_cmp_lt_u32 s28, s30
	s_cbranch_scc0 .LBB181_35
.LBB181_6:                              ; =>This Loop Header: Depth=1
                                        ;     Child Loop BB181_9 Depth 2
	v_mov_b32_e32 v16, 0
	v_dual_mov_b32 v12, 0 :: v_dual_mov_b32 v17, 0
	v_dual_mov_b32 v14, 0 :: v_dual_mov_b32 v13, 0
	;; [unrolled: 1-line block ×3, first 2 shown]
	v_mov_b32_e32 v11, 0
	s_wait_alu 0xfffe
	s_and_not1_b32 vcc_lo, exec_lo, s15
	s_wait_alu 0xfffe
	s_cbranch_vccnz .LBB181_15
; %bb.7:                                ;   in Loop: Header=BB181_6 Depth=1
	s_mul_u64 s[2:3], s[12:13], s[28:29]
	s_mul_u64 s[34:35], s[18:19], s[28:29]
	s_wait_alu 0xfffe
	s_lshl_b64 s[2:3], s[2:3], 3
	v_mov_b32_e32 v10, 0
	s_wait_alu 0xfffe
	v_add_co_u32 v32, vcc_lo, v26, s2
	s_wait_alu 0xfffd
	v_add_co_ci_u32_e64 v33, null, s3, v27, vcc_lo
	s_lshl_b64 s[2:3], s[34:35], 3
	v_mov_b32_e32 v14, 0
	s_wait_alu 0xfffe
	v_add_co_u32 v34, vcc_lo, v28, s2
	v_dual_mov_b32 v11, 0 :: v_dual_mov_b32 v12, 0
	v_dual_mov_b32 v15, 0 :: v_dual_mov_b32 v16, 0
	v_mov_b32_e32 v13, 0
	v_mov_b32_e32 v17, 0
	s_wait_alu 0xfffd
	v_add_co_ci_u32_e64 v35, null, s3, v29, vcc_lo
	s_mov_b64 s[2:3], 0
	s_branch .LBB181_9
.LBB181_8:                              ;   in Loop: Header=BB181_9 Depth=2
	s_or_b32 exec_lo, exec_lo, s31
	s_wait_loadcnt 0x0
	ds_store_b64 v25, v[20:21]
	s_wait_dscnt 0x0
	s_barrier_signal -1
	s_barrier_wait -1
	global_inv scope:SCOPE_SE
	ds_load_b128 v[18:21], v31
	ds_load_2addr_b64 v[36:39], v30 offset1:16
	ds_load_b128 v[40:43], v31 offset:1024
	ds_load_b128 v[44:47], v31 offset:16
	;; [unrolled: 1-line block ×3, first 2 shown]
	s_add_nc_u64 s[2:3], s[2:3], 8
	s_wait_alu 0xfffe
	v_cmp_gt_i64_e64 s31, s[4:5], s[2:3]
	s_and_b32 vcc_lo, exec_lo, s31
	s_wait_dscnt 0x3
	v_fma_f64 v[16:17], v[36:37], v[18:19], v[16:17]
	v_fma_f64 v[14:15], v[38:39], v[18:19], v[14:15]
	s_wait_dscnt 0x2
	v_fma_f64 v[18:19], v[36:37], v[40:41], v[12:13]
	v_fma_f64 v[36:37], v[38:39], v[40:41], v[10:11]
	ds_load_2addr_b64 v[10:13], v30 offset0:32 offset1:48
	s_wait_dscnt 0x0
	v_fma_f64 v[16:17], v[10:11], v[20:21], v[16:17]
	v_fma_f64 v[14:15], v[12:13], v[20:21], v[14:15]
	v_fma_f64 v[18:19], v[10:11], v[42:43], v[18:19]
	v_fma_f64 v[20:21], v[12:13], v[42:43], v[36:37]
	ds_load_2addr_b64 v[10:13], v30 offset0:64 offset1:80
	s_wait_dscnt 0x0
	v_fma_f64 v[16:17], v[10:11], v[44:45], v[16:17]
	v_fma_f64 v[14:15], v[12:13], v[44:45], v[14:15]
	;; [unrolled: 6-line block ×3, first 2 shown]
	v_fma_f64 v[48:49], v[10:11], v[50:51], v[18:19]
	v_fma_f64 v[50:51], v[12:13], v[50:51], v[20:21]
	ds_load_b128 v[10:13], v31 offset:32
	ds_load_2addr_b64 v[14:17], v30 offset0:128 offset1:144
	ds_load_b128 v[18:21], v31 offset:1056
	ds_load_b128 v[36:39], v31 offset:48
	;; [unrolled: 1-line block ×3, first 2 shown]
	s_wait_dscnt 0x3
	v_fma_f64 v[44:45], v[14:15], v[10:11], v[44:45]
	v_fma_f64 v[10:11], v[16:17], v[10:11], v[46:47]
	s_wait_dscnt 0x2
	v_fma_f64 v[46:47], v[14:15], v[18:19], v[48:49]
	v_fma_f64 v[18:19], v[16:17], v[18:19], v[50:51]
	ds_load_2addr_b64 v[14:17], v30 offset0:160 offset1:176
	s_wait_dscnt 0x0
	v_fma_f64 v[44:45], v[14:15], v[12:13], v[44:45]
	v_fma_f64 v[48:49], v[16:17], v[12:13], v[10:11]
	;; [unrolled: 1-line block ×4, first 2 shown]
	ds_load_2addr_b64 v[10:13], v30 offset0:192 offset1:208
	ds_load_2addr_b64 v[18:21], v30 offset0:224 offset1:240
	s_wait_loadcnt_dscnt 0x0
	s_barrier_signal -1
	s_barrier_wait -1
	global_inv scope:SCOPE_SE
	v_fma_f64 v[44:45], v[10:11], v[36:37], v[44:45]
	v_fma_f64 v[36:37], v[12:13], v[36:37], v[48:49]
	;; [unrolled: 1-line block ×4, first 2 shown]
	s_delay_alu instid0(VALU_DEP_4) | instskip(NEXT) | instid1(VALU_DEP_4)
	v_fma_f64 v[16:17], v[18:19], v[38:39], v[44:45]
	v_fma_f64 v[14:15], v[20:21], v[38:39], v[36:37]
	s_delay_alu instid0(VALU_DEP_4) | instskip(NEXT) | instid1(VALU_DEP_4)
	v_fma_f64 v[12:13], v[18:19], v[42:43], v[10:11]
	v_fma_f64 v[10:11], v[20:21], v[42:43], v[40:41]
	s_wait_alu 0xfffe
	s_cbranch_vccz .LBB181_15
.LBB181_9:                              ;   Parent Loop BB181_6 Depth=1
                                        ; =>  This Inner Loop Header: Depth=2
	v_mov_b32_e32 v18, 0
	v_mov_b32_e32 v19, 0
	s_and_saveexec_b32 s31, s0
	s_cbranch_execz .LBB181_13
; %bb.10:                               ;   in Loop: Header=BB181_9 Depth=2
	v_mov_b32_e32 v18, 0
	s_wait_alu 0xfffe
	v_dual_mov_b32 v19, 0 :: v_dual_add_nc_u32 v0, s2, v23
	s_mov_b32 s33, exec_lo
	s_delay_alu instid0(VALU_DEP_1)
	v_cmpx_gt_u64_e64 s[4:5], v[0:1]
	s_cbranch_execz .LBB181_12
; %bb.11:                               ;   in Loop: Header=BB181_9 Depth=2
	v_mad_co_u64_u32 v[18:19], null, s10, v0, 0
	s_delay_alu instid0(VALU_DEP_1) | instskip(NEXT) | instid1(VALU_DEP_1)
	v_mad_co_u64_u32 v[19:20], null, s11, v0, v[19:20]
	v_lshlrev_b64_e32 v[18:19], 3, v[18:19]
	s_delay_alu instid0(VALU_DEP_1) | instskip(SKIP_1) | instid1(VALU_DEP_2)
	v_add_co_u32 v18, vcc_lo, v32, v18
	s_wait_alu 0xfffd
	v_add_co_ci_u32_e64 v19, null, v33, v19, vcc_lo
	global_load_b64 v[18:19], v[18:19], off
.LBB181_12:                             ;   in Loop: Header=BB181_9 Depth=2
	s_or_b32 exec_lo, exec_lo, s33
.LBB181_13:                             ;   in Loop: Header=BB181_9 Depth=2
	s_delay_alu instid0(SALU_CYCLE_1)
	s_or_b32 exec_lo, exec_lo, s31
	s_wait_alu 0xfffe
	v_add_nc_u32_e32 v0, s2, v22
	v_mov_b32_e32 v20, 0
	v_mov_b32_e32 v21, 0
	s_wait_loadcnt 0x0
	ds_store_b64 v24, v[18:19]
	v_cmp_gt_u64_e32 vcc_lo, s[4:5], v[0:1]
	s_and_b32 s33, vcc_lo, s1
	s_delay_alu instid0(SALU_CYCLE_1)
	s_and_saveexec_b32 s31, s33
	s_cbranch_execz .LBB181_8
; %bb.14:                               ;   in Loop: Header=BB181_9 Depth=2
	v_mad_co_u64_u32 v[18:19], null, s16, v0, 0
	s_delay_alu instid0(VALU_DEP_1) | instskip(NEXT) | instid1(VALU_DEP_1)
	v_mad_co_u64_u32 v[19:20], null, s17, v0, v[19:20]
	v_lshlrev_b64_e32 v[18:19], 3, v[18:19]
	s_delay_alu instid0(VALU_DEP_1) | instskip(SKIP_1) | instid1(VALU_DEP_2)
	v_add_co_u32 v18, vcc_lo, v34, v18
	s_wait_alu 0xfffd
	v_add_co_ci_u32_e64 v19, null, v35, v19, vcc_lo
	global_load_b64 v[20:21], v[18:19], off
	s_branch .LBB181_8
.LBB181_15:                             ;   in Loop: Header=BB181_6 Depth=1
	s_mul_u64 s[2:3], s[26:27], s[28:29]
	s_wait_alu 0xfffe
	s_lshl_b64 s[2:3], s[2:3], 3
	s_wait_alu 0xfffe
	s_add_nc_u64 s[2:3], s[22:23], s[2:3]
	s_wait_alu 0xfffe
	v_add_co_u32 v0, vcc_lo, s2, v4
	s_wait_alu 0xfffd
	v_add_co_ci_u32_e64 v18, null, s3, v5, vcc_lo
	s_and_saveexec_b32 s31, s9
	s_cbranch_execz .LBB181_19
; %bb.16:                               ;   in Loop: Header=BB181_6 Depth=1
	v_mul_f64_e32 v[16:17], s[6:7], v[16:17]
	s_and_b32 vcc_lo, exec_lo, s8
	s_wait_alu 0xfffe
	s_cbranch_vccz .LBB181_30
; %bb.17:                               ;   in Loop: Header=BB181_6 Depth=1
	v_add_co_u32 v19, vcc_lo, v0, v8
	s_wait_alu 0xfffd
	v_add_co_ci_u32_e64 v20, null, v18, v9, vcc_lo
	global_load_b64 v[32:33], v[19:20], off
	s_wait_loadcnt 0x0
	v_fma_f64 v[32:33], s[20:21], v[32:33], v[16:17]
	global_store_b64 v[19:20], v[32:33], off
	s_cbranch_execnz .LBB181_19
.LBB181_18:                             ;   in Loop: Header=BB181_6 Depth=1
	v_add_co_u32 v19, vcc_lo, v0, v8
	s_wait_alu 0xfffd
	v_add_co_ci_u32_e64 v20, null, v18, v9, vcc_lo
	global_store_b64 v[19:20], v[16:17], off
.LBB181_19:                             ;   in Loop: Header=BB181_6 Depth=1
	s_or_b32 exec_lo, exec_lo, s31
	s_and_saveexec_b32 s31, s14
	s_cbranch_execz .LBB181_23
; %bb.20:                               ;   in Loop: Header=BB181_6 Depth=1
	v_mul_f64_e32 v[14:15], s[6:7], v[14:15]
	s_and_not1_b32 vcc_lo, exec_lo, s8
	s_wait_alu 0xfffe
	s_cbranch_vccnz .LBB181_31
; %bb.21:                               ;   in Loop: Header=BB181_6 Depth=1
	v_lshlrev_b64_e32 v[16:17], 3, v[2:3]
	s_delay_alu instid0(VALU_DEP_1) | instskip(SKIP_1) | instid1(VALU_DEP_2)
	v_add_co_u32 v16, vcc_lo, v0, v16
	s_wait_alu 0xfffd
	v_add_co_ci_u32_e64 v17, null, v18, v17, vcc_lo
	global_load_b64 v[19:20], v[16:17], off
	s_wait_loadcnt 0x0
	v_fma_f64 v[19:20], s[20:21], v[19:20], v[14:15]
	global_store_b64 v[16:17], v[19:20], off
	s_cbranch_execnz .LBB181_23
.LBB181_22:                             ;   in Loop: Header=BB181_6 Depth=1
	v_lshlrev_b64_e32 v[16:17], 3, v[2:3]
	s_delay_alu instid0(VALU_DEP_1) | instskip(SKIP_1) | instid1(VALU_DEP_2)
	v_add_co_u32 v16, vcc_lo, v0, v16
	s_wait_alu 0xfffd
	v_add_co_ci_u32_e64 v17, null, v18, v17, vcc_lo
	global_store_b64 v[16:17], v[14:15], off
.LBB181_23:                             ;   in Loop: Header=BB181_6 Depth=1
	s_or_b32 exec_lo, exec_lo, s31
	v_add_co_u32 v0, vcc_lo, s2, v6
	s_wait_alu 0xfffd
	v_add_co_ci_u32_e64 v14, null, s3, v7, vcc_lo
	s_and_saveexec_b32 s2, s24
	s_cbranch_execz .LBB181_27
; %bb.24:                               ;   in Loop: Header=BB181_6 Depth=1
	v_mul_f64_e32 v[12:13], s[6:7], v[12:13]
	s_and_not1_b32 vcc_lo, exec_lo, s8
	s_wait_alu 0xfffe
	s_cbranch_vccnz .LBB181_32
; %bb.25:                               ;   in Loop: Header=BB181_6 Depth=1
	v_add_co_u32 v15, vcc_lo, v0, v8
	s_wait_alu 0xfffd
	v_add_co_ci_u32_e64 v16, null, v14, v9, vcc_lo
	global_load_b64 v[17:18], v[15:16], off
	s_wait_loadcnt 0x0
	v_fma_f64 v[17:18], s[20:21], v[17:18], v[12:13]
	global_store_b64 v[15:16], v[17:18], off
	s_cbranch_execnz .LBB181_27
.LBB181_26:                             ;   in Loop: Header=BB181_6 Depth=1
	v_add_co_u32 v15, vcc_lo, v0, v8
	s_wait_alu 0xfffd
	v_add_co_ci_u32_e64 v16, null, v14, v9, vcc_lo
	global_store_b64 v[15:16], v[12:13], off
.LBB181_27:                             ;   in Loop: Header=BB181_6 Depth=1
	s_wait_alu 0xfffe
	s_or_b32 exec_lo, exec_lo, s2
	s_and_saveexec_b32 s2, s25
	s_cbranch_execz .LBB181_5
; %bb.28:                               ;   in Loop: Header=BB181_6 Depth=1
	v_mul_f64_e32 v[10:11], s[6:7], v[10:11]
	v_lshlrev_b64_e32 v[12:13], 3, v[2:3]
	s_and_not1_b32 vcc_lo, exec_lo, s8
	s_wait_alu 0xfffe
	s_cbranch_vccnz .LBB181_33
; %bb.29:                               ;   in Loop: Header=BB181_6 Depth=1
	s_delay_alu instid0(VALU_DEP_1)
	v_add_co_u32 v15, vcc_lo, v0, v12
	s_wait_alu 0xfffd
	v_add_co_ci_u32_e64 v16, null, v14, v13, vcc_lo
	global_load_b64 v[17:18], v[15:16], off
	s_wait_loadcnt 0x0
	v_fma_f64 v[17:18], s[20:21], v[17:18], v[10:11]
	global_store_b64 v[15:16], v[17:18], off
	s_cbranch_execnz .LBB181_5
	s_branch .LBB181_34
.LBB181_30:                             ;   in Loop: Header=BB181_6 Depth=1
	s_branch .LBB181_18
.LBB181_31:                             ;   in Loop: Header=BB181_6 Depth=1
	s_branch .LBB181_22
.LBB181_32:                             ;   in Loop: Header=BB181_6 Depth=1
	s_branch .LBB181_26
.LBB181_33:                             ;   in Loop: Header=BB181_6 Depth=1
.LBB181_34:                             ;   in Loop: Header=BB181_6 Depth=1
	s_delay_alu instid0(VALU_DEP_1)
	v_add_co_u32 v12, vcc_lo, v0, v12
	s_wait_alu 0xfffd
	v_add_co_ci_u32_e64 v13, null, v14, v13, vcc_lo
	global_store_b64 v[12:13], v[10:11], off
	s_branch .LBB181_5
.LBB181_35:
	s_endpgm
	.section	.rodata,"a",@progbits
	.p2align	6, 0x0
	.amdhsa_kernel _ZL29rocblas_internal_gemmt_kernelIlLi16ELi32ELi8ELc78ELc84ELc85ELb0ELb0EdPKdS1_PdEviT_T9_T10_S3_lS5_S3_lS4_T11_S3_li
		.amdhsa_group_segment_fixed_size 4096
		.amdhsa_private_segment_fixed_size 0
		.amdhsa_kernarg_size 108
		.amdhsa_user_sgpr_count 2
		.amdhsa_user_sgpr_dispatch_ptr 0
		.amdhsa_user_sgpr_queue_ptr 0
		.amdhsa_user_sgpr_kernarg_segment_ptr 1
		.amdhsa_user_sgpr_dispatch_id 0
		.amdhsa_user_sgpr_private_segment_size 0
		.amdhsa_wavefront_size32 1
		.amdhsa_uses_dynamic_stack 0
		.amdhsa_enable_private_segment 0
		.amdhsa_system_sgpr_workgroup_id_x 1
		.amdhsa_system_sgpr_workgroup_id_y 1
		.amdhsa_system_sgpr_workgroup_id_z 1
		.amdhsa_system_sgpr_workgroup_info 0
		.amdhsa_system_vgpr_workitem_id 1
		.amdhsa_next_free_vgpr 52
		.amdhsa_next_free_sgpr 36
		.amdhsa_reserve_vcc 1
		.amdhsa_float_round_mode_32 0
		.amdhsa_float_round_mode_16_64 0
		.amdhsa_float_denorm_mode_32 3
		.amdhsa_float_denorm_mode_16_64 3
		.amdhsa_fp16_overflow 0
		.amdhsa_workgroup_processor_mode 1
		.amdhsa_memory_ordered 1
		.amdhsa_forward_progress 1
		.amdhsa_inst_pref_size 16
		.amdhsa_round_robin_scheduling 0
		.amdhsa_exception_fp_ieee_invalid_op 0
		.amdhsa_exception_fp_denorm_src 0
		.amdhsa_exception_fp_ieee_div_zero 0
		.amdhsa_exception_fp_ieee_overflow 0
		.amdhsa_exception_fp_ieee_underflow 0
		.amdhsa_exception_fp_ieee_inexact 0
		.amdhsa_exception_int_div_zero 0
	.end_amdhsa_kernel
	.section	.text._ZL29rocblas_internal_gemmt_kernelIlLi16ELi32ELi8ELc78ELc84ELc85ELb0ELb0EdPKdS1_PdEviT_T9_T10_S3_lS5_S3_lS4_T11_S3_li,"axG",@progbits,_ZL29rocblas_internal_gemmt_kernelIlLi16ELi32ELi8ELc78ELc84ELc85ELb0ELb0EdPKdS1_PdEviT_T9_T10_S3_lS5_S3_lS4_T11_S3_li,comdat
.Lfunc_end181:
	.size	_ZL29rocblas_internal_gemmt_kernelIlLi16ELi32ELi8ELc78ELc84ELc85ELb0ELb0EdPKdS1_PdEviT_T9_T10_S3_lS5_S3_lS4_T11_S3_li, .Lfunc_end181-_ZL29rocblas_internal_gemmt_kernelIlLi16ELi32ELi8ELc78ELc84ELc85ELb0ELb0EdPKdS1_PdEviT_T9_T10_S3_lS5_S3_lS4_T11_S3_li
                                        ; -- End function
	.set _ZL29rocblas_internal_gemmt_kernelIlLi16ELi32ELi8ELc78ELc84ELc85ELb0ELb0EdPKdS1_PdEviT_T9_T10_S3_lS5_S3_lS4_T11_S3_li.num_vgpr, 52
	.set _ZL29rocblas_internal_gemmt_kernelIlLi16ELi32ELi8ELc78ELc84ELc85ELb0ELb0EdPKdS1_PdEviT_T9_T10_S3_lS5_S3_lS4_T11_S3_li.num_agpr, 0
	.set _ZL29rocblas_internal_gemmt_kernelIlLi16ELi32ELi8ELc78ELc84ELc85ELb0ELb0EdPKdS1_PdEviT_T9_T10_S3_lS5_S3_lS4_T11_S3_li.numbered_sgpr, 36
	.set _ZL29rocblas_internal_gemmt_kernelIlLi16ELi32ELi8ELc78ELc84ELc85ELb0ELb0EdPKdS1_PdEviT_T9_T10_S3_lS5_S3_lS4_T11_S3_li.num_named_barrier, 0
	.set _ZL29rocblas_internal_gemmt_kernelIlLi16ELi32ELi8ELc78ELc84ELc85ELb0ELb0EdPKdS1_PdEviT_T9_T10_S3_lS5_S3_lS4_T11_S3_li.private_seg_size, 0
	.set _ZL29rocblas_internal_gemmt_kernelIlLi16ELi32ELi8ELc78ELc84ELc85ELb0ELb0EdPKdS1_PdEviT_T9_T10_S3_lS5_S3_lS4_T11_S3_li.uses_vcc, 1
	.set _ZL29rocblas_internal_gemmt_kernelIlLi16ELi32ELi8ELc78ELc84ELc85ELb0ELb0EdPKdS1_PdEviT_T9_T10_S3_lS5_S3_lS4_T11_S3_li.uses_flat_scratch, 0
	.set _ZL29rocblas_internal_gemmt_kernelIlLi16ELi32ELi8ELc78ELc84ELc85ELb0ELb0EdPKdS1_PdEviT_T9_T10_S3_lS5_S3_lS4_T11_S3_li.has_dyn_sized_stack, 0
	.set _ZL29rocblas_internal_gemmt_kernelIlLi16ELi32ELi8ELc78ELc84ELc85ELb0ELb0EdPKdS1_PdEviT_T9_T10_S3_lS5_S3_lS4_T11_S3_li.has_recursion, 0
	.set _ZL29rocblas_internal_gemmt_kernelIlLi16ELi32ELi8ELc78ELc84ELc85ELb0ELb0EdPKdS1_PdEviT_T9_T10_S3_lS5_S3_lS4_T11_S3_li.has_indirect_call, 0
	.section	.AMDGPU.csdata,"",@progbits
; Kernel info:
; codeLenInByte = 2040
; TotalNumSgprs: 38
; NumVgprs: 52
; ScratchSize: 0
; MemoryBound: 0
; FloatMode: 240
; IeeeMode: 1
; LDSByteSize: 4096 bytes/workgroup (compile time only)
; SGPRBlocks: 0
; VGPRBlocks: 6
; NumSGPRsForWavesPerEU: 38
; NumVGPRsForWavesPerEU: 52
; Occupancy: 16
; WaveLimiterHint : 0
; COMPUTE_PGM_RSRC2:SCRATCH_EN: 0
; COMPUTE_PGM_RSRC2:USER_SGPR: 2
; COMPUTE_PGM_RSRC2:TRAP_HANDLER: 0
; COMPUTE_PGM_RSRC2:TGID_X_EN: 1
; COMPUTE_PGM_RSRC2:TGID_Y_EN: 1
; COMPUTE_PGM_RSRC2:TGID_Z_EN: 1
; COMPUTE_PGM_RSRC2:TIDIG_COMP_CNT: 1
	.section	.text._ZL29rocblas_internal_gemmt_kernelIlLi16ELi32ELi8ELc78ELc67ELc85ELb0ELb0EdPKdS1_PdEviT_T9_T10_S3_lS5_S3_lS4_T11_S3_li,"axG",@progbits,_ZL29rocblas_internal_gemmt_kernelIlLi16ELi32ELi8ELc78ELc67ELc85ELb0ELb0EdPKdS1_PdEviT_T9_T10_S3_lS5_S3_lS4_T11_S3_li,comdat
	.globl	_ZL29rocblas_internal_gemmt_kernelIlLi16ELi32ELi8ELc78ELc67ELc85ELb0ELb0EdPKdS1_PdEviT_T9_T10_S3_lS5_S3_lS4_T11_S3_li ; -- Begin function _ZL29rocblas_internal_gemmt_kernelIlLi16ELi32ELi8ELc78ELc67ELc85ELb0ELb0EdPKdS1_PdEviT_T9_T10_S3_lS5_S3_lS4_T11_S3_li
	.p2align	8
	.type	_ZL29rocblas_internal_gemmt_kernelIlLi16ELi32ELi8ELc78ELc67ELc85ELb0ELb0EdPKdS1_PdEviT_T9_T10_S3_lS5_S3_lS4_T11_S3_li,@function
_ZL29rocblas_internal_gemmt_kernelIlLi16ELi32ELi8ELc78ELc67ELc85ELb0ELb0EdPKdS1_PdEviT_T9_T10_S3_lS5_S3_lS4_T11_S3_li: ; @_ZL29rocblas_internal_gemmt_kernelIlLi16ELi32ELi8ELc78ELc67ELc85ELb0ELb0EdPKdS1_PdEviT_T9_T10_S3_lS5_S3_lS4_T11_S3_li
; %bb.0:
	s_clause 0x1
	s_load_b256 s[20:27], s[0:1], 0x48
	s_load_b512 s[4:19], s[0:1], 0x8
	s_wait_kmcnt 0x0
	s_load_b64 s[20:21], s[20:21], 0x0
	s_load_b64 s[6:7], s[6:7], 0x0
	s_wait_kmcnt 0x0
	v_cmp_neq_f64_e64 s2, s[20:21], 1.0
	s_and_b32 vcc_lo, exec_lo, s2
	s_cbranch_vccnz .LBB182_2
; %bb.1:
	v_cmp_neq_f64_e64 s2, s[6:7], 0
	s_cmp_lg_u64 s[4:5], 0
	s_cselect_b32 s3, -1, 0
	s_delay_alu instid0(SALU_CYCLE_1)
	s_and_b32 s2, s3, s2
.LBB182_2:
	s_delay_alu instid0(SALU_CYCLE_1)
	s_and_not1_b32 vcc_lo, exec_lo, s2
	s_cbranch_vccnz .LBB182_35
; %bb.3:
	s_load_b32 s30, s[0:1], 0x68
	s_lshr_b32 s28, ttmp7, 16
	s_wait_kmcnt 0x0
	s_cmp_ge_u32 s28, s30
	s_cbranch_scc1 .LBB182_35
; %bb.4:
	v_and_b32_e32 v2, 0x3ff, v0
	v_bfe_u32 v3, v0, 10, 10
	s_load_b32 s29, s[0:1], 0x0
	s_lshl_b32 s2, ttmp9, 5
	v_and_b32_e32 v22, 7, v0
	s_lshl_b32 s0, ttmp7, 5
	v_lshl_add_u32 v1, v3, 4, v2
	s_and_b32 s0, s0, 0x1fffe0
	v_cmp_neq_f64_e64 s31, s[6:7], 0
	v_add_nc_u32_e32 v12, s0, v3
	v_cmp_gt_i64_e64 s33, s[4:5], 0
	v_and_b32_e32 v6, 31, v1
	v_lshrrev_b32_e32 v23, 5, v1
	v_lshrrev_b32_e32 v8, 3, v1
	v_mad_co_u64_u32 v[4:5], null, s24, v12, 0
	s_delay_alu instid0(VALU_DEP_4) | instskip(SKIP_1) | instid1(VALU_DEP_4)
	v_or_b32_e32 v0, s2, v6
	v_lshlrev_b32_e32 v7, 3, v22
	v_add_nc_u32_e32 v9, s0, v8
	v_lshlrev_b32_e32 v6, 3, v6
	v_add_nc_u32_e32 v13, 16, v12
	v_ashrrev_i32_e32 v1, 31, v0
	s_wait_kmcnt 0x0
	v_cmp_gt_i32_e64 s0, s29, v0
	v_cmp_gt_i32_e64 s1, s29, v9
	v_lshl_or_b32 v24, v23, 8, v6
	v_lshl_add_u32 v31, v3, 6, 0x800
	v_lshlrev_b64_e32 v[0:1], 3, v[0:1]
	s_delay_alu instid0(VALU_DEP_1)
	v_add_co_u32 v26, vcc_lo, s8, v0
	v_cmp_neq_f64_e64 s8, s[20:21], 0
	v_mov_b32_e32 v0, v5
	v_lshl_or_b32 v7, v8, 6, v7
	v_add_co_ci_u32_e64 v27, null, s9, v1, vcc_lo
	v_dual_mov_b32 v1, 0 :: v_dual_lshlrev_b32 v8, 3, v9
	s_delay_alu instid0(VALU_DEP_3) | instskip(SKIP_1) | instid1(VALU_DEP_3)
	v_add_nc_u32_e32 v25, 0x800, v7
	v_mad_co_u64_u32 v[6:7], null, s24, v13, 0
	v_mad_co_u64_u32 v[9:10], null, s25, v12, v[0:1]
	s_delay_alu instid0(VALU_DEP_4)
	v_add_co_u32 v28, s3, s14, v8
	v_add_nc_u32_e32 v8, s2, v2
	v_lshlrev_b32_e32 v30, 3, v2
	v_mov_b32_e32 v0, v7
	s_wait_alu 0xf1ff
	v_add_co_ci_u32_e64 v29, null, s15, 0, s3
	v_add_nc_u32_e32 v2, 16, v8
	v_cmp_gt_i32_e32 vcc_lo, s29, v12
	v_mad_co_u64_u32 v[10:11], null, s25, v13, v[0:1]
	v_cmp_le_i32_e64 s2, v8, v12
	s_delay_alu instid0(VALU_DEP_4)
	v_cmp_le_i32_e64 s3, v2, v12
	v_mov_b32_e32 v5, v9
	v_ashrrev_i32_e32 v9, 31, v8
	v_ashrrev_i32_e32 v3, 31, v2
	s_and_b32 s9, vcc_lo, s2
	v_mov_b32_e32 v7, v10
	s_and_b32 s14, vcc_lo, s3
	v_cmp_gt_i32_e32 vcc_lo, s29, v13
	v_cmp_le_i32_e64 s2, v8, v13
	v_cmp_le_i32_e64 s3, v2, v13
	v_lshlrev_b64_e32 v[4:5], 3, v[4:5]
	v_lshlrev_b64_e32 v[6:7], 3, v[6:7]
	;; [unrolled: 1-line block ×3, first 2 shown]
	s_and_b32 s15, s31, s33
	s_and_b32 s24, vcc_lo, s2
	s_and_b32 s25, vcc_lo, s3
	s_mov_b32 s29, 0
	s_branch .LBB182_6
.LBB182_5:                              ;   in Loop: Header=BB182_6 Depth=1
	s_wait_alu 0xfffe
	s_or_b32 exec_lo, exec_lo, s2
	s_add_co_i32 s28, s28, 0x10000
	s_wait_alu 0xfffe
	s_cmp_lt_u32 s28, s30
	s_cbranch_scc0 .LBB182_35
.LBB182_6:                              ; =>This Loop Header: Depth=1
                                        ;     Child Loop BB182_9 Depth 2
	v_mov_b32_e32 v16, 0
	v_dual_mov_b32 v12, 0 :: v_dual_mov_b32 v17, 0
	v_dual_mov_b32 v14, 0 :: v_dual_mov_b32 v13, 0
	;; [unrolled: 1-line block ×3, first 2 shown]
	v_mov_b32_e32 v11, 0
	s_wait_alu 0xfffe
	s_and_not1_b32 vcc_lo, exec_lo, s15
	s_wait_alu 0xfffe
	s_cbranch_vccnz .LBB182_15
; %bb.7:                                ;   in Loop: Header=BB182_6 Depth=1
	s_mul_u64 s[2:3], s[12:13], s[28:29]
	s_mul_u64 s[34:35], s[18:19], s[28:29]
	s_wait_alu 0xfffe
	s_lshl_b64 s[2:3], s[2:3], 3
	v_mov_b32_e32 v10, 0
	s_wait_alu 0xfffe
	v_add_co_u32 v32, vcc_lo, v26, s2
	s_wait_alu 0xfffd
	v_add_co_ci_u32_e64 v33, null, s3, v27, vcc_lo
	s_lshl_b64 s[2:3], s[34:35], 3
	v_mov_b32_e32 v14, 0
	s_wait_alu 0xfffe
	v_add_co_u32 v34, vcc_lo, v28, s2
	v_dual_mov_b32 v11, 0 :: v_dual_mov_b32 v12, 0
	v_dual_mov_b32 v15, 0 :: v_dual_mov_b32 v16, 0
	v_mov_b32_e32 v13, 0
	v_mov_b32_e32 v17, 0
	s_wait_alu 0xfffd
	v_add_co_ci_u32_e64 v35, null, s3, v29, vcc_lo
	s_mov_b64 s[2:3], 0
	s_branch .LBB182_9
.LBB182_8:                              ;   in Loop: Header=BB182_9 Depth=2
	s_or_b32 exec_lo, exec_lo, s31
	s_wait_loadcnt 0x0
	ds_store_b64 v25, v[20:21]
	s_wait_dscnt 0x0
	s_barrier_signal -1
	s_barrier_wait -1
	global_inv scope:SCOPE_SE
	ds_load_b128 v[18:21], v31
	ds_load_2addr_b64 v[36:39], v30 offset1:16
	ds_load_b128 v[40:43], v31 offset:1024
	ds_load_b128 v[44:47], v31 offset:16
	ds_load_b128 v[48:51], v31 offset:1040
	s_add_nc_u64 s[2:3], s[2:3], 8
	s_wait_alu 0xfffe
	v_cmp_gt_i64_e64 s31, s[4:5], s[2:3]
	s_and_b32 vcc_lo, exec_lo, s31
	s_wait_dscnt 0x3
	v_fma_f64 v[16:17], v[36:37], v[18:19], v[16:17]
	v_fma_f64 v[14:15], v[38:39], v[18:19], v[14:15]
	s_wait_dscnt 0x2
	v_fma_f64 v[18:19], v[36:37], v[40:41], v[12:13]
	v_fma_f64 v[36:37], v[38:39], v[40:41], v[10:11]
	ds_load_2addr_b64 v[10:13], v30 offset0:32 offset1:48
	s_wait_dscnt 0x0
	v_fma_f64 v[16:17], v[10:11], v[20:21], v[16:17]
	v_fma_f64 v[14:15], v[12:13], v[20:21], v[14:15]
	v_fma_f64 v[18:19], v[10:11], v[42:43], v[18:19]
	v_fma_f64 v[20:21], v[12:13], v[42:43], v[36:37]
	ds_load_2addr_b64 v[10:13], v30 offset0:64 offset1:80
	s_wait_dscnt 0x0
	v_fma_f64 v[16:17], v[10:11], v[44:45], v[16:17]
	v_fma_f64 v[14:15], v[12:13], v[44:45], v[14:15]
	;; [unrolled: 6-line block ×3, first 2 shown]
	v_fma_f64 v[48:49], v[10:11], v[50:51], v[18:19]
	v_fma_f64 v[50:51], v[12:13], v[50:51], v[20:21]
	ds_load_b128 v[10:13], v31 offset:32
	ds_load_2addr_b64 v[14:17], v30 offset0:128 offset1:144
	ds_load_b128 v[18:21], v31 offset:1056
	ds_load_b128 v[36:39], v31 offset:48
	;; [unrolled: 1-line block ×3, first 2 shown]
	s_wait_dscnt 0x3
	v_fma_f64 v[44:45], v[14:15], v[10:11], v[44:45]
	v_fma_f64 v[10:11], v[16:17], v[10:11], v[46:47]
	s_wait_dscnt 0x2
	v_fma_f64 v[46:47], v[14:15], v[18:19], v[48:49]
	v_fma_f64 v[18:19], v[16:17], v[18:19], v[50:51]
	ds_load_2addr_b64 v[14:17], v30 offset0:160 offset1:176
	s_wait_dscnt 0x0
	v_fma_f64 v[44:45], v[14:15], v[12:13], v[44:45]
	v_fma_f64 v[48:49], v[16:17], v[12:13], v[10:11]
	;; [unrolled: 1-line block ×4, first 2 shown]
	ds_load_2addr_b64 v[10:13], v30 offset0:192 offset1:208
	ds_load_2addr_b64 v[18:21], v30 offset0:224 offset1:240
	s_wait_loadcnt_dscnt 0x0
	s_barrier_signal -1
	s_barrier_wait -1
	global_inv scope:SCOPE_SE
	v_fma_f64 v[44:45], v[10:11], v[36:37], v[44:45]
	v_fma_f64 v[36:37], v[12:13], v[36:37], v[48:49]
	;; [unrolled: 1-line block ×4, first 2 shown]
	s_delay_alu instid0(VALU_DEP_4) | instskip(NEXT) | instid1(VALU_DEP_4)
	v_fma_f64 v[16:17], v[18:19], v[38:39], v[44:45]
	v_fma_f64 v[14:15], v[20:21], v[38:39], v[36:37]
	s_delay_alu instid0(VALU_DEP_4) | instskip(NEXT) | instid1(VALU_DEP_4)
	v_fma_f64 v[12:13], v[18:19], v[42:43], v[10:11]
	v_fma_f64 v[10:11], v[20:21], v[42:43], v[40:41]
	s_wait_alu 0xfffe
	s_cbranch_vccz .LBB182_15
.LBB182_9:                              ;   Parent Loop BB182_6 Depth=1
                                        ; =>  This Inner Loop Header: Depth=2
	v_mov_b32_e32 v18, 0
	v_mov_b32_e32 v19, 0
	s_and_saveexec_b32 s31, s0
	s_cbranch_execz .LBB182_13
; %bb.10:                               ;   in Loop: Header=BB182_9 Depth=2
	v_mov_b32_e32 v18, 0
	s_wait_alu 0xfffe
	v_dual_mov_b32 v19, 0 :: v_dual_add_nc_u32 v0, s2, v23
	s_mov_b32 s33, exec_lo
	s_delay_alu instid0(VALU_DEP_1)
	v_cmpx_gt_u64_e64 s[4:5], v[0:1]
	s_cbranch_execz .LBB182_12
; %bb.11:                               ;   in Loop: Header=BB182_9 Depth=2
	v_mad_co_u64_u32 v[18:19], null, s10, v0, 0
	s_delay_alu instid0(VALU_DEP_1) | instskip(NEXT) | instid1(VALU_DEP_1)
	v_mad_co_u64_u32 v[19:20], null, s11, v0, v[19:20]
	v_lshlrev_b64_e32 v[18:19], 3, v[18:19]
	s_delay_alu instid0(VALU_DEP_1) | instskip(SKIP_1) | instid1(VALU_DEP_2)
	v_add_co_u32 v18, vcc_lo, v32, v18
	s_wait_alu 0xfffd
	v_add_co_ci_u32_e64 v19, null, v33, v19, vcc_lo
	global_load_b64 v[18:19], v[18:19], off
.LBB182_12:                             ;   in Loop: Header=BB182_9 Depth=2
	s_or_b32 exec_lo, exec_lo, s33
.LBB182_13:                             ;   in Loop: Header=BB182_9 Depth=2
	s_delay_alu instid0(SALU_CYCLE_1)
	s_or_b32 exec_lo, exec_lo, s31
	s_wait_alu 0xfffe
	v_add_nc_u32_e32 v0, s2, v22
	v_mov_b32_e32 v20, 0
	v_mov_b32_e32 v21, 0
	s_wait_loadcnt 0x0
	ds_store_b64 v24, v[18:19]
	v_cmp_gt_u64_e32 vcc_lo, s[4:5], v[0:1]
	s_and_b32 s33, vcc_lo, s1
	s_delay_alu instid0(SALU_CYCLE_1)
	s_and_saveexec_b32 s31, s33
	s_cbranch_execz .LBB182_8
; %bb.14:                               ;   in Loop: Header=BB182_9 Depth=2
	v_mad_co_u64_u32 v[18:19], null, s16, v0, 0
	s_delay_alu instid0(VALU_DEP_1) | instskip(NEXT) | instid1(VALU_DEP_1)
	v_mad_co_u64_u32 v[19:20], null, s17, v0, v[19:20]
	v_lshlrev_b64_e32 v[18:19], 3, v[18:19]
	s_delay_alu instid0(VALU_DEP_1) | instskip(SKIP_1) | instid1(VALU_DEP_2)
	v_add_co_u32 v18, vcc_lo, v34, v18
	s_wait_alu 0xfffd
	v_add_co_ci_u32_e64 v19, null, v35, v19, vcc_lo
	global_load_b64 v[20:21], v[18:19], off
	s_branch .LBB182_8
.LBB182_15:                             ;   in Loop: Header=BB182_6 Depth=1
	s_mul_u64 s[2:3], s[26:27], s[28:29]
	s_wait_alu 0xfffe
	s_lshl_b64 s[2:3], s[2:3], 3
	s_wait_alu 0xfffe
	s_add_nc_u64 s[2:3], s[22:23], s[2:3]
	s_wait_alu 0xfffe
	v_add_co_u32 v0, vcc_lo, s2, v4
	s_wait_alu 0xfffd
	v_add_co_ci_u32_e64 v18, null, s3, v5, vcc_lo
	s_and_saveexec_b32 s31, s9
	s_cbranch_execz .LBB182_19
; %bb.16:                               ;   in Loop: Header=BB182_6 Depth=1
	v_mul_f64_e32 v[16:17], s[6:7], v[16:17]
	s_and_b32 vcc_lo, exec_lo, s8
	s_wait_alu 0xfffe
	s_cbranch_vccz .LBB182_30
; %bb.17:                               ;   in Loop: Header=BB182_6 Depth=1
	v_add_co_u32 v19, vcc_lo, v0, v8
	s_wait_alu 0xfffd
	v_add_co_ci_u32_e64 v20, null, v18, v9, vcc_lo
	global_load_b64 v[32:33], v[19:20], off
	s_wait_loadcnt 0x0
	v_fma_f64 v[32:33], s[20:21], v[32:33], v[16:17]
	global_store_b64 v[19:20], v[32:33], off
	s_cbranch_execnz .LBB182_19
.LBB182_18:                             ;   in Loop: Header=BB182_6 Depth=1
	v_add_co_u32 v19, vcc_lo, v0, v8
	s_wait_alu 0xfffd
	v_add_co_ci_u32_e64 v20, null, v18, v9, vcc_lo
	global_store_b64 v[19:20], v[16:17], off
.LBB182_19:                             ;   in Loop: Header=BB182_6 Depth=1
	s_or_b32 exec_lo, exec_lo, s31
	s_and_saveexec_b32 s31, s14
	s_cbranch_execz .LBB182_23
; %bb.20:                               ;   in Loop: Header=BB182_6 Depth=1
	v_mul_f64_e32 v[14:15], s[6:7], v[14:15]
	s_and_not1_b32 vcc_lo, exec_lo, s8
	s_wait_alu 0xfffe
	s_cbranch_vccnz .LBB182_31
; %bb.21:                               ;   in Loop: Header=BB182_6 Depth=1
	v_lshlrev_b64_e32 v[16:17], 3, v[2:3]
	s_delay_alu instid0(VALU_DEP_1) | instskip(SKIP_1) | instid1(VALU_DEP_2)
	v_add_co_u32 v16, vcc_lo, v0, v16
	s_wait_alu 0xfffd
	v_add_co_ci_u32_e64 v17, null, v18, v17, vcc_lo
	global_load_b64 v[19:20], v[16:17], off
	s_wait_loadcnt 0x0
	v_fma_f64 v[19:20], s[20:21], v[19:20], v[14:15]
	global_store_b64 v[16:17], v[19:20], off
	s_cbranch_execnz .LBB182_23
.LBB182_22:                             ;   in Loop: Header=BB182_6 Depth=1
	v_lshlrev_b64_e32 v[16:17], 3, v[2:3]
	s_delay_alu instid0(VALU_DEP_1) | instskip(SKIP_1) | instid1(VALU_DEP_2)
	v_add_co_u32 v16, vcc_lo, v0, v16
	s_wait_alu 0xfffd
	v_add_co_ci_u32_e64 v17, null, v18, v17, vcc_lo
	global_store_b64 v[16:17], v[14:15], off
.LBB182_23:                             ;   in Loop: Header=BB182_6 Depth=1
	s_or_b32 exec_lo, exec_lo, s31
	v_add_co_u32 v0, vcc_lo, s2, v6
	s_wait_alu 0xfffd
	v_add_co_ci_u32_e64 v14, null, s3, v7, vcc_lo
	s_and_saveexec_b32 s2, s24
	s_cbranch_execz .LBB182_27
; %bb.24:                               ;   in Loop: Header=BB182_6 Depth=1
	v_mul_f64_e32 v[12:13], s[6:7], v[12:13]
	s_and_not1_b32 vcc_lo, exec_lo, s8
	s_wait_alu 0xfffe
	s_cbranch_vccnz .LBB182_32
; %bb.25:                               ;   in Loop: Header=BB182_6 Depth=1
	v_add_co_u32 v15, vcc_lo, v0, v8
	s_wait_alu 0xfffd
	v_add_co_ci_u32_e64 v16, null, v14, v9, vcc_lo
	global_load_b64 v[17:18], v[15:16], off
	s_wait_loadcnt 0x0
	v_fma_f64 v[17:18], s[20:21], v[17:18], v[12:13]
	global_store_b64 v[15:16], v[17:18], off
	s_cbranch_execnz .LBB182_27
.LBB182_26:                             ;   in Loop: Header=BB182_6 Depth=1
	v_add_co_u32 v15, vcc_lo, v0, v8
	s_wait_alu 0xfffd
	v_add_co_ci_u32_e64 v16, null, v14, v9, vcc_lo
	global_store_b64 v[15:16], v[12:13], off
.LBB182_27:                             ;   in Loop: Header=BB182_6 Depth=1
	s_wait_alu 0xfffe
	s_or_b32 exec_lo, exec_lo, s2
	s_and_saveexec_b32 s2, s25
	s_cbranch_execz .LBB182_5
; %bb.28:                               ;   in Loop: Header=BB182_6 Depth=1
	v_mul_f64_e32 v[10:11], s[6:7], v[10:11]
	v_lshlrev_b64_e32 v[12:13], 3, v[2:3]
	s_and_not1_b32 vcc_lo, exec_lo, s8
	s_wait_alu 0xfffe
	s_cbranch_vccnz .LBB182_33
; %bb.29:                               ;   in Loop: Header=BB182_6 Depth=1
	s_delay_alu instid0(VALU_DEP_1)
	v_add_co_u32 v15, vcc_lo, v0, v12
	s_wait_alu 0xfffd
	v_add_co_ci_u32_e64 v16, null, v14, v13, vcc_lo
	global_load_b64 v[17:18], v[15:16], off
	s_wait_loadcnt 0x0
	v_fma_f64 v[17:18], s[20:21], v[17:18], v[10:11]
	global_store_b64 v[15:16], v[17:18], off
	s_cbranch_execnz .LBB182_5
	s_branch .LBB182_34
.LBB182_30:                             ;   in Loop: Header=BB182_6 Depth=1
	s_branch .LBB182_18
.LBB182_31:                             ;   in Loop: Header=BB182_6 Depth=1
	s_branch .LBB182_22
.LBB182_32:                             ;   in Loop: Header=BB182_6 Depth=1
	s_branch .LBB182_26
.LBB182_33:                             ;   in Loop: Header=BB182_6 Depth=1
.LBB182_34:                             ;   in Loop: Header=BB182_6 Depth=1
	s_delay_alu instid0(VALU_DEP_1)
	v_add_co_u32 v12, vcc_lo, v0, v12
	s_wait_alu 0xfffd
	v_add_co_ci_u32_e64 v13, null, v14, v13, vcc_lo
	global_store_b64 v[12:13], v[10:11], off
	s_branch .LBB182_5
.LBB182_35:
	s_endpgm
	.section	.rodata,"a",@progbits
	.p2align	6, 0x0
	.amdhsa_kernel _ZL29rocblas_internal_gemmt_kernelIlLi16ELi32ELi8ELc78ELc67ELc85ELb0ELb0EdPKdS1_PdEviT_T9_T10_S3_lS5_S3_lS4_T11_S3_li
		.amdhsa_group_segment_fixed_size 4096
		.amdhsa_private_segment_fixed_size 0
		.amdhsa_kernarg_size 108
		.amdhsa_user_sgpr_count 2
		.amdhsa_user_sgpr_dispatch_ptr 0
		.amdhsa_user_sgpr_queue_ptr 0
		.amdhsa_user_sgpr_kernarg_segment_ptr 1
		.amdhsa_user_sgpr_dispatch_id 0
		.amdhsa_user_sgpr_private_segment_size 0
		.amdhsa_wavefront_size32 1
		.amdhsa_uses_dynamic_stack 0
		.amdhsa_enable_private_segment 0
		.amdhsa_system_sgpr_workgroup_id_x 1
		.amdhsa_system_sgpr_workgroup_id_y 1
		.amdhsa_system_sgpr_workgroup_id_z 1
		.amdhsa_system_sgpr_workgroup_info 0
		.amdhsa_system_vgpr_workitem_id 1
		.amdhsa_next_free_vgpr 52
		.amdhsa_next_free_sgpr 36
		.amdhsa_reserve_vcc 1
		.amdhsa_float_round_mode_32 0
		.amdhsa_float_round_mode_16_64 0
		.amdhsa_float_denorm_mode_32 3
		.amdhsa_float_denorm_mode_16_64 3
		.amdhsa_fp16_overflow 0
		.amdhsa_workgroup_processor_mode 1
		.amdhsa_memory_ordered 1
		.amdhsa_forward_progress 1
		.amdhsa_inst_pref_size 16
		.amdhsa_round_robin_scheduling 0
		.amdhsa_exception_fp_ieee_invalid_op 0
		.amdhsa_exception_fp_denorm_src 0
		.amdhsa_exception_fp_ieee_div_zero 0
		.amdhsa_exception_fp_ieee_overflow 0
		.amdhsa_exception_fp_ieee_underflow 0
		.amdhsa_exception_fp_ieee_inexact 0
		.amdhsa_exception_int_div_zero 0
	.end_amdhsa_kernel
	.section	.text._ZL29rocblas_internal_gemmt_kernelIlLi16ELi32ELi8ELc78ELc67ELc85ELb0ELb0EdPKdS1_PdEviT_T9_T10_S3_lS5_S3_lS4_T11_S3_li,"axG",@progbits,_ZL29rocblas_internal_gemmt_kernelIlLi16ELi32ELi8ELc78ELc67ELc85ELb0ELb0EdPKdS1_PdEviT_T9_T10_S3_lS5_S3_lS4_T11_S3_li,comdat
.Lfunc_end182:
	.size	_ZL29rocblas_internal_gemmt_kernelIlLi16ELi32ELi8ELc78ELc67ELc85ELb0ELb0EdPKdS1_PdEviT_T9_T10_S3_lS5_S3_lS4_T11_S3_li, .Lfunc_end182-_ZL29rocblas_internal_gemmt_kernelIlLi16ELi32ELi8ELc78ELc67ELc85ELb0ELb0EdPKdS1_PdEviT_T9_T10_S3_lS5_S3_lS4_T11_S3_li
                                        ; -- End function
	.set _ZL29rocblas_internal_gemmt_kernelIlLi16ELi32ELi8ELc78ELc67ELc85ELb0ELb0EdPKdS1_PdEviT_T9_T10_S3_lS5_S3_lS4_T11_S3_li.num_vgpr, 52
	.set _ZL29rocblas_internal_gemmt_kernelIlLi16ELi32ELi8ELc78ELc67ELc85ELb0ELb0EdPKdS1_PdEviT_T9_T10_S3_lS5_S3_lS4_T11_S3_li.num_agpr, 0
	.set _ZL29rocblas_internal_gemmt_kernelIlLi16ELi32ELi8ELc78ELc67ELc85ELb0ELb0EdPKdS1_PdEviT_T9_T10_S3_lS5_S3_lS4_T11_S3_li.numbered_sgpr, 36
	.set _ZL29rocblas_internal_gemmt_kernelIlLi16ELi32ELi8ELc78ELc67ELc85ELb0ELb0EdPKdS1_PdEviT_T9_T10_S3_lS5_S3_lS4_T11_S3_li.num_named_barrier, 0
	.set _ZL29rocblas_internal_gemmt_kernelIlLi16ELi32ELi8ELc78ELc67ELc85ELb0ELb0EdPKdS1_PdEviT_T9_T10_S3_lS5_S3_lS4_T11_S3_li.private_seg_size, 0
	.set _ZL29rocblas_internal_gemmt_kernelIlLi16ELi32ELi8ELc78ELc67ELc85ELb0ELb0EdPKdS1_PdEviT_T9_T10_S3_lS5_S3_lS4_T11_S3_li.uses_vcc, 1
	.set _ZL29rocblas_internal_gemmt_kernelIlLi16ELi32ELi8ELc78ELc67ELc85ELb0ELb0EdPKdS1_PdEviT_T9_T10_S3_lS5_S3_lS4_T11_S3_li.uses_flat_scratch, 0
	.set _ZL29rocblas_internal_gemmt_kernelIlLi16ELi32ELi8ELc78ELc67ELc85ELb0ELb0EdPKdS1_PdEviT_T9_T10_S3_lS5_S3_lS4_T11_S3_li.has_dyn_sized_stack, 0
	.set _ZL29rocblas_internal_gemmt_kernelIlLi16ELi32ELi8ELc78ELc67ELc85ELb0ELb0EdPKdS1_PdEviT_T9_T10_S3_lS5_S3_lS4_T11_S3_li.has_recursion, 0
	.set _ZL29rocblas_internal_gemmt_kernelIlLi16ELi32ELi8ELc78ELc67ELc85ELb0ELb0EdPKdS1_PdEviT_T9_T10_S3_lS5_S3_lS4_T11_S3_li.has_indirect_call, 0
	.section	.AMDGPU.csdata,"",@progbits
; Kernel info:
; codeLenInByte = 2040
; TotalNumSgprs: 38
; NumVgprs: 52
; ScratchSize: 0
; MemoryBound: 0
; FloatMode: 240
; IeeeMode: 1
; LDSByteSize: 4096 bytes/workgroup (compile time only)
; SGPRBlocks: 0
; VGPRBlocks: 6
; NumSGPRsForWavesPerEU: 38
; NumVGPRsForWavesPerEU: 52
; Occupancy: 16
; WaveLimiterHint : 0
; COMPUTE_PGM_RSRC2:SCRATCH_EN: 0
; COMPUTE_PGM_RSRC2:USER_SGPR: 2
; COMPUTE_PGM_RSRC2:TRAP_HANDLER: 0
; COMPUTE_PGM_RSRC2:TGID_X_EN: 1
; COMPUTE_PGM_RSRC2:TGID_Y_EN: 1
; COMPUTE_PGM_RSRC2:TGID_Z_EN: 1
; COMPUTE_PGM_RSRC2:TIDIG_COMP_CNT: 1
	.section	.text._ZL29rocblas_internal_gemmt_kernelIlLi16ELi32ELi8ELc84ELc78ELc85ELb0ELb0EdPKdS1_PdEviT_T9_T10_S3_lS5_S3_lS4_T11_S3_li,"axG",@progbits,_ZL29rocblas_internal_gemmt_kernelIlLi16ELi32ELi8ELc84ELc78ELc85ELb0ELb0EdPKdS1_PdEviT_T9_T10_S3_lS5_S3_lS4_T11_S3_li,comdat
	.globl	_ZL29rocblas_internal_gemmt_kernelIlLi16ELi32ELi8ELc84ELc78ELc85ELb0ELb0EdPKdS1_PdEviT_T9_T10_S3_lS5_S3_lS4_T11_S3_li ; -- Begin function _ZL29rocblas_internal_gemmt_kernelIlLi16ELi32ELi8ELc84ELc78ELc85ELb0ELb0EdPKdS1_PdEviT_T9_T10_S3_lS5_S3_lS4_T11_S3_li
	.p2align	8
	.type	_ZL29rocblas_internal_gemmt_kernelIlLi16ELi32ELi8ELc84ELc78ELc85ELb0ELb0EdPKdS1_PdEviT_T9_T10_S3_lS5_S3_lS4_T11_S3_li,@function
_ZL29rocblas_internal_gemmt_kernelIlLi16ELi32ELi8ELc84ELc78ELc85ELb0ELb0EdPKdS1_PdEviT_T9_T10_S3_lS5_S3_lS4_T11_S3_li: ; @_ZL29rocblas_internal_gemmt_kernelIlLi16ELi32ELi8ELc84ELc78ELc85ELb0ELb0EdPKdS1_PdEviT_T9_T10_S3_lS5_S3_lS4_T11_S3_li
; %bb.0:
	s_clause 0x1
	s_load_b256 s[20:27], s[0:1], 0x48
	s_load_b512 s[4:19], s[0:1], 0x8
	s_wait_kmcnt 0x0
	s_load_b64 s[20:21], s[20:21], 0x0
	s_load_b64 s[6:7], s[6:7], 0x0
	s_wait_kmcnt 0x0
	v_cmp_neq_f64_e64 s2, s[20:21], 1.0
	s_and_b32 vcc_lo, exec_lo, s2
	s_cbranch_vccnz .LBB183_2
; %bb.1:
	v_cmp_neq_f64_e64 s2, s[6:7], 0
	s_cmp_lg_u64 s[4:5], 0
	s_cselect_b32 s3, -1, 0
	s_delay_alu instid0(SALU_CYCLE_1)
	s_and_b32 s2, s3, s2
.LBB183_2:
	s_delay_alu instid0(SALU_CYCLE_1)
	s_and_not1_b32 vcc_lo, exec_lo, s2
	s_cbranch_vccnz .LBB183_35
; %bb.3:
	s_load_b32 s30, s[0:1], 0x68
	s_lshr_b32 s28, ttmp7, 16
	s_wait_kmcnt 0x0
	s_cmp_ge_u32 s28, s30
	s_cbranch_scc1 .LBB183_35
; %bb.4:
	v_and_b32_e32 v9, 0x3ff, v0
	v_bfe_u32 v12, v0, 10, 10
	s_load_b32 s29, s[0:1], 0x0
	s_lshl_b32 s1, ttmp7, 5
	s_lshl_b32 s0, ttmp9, 5
	s_and_b32 s1, s1, 0x1fffe0
	v_lshl_add_u32 v2, v12, 4, v9
	v_and_b32_e32 v22, 7, v0
	s_ashr_i32 s2, s0, 31
	v_add_nc_u32_e32 v16, s1, v12
	s_mul_i32 s2, s10, s2
	v_lshrrev_b32_e32 v10, 3, v2
	v_and_b32_e32 v11, 31, v2
	v_lshrrev_b32_e32 v23, 5, v2
	v_cmp_neq_f64_e64 s33, s[6:7], 0
	v_cmp_neq_f64_e64 s31, s[20:21], 0
	v_add_nc_u32_e32 v13, s1, v10
	v_or_b32_e32 v14, s0, v11
	v_add_nc_u32_e32 v18, 16, v16
	v_mad_co_u64_u32 v[4:5], null, s24, v16, 0
	s_delay_alu instid0(VALU_DEP_4) | instskip(NEXT) | instid1(VALU_DEP_4)
	v_mad_co_u64_u32 v[0:1], null, s16, v13, 0
	v_mad_co_u64_u32 v[2:3], null, s10, v14, 0
	v_mul_lo_u32 v17, s11, v14
	v_cmp_gt_i64_e64 s34, s[4:5], 0
	s_wait_kmcnt 0x0
	v_cmp_gt_i32_e64 s1, s29, v13
	v_lshl_add_u32 v31, v12, 6, 0x800
	v_mad_co_u64_u32 v[6:7], null, s17, v13, v[1:2]
	v_add3_u32 v3, v3, s2, v17
	v_lshlrev_b32_e32 v7, 3, v11
	s_delay_alu instid0(VALU_DEP_2) | instskip(NEXT) | instid1(VALU_DEP_4)
	v_lshlrev_b64_e32 v[2:3], 3, v[2:3]
	v_mov_b32_e32 v1, v6
	v_lshlrev_b32_e32 v15, 3, v22
	s_delay_alu instid0(VALU_DEP_4) | instskip(NEXT) | instid1(VALU_DEP_3)
	v_lshl_or_b32 v24, v23, 8, v7
	v_lshlrev_b64_e32 v[0:1], 3, v[0:1]
	s_delay_alu instid0(VALU_DEP_3) | instskip(SKIP_2) | instid1(VALU_DEP_1)
	v_lshl_or_b32 v15, v10, 6, v15
	v_mad_co_u64_u32 v[10:11], null, s24, v18, 0
	v_add_co_u32 v26, vcc_lo, s8, v2
	v_add_co_ci_u32_e64 v27, null, s9, v3, vcc_lo
	v_add_co_u32 v28, vcc_lo, s14, v0
	s_wait_alu 0xfffd
	v_add_co_ci_u32_e64 v29, null, s15, v1, vcc_lo
	v_mad_co_u64_u32 v[1:2], null, s25, v16, v[5:6]
	v_mov_b32_e32 v2, v11
	v_add_nc_u32_e32 v8, s0, v9
	v_lshlrev_b32_e32 v30, 3, v9
	v_cmp_gt_i32_e64 s0, s29, v14
	v_add_nc_u32_e32 v25, 0x800, v15
	v_mad_co_u64_u32 v[2:3], null, s25, v18, v[2:3]
	v_dual_mov_b32 v5, v1 :: v_dual_add_nc_u32 v0, 16, v8
	v_ashrrev_i32_e32 v9, 31, v8
	v_mov_b32_e32 v3, 0
	s_and_b32 s10, s33, s34
	s_delay_alu instid0(VALU_DEP_3)
	v_lshlrev_b64_e32 v[4:5], 3, v[4:5]
	v_mov_b32_e32 v11, v2
	v_cmp_gt_i32_e32 vcc_lo, s29, v16
	v_cmp_le_i32_e64 s2, v8, v16
	v_cmp_le_i32_e64 s3, v0, v16
	v_ashrrev_i32_e32 v1, 31, v0
	v_lshlrev_b64_e32 v[6:7], 3, v[10:11]
	s_and_b32 s8, vcc_lo, s2
	s_and_b32 s9, vcc_lo, s3
	v_cmp_gt_i32_e32 vcc_lo, s29, v18
	v_cmp_le_i32_e64 s2, v8, v18
	v_cmp_le_i32_e64 s3, v0, v18
	v_lshlrev_b64_e32 v[8:9], 3, v[8:9]
	s_mov_b32 s29, 0
	s_and_b32 s11, vcc_lo, s2
	s_and_b32 s14, vcc_lo, s3
	s_branch .LBB183_6
.LBB183_5:                              ;   in Loop: Header=BB183_6 Depth=1
	s_wait_alu 0xfffe
	s_or_b32 exec_lo, exec_lo, s2
	s_add_co_i32 s28, s28, 0x10000
	s_wait_alu 0xfffe
	s_cmp_lt_u32 s28, s30
	s_cbranch_scc0 .LBB183_35
.LBB183_6:                              ; =>This Loop Header: Depth=1
                                        ;     Child Loop BB183_9 Depth 2
	v_mov_b32_e32 v16, 0
	v_dual_mov_b32 v12, 0 :: v_dual_mov_b32 v17, 0
	v_dual_mov_b32 v14, 0 :: v_dual_mov_b32 v13, 0
	;; [unrolled: 1-line block ×3, first 2 shown]
	v_mov_b32_e32 v11, 0
	s_wait_alu 0xfffe
	s_and_not1_b32 vcc_lo, exec_lo, s10
	s_wait_alu 0xfffe
	s_cbranch_vccnz .LBB183_15
; %bb.7:                                ;   in Loop: Header=BB183_6 Depth=1
	s_mul_u64 s[2:3], s[12:13], s[28:29]
	s_mul_u64 s[16:17], s[18:19], s[28:29]
	s_wait_alu 0xfffe
	s_lshl_b64 s[2:3], s[2:3], 3
	v_mov_b32_e32 v10, 0
	s_wait_alu 0xfffe
	v_add_co_u32 v32, vcc_lo, v26, s2
	s_wait_alu 0xfffd
	v_add_co_ci_u32_e64 v33, null, s3, v27, vcc_lo
	s_lshl_b64 s[2:3], s[16:17], 3
	v_mov_b32_e32 v14, 0
	s_wait_alu 0xfffe
	v_add_co_u32 v34, vcc_lo, v28, s2
	v_dual_mov_b32 v11, 0 :: v_dual_mov_b32 v12, 0
	v_dual_mov_b32 v15, 0 :: v_dual_mov_b32 v16, 0
	v_mov_b32_e32 v13, 0
	v_mov_b32_e32 v17, 0
	s_wait_alu 0xfffd
	v_add_co_ci_u32_e64 v35, null, s3, v29, vcc_lo
	s_mov_b64 s[2:3], 0
	s_branch .LBB183_9
.LBB183_8:                              ;   in Loop: Header=BB183_9 Depth=2
	s_wait_alu 0xfffe
	s_or_b32 exec_lo, exec_lo, s15
	s_wait_loadcnt 0x0
	ds_store_b64 v25, v[20:21]
	s_wait_dscnt 0x0
	s_barrier_signal -1
	s_barrier_wait -1
	global_inv scope:SCOPE_SE
	ds_load_b128 v[18:21], v31
	ds_load_2addr_b64 v[36:39], v30 offset1:16
	ds_load_b128 v[40:43], v31 offset:1024
	ds_load_b128 v[44:47], v31 offset:16
	;; [unrolled: 1-line block ×3, first 2 shown]
	s_add_nc_u64 s[2:3], s[2:3], 8
	s_wait_alu 0xfffe
	v_cmp_gt_i64_e64 s15, s[4:5], s[2:3]
	s_and_b32 vcc_lo, exec_lo, s15
	s_wait_dscnt 0x3
	v_fma_f64 v[16:17], v[36:37], v[18:19], v[16:17]
	v_fma_f64 v[14:15], v[38:39], v[18:19], v[14:15]
	s_wait_dscnt 0x2
	v_fma_f64 v[18:19], v[36:37], v[40:41], v[12:13]
	v_fma_f64 v[36:37], v[38:39], v[40:41], v[10:11]
	ds_load_2addr_b64 v[10:13], v30 offset0:32 offset1:48
	s_wait_dscnt 0x0
	v_fma_f64 v[16:17], v[10:11], v[20:21], v[16:17]
	v_fma_f64 v[14:15], v[12:13], v[20:21], v[14:15]
	v_fma_f64 v[18:19], v[10:11], v[42:43], v[18:19]
	v_fma_f64 v[20:21], v[12:13], v[42:43], v[36:37]
	ds_load_2addr_b64 v[10:13], v30 offset0:64 offset1:80
	s_wait_dscnt 0x0
	v_fma_f64 v[16:17], v[10:11], v[44:45], v[16:17]
	v_fma_f64 v[14:15], v[12:13], v[44:45], v[14:15]
	;; [unrolled: 6-line block ×3, first 2 shown]
	v_fma_f64 v[48:49], v[10:11], v[50:51], v[18:19]
	v_fma_f64 v[50:51], v[12:13], v[50:51], v[20:21]
	ds_load_b128 v[10:13], v31 offset:32
	ds_load_2addr_b64 v[14:17], v30 offset0:128 offset1:144
	ds_load_b128 v[18:21], v31 offset:1056
	ds_load_b128 v[36:39], v31 offset:48
	ds_load_b128 v[40:43], v31 offset:1072
	s_wait_dscnt 0x3
	v_fma_f64 v[44:45], v[14:15], v[10:11], v[44:45]
	v_fma_f64 v[10:11], v[16:17], v[10:11], v[46:47]
	s_wait_dscnt 0x2
	v_fma_f64 v[46:47], v[14:15], v[18:19], v[48:49]
	v_fma_f64 v[18:19], v[16:17], v[18:19], v[50:51]
	ds_load_2addr_b64 v[14:17], v30 offset0:160 offset1:176
	s_wait_dscnt 0x0
	v_fma_f64 v[44:45], v[14:15], v[12:13], v[44:45]
	v_fma_f64 v[48:49], v[16:17], v[12:13], v[10:11]
	;; [unrolled: 1-line block ×4, first 2 shown]
	ds_load_2addr_b64 v[10:13], v30 offset0:192 offset1:208
	ds_load_2addr_b64 v[18:21], v30 offset0:224 offset1:240
	s_wait_loadcnt_dscnt 0x0
	s_barrier_signal -1
	s_barrier_wait -1
	global_inv scope:SCOPE_SE
	v_fma_f64 v[44:45], v[10:11], v[36:37], v[44:45]
	v_fma_f64 v[36:37], v[12:13], v[36:37], v[48:49]
	;; [unrolled: 1-line block ×4, first 2 shown]
	s_delay_alu instid0(VALU_DEP_4) | instskip(NEXT) | instid1(VALU_DEP_4)
	v_fma_f64 v[16:17], v[18:19], v[38:39], v[44:45]
	v_fma_f64 v[14:15], v[20:21], v[38:39], v[36:37]
	s_delay_alu instid0(VALU_DEP_4) | instskip(NEXT) | instid1(VALU_DEP_4)
	v_fma_f64 v[12:13], v[18:19], v[42:43], v[10:11]
	v_fma_f64 v[10:11], v[20:21], v[42:43], v[40:41]
	s_wait_alu 0xfffe
	s_cbranch_vccz .LBB183_15
.LBB183_9:                              ;   Parent Loop BB183_6 Depth=1
                                        ; =>  This Inner Loop Header: Depth=2
	v_mov_b32_e32 v18, 0
	v_mov_b32_e32 v19, 0
	s_and_saveexec_b32 s15, s0
	s_cbranch_execz .LBB183_13
; %bb.10:                               ;   in Loop: Header=BB183_9 Depth=2
	v_mov_b32_e32 v18, 0
	s_wait_alu 0xfffe
	v_dual_mov_b32 v19, 0 :: v_dual_add_nc_u32 v2, s2, v23
	s_mov_b32 s16, exec_lo
	s_delay_alu instid0(VALU_DEP_1)
	v_cmpx_gt_u64_e64 s[4:5], v[2:3]
	s_cbranch_execz .LBB183_12
; %bb.11:                               ;   in Loop: Header=BB183_9 Depth=2
	v_lshlrev_b64_e32 v[18:19], 3, v[2:3]
	s_delay_alu instid0(VALU_DEP_1) | instskip(SKIP_1) | instid1(VALU_DEP_2)
	v_add_co_u32 v18, vcc_lo, v32, v18
	s_wait_alu 0xfffd
	v_add_co_ci_u32_e64 v19, null, v33, v19, vcc_lo
	global_load_b64 v[18:19], v[18:19], off
.LBB183_12:                             ;   in Loop: Header=BB183_9 Depth=2
	s_wait_alu 0xfffe
	s_or_b32 exec_lo, exec_lo, s16
.LBB183_13:                             ;   in Loop: Header=BB183_9 Depth=2
	s_wait_alu 0xfffe
	s_or_b32 exec_lo, exec_lo, s15
	v_add_nc_u32_e32 v2, s2, v22
	v_mov_b32_e32 v20, 0
	v_mov_b32_e32 v21, 0
	s_wait_loadcnt 0x0
	ds_store_b64 v24, v[18:19]
	v_cmp_gt_u64_e32 vcc_lo, s[4:5], v[2:3]
	s_and_b32 s16, vcc_lo, s1
	s_wait_alu 0xfffe
	s_and_saveexec_b32 s15, s16
	s_cbranch_execz .LBB183_8
; %bb.14:                               ;   in Loop: Header=BB183_9 Depth=2
	v_lshlrev_b64_e32 v[18:19], 3, v[2:3]
	s_delay_alu instid0(VALU_DEP_1) | instskip(SKIP_1) | instid1(VALU_DEP_2)
	v_add_co_u32 v18, vcc_lo, v34, v18
	s_wait_alu 0xfffd
	v_add_co_ci_u32_e64 v19, null, v35, v19, vcc_lo
	global_load_b64 v[20:21], v[18:19], off
	s_branch .LBB183_8
.LBB183_15:                             ;   in Loop: Header=BB183_6 Depth=1
	s_mul_u64 s[2:3], s[26:27], s[28:29]
	s_wait_alu 0xfffe
	s_lshl_b64 s[2:3], s[2:3], 3
	s_wait_alu 0xfffe
	s_add_nc_u64 s[2:3], s[22:23], s[2:3]
	s_wait_alu 0xfffe
	v_add_co_u32 v2, vcc_lo, s2, v4
	s_wait_alu 0xfffd
	v_add_co_ci_u32_e64 v18, null, s3, v5, vcc_lo
	s_and_saveexec_b32 s15, s8
	s_cbranch_execz .LBB183_19
; %bb.16:                               ;   in Loop: Header=BB183_6 Depth=1
	v_mul_f64_e32 v[16:17], s[6:7], v[16:17]
	s_and_b32 vcc_lo, exec_lo, s31
	s_wait_alu 0xfffe
	s_cbranch_vccz .LBB183_30
; %bb.17:                               ;   in Loop: Header=BB183_6 Depth=1
	v_add_co_u32 v19, vcc_lo, v2, v8
	s_wait_alu 0xfffd
	v_add_co_ci_u32_e64 v20, null, v18, v9, vcc_lo
	global_load_b64 v[32:33], v[19:20], off
	s_wait_loadcnt 0x0
	v_fma_f64 v[32:33], s[20:21], v[32:33], v[16:17]
	global_store_b64 v[19:20], v[32:33], off
	s_cbranch_execnz .LBB183_19
.LBB183_18:                             ;   in Loop: Header=BB183_6 Depth=1
	v_add_co_u32 v19, vcc_lo, v2, v8
	s_wait_alu 0xfffd
	v_add_co_ci_u32_e64 v20, null, v18, v9, vcc_lo
	global_store_b64 v[19:20], v[16:17], off
.LBB183_19:                             ;   in Loop: Header=BB183_6 Depth=1
	s_wait_alu 0xfffe
	s_or_b32 exec_lo, exec_lo, s15
	s_and_saveexec_b32 s15, s9
	s_cbranch_execz .LBB183_23
; %bb.20:                               ;   in Loop: Header=BB183_6 Depth=1
	v_mul_f64_e32 v[14:15], s[6:7], v[14:15]
	s_and_not1_b32 vcc_lo, exec_lo, s31
	s_wait_alu 0xfffe
	s_cbranch_vccnz .LBB183_31
; %bb.21:                               ;   in Loop: Header=BB183_6 Depth=1
	v_lshlrev_b64_e32 v[16:17], 3, v[0:1]
	s_delay_alu instid0(VALU_DEP_1) | instskip(SKIP_1) | instid1(VALU_DEP_2)
	v_add_co_u32 v16, vcc_lo, v2, v16
	s_wait_alu 0xfffd
	v_add_co_ci_u32_e64 v17, null, v18, v17, vcc_lo
	global_load_b64 v[19:20], v[16:17], off
	s_wait_loadcnt 0x0
	v_fma_f64 v[19:20], s[20:21], v[19:20], v[14:15]
	global_store_b64 v[16:17], v[19:20], off
	s_cbranch_execnz .LBB183_23
.LBB183_22:                             ;   in Loop: Header=BB183_6 Depth=1
	v_lshlrev_b64_e32 v[16:17], 3, v[0:1]
	s_delay_alu instid0(VALU_DEP_1) | instskip(SKIP_1) | instid1(VALU_DEP_2)
	v_add_co_u32 v16, vcc_lo, v2, v16
	s_wait_alu 0xfffd
	v_add_co_ci_u32_e64 v17, null, v18, v17, vcc_lo
	global_store_b64 v[16:17], v[14:15], off
.LBB183_23:                             ;   in Loop: Header=BB183_6 Depth=1
	s_wait_alu 0xfffe
	s_or_b32 exec_lo, exec_lo, s15
	v_add_co_u32 v2, vcc_lo, s2, v6
	s_wait_alu 0xfffd
	v_add_co_ci_u32_e64 v14, null, s3, v7, vcc_lo
	s_and_saveexec_b32 s2, s11
	s_cbranch_execz .LBB183_27
; %bb.24:                               ;   in Loop: Header=BB183_6 Depth=1
	v_mul_f64_e32 v[12:13], s[6:7], v[12:13]
	s_and_not1_b32 vcc_lo, exec_lo, s31
	s_wait_alu 0xfffe
	s_cbranch_vccnz .LBB183_32
; %bb.25:                               ;   in Loop: Header=BB183_6 Depth=1
	v_add_co_u32 v15, vcc_lo, v2, v8
	s_wait_alu 0xfffd
	v_add_co_ci_u32_e64 v16, null, v14, v9, vcc_lo
	global_load_b64 v[17:18], v[15:16], off
	s_wait_loadcnt 0x0
	v_fma_f64 v[17:18], s[20:21], v[17:18], v[12:13]
	global_store_b64 v[15:16], v[17:18], off
	s_cbranch_execnz .LBB183_27
.LBB183_26:                             ;   in Loop: Header=BB183_6 Depth=1
	v_add_co_u32 v15, vcc_lo, v2, v8
	s_wait_alu 0xfffd
	v_add_co_ci_u32_e64 v16, null, v14, v9, vcc_lo
	global_store_b64 v[15:16], v[12:13], off
.LBB183_27:                             ;   in Loop: Header=BB183_6 Depth=1
	s_wait_alu 0xfffe
	s_or_b32 exec_lo, exec_lo, s2
	s_and_saveexec_b32 s2, s14
	s_cbranch_execz .LBB183_5
; %bb.28:                               ;   in Loop: Header=BB183_6 Depth=1
	v_mul_f64_e32 v[10:11], s[6:7], v[10:11]
	v_lshlrev_b64_e32 v[12:13], 3, v[0:1]
	s_and_not1_b32 vcc_lo, exec_lo, s31
	s_wait_alu 0xfffe
	s_cbranch_vccnz .LBB183_33
; %bb.29:                               ;   in Loop: Header=BB183_6 Depth=1
	s_delay_alu instid0(VALU_DEP_1)
	v_add_co_u32 v15, vcc_lo, v2, v12
	s_wait_alu 0xfffd
	v_add_co_ci_u32_e64 v16, null, v14, v13, vcc_lo
	global_load_b64 v[17:18], v[15:16], off
	s_wait_loadcnt 0x0
	v_fma_f64 v[17:18], s[20:21], v[17:18], v[10:11]
	global_store_b64 v[15:16], v[17:18], off
	s_cbranch_execnz .LBB183_5
	s_branch .LBB183_34
.LBB183_30:                             ;   in Loop: Header=BB183_6 Depth=1
	s_branch .LBB183_18
.LBB183_31:                             ;   in Loop: Header=BB183_6 Depth=1
	s_branch .LBB183_22
.LBB183_32:                             ;   in Loop: Header=BB183_6 Depth=1
	s_branch .LBB183_26
.LBB183_33:                             ;   in Loop: Header=BB183_6 Depth=1
.LBB183_34:                             ;   in Loop: Header=BB183_6 Depth=1
	s_delay_alu instid0(VALU_DEP_1)
	v_add_co_u32 v12, vcc_lo, v2, v12
	s_wait_alu 0xfffd
	v_add_co_ci_u32_e64 v13, null, v14, v13, vcc_lo
	global_store_b64 v[12:13], v[10:11], off
	s_branch .LBB183_5
.LBB183_35:
	s_endpgm
	.section	.rodata,"a",@progbits
	.p2align	6, 0x0
	.amdhsa_kernel _ZL29rocblas_internal_gemmt_kernelIlLi16ELi32ELi8ELc84ELc78ELc85ELb0ELb0EdPKdS1_PdEviT_T9_T10_S3_lS5_S3_lS4_T11_S3_li
		.amdhsa_group_segment_fixed_size 4096
		.amdhsa_private_segment_fixed_size 0
		.amdhsa_kernarg_size 108
		.amdhsa_user_sgpr_count 2
		.amdhsa_user_sgpr_dispatch_ptr 0
		.amdhsa_user_sgpr_queue_ptr 0
		.amdhsa_user_sgpr_kernarg_segment_ptr 1
		.amdhsa_user_sgpr_dispatch_id 0
		.amdhsa_user_sgpr_private_segment_size 0
		.amdhsa_wavefront_size32 1
		.amdhsa_uses_dynamic_stack 0
		.amdhsa_enable_private_segment 0
		.amdhsa_system_sgpr_workgroup_id_x 1
		.amdhsa_system_sgpr_workgroup_id_y 1
		.amdhsa_system_sgpr_workgroup_id_z 1
		.amdhsa_system_sgpr_workgroup_info 0
		.amdhsa_system_vgpr_workitem_id 1
		.amdhsa_next_free_vgpr 52
		.amdhsa_next_free_sgpr 35
		.amdhsa_reserve_vcc 1
		.amdhsa_float_round_mode_32 0
		.amdhsa_float_round_mode_16_64 0
		.amdhsa_float_denorm_mode_32 3
		.amdhsa_float_denorm_mode_16_64 3
		.amdhsa_fp16_overflow 0
		.amdhsa_workgroup_processor_mode 1
		.amdhsa_memory_ordered 1
		.amdhsa_forward_progress 1
		.amdhsa_inst_pref_size 17
		.amdhsa_round_robin_scheduling 0
		.amdhsa_exception_fp_ieee_invalid_op 0
		.amdhsa_exception_fp_denorm_src 0
		.amdhsa_exception_fp_ieee_div_zero 0
		.amdhsa_exception_fp_ieee_overflow 0
		.amdhsa_exception_fp_ieee_underflow 0
		.amdhsa_exception_fp_ieee_inexact 0
		.amdhsa_exception_int_div_zero 0
	.end_amdhsa_kernel
	.section	.text._ZL29rocblas_internal_gemmt_kernelIlLi16ELi32ELi8ELc84ELc78ELc85ELb0ELb0EdPKdS1_PdEviT_T9_T10_S3_lS5_S3_lS4_T11_S3_li,"axG",@progbits,_ZL29rocblas_internal_gemmt_kernelIlLi16ELi32ELi8ELc84ELc78ELc85ELb0ELb0EdPKdS1_PdEviT_T9_T10_S3_lS5_S3_lS4_T11_S3_li,comdat
.Lfunc_end183:
	.size	_ZL29rocblas_internal_gemmt_kernelIlLi16ELi32ELi8ELc84ELc78ELc85ELb0ELb0EdPKdS1_PdEviT_T9_T10_S3_lS5_S3_lS4_T11_S3_li, .Lfunc_end183-_ZL29rocblas_internal_gemmt_kernelIlLi16ELi32ELi8ELc84ELc78ELc85ELb0ELb0EdPKdS1_PdEviT_T9_T10_S3_lS5_S3_lS4_T11_S3_li
                                        ; -- End function
	.set _ZL29rocblas_internal_gemmt_kernelIlLi16ELi32ELi8ELc84ELc78ELc85ELb0ELb0EdPKdS1_PdEviT_T9_T10_S3_lS5_S3_lS4_T11_S3_li.num_vgpr, 52
	.set _ZL29rocblas_internal_gemmt_kernelIlLi16ELi32ELi8ELc84ELc78ELc85ELb0ELb0EdPKdS1_PdEviT_T9_T10_S3_lS5_S3_lS4_T11_S3_li.num_agpr, 0
	.set _ZL29rocblas_internal_gemmt_kernelIlLi16ELi32ELi8ELc84ELc78ELc85ELb0ELb0EdPKdS1_PdEviT_T9_T10_S3_lS5_S3_lS4_T11_S3_li.numbered_sgpr, 35
	.set _ZL29rocblas_internal_gemmt_kernelIlLi16ELi32ELi8ELc84ELc78ELc85ELb0ELb0EdPKdS1_PdEviT_T9_T10_S3_lS5_S3_lS4_T11_S3_li.num_named_barrier, 0
	.set _ZL29rocblas_internal_gemmt_kernelIlLi16ELi32ELi8ELc84ELc78ELc85ELb0ELb0EdPKdS1_PdEviT_T9_T10_S3_lS5_S3_lS4_T11_S3_li.private_seg_size, 0
	.set _ZL29rocblas_internal_gemmt_kernelIlLi16ELi32ELi8ELc84ELc78ELc85ELb0ELb0EdPKdS1_PdEviT_T9_T10_S3_lS5_S3_lS4_T11_S3_li.uses_vcc, 1
	.set _ZL29rocblas_internal_gemmt_kernelIlLi16ELi32ELi8ELc84ELc78ELc85ELb0ELb0EdPKdS1_PdEviT_T9_T10_S3_lS5_S3_lS4_T11_S3_li.uses_flat_scratch, 0
	.set _ZL29rocblas_internal_gemmt_kernelIlLi16ELi32ELi8ELc84ELc78ELc85ELb0ELb0EdPKdS1_PdEviT_T9_T10_S3_lS5_S3_lS4_T11_S3_li.has_dyn_sized_stack, 0
	.set _ZL29rocblas_internal_gemmt_kernelIlLi16ELi32ELi8ELc84ELc78ELc85ELb0ELb0EdPKdS1_PdEviT_T9_T10_S3_lS5_S3_lS4_T11_S3_li.has_recursion, 0
	.set _ZL29rocblas_internal_gemmt_kernelIlLi16ELi32ELi8ELc84ELc78ELc85ELb0ELb0EdPKdS1_PdEviT_T9_T10_S3_lS5_S3_lS4_T11_S3_li.has_indirect_call, 0
	.section	.AMDGPU.csdata,"",@progbits
; Kernel info:
; codeLenInByte = 2056
; TotalNumSgprs: 37
; NumVgprs: 52
; ScratchSize: 0
; MemoryBound: 0
; FloatMode: 240
; IeeeMode: 1
; LDSByteSize: 4096 bytes/workgroup (compile time only)
; SGPRBlocks: 0
; VGPRBlocks: 6
; NumSGPRsForWavesPerEU: 37
; NumVGPRsForWavesPerEU: 52
; Occupancy: 16
; WaveLimiterHint : 0
; COMPUTE_PGM_RSRC2:SCRATCH_EN: 0
; COMPUTE_PGM_RSRC2:USER_SGPR: 2
; COMPUTE_PGM_RSRC2:TRAP_HANDLER: 0
; COMPUTE_PGM_RSRC2:TGID_X_EN: 1
; COMPUTE_PGM_RSRC2:TGID_Y_EN: 1
; COMPUTE_PGM_RSRC2:TGID_Z_EN: 1
; COMPUTE_PGM_RSRC2:TIDIG_COMP_CNT: 1
	.section	.text._ZL29rocblas_internal_gemmt_kernelIlLi16ELi32ELi8ELc84ELc84ELc85ELb0ELb0EdPKdS1_PdEviT_T9_T10_S3_lS5_S3_lS4_T11_S3_li,"axG",@progbits,_ZL29rocblas_internal_gemmt_kernelIlLi16ELi32ELi8ELc84ELc84ELc85ELb0ELb0EdPKdS1_PdEviT_T9_T10_S3_lS5_S3_lS4_T11_S3_li,comdat
	.globl	_ZL29rocblas_internal_gemmt_kernelIlLi16ELi32ELi8ELc84ELc84ELc85ELb0ELb0EdPKdS1_PdEviT_T9_T10_S3_lS5_S3_lS4_T11_S3_li ; -- Begin function _ZL29rocblas_internal_gemmt_kernelIlLi16ELi32ELi8ELc84ELc84ELc85ELb0ELb0EdPKdS1_PdEviT_T9_T10_S3_lS5_S3_lS4_T11_S3_li
	.p2align	8
	.type	_ZL29rocblas_internal_gemmt_kernelIlLi16ELi32ELi8ELc84ELc84ELc85ELb0ELb0EdPKdS1_PdEviT_T9_T10_S3_lS5_S3_lS4_T11_S3_li,@function
_ZL29rocblas_internal_gemmt_kernelIlLi16ELi32ELi8ELc84ELc84ELc85ELb0ELb0EdPKdS1_PdEviT_T9_T10_S3_lS5_S3_lS4_T11_S3_li: ; @_ZL29rocblas_internal_gemmt_kernelIlLi16ELi32ELi8ELc84ELc84ELc85ELb0ELb0EdPKdS1_PdEviT_T9_T10_S3_lS5_S3_lS4_T11_S3_li
; %bb.0:
	s_clause 0x1
	s_load_b256 s[20:27], s[0:1], 0x48
	s_load_b512 s[4:19], s[0:1], 0x8
	s_wait_kmcnt 0x0
	s_load_b64 s[20:21], s[20:21], 0x0
	s_load_b64 s[6:7], s[6:7], 0x0
	s_wait_kmcnt 0x0
	v_cmp_neq_f64_e64 s2, s[20:21], 1.0
	s_and_b32 vcc_lo, exec_lo, s2
	s_cbranch_vccnz .LBB184_2
; %bb.1:
	v_cmp_neq_f64_e64 s2, s[6:7], 0
	s_cmp_lg_u64 s[4:5], 0
	s_cselect_b32 s3, -1, 0
	s_delay_alu instid0(SALU_CYCLE_1)
	s_and_b32 s2, s3, s2
.LBB184_2:
	s_delay_alu instid0(SALU_CYCLE_1)
	s_and_not1_b32 vcc_lo, exec_lo, s2
	s_cbranch_vccnz .LBB184_35
; %bb.3:
	s_load_b32 s30, s[0:1], 0x68
	s_lshr_b32 s28, ttmp7, 16
	s_wait_kmcnt 0x0
	s_cmp_ge_u32 s28, s30
	s_cbranch_scc1 .LBB184_35
; %bb.4:
	v_and_b32_e32 v9, 0x3ff, v0
	v_bfe_u32 v12, v0, 10, 10
	v_dual_mov_b32 v1, 0 :: v_dual_and_b32 v22, 7, v0
	s_load_b32 s29, s[0:1], 0x0
	s_lshl_b32 s2, ttmp9, 5
	s_delay_alu instid0(VALU_DEP_2)
	v_lshl_add_u32 v4, v12, 4, v9
	s_lshl_b32 s0, ttmp7, 5
	v_lshlrev_b32_e32 v8, 3, v22
	s_and_b32 s0, s0, 0x1fffe0
	s_ashr_i32 s1, s2, 31
	v_and_b32_e32 v0, 31, v4
	v_add_nc_u32_e32 v13, s0, v12
	v_lshrrev_b32_e32 v10, 3, v4
	v_cmp_neq_f64_e64 s33, s[6:7], 0
	s_mul_i32 s1, s10, s1
	v_or_b32_e32 v6, s2, v0
	v_cmp_neq_f64_e64 s31, s[20:21], 0
	v_lshrrev_b32_e32 v23, 5, v4
	v_mad_co_u64_u32 v[4:5], null, s24, v13, 0
	s_delay_alu instid0(VALU_DEP_4)
	v_mul_lo_u32 v7, s11, v6
	v_mad_co_u64_u32 v[2:3], null, s10, v6, 0
	v_add_nc_u32_e32 v14, 16, v13
	v_lshl_or_b32 v8, v10, 6, v8
	v_lshlrev_b32_e32 v0, 3, v0
	v_cmp_gt_i64_e64 s34, s[4:5], 0
	v_lshl_add_u32 v31, v12, 6, 0x800
	s_wait_alu 0xfffe
	v_add3_u32 v3, v3, s1, v7
	v_add_nc_u32_e32 v7, s0, v10
	s_wait_kmcnt 0x0
	v_cmp_gt_i32_e64 s0, s29, v6
	v_add_nc_u32_e32 v25, 0x800, v8
	v_lshl_or_b32 v24, v23, 8, v0
	v_mov_b32_e32 v0, v5
	v_cmp_gt_i32_e64 s1, s29, v7
	v_lshlrev_b32_e32 v8, 3, v7
	v_mad_co_u64_u32 v[6:7], null, s24, v14, 0
	v_lshlrev_b32_e32 v30, 3, v9
	v_lshlrev_b64_e32 v[2:3], 3, v[2:3]
	s_delay_alu instid0(VALU_DEP_4) | instskip(SKIP_4) | instid1(VALU_DEP_4)
	v_add_co_u32 v28, s3, s14, v8
	v_add_nc_u32_e32 v8, s2, v9
	v_mad_co_u64_u32 v[9:10], null, s25, v13, v[0:1]
	v_mov_b32_e32 v0, v7
	v_add_co_u32 v26, vcc_lo, s8, v2
	v_add_nc_u32_e32 v2, 16, v8
	v_add_co_ci_u32_e64 v27, null, s9, v3, vcc_lo
	s_delay_alu instid0(VALU_DEP_4)
	v_mad_co_u64_u32 v[10:11], null, s25, v14, v[0:1]
	s_wait_alu 0xf1ff
	v_add_co_ci_u32_e64 v29, null, s15, 0, s3
	v_cmp_gt_i32_e32 vcc_lo, s29, v13
	v_cmp_le_i32_e64 s2, v8, v13
	v_cmp_le_i32_e64 s3, v2, v13
	v_mov_b32_e32 v5, v9
	v_ashrrev_i32_e32 v9, 31, v8
	v_mov_b32_e32 v7, v10
	s_and_b32 s8, vcc_lo, s2
	s_and_b32 s9, vcc_lo, s3
	v_cmp_gt_i32_e32 vcc_lo, s29, v14
	v_cmp_le_i32_e64 s2, v8, v14
	v_cmp_le_i32_e64 s3, v2, v14
	v_lshlrev_b64_e32 v[4:5], 3, v[4:5]
	v_lshlrev_b64_e32 v[6:7], 3, v[6:7]
	;; [unrolled: 1-line block ×3, first 2 shown]
	v_ashrrev_i32_e32 v3, 31, v2
	s_and_b32 s10, s33, s34
	s_and_b32 s11, vcc_lo, s2
	s_and_b32 s14, vcc_lo, s3
	s_mov_b32 s29, 0
	s_branch .LBB184_6
.LBB184_5:                              ;   in Loop: Header=BB184_6 Depth=1
	s_wait_alu 0xfffe
	s_or_b32 exec_lo, exec_lo, s2
	s_add_co_i32 s28, s28, 0x10000
	s_wait_alu 0xfffe
	s_cmp_lt_u32 s28, s30
	s_cbranch_scc0 .LBB184_35
.LBB184_6:                              ; =>This Loop Header: Depth=1
                                        ;     Child Loop BB184_9 Depth 2
	v_mov_b32_e32 v16, 0
	v_dual_mov_b32 v12, 0 :: v_dual_mov_b32 v17, 0
	v_dual_mov_b32 v14, 0 :: v_dual_mov_b32 v13, 0
	;; [unrolled: 1-line block ×3, first 2 shown]
	v_mov_b32_e32 v11, 0
	s_wait_alu 0xfffe
	s_and_not1_b32 vcc_lo, exec_lo, s10
	s_wait_alu 0xfffe
	s_cbranch_vccnz .LBB184_15
; %bb.7:                                ;   in Loop: Header=BB184_6 Depth=1
	s_mul_u64 s[2:3], s[12:13], s[28:29]
	s_mul_u64 s[24:25], s[18:19], s[28:29]
	s_wait_alu 0xfffe
	s_lshl_b64 s[2:3], s[2:3], 3
	v_mov_b32_e32 v10, 0
	s_wait_alu 0xfffe
	v_add_co_u32 v32, vcc_lo, v26, s2
	s_wait_alu 0xfffd
	v_add_co_ci_u32_e64 v33, null, s3, v27, vcc_lo
	s_lshl_b64 s[2:3], s[24:25], 3
	v_mov_b32_e32 v14, 0
	s_wait_alu 0xfffe
	v_add_co_u32 v34, vcc_lo, v28, s2
	v_dual_mov_b32 v11, 0 :: v_dual_mov_b32 v12, 0
	v_dual_mov_b32 v15, 0 :: v_dual_mov_b32 v16, 0
	v_mov_b32_e32 v13, 0
	v_mov_b32_e32 v17, 0
	s_wait_alu 0xfffd
	v_add_co_ci_u32_e64 v35, null, s3, v29, vcc_lo
	s_mov_b64 s[2:3], 0
	s_branch .LBB184_9
.LBB184_8:                              ;   in Loop: Header=BB184_9 Depth=2
	s_wait_alu 0xfffe
	s_or_b32 exec_lo, exec_lo, s15
	s_wait_loadcnt 0x0
	ds_store_b64 v25, v[20:21]
	s_wait_dscnt 0x0
	s_barrier_signal -1
	s_barrier_wait -1
	global_inv scope:SCOPE_SE
	ds_load_b128 v[18:21], v31
	ds_load_2addr_b64 v[36:39], v30 offset1:16
	ds_load_b128 v[40:43], v31 offset:1024
	ds_load_b128 v[44:47], v31 offset:16
	ds_load_b128 v[48:51], v31 offset:1040
	s_add_nc_u64 s[2:3], s[2:3], 8
	s_wait_alu 0xfffe
	v_cmp_gt_i64_e64 s15, s[4:5], s[2:3]
	s_and_b32 vcc_lo, exec_lo, s15
	s_wait_dscnt 0x3
	v_fma_f64 v[16:17], v[36:37], v[18:19], v[16:17]
	v_fma_f64 v[14:15], v[38:39], v[18:19], v[14:15]
	s_wait_dscnt 0x2
	v_fma_f64 v[18:19], v[36:37], v[40:41], v[12:13]
	v_fma_f64 v[36:37], v[38:39], v[40:41], v[10:11]
	ds_load_2addr_b64 v[10:13], v30 offset0:32 offset1:48
	s_wait_dscnt 0x0
	v_fma_f64 v[16:17], v[10:11], v[20:21], v[16:17]
	v_fma_f64 v[14:15], v[12:13], v[20:21], v[14:15]
	v_fma_f64 v[18:19], v[10:11], v[42:43], v[18:19]
	v_fma_f64 v[20:21], v[12:13], v[42:43], v[36:37]
	ds_load_2addr_b64 v[10:13], v30 offset0:64 offset1:80
	s_wait_dscnt 0x0
	v_fma_f64 v[16:17], v[10:11], v[44:45], v[16:17]
	v_fma_f64 v[14:15], v[12:13], v[44:45], v[14:15]
	;; [unrolled: 6-line block ×3, first 2 shown]
	v_fma_f64 v[48:49], v[10:11], v[50:51], v[18:19]
	v_fma_f64 v[50:51], v[12:13], v[50:51], v[20:21]
	ds_load_b128 v[10:13], v31 offset:32
	ds_load_2addr_b64 v[14:17], v30 offset0:128 offset1:144
	ds_load_b128 v[18:21], v31 offset:1056
	ds_load_b128 v[36:39], v31 offset:48
	;; [unrolled: 1-line block ×3, first 2 shown]
	s_wait_dscnt 0x3
	v_fma_f64 v[44:45], v[14:15], v[10:11], v[44:45]
	v_fma_f64 v[10:11], v[16:17], v[10:11], v[46:47]
	s_wait_dscnt 0x2
	v_fma_f64 v[46:47], v[14:15], v[18:19], v[48:49]
	v_fma_f64 v[18:19], v[16:17], v[18:19], v[50:51]
	ds_load_2addr_b64 v[14:17], v30 offset0:160 offset1:176
	s_wait_dscnt 0x0
	v_fma_f64 v[44:45], v[14:15], v[12:13], v[44:45]
	v_fma_f64 v[48:49], v[16:17], v[12:13], v[10:11]
	;; [unrolled: 1-line block ×4, first 2 shown]
	ds_load_2addr_b64 v[10:13], v30 offset0:192 offset1:208
	ds_load_2addr_b64 v[18:21], v30 offset0:224 offset1:240
	s_wait_loadcnt_dscnt 0x0
	s_barrier_signal -1
	s_barrier_wait -1
	global_inv scope:SCOPE_SE
	v_fma_f64 v[44:45], v[10:11], v[36:37], v[44:45]
	v_fma_f64 v[36:37], v[12:13], v[36:37], v[48:49]
	;; [unrolled: 1-line block ×4, first 2 shown]
	s_delay_alu instid0(VALU_DEP_4) | instskip(NEXT) | instid1(VALU_DEP_4)
	v_fma_f64 v[16:17], v[18:19], v[38:39], v[44:45]
	v_fma_f64 v[14:15], v[20:21], v[38:39], v[36:37]
	s_delay_alu instid0(VALU_DEP_4) | instskip(NEXT) | instid1(VALU_DEP_4)
	v_fma_f64 v[12:13], v[18:19], v[42:43], v[10:11]
	v_fma_f64 v[10:11], v[20:21], v[42:43], v[40:41]
	s_wait_alu 0xfffe
	s_cbranch_vccz .LBB184_15
.LBB184_9:                              ;   Parent Loop BB184_6 Depth=1
                                        ; =>  This Inner Loop Header: Depth=2
	v_mov_b32_e32 v18, 0
	v_mov_b32_e32 v19, 0
	s_and_saveexec_b32 s15, s0
	s_cbranch_execz .LBB184_13
; %bb.10:                               ;   in Loop: Header=BB184_9 Depth=2
	v_mov_b32_e32 v18, 0
	s_wait_alu 0xfffe
	v_dual_mov_b32 v19, 0 :: v_dual_add_nc_u32 v0, s2, v23
	s_mov_b32 s24, exec_lo
	s_delay_alu instid0(VALU_DEP_1)
	v_cmpx_gt_u64_e64 s[4:5], v[0:1]
	s_cbranch_execz .LBB184_12
; %bb.11:                               ;   in Loop: Header=BB184_9 Depth=2
	v_lshlrev_b64_e32 v[18:19], 3, v[0:1]
	s_delay_alu instid0(VALU_DEP_1) | instskip(SKIP_1) | instid1(VALU_DEP_2)
	v_add_co_u32 v18, vcc_lo, v32, v18
	s_wait_alu 0xfffd
	v_add_co_ci_u32_e64 v19, null, v33, v19, vcc_lo
	global_load_b64 v[18:19], v[18:19], off
.LBB184_12:                             ;   in Loop: Header=BB184_9 Depth=2
	s_wait_alu 0xfffe
	s_or_b32 exec_lo, exec_lo, s24
.LBB184_13:                             ;   in Loop: Header=BB184_9 Depth=2
	s_wait_alu 0xfffe
	s_or_b32 exec_lo, exec_lo, s15
	v_add_nc_u32_e32 v0, s2, v22
	v_mov_b32_e32 v20, 0
	v_mov_b32_e32 v21, 0
	s_wait_loadcnt 0x0
	ds_store_b64 v24, v[18:19]
	v_cmp_gt_u64_e32 vcc_lo, s[4:5], v[0:1]
	s_and_b32 s24, vcc_lo, s1
	s_wait_alu 0xfffe
	s_and_saveexec_b32 s15, s24
	s_cbranch_execz .LBB184_8
; %bb.14:                               ;   in Loop: Header=BB184_9 Depth=2
	v_mad_co_u64_u32 v[18:19], null, s16, v0, 0
	s_delay_alu instid0(VALU_DEP_1) | instskip(NEXT) | instid1(VALU_DEP_1)
	v_mad_co_u64_u32 v[19:20], null, s17, v0, v[19:20]
	v_lshlrev_b64_e32 v[18:19], 3, v[18:19]
	s_delay_alu instid0(VALU_DEP_1) | instskip(SKIP_1) | instid1(VALU_DEP_2)
	v_add_co_u32 v18, vcc_lo, v34, v18
	s_wait_alu 0xfffd
	v_add_co_ci_u32_e64 v19, null, v35, v19, vcc_lo
	global_load_b64 v[20:21], v[18:19], off
	s_branch .LBB184_8
.LBB184_15:                             ;   in Loop: Header=BB184_6 Depth=1
	s_mul_u64 s[2:3], s[26:27], s[28:29]
	s_wait_alu 0xfffe
	s_lshl_b64 s[2:3], s[2:3], 3
	s_wait_alu 0xfffe
	s_add_nc_u64 s[2:3], s[22:23], s[2:3]
	s_wait_alu 0xfffe
	v_add_co_u32 v0, vcc_lo, s2, v4
	s_wait_alu 0xfffd
	v_add_co_ci_u32_e64 v18, null, s3, v5, vcc_lo
	s_and_saveexec_b32 s15, s8
	s_cbranch_execz .LBB184_19
; %bb.16:                               ;   in Loop: Header=BB184_6 Depth=1
	v_mul_f64_e32 v[16:17], s[6:7], v[16:17]
	s_and_b32 vcc_lo, exec_lo, s31
	s_wait_alu 0xfffe
	s_cbranch_vccz .LBB184_30
; %bb.17:                               ;   in Loop: Header=BB184_6 Depth=1
	v_add_co_u32 v19, vcc_lo, v0, v8
	s_wait_alu 0xfffd
	v_add_co_ci_u32_e64 v20, null, v18, v9, vcc_lo
	global_load_b64 v[32:33], v[19:20], off
	s_wait_loadcnt 0x0
	v_fma_f64 v[32:33], s[20:21], v[32:33], v[16:17]
	global_store_b64 v[19:20], v[32:33], off
	s_cbranch_execnz .LBB184_19
.LBB184_18:                             ;   in Loop: Header=BB184_6 Depth=1
	v_add_co_u32 v19, vcc_lo, v0, v8
	s_wait_alu 0xfffd
	v_add_co_ci_u32_e64 v20, null, v18, v9, vcc_lo
	global_store_b64 v[19:20], v[16:17], off
.LBB184_19:                             ;   in Loop: Header=BB184_6 Depth=1
	s_wait_alu 0xfffe
	s_or_b32 exec_lo, exec_lo, s15
	s_and_saveexec_b32 s15, s9
	s_cbranch_execz .LBB184_23
; %bb.20:                               ;   in Loop: Header=BB184_6 Depth=1
	v_mul_f64_e32 v[14:15], s[6:7], v[14:15]
	s_and_not1_b32 vcc_lo, exec_lo, s31
	s_wait_alu 0xfffe
	s_cbranch_vccnz .LBB184_31
; %bb.21:                               ;   in Loop: Header=BB184_6 Depth=1
	v_lshlrev_b64_e32 v[16:17], 3, v[2:3]
	s_delay_alu instid0(VALU_DEP_1) | instskip(SKIP_1) | instid1(VALU_DEP_2)
	v_add_co_u32 v16, vcc_lo, v0, v16
	s_wait_alu 0xfffd
	v_add_co_ci_u32_e64 v17, null, v18, v17, vcc_lo
	global_load_b64 v[19:20], v[16:17], off
	s_wait_loadcnt 0x0
	v_fma_f64 v[19:20], s[20:21], v[19:20], v[14:15]
	global_store_b64 v[16:17], v[19:20], off
	s_cbranch_execnz .LBB184_23
.LBB184_22:                             ;   in Loop: Header=BB184_6 Depth=1
	v_lshlrev_b64_e32 v[16:17], 3, v[2:3]
	s_delay_alu instid0(VALU_DEP_1) | instskip(SKIP_1) | instid1(VALU_DEP_2)
	v_add_co_u32 v16, vcc_lo, v0, v16
	s_wait_alu 0xfffd
	v_add_co_ci_u32_e64 v17, null, v18, v17, vcc_lo
	global_store_b64 v[16:17], v[14:15], off
.LBB184_23:                             ;   in Loop: Header=BB184_6 Depth=1
	s_wait_alu 0xfffe
	s_or_b32 exec_lo, exec_lo, s15
	v_add_co_u32 v0, vcc_lo, s2, v6
	s_wait_alu 0xfffd
	v_add_co_ci_u32_e64 v14, null, s3, v7, vcc_lo
	s_and_saveexec_b32 s2, s11
	s_cbranch_execz .LBB184_27
; %bb.24:                               ;   in Loop: Header=BB184_6 Depth=1
	v_mul_f64_e32 v[12:13], s[6:7], v[12:13]
	s_and_not1_b32 vcc_lo, exec_lo, s31
	s_wait_alu 0xfffe
	s_cbranch_vccnz .LBB184_32
; %bb.25:                               ;   in Loop: Header=BB184_6 Depth=1
	v_add_co_u32 v15, vcc_lo, v0, v8
	s_wait_alu 0xfffd
	v_add_co_ci_u32_e64 v16, null, v14, v9, vcc_lo
	global_load_b64 v[17:18], v[15:16], off
	s_wait_loadcnt 0x0
	v_fma_f64 v[17:18], s[20:21], v[17:18], v[12:13]
	global_store_b64 v[15:16], v[17:18], off
	s_cbranch_execnz .LBB184_27
.LBB184_26:                             ;   in Loop: Header=BB184_6 Depth=1
	v_add_co_u32 v15, vcc_lo, v0, v8
	s_wait_alu 0xfffd
	v_add_co_ci_u32_e64 v16, null, v14, v9, vcc_lo
	global_store_b64 v[15:16], v[12:13], off
.LBB184_27:                             ;   in Loop: Header=BB184_6 Depth=1
	s_wait_alu 0xfffe
	s_or_b32 exec_lo, exec_lo, s2
	s_and_saveexec_b32 s2, s14
	s_cbranch_execz .LBB184_5
; %bb.28:                               ;   in Loop: Header=BB184_6 Depth=1
	v_mul_f64_e32 v[10:11], s[6:7], v[10:11]
	v_lshlrev_b64_e32 v[12:13], 3, v[2:3]
	s_and_not1_b32 vcc_lo, exec_lo, s31
	s_wait_alu 0xfffe
	s_cbranch_vccnz .LBB184_33
; %bb.29:                               ;   in Loop: Header=BB184_6 Depth=1
	s_delay_alu instid0(VALU_DEP_1)
	v_add_co_u32 v15, vcc_lo, v0, v12
	s_wait_alu 0xfffd
	v_add_co_ci_u32_e64 v16, null, v14, v13, vcc_lo
	global_load_b64 v[17:18], v[15:16], off
	s_wait_loadcnt 0x0
	v_fma_f64 v[17:18], s[20:21], v[17:18], v[10:11]
	global_store_b64 v[15:16], v[17:18], off
	s_cbranch_execnz .LBB184_5
	s_branch .LBB184_34
.LBB184_30:                             ;   in Loop: Header=BB184_6 Depth=1
	s_branch .LBB184_18
.LBB184_31:                             ;   in Loop: Header=BB184_6 Depth=1
	s_branch .LBB184_22
.LBB184_32:                             ;   in Loop: Header=BB184_6 Depth=1
	s_branch .LBB184_26
.LBB184_33:                             ;   in Loop: Header=BB184_6 Depth=1
.LBB184_34:                             ;   in Loop: Header=BB184_6 Depth=1
	s_delay_alu instid0(VALU_DEP_1)
	v_add_co_u32 v12, vcc_lo, v0, v12
	s_wait_alu 0xfffd
	v_add_co_ci_u32_e64 v13, null, v14, v13, vcc_lo
	global_store_b64 v[12:13], v[10:11], off
	s_branch .LBB184_5
.LBB184_35:
	s_endpgm
	.section	.rodata,"a",@progbits
	.p2align	6, 0x0
	.amdhsa_kernel _ZL29rocblas_internal_gemmt_kernelIlLi16ELi32ELi8ELc84ELc84ELc85ELb0ELb0EdPKdS1_PdEviT_T9_T10_S3_lS5_S3_lS4_T11_S3_li
		.amdhsa_group_segment_fixed_size 4096
		.amdhsa_private_segment_fixed_size 0
		.amdhsa_kernarg_size 108
		.amdhsa_user_sgpr_count 2
		.amdhsa_user_sgpr_dispatch_ptr 0
		.amdhsa_user_sgpr_queue_ptr 0
		.amdhsa_user_sgpr_kernarg_segment_ptr 1
		.amdhsa_user_sgpr_dispatch_id 0
		.amdhsa_user_sgpr_private_segment_size 0
		.amdhsa_wavefront_size32 1
		.amdhsa_uses_dynamic_stack 0
		.amdhsa_enable_private_segment 0
		.amdhsa_system_sgpr_workgroup_id_x 1
		.amdhsa_system_sgpr_workgroup_id_y 1
		.amdhsa_system_sgpr_workgroup_id_z 1
		.amdhsa_system_sgpr_workgroup_info 0
		.amdhsa_system_vgpr_workitem_id 1
		.amdhsa_next_free_vgpr 52
		.amdhsa_next_free_sgpr 35
		.amdhsa_reserve_vcc 1
		.amdhsa_float_round_mode_32 0
		.amdhsa_float_round_mode_16_64 0
		.amdhsa_float_denorm_mode_32 3
		.amdhsa_float_denorm_mode_16_64 3
		.amdhsa_fp16_overflow 0
		.amdhsa_workgroup_processor_mode 1
		.amdhsa_memory_ordered 1
		.amdhsa_forward_progress 1
		.amdhsa_inst_pref_size 17
		.amdhsa_round_robin_scheduling 0
		.amdhsa_exception_fp_ieee_invalid_op 0
		.amdhsa_exception_fp_denorm_src 0
		.amdhsa_exception_fp_ieee_div_zero 0
		.amdhsa_exception_fp_ieee_overflow 0
		.amdhsa_exception_fp_ieee_underflow 0
		.amdhsa_exception_fp_ieee_inexact 0
		.amdhsa_exception_int_div_zero 0
	.end_amdhsa_kernel
	.section	.text._ZL29rocblas_internal_gemmt_kernelIlLi16ELi32ELi8ELc84ELc84ELc85ELb0ELb0EdPKdS1_PdEviT_T9_T10_S3_lS5_S3_lS4_T11_S3_li,"axG",@progbits,_ZL29rocblas_internal_gemmt_kernelIlLi16ELi32ELi8ELc84ELc84ELc85ELb0ELb0EdPKdS1_PdEviT_T9_T10_S3_lS5_S3_lS4_T11_S3_li,comdat
.Lfunc_end184:
	.size	_ZL29rocblas_internal_gemmt_kernelIlLi16ELi32ELi8ELc84ELc84ELc85ELb0ELb0EdPKdS1_PdEviT_T9_T10_S3_lS5_S3_lS4_T11_S3_li, .Lfunc_end184-_ZL29rocblas_internal_gemmt_kernelIlLi16ELi32ELi8ELc84ELc84ELc85ELb0ELb0EdPKdS1_PdEviT_T9_T10_S3_lS5_S3_lS4_T11_S3_li
                                        ; -- End function
	.set _ZL29rocblas_internal_gemmt_kernelIlLi16ELi32ELi8ELc84ELc84ELc85ELb0ELb0EdPKdS1_PdEviT_T9_T10_S3_lS5_S3_lS4_T11_S3_li.num_vgpr, 52
	.set _ZL29rocblas_internal_gemmt_kernelIlLi16ELi32ELi8ELc84ELc84ELc85ELb0ELb0EdPKdS1_PdEviT_T9_T10_S3_lS5_S3_lS4_T11_S3_li.num_agpr, 0
	.set _ZL29rocblas_internal_gemmt_kernelIlLi16ELi32ELi8ELc84ELc84ELc85ELb0ELb0EdPKdS1_PdEviT_T9_T10_S3_lS5_S3_lS4_T11_S3_li.numbered_sgpr, 35
	.set _ZL29rocblas_internal_gemmt_kernelIlLi16ELi32ELi8ELc84ELc84ELc85ELb0ELb0EdPKdS1_PdEviT_T9_T10_S3_lS5_S3_lS4_T11_S3_li.num_named_barrier, 0
	.set _ZL29rocblas_internal_gemmt_kernelIlLi16ELi32ELi8ELc84ELc84ELc85ELb0ELb0EdPKdS1_PdEviT_T9_T10_S3_lS5_S3_lS4_T11_S3_li.private_seg_size, 0
	.set _ZL29rocblas_internal_gemmt_kernelIlLi16ELi32ELi8ELc84ELc84ELc85ELb0ELb0EdPKdS1_PdEviT_T9_T10_S3_lS5_S3_lS4_T11_S3_li.uses_vcc, 1
	.set _ZL29rocblas_internal_gemmt_kernelIlLi16ELi32ELi8ELc84ELc84ELc85ELb0ELb0EdPKdS1_PdEviT_T9_T10_S3_lS5_S3_lS4_T11_S3_li.uses_flat_scratch, 0
	.set _ZL29rocblas_internal_gemmt_kernelIlLi16ELi32ELi8ELc84ELc84ELc85ELb0ELb0EdPKdS1_PdEviT_T9_T10_S3_lS5_S3_lS4_T11_S3_li.has_dyn_sized_stack, 0
	.set _ZL29rocblas_internal_gemmt_kernelIlLi16ELi32ELi8ELc84ELc84ELc85ELb0ELb0EdPKdS1_PdEviT_T9_T10_S3_lS5_S3_lS4_T11_S3_li.has_recursion, 0
	.set _ZL29rocblas_internal_gemmt_kernelIlLi16ELi32ELi8ELc84ELc84ELc85ELb0ELb0EdPKdS1_PdEviT_T9_T10_S3_lS5_S3_lS4_T11_S3_li.has_indirect_call, 0
	.section	.AMDGPU.csdata,"",@progbits
; Kernel info:
; codeLenInByte = 2060
; TotalNumSgprs: 37
; NumVgprs: 52
; ScratchSize: 0
; MemoryBound: 0
; FloatMode: 240
; IeeeMode: 1
; LDSByteSize: 4096 bytes/workgroup (compile time only)
; SGPRBlocks: 0
; VGPRBlocks: 6
; NumSGPRsForWavesPerEU: 37
; NumVGPRsForWavesPerEU: 52
; Occupancy: 16
; WaveLimiterHint : 0
; COMPUTE_PGM_RSRC2:SCRATCH_EN: 0
; COMPUTE_PGM_RSRC2:USER_SGPR: 2
; COMPUTE_PGM_RSRC2:TRAP_HANDLER: 0
; COMPUTE_PGM_RSRC2:TGID_X_EN: 1
; COMPUTE_PGM_RSRC2:TGID_Y_EN: 1
; COMPUTE_PGM_RSRC2:TGID_Z_EN: 1
; COMPUTE_PGM_RSRC2:TIDIG_COMP_CNT: 1
	.section	.text._ZL29rocblas_internal_gemmt_kernelIlLi16ELi32ELi8ELc84ELc67ELc85ELb0ELb0EdPKdS1_PdEviT_T9_T10_S3_lS5_S3_lS4_T11_S3_li,"axG",@progbits,_ZL29rocblas_internal_gemmt_kernelIlLi16ELi32ELi8ELc84ELc67ELc85ELb0ELb0EdPKdS1_PdEviT_T9_T10_S3_lS5_S3_lS4_T11_S3_li,comdat
	.globl	_ZL29rocblas_internal_gemmt_kernelIlLi16ELi32ELi8ELc84ELc67ELc85ELb0ELb0EdPKdS1_PdEviT_T9_T10_S3_lS5_S3_lS4_T11_S3_li ; -- Begin function _ZL29rocblas_internal_gemmt_kernelIlLi16ELi32ELi8ELc84ELc67ELc85ELb0ELb0EdPKdS1_PdEviT_T9_T10_S3_lS5_S3_lS4_T11_S3_li
	.p2align	8
	.type	_ZL29rocblas_internal_gemmt_kernelIlLi16ELi32ELi8ELc84ELc67ELc85ELb0ELb0EdPKdS1_PdEviT_T9_T10_S3_lS5_S3_lS4_T11_S3_li,@function
_ZL29rocblas_internal_gemmt_kernelIlLi16ELi32ELi8ELc84ELc67ELc85ELb0ELb0EdPKdS1_PdEviT_T9_T10_S3_lS5_S3_lS4_T11_S3_li: ; @_ZL29rocblas_internal_gemmt_kernelIlLi16ELi32ELi8ELc84ELc67ELc85ELb0ELb0EdPKdS1_PdEviT_T9_T10_S3_lS5_S3_lS4_T11_S3_li
; %bb.0:
	s_clause 0x1
	s_load_b256 s[20:27], s[0:1], 0x48
	s_load_b512 s[4:19], s[0:1], 0x8
	s_wait_kmcnt 0x0
	s_load_b64 s[20:21], s[20:21], 0x0
	s_load_b64 s[6:7], s[6:7], 0x0
	s_wait_kmcnt 0x0
	v_cmp_neq_f64_e64 s2, s[20:21], 1.0
	s_and_b32 vcc_lo, exec_lo, s2
	s_cbranch_vccnz .LBB185_2
; %bb.1:
	v_cmp_neq_f64_e64 s2, s[6:7], 0
	s_cmp_lg_u64 s[4:5], 0
	s_cselect_b32 s3, -1, 0
	s_delay_alu instid0(SALU_CYCLE_1)
	s_and_b32 s2, s3, s2
.LBB185_2:
	s_delay_alu instid0(SALU_CYCLE_1)
	s_and_not1_b32 vcc_lo, exec_lo, s2
	s_cbranch_vccnz .LBB185_35
; %bb.3:
	s_load_b32 s30, s[0:1], 0x68
	s_lshr_b32 s28, ttmp7, 16
	s_wait_kmcnt 0x0
	s_cmp_ge_u32 s28, s30
	s_cbranch_scc1 .LBB185_35
; %bb.4:
	v_and_b32_e32 v9, 0x3ff, v0
	v_bfe_u32 v12, v0, 10, 10
	v_dual_mov_b32 v1, 0 :: v_dual_and_b32 v22, 7, v0
	s_load_b32 s29, s[0:1], 0x0
	s_lshl_b32 s2, ttmp9, 5
	s_delay_alu instid0(VALU_DEP_2)
	v_lshl_add_u32 v4, v12, 4, v9
	s_lshl_b32 s0, ttmp7, 5
	v_lshlrev_b32_e32 v8, 3, v22
	s_and_b32 s0, s0, 0x1fffe0
	s_ashr_i32 s1, s2, 31
	v_and_b32_e32 v0, 31, v4
	v_add_nc_u32_e32 v13, s0, v12
	v_lshrrev_b32_e32 v10, 3, v4
	v_cmp_neq_f64_e64 s33, s[6:7], 0
	s_mul_i32 s1, s10, s1
	v_or_b32_e32 v6, s2, v0
	v_cmp_neq_f64_e64 s31, s[20:21], 0
	v_lshrrev_b32_e32 v23, 5, v4
	v_mad_co_u64_u32 v[4:5], null, s24, v13, 0
	s_delay_alu instid0(VALU_DEP_4)
	v_mul_lo_u32 v7, s11, v6
	v_mad_co_u64_u32 v[2:3], null, s10, v6, 0
	v_add_nc_u32_e32 v14, 16, v13
	v_lshl_or_b32 v8, v10, 6, v8
	v_lshlrev_b32_e32 v0, 3, v0
	v_cmp_gt_i64_e64 s34, s[4:5], 0
	v_lshl_add_u32 v31, v12, 6, 0x800
	s_wait_alu 0xfffe
	v_add3_u32 v3, v3, s1, v7
	v_add_nc_u32_e32 v7, s0, v10
	s_wait_kmcnt 0x0
	v_cmp_gt_i32_e64 s0, s29, v6
	v_add_nc_u32_e32 v25, 0x800, v8
	v_lshl_or_b32 v24, v23, 8, v0
	v_mov_b32_e32 v0, v5
	v_cmp_gt_i32_e64 s1, s29, v7
	v_lshlrev_b32_e32 v8, 3, v7
	v_mad_co_u64_u32 v[6:7], null, s24, v14, 0
	v_lshlrev_b32_e32 v30, 3, v9
	v_lshlrev_b64_e32 v[2:3], 3, v[2:3]
	s_delay_alu instid0(VALU_DEP_4) | instskip(SKIP_4) | instid1(VALU_DEP_4)
	v_add_co_u32 v28, s3, s14, v8
	v_add_nc_u32_e32 v8, s2, v9
	v_mad_co_u64_u32 v[9:10], null, s25, v13, v[0:1]
	v_mov_b32_e32 v0, v7
	v_add_co_u32 v26, vcc_lo, s8, v2
	v_add_nc_u32_e32 v2, 16, v8
	v_add_co_ci_u32_e64 v27, null, s9, v3, vcc_lo
	s_delay_alu instid0(VALU_DEP_4)
	v_mad_co_u64_u32 v[10:11], null, s25, v14, v[0:1]
	s_wait_alu 0xf1ff
	v_add_co_ci_u32_e64 v29, null, s15, 0, s3
	v_cmp_gt_i32_e32 vcc_lo, s29, v13
	v_cmp_le_i32_e64 s2, v8, v13
	v_cmp_le_i32_e64 s3, v2, v13
	v_mov_b32_e32 v5, v9
	v_ashrrev_i32_e32 v9, 31, v8
	v_mov_b32_e32 v7, v10
	s_and_b32 s8, vcc_lo, s2
	s_and_b32 s9, vcc_lo, s3
	v_cmp_gt_i32_e32 vcc_lo, s29, v14
	v_cmp_le_i32_e64 s2, v8, v14
	v_cmp_le_i32_e64 s3, v2, v14
	v_lshlrev_b64_e32 v[4:5], 3, v[4:5]
	v_lshlrev_b64_e32 v[6:7], 3, v[6:7]
	;; [unrolled: 1-line block ×3, first 2 shown]
	v_ashrrev_i32_e32 v3, 31, v2
	s_and_b32 s10, s33, s34
	s_and_b32 s11, vcc_lo, s2
	s_and_b32 s14, vcc_lo, s3
	s_mov_b32 s29, 0
	s_branch .LBB185_6
.LBB185_5:                              ;   in Loop: Header=BB185_6 Depth=1
	s_wait_alu 0xfffe
	s_or_b32 exec_lo, exec_lo, s2
	s_add_co_i32 s28, s28, 0x10000
	s_wait_alu 0xfffe
	s_cmp_lt_u32 s28, s30
	s_cbranch_scc0 .LBB185_35
.LBB185_6:                              ; =>This Loop Header: Depth=1
                                        ;     Child Loop BB185_9 Depth 2
	v_mov_b32_e32 v16, 0
	v_dual_mov_b32 v12, 0 :: v_dual_mov_b32 v17, 0
	v_dual_mov_b32 v14, 0 :: v_dual_mov_b32 v13, 0
	;; [unrolled: 1-line block ×3, first 2 shown]
	v_mov_b32_e32 v11, 0
	s_wait_alu 0xfffe
	s_and_not1_b32 vcc_lo, exec_lo, s10
	s_wait_alu 0xfffe
	s_cbranch_vccnz .LBB185_15
; %bb.7:                                ;   in Loop: Header=BB185_6 Depth=1
	s_mul_u64 s[2:3], s[12:13], s[28:29]
	s_mul_u64 s[24:25], s[18:19], s[28:29]
	s_wait_alu 0xfffe
	s_lshl_b64 s[2:3], s[2:3], 3
	v_mov_b32_e32 v10, 0
	s_wait_alu 0xfffe
	v_add_co_u32 v32, vcc_lo, v26, s2
	s_wait_alu 0xfffd
	v_add_co_ci_u32_e64 v33, null, s3, v27, vcc_lo
	s_lshl_b64 s[2:3], s[24:25], 3
	v_mov_b32_e32 v14, 0
	s_wait_alu 0xfffe
	v_add_co_u32 v34, vcc_lo, v28, s2
	v_dual_mov_b32 v11, 0 :: v_dual_mov_b32 v12, 0
	v_dual_mov_b32 v15, 0 :: v_dual_mov_b32 v16, 0
	v_mov_b32_e32 v13, 0
	v_mov_b32_e32 v17, 0
	s_wait_alu 0xfffd
	v_add_co_ci_u32_e64 v35, null, s3, v29, vcc_lo
	s_mov_b64 s[2:3], 0
	s_branch .LBB185_9
.LBB185_8:                              ;   in Loop: Header=BB185_9 Depth=2
	s_wait_alu 0xfffe
	s_or_b32 exec_lo, exec_lo, s15
	s_wait_loadcnt 0x0
	ds_store_b64 v25, v[20:21]
	s_wait_dscnt 0x0
	s_barrier_signal -1
	s_barrier_wait -1
	global_inv scope:SCOPE_SE
	ds_load_b128 v[18:21], v31
	ds_load_2addr_b64 v[36:39], v30 offset1:16
	ds_load_b128 v[40:43], v31 offset:1024
	ds_load_b128 v[44:47], v31 offset:16
	;; [unrolled: 1-line block ×3, first 2 shown]
	s_add_nc_u64 s[2:3], s[2:3], 8
	s_wait_alu 0xfffe
	v_cmp_gt_i64_e64 s15, s[4:5], s[2:3]
	s_and_b32 vcc_lo, exec_lo, s15
	s_wait_dscnt 0x3
	v_fma_f64 v[16:17], v[36:37], v[18:19], v[16:17]
	v_fma_f64 v[14:15], v[38:39], v[18:19], v[14:15]
	s_wait_dscnt 0x2
	v_fma_f64 v[18:19], v[36:37], v[40:41], v[12:13]
	v_fma_f64 v[36:37], v[38:39], v[40:41], v[10:11]
	ds_load_2addr_b64 v[10:13], v30 offset0:32 offset1:48
	s_wait_dscnt 0x0
	v_fma_f64 v[16:17], v[10:11], v[20:21], v[16:17]
	v_fma_f64 v[14:15], v[12:13], v[20:21], v[14:15]
	v_fma_f64 v[18:19], v[10:11], v[42:43], v[18:19]
	v_fma_f64 v[20:21], v[12:13], v[42:43], v[36:37]
	ds_load_2addr_b64 v[10:13], v30 offset0:64 offset1:80
	s_wait_dscnt 0x0
	v_fma_f64 v[16:17], v[10:11], v[44:45], v[16:17]
	v_fma_f64 v[14:15], v[12:13], v[44:45], v[14:15]
	;; [unrolled: 6-line block ×3, first 2 shown]
	v_fma_f64 v[48:49], v[10:11], v[50:51], v[18:19]
	v_fma_f64 v[50:51], v[12:13], v[50:51], v[20:21]
	ds_load_b128 v[10:13], v31 offset:32
	ds_load_2addr_b64 v[14:17], v30 offset0:128 offset1:144
	ds_load_b128 v[18:21], v31 offset:1056
	ds_load_b128 v[36:39], v31 offset:48
	;; [unrolled: 1-line block ×3, first 2 shown]
	s_wait_dscnt 0x3
	v_fma_f64 v[44:45], v[14:15], v[10:11], v[44:45]
	v_fma_f64 v[10:11], v[16:17], v[10:11], v[46:47]
	s_wait_dscnt 0x2
	v_fma_f64 v[46:47], v[14:15], v[18:19], v[48:49]
	v_fma_f64 v[18:19], v[16:17], v[18:19], v[50:51]
	ds_load_2addr_b64 v[14:17], v30 offset0:160 offset1:176
	s_wait_dscnt 0x0
	v_fma_f64 v[44:45], v[14:15], v[12:13], v[44:45]
	v_fma_f64 v[48:49], v[16:17], v[12:13], v[10:11]
	;; [unrolled: 1-line block ×4, first 2 shown]
	ds_load_2addr_b64 v[10:13], v30 offset0:192 offset1:208
	ds_load_2addr_b64 v[18:21], v30 offset0:224 offset1:240
	s_wait_loadcnt_dscnt 0x0
	s_barrier_signal -1
	s_barrier_wait -1
	global_inv scope:SCOPE_SE
	v_fma_f64 v[44:45], v[10:11], v[36:37], v[44:45]
	v_fma_f64 v[36:37], v[12:13], v[36:37], v[48:49]
	;; [unrolled: 1-line block ×4, first 2 shown]
	s_delay_alu instid0(VALU_DEP_4) | instskip(NEXT) | instid1(VALU_DEP_4)
	v_fma_f64 v[16:17], v[18:19], v[38:39], v[44:45]
	v_fma_f64 v[14:15], v[20:21], v[38:39], v[36:37]
	s_delay_alu instid0(VALU_DEP_4) | instskip(NEXT) | instid1(VALU_DEP_4)
	v_fma_f64 v[12:13], v[18:19], v[42:43], v[10:11]
	v_fma_f64 v[10:11], v[20:21], v[42:43], v[40:41]
	s_wait_alu 0xfffe
	s_cbranch_vccz .LBB185_15
.LBB185_9:                              ;   Parent Loop BB185_6 Depth=1
                                        ; =>  This Inner Loop Header: Depth=2
	v_mov_b32_e32 v18, 0
	v_mov_b32_e32 v19, 0
	s_and_saveexec_b32 s15, s0
	s_cbranch_execz .LBB185_13
; %bb.10:                               ;   in Loop: Header=BB185_9 Depth=2
	v_mov_b32_e32 v18, 0
	s_wait_alu 0xfffe
	v_dual_mov_b32 v19, 0 :: v_dual_add_nc_u32 v0, s2, v23
	s_mov_b32 s24, exec_lo
	s_delay_alu instid0(VALU_DEP_1)
	v_cmpx_gt_u64_e64 s[4:5], v[0:1]
	s_cbranch_execz .LBB185_12
; %bb.11:                               ;   in Loop: Header=BB185_9 Depth=2
	v_lshlrev_b64_e32 v[18:19], 3, v[0:1]
	s_delay_alu instid0(VALU_DEP_1) | instskip(SKIP_1) | instid1(VALU_DEP_2)
	v_add_co_u32 v18, vcc_lo, v32, v18
	s_wait_alu 0xfffd
	v_add_co_ci_u32_e64 v19, null, v33, v19, vcc_lo
	global_load_b64 v[18:19], v[18:19], off
.LBB185_12:                             ;   in Loop: Header=BB185_9 Depth=2
	s_wait_alu 0xfffe
	s_or_b32 exec_lo, exec_lo, s24
.LBB185_13:                             ;   in Loop: Header=BB185_9 Depth=2
	s_wait_alu 0xfffe
	s_or_b32 exec_lo, exec_lo, s15
	v_add_nc_u32_e32 v0, s2, v22
	v_mov_b32_e32 v20, 0
	v_mov_b32_e32 v21, 0
	s_wait_loadcnt 0x0
	ds_store_b64 v24, v[18:19]
	v_cmp_gt_u64_e32 vcc_lo, s[4:5], v[0:1]
	s_and_b32 s24, vcc_lo, s1
	s_wait_alu 0xfffe
	s_and_saveexec_b32 s15, s24
	s_cbranch_execz .LBB185_8
; %bb.14:                               ;   in Loop: Header=BB185_9 Depth=2
	v_mad_co_u64_u32 v[18:19], null, s16, v0, 0
	s_delay_alu instid0(VALU_DEP_1) | instskip(NEXT) | instid1(VALU_DEP_1)
	v_mad_co_u64_u32 v[19:20], null, s17, v0, v[19:20]
	v_lshlrev_b64_e32 v[18:19], 3, v[18:19]
	s_delay_alu instid0(VALU_DEP_1) | instskip(SKIP_1) | instid1(VALU_DEP_2)
	v_add_co_u32 v18, vcc_lo, v34, v18
	s_wait_alu 0xfffd
	v_add_co_ci_u32_e64 v19, null, v35, v19, vcc_lo
	global_load_b64 v[20:21], v[18:19], off
	s_branch .LBB185_8
.LBB185_15:                             ;   in Loop: Header=BB185_6 Depth=1
	s_mul_u64 s[2:3], s[26:27], s[28:29]
	s_wait_alu 0xfffe
	s_lshl_b64 s[2:3], s[2:3], 3
	s_wait_alu 0xfffe
	s_add_nc_u64 s[2:3], s[22:23], s[2:3]
	s_wait_alu 0xfffe
	v_add_co_u32 v0, vcc_lo, s2, v4
	s_wait_alu 0xfffd
	v_add_co_ci_u32_e64 v18, null, s3, v5, vcc_lo
	s_and_saveexec_b32 s15, s8
	s_cbranch_execz .LBB185_19
; %bb.16:                               ;   in Loop: Header=BB185_6 Depth=1
	v_mul_f64_e32 v[16:17], s[6:7], v[16:17]
	s_and_b32 vcc_lo, exec_lo, s31
	s_wait_alu 0xfffe
	s_cbranch_vccz .LBB185_30
; %bb.17:                               ;   in Loop: Header=BB185_6 Depth=1
	v_add_co_u32 v19, vcc_lo, v0, v8
	s_wait_alu 0xfffd
	v_add_co_ci_u32_e64 v20, null, v18, v9, vcc_lo
	global_load_b64 v[32:33], v[19:20], off
	s_wait_loadcnt 0x0
	v_fma_f64 v[32:33], s[20:21], v[32:33], v[16:17]
	global_store_b64 v[19:20], v[32:33], off
	s_cbranch_execnz .LBB185_19
.LBB185_18:                             ;   in Loop: Header=BB185_6 Depth=1
	v_add_co_u32 v19, vcc_lo, v0, v8
	s_wait_alu 0xfffd
	v_add_co_ci_u32_e64 v20, null, v18, v9, vcc_lo
	global_store_b64 v[19:20], v[16:17], off
.LBB185_19:                             ;   in Loop: Header=BB185_6 Depth=1
	s_wait_alu 0xfffe
	s_or_b32 exec_lo, exec_lo, s15
	s_and_saveexec_b32 s15, s9
	s_cbranch_execz .LBB185_23
; %bb.20:                               ;   in Loop: Header=BB185_6 Depth=1
	v_mul_f64_e32 v[14:15], s[6:7], v[14:15]
	s_and_not1_b32 vcc_lo, exec_lo, s31
	s_wait_alu 0xfffe
	s_cbranch_vccnz .LBB185_31
; %bb.21:                               ;   in Loop: Header=BB185_6 Depth=1
	v_lshlrev_b64_e32 v[16:17], 3, v[2:3]
	s_delay_alu instid0(VALU_DEP_1) | instskip(SKIP_1) | instid1(VALU_DEP_2)
	v_add_co_u32 v16, vcc_lo, v0, v16
	s_wait_alu 0xfffd
	v_add_co_ci_u32_e64 v17, null, v18, v17, vcc_lo
	global_load_b64 v[19:20], v[16:17], off
	s_wait_loadcnt 0x0
	v_fma_f64 v[19:20], s[20:21], v[19:20], v[14:15]
	global_store_b64 v[16:17], v[19:20], off
	s_cbranch_execnz .LBB185_23
.LBB185_22:                             ;   in Loop: Header=BB185_6 Depth=1
	v_lshlrev_b64_e32 v[16:17], 3, v[2:3]
	s_delay_alu instid0(VALU_DEP_1) | instskip(SKIP_1) | instid1(VALU_DEP_2)
	v_add_co_u32 v16, vcc_lo, v0, v16
	s_wait_alu 0xfffd
	v_add_co_ci_u32_e64 v17, null, v18, v17, vcc_lo
	global_store_b64 v[16:17], v[14:15], off
.LBB185_23:                             ;   in Loop: Header=BB185_6 Depth=1
	s_wait_alu 0xfffe
	s_or_b32 exec_lo, exec_lo, s15
	v_add_co_u32 v0, vcc_lo, s2, v6
	s_wait_alu 0xfffd
	v_add_co_ci_u32_e64 v14, null, s3, v7, vcc_lo
	s_and_saveexec_b32 s2, s11
	s_cbranch_execz .LBB185_27
; %bb.24:                               ;   in Loop: Header=BB185_6 Depth=1
	v_mul_f64_e32 v[12:13], s[6:7], v[12:13]
	s_and_not1_b32 vcc_lo, exec_lo, s31
	s_wait_alu 0xfffe
	s_cbranch_vccnz .LBB185_32
; %bb.25:                               ;   in Loop: Header=BB185_6 Depth=1
	v_add_co_u32 v15, vcc_lo, v0, v8
	s_wait_alu 0xfffd
	v_add_co_ci_u32_e64 v16, null, v14, v9, vcc_lo
	global_load_b64 v[17:18], v[15:16], off
	s_wait_loadcnt 0x0
	v_fma_f64 v[17:18], s[20:21], v[17:18], v[12:13]
	global_store_b64 v[15:16], v[17:18], off
	s_cbranch_execnz .LBB185_27
.LBB185_26:                             ;   in Loop: Header=BB185_6 Depth=1
	v_add_co_u32 v15, vcc_lo, v0, v8
	s_wait_alu 0xfffd
	v_add_co_ci_u32_e64 v16, null, v14, v9, vcc_lo
	global_store_b64 v[15:16], v[12:13], off
.LBB185_27:                             ;   in Loop: Header=BB185_6 Depth=1
	s_wait_alu 0xfffe
	s_or_b32 exec_lo, exec_lo, s2
	s_and_saveexec_b32 s2, s14
	s_cbranch_execz .LBB185_5
; %bb.28:                               ;   in Loop: Header=BB185_6 Depth=1
	v_mul_f64_e32 v[10:11], s[6:7], v[10:11]
	v_lshlrev_b64_e32 v[12:13], 3, v[2:3]
	s_and_not1_b32 vcc_lo, exec_lo, s31
	s_wait_alu 0xfffe
	s_cbranch_vccnz .LBB185_33
; %bb.29:                               ;   in Loop: Header=BB185_6 Depth=1
	s_delay_alu instid0(VALU_DEP_1)
	v_add_co_u32 v15, vcc_lo, v0, v12
	s_wait_alu 0xfffd
	v_add_co_ci_u32_e64 v16, null, v14, v13, vcc_lo
	global_load_b64 v[17:18], v[15:16], off
	s_wait_loadcnt 0x0
	v_fma_f64 v[17:18], s[20:21], v[17:18], v[10:11]
	global_store_b64 v[15:16], v[17:18], off
	s_cbranch_execnz .LBB185_5
	s_branch .LBB185_34
.LBB185_30:                             ;   in Loop: Header=BB185_6 Depth=1
	s_branch .LBB185_18
.LBB185_31:                             ;   in Loop: Header=BB185_6 Depth=1
	s_branch .LBB185_22
.LBB185_32:                             ;   in Loop: Header=BB185_6 Depth=1
	s_branch .LBB185_26
.LBB185_33:                             ;   in Loop: Header=BB185_6 Depth=1
.LBB185_34:                             ;   in Loop: Header=BB185_6 Depth=1
	s_delay_alu instid0(VALU_DEP_1)
	v_add_co_u32 v12, vcc_lo, v0, v12
	s_wait_alu 0xfffd
	v_add_co_ci_u32_e64 v13, null, v14, v13, vcc_lo
	global_store_b64 v[12:13], v[10:11], off
	s_branch .LBB185_5
.LBB185_35:
	s_endpgm
	.section	.rodata,"a",@progbits
	.p2align	6, 0x0
	.amdhsa_kernel _ZL29rocblas_internal_gemmt_kernelIlLi16ELi32ELi8ELc84ELc67ELc85ELb0ELb0EdPKdS1_PdEviT_T9_T10_S3_lS5_S3_lS4_T11_S3_li
		.amdhsa_group_segment_fixed_size 4096
		.amdhsa_private_segment_fixed_size 0
		.amdhsa_kernarg_size 108
		.amdhsa_user_sgpr_count 2
		.amdhsa_user_sgpr_dispatch_ptr 0
		.amdhsa_user_sgpr_queue_ptr 0
		.amdhsa_user_sgpr_kernarg_segment_ptr 1
		.amdhsa_user_sgpr_dispatch_id 0
		.amdhsa_user_sgpr_private_segment_size 0
		.amdhsa_wavefront_size32 1
		.amdhsa_uses_dynamic_stack 0
		.amdhsa_enable_private_segment 0
		.amdhsa_system_sgpr_workgroup_id_x 1
		.amdhsa_system_sgpr_workgroup_id_y 1
		.amdhsa_system_sgpr_workgroup_id_z 1
		.amdhsa_system_sgpr_workgroup_info 0
		.amdhsa_system_vgpr_workitem_id 1
		.amdhsa_next_free_vgpr 52
		.amdhsa_next_free_sgpr 35
		.amdhsa_reserve_vcc 1
		.amdhsa_float_round_mode_32 0
		.amdhsa_float_round_mode_16_64 0
		.amdhsa_float_denorm_mode_32 3
		.amdhsa_float_denorm_mode_16_64 3
		.amdhsa_fp16_overflow 0
		.amdhsa_workgroup_processor_mode 1
		.amdhsa_memory_ordered 1
		.amdhsa_forward_progress 1
		.amdhsa_inst_pref_size 17
		.amdhsa_round_robin_scheduling 0
		.amdhsa_exception_fp_ieee_invalid_op 0
		.amdhsa_exception_fp_denorm_src 0
		.amdhsa_exception_fp_ieee_div_zero 0
		.amdhsa_exception_fp_ieee_overflow 0
		.amdhsa_exception_fp_ieee_underflow 0
		.amdhsa_exception_fp_ieee_inexact 0
		.amdhsa_exception_int_div_zero 0
	.end_amdhsa_kernel
	.section	.text._ZL29rocblas_internal_gemmt_kernelIlLi16ELi32ELi8ELc84ELc67ELc85ELb0ELb0EdPKdS1_PdEviT_T9_T10_S3_lS5_S3_lS4_T11_S3_li,"axG",@progbits,_ZL29rocblas_internal_gemmt_kernelIlLi16ELi32ELi8ELc84ELc67ELc85ELb0ELb0EdPKdS1_PdEviT_T9_T10_S3_lS5_S3_lS4_T11_S3_li,comdat
.Lfunc_end185:
	.size	_ZL29rocblas_internal_gemmt_kernelIlLi16ELi32ELi8ELc84ELc67ELc85ELb0ELb0EdPKdS1_PdEviT_T9_T10_S3_lS5_S3_lS4_T11_S3_li, .Lfunc_end185-_ZL29rocblas_internal_gemmt_kernelIlLi16ELi32ELi8ELc84ELc67ELc85ELb0ELb0EdPKdS1_PdEviT_T9_T10_S3_lS5_S3_lS4_T11_S3_li
                                        ; -- End function
	.set _ZL29rocblas_internal_gemmt_kernelIlLi16ELi32ELi8ELc84ELc67ELc85ELb0ELb0EdPKdS1_PdEviT_T9_T10_S3_lS5_S3_lS4_T11_S3_li.num_vgpr, 52
	.set _ZL29rocblas_internal_gemmt_kernelIlLi16ELi32ELi8ELc84ELc67ELc85ELb0ELb0EdPKdS1_PdEviT_T9_T10_S3_lS5_S3_lS4_T11_S3_li.num_agpr, 0
	.set _ZL29rocblas_internal_gemmt_kernelIlLi16ELi32ELi8ELc84ELc67ELc85ELb0ELb0EdPKdS1_PdEviT_T9_T10_S3_lS5_S3_lS4_T11_S3_li.numbered_sgpr, 35
	.set _ZL29rocblas_internal_gemmt_kernelIlLi16ELi32ELi8ELc84ELc67ELc85ELb0ELb0EdPKdS1_PdEviT_T9_T10_S3_lS5_S3_lS4_T11_S3_li.num_named_barrier, 0
	.set _ZL29rocblas_internal_gemmt_kernelIlLi16ELi32ELi8ELc84ELc67ELc85ELb0ELb0EdPKdS1_PdEviT_T9_T10_S3_lS5_S3_lS4_T11_S3_li.private_seg_size, 0
	.set _ZL29rocblas_internal_gemmt_kernelIlLi16ELi32ELi8ELc84ELc67ELc85ELb0ELb0EdPKdS1_PdEviT_T9_T10_S3_lS5_S3_lS4_T11_S3_li.uses_vcc, 1
	.set _ZL29rocblas_internal_gemmt_kernelIlLi16ELi32ELi8ELc84ELc67ELc85ELb0ELb0EdPKdS1_PdEviT_T9_T10_S3_lS5_S3_lS4_T11_S3_li.uses_flat_scratch, 0
	.set _ZL29rocblas_internal_gemmt_kernelIlLi16ELi32ELi8ELc84ELc67ELc85ELb0ELb0EdPKdS1_PdEviT_T9_T10_S3_lS5_S3_lS4_T11_S3_li.has_dyn_sized_stack, 0
	.set _ZL29rocblas_internal_gemmt_kernelIlLi16ELi32ELi8ELc84ELc67ELc85ELb0ELb0EdPKdS1_PdEviT_T9_T10_S3_lS5_S3_lS4_T11_S3_li.has_recursion, 0
	.set _ZL29rocblas_internal_gemmt_kernelIlLi16ELi32ELi8ELc84ELc67ELc85ELb0ELb0EdPKdS1_PdEviT_T9_T10_S3_lS5_S3_lS4_T11_S3_li.has_indirect_call, 0
	.section	.AMDGPU.csdata,"",@progbits
; Kernel info:
; codeLenInByte = 2060
; TotalNumSgprs: 37
; NumVgprs: 52
; ScratchSize: 0
; MemoryBound: 0
; FloatMode: 240
; IeeeMode: 1
; LDSByteSize: 4096 bytes/workgroup (compile time only)
; SGPRBlocks: 0
; VGPRBlocks: 6
; NumSGPRsForWavesPerEU: 37
; NumVGPRsForWavesPerEU: 52
; Occupancy: 16
; WaveLimiterHint : 0
; COMPUTE_PGM_RSRC2:SCRATCH_EN: 0
; COMPUTE_PGM_RSRC2:USER_SGPR: 2
; COMPUTE_PGM_RSRC2:TRAP_HANDLER: 0
; COMPUTE_PGM_RSRC2:TGID_X_EN: 1
; COMPUTE_PGM_RSRC2:TGID_Y_EN: 1
; COMPUTE_PGM_RSRC2:TGID_Z_EN: 1
; COMPUTE_PGM_RSRC2:TIDIG_COMP_CNT: 1
	.section	.text._ZL29rocblas_internal_gemmt_kernelIlLi16ELi32ELi8ELc67ELc78ELc85ELb0ELb0EdPKdS1_PdEviT_T9_T10_S3_lS5_S3_lS4_T11_S3_li,"axG",@progbits,_ZL29rocblas_internal_gemmt_kernelIlLi16ELi32ELi8ELc67ELc78ELc85ELb0ELb0EdPKdS1_PdEviT_T9_T10_S3_lS5_S3_lS4_T11_S3_li,comdat
	.globl	_ZL29rocblas_internal_gemmt_kernelIlLi16ELi32ELi8ELc67ELc78ELc85ELb0ELb0EdPKdS1_PdEviT_T9_T10_S3_lS5_S3_lS4_T11_S3_li ; -- Begin function _ZL29rocblas_internal_gemmt_kernelIlLi16ELi32ELi8ELc67ELc78ELc85ELb0ELb0EdPKdS1_PdEviT_T9_T10_S3_lS5_S3_lS4_T11_S3_li
	.p2align	8
	.type	_ZL29rocblas_internal_gemmt_kernelIlLi16ELi32ELi8ELc67ELc78ELc85ELb0ELb0EdPKdS1_PdEviT_T9_T10_S3_lS5_S3_lS4_T11_S3_li,@function
_ZL29rocblas_internal_gemmt_kernelIlLi16ELi32ELi8ELc67ELc78ELc85ELb0ELb0EdPKdS1_PdEviT_T9_T10_S3_lS5_S3_lS4_T11_S3_li: ; @_ZL29rocblas_internal_gemmt_kernelIlLi16ELi32ELi8ELc67ELc78ELc85ELb0ELb0EdPKdS1_PdEviT_T9_T10_S3_lS5_S3_lS4_T11_S3_li
; %bb.0:
	s_clause 0x1
	s_load_b256 s[20:27], s[0:1], 0x48
	s_load_b512 s[4:19], s[0:1], 0x8
	s_wait_kmcnt 0x0
	s_load_b64 s[20:21], s[20:21], 0x0
	s_load_b64 s[6:7], s[6:7], 0x0
	s_wait_kmcnt 0x0
	v_cmp_neq_f64_e64 s2, s[20:21], 1.0
	s_and_b32 vcc_lo, exec_lo, s2
	s_cbranch_vccnz .LBB186_2
; %bb.1:
	v_cmp_neq_f64_e64 s2, s[6:7], 0
	s_cmp_lg_u64 s[4:5], 0
	s_cselect_b32 s3, -1, 0
	s_delay_alu instid0(SALU_CYCLE_1)
	s_and_b32 s2, s3, s2
.LBB186_2:
	s_delay_alu instid0(SALU_CYCLE_1)
	s_and_not1_b32 vcc_lo, exec_lo, s2
	s_cbranch_vccnz .LBB186_35
; %bb.3:
	s_load_b32 s30, s[0:1], 0x68
	s_lshr_b32 s28, ttmp7, 16
	s_wait_kmcnt 0x0
	s_cmp_ge_u32 s28, s30
	s_cbranch_scc1 .LBB186_35
; %bb.4:
	v_and_b32_e32 v9, 0x3ff, v0
	v_bfe_u32 v12, v0, 10, 10
	s_load_b32 s29, s[0:1], 0x0
	s_lshl_b32 s1, ttmp7, 5
	s_lshl_b32 s0, ttmp9, 5
	s_and_b32 s1, s1, 0x1fffe0
	v_lshl_add_u32 v2, v12, 4, v9
	v_and_b32_e32 v22, 7, v0
	s_ashr_i32 s2, s0, 31
	v_add_nc_u32_e32 v16, s1, v12
	s_mul_i32 s2, s10, s2
	v_lshrrev_b32_e32 v10, 3, v2
	v_and_b32_e32 v11, 31, v2
	v_lshrrev_b32_e32 v23, 5, v2
	v_cmp_neq_f64_e64 s33, s[6:7], 0
	v_cmp_neq_f64_e64 s31, s[20:21], 0
	v_add_nc_u32_e32 v13, s1, v10
	v_or_b32_e32 v14, s0, v11
	v_add_nc_u32_e32 v18, 16, v16
	v_mad_co_u64_u32 v[4:5], null, s24, v16, 0
	s_delay_alu instid0(VALU_DEP_4) | instskip(NEXT) | instid1(VALU_DEP_4)
	v_mad_co_u64_u32 v[0:1], null, s16, v13, 0
	v_mad_co_u64_u32 v[2:3], null, s10, v14, 0
	v_mul_lo_u32 v17, s11, v14
	v_cmp_gt_i64_e64 s34, s[4:5], 0
	s_wait_kmcnt 0x0
	v_cmp_gt_i32_e64 s1, s29, v13
	v_lshl_add_u32 v31, v12, 6, 0x800
	v_mad_co_u64_u32 v[6:7], null, s17, v13, v[1:2]
	v_add3_u32 v3, v3, s2, v17
	v_lshlrev_b32_e32 v7, 3, v11
	s_delay_alu instid0(VALU_DEP_2) | instskip(NEXT) | instid1(VALU_DEP_4)
	v_lshlrev_b64_e32 v[2:3], 3, v[2:3]
	v_mov_b32_e32 v1, v6
	v_lshlrev_b32_e32 v15, 3, v22
	s_delay_alu instid0(VALU_DEP_4) | instskip(NEXT) | instid1(VALU_DEP_3)
	v_lshl_or_b32 v24, v23, 8, v7
	v_lshlrev_b64_e32 v[0:1], 3, v[0:1]
	s_delay_alu instid0(VALU_DEP_3) | instskip(SKIP_2) | instid1(VALU_DEP_1)
	v_lshl_or_b32 v15, v10, 6, v15
	v_mad_co_u64_u32 v[10:11], null, s24, v18, 0
	v_add_co_u32 v26, vcc_lo, s8, v2
	v_add_co_ci_u32_e64 v27, null, s9, v3, vcc_lo
	v_add_co_u32 v28, vcc_lo, s14, v0
	s_wait_alu 0xfffd
	v_add_co_ci_u32_e64 v29, null, s15, v1, vcc_lo
	v_mad_co_u64_u32 v[1:2], null, s25, v16, v[5:6]
	v_mov_b32_e32 v2, v11
	v_add_nc_u32_e32 v8, s0, v9
	v_lshlrev_b32_e32 v30, 3, v9
	v_cmp_gt_i32_e64 s0, s29, v14
	v_add_nc_u32_e32 v25, 0x800, v15
	v_mad_co_u64_u32 v[2:3], null, s25, v18, v[2:3]
	v_dual_mov_b32 v5, v1 :: v_dual_add_nc_u32 v0, 16, v8
	v_ashrrev_i32_e32 v9, 31, v8
	v_mov_b32_e32 v3, 0
	s_and_b32 s10, s33, s34
	s_delay_alu instid0(VALU_DEP_3)
	v_lshlrev_b64_e32 v[4:5], 3, v[4:5]
	v_mov_b32_e32 v11, v2
	v_cmp_gt_i32_e32 vcc_lo, s29, v16
	v_cmp_le_i32_e64 s2, v8, v16
	v_cmp_le_i32_e64 s3, v0, v16
	v_ashrrev_i32_e32 v1, 31, v0
	v_lshlrev_b64_e32 v[6:7], 3, v[10:11]
	s_and_b32 s8, vcc_lo, s2
	s_and_b32 s9, vcc_lo, s3
	v_cmp_gt_i32_e32 vcc_lo, s29, v18
	v_cmp_le_i32_e64 s2, v8, v18
	v_cmp_le_i32_e64 s3, v0, v18
	v_lshlrev_b64_e32 v[8:9], 3, v[8:9]
	s_mov_b32 s29, 0
	s_and_b32 s11, vcc_lo, s2
	s_and_b32 s14, vcc_lo, s3
	s_branch .LBB186_6
.LBB186_5:                              ;   in Loop: Header=BB186_6 Depth=1
	s_wait_alu 0xfffe
	s_or_b32 exec_lo, exec_lo, s2
	s_add_co_i32 s28, s28, 0x10000
	s_wait_alu 0xfffe
	s_cmp_lt_u32 s28, s30
	s_cbranch_scc0 .LBB186_35
.LBB186_6:                              ; =>This Loop Header: Depth=1
                                        ;     Child Loop BB186_9 Depth 2
	v_mov_b32_e32 v16, 0
	v_dual_mov_b32 v12, 0 :: v_dual_mov_b32 v17, 0
	v_dual_mov_b32 v14, 0 :: v_dual_mov_b32 v13, 0
	v_dual_mov_b32 v10, 0 :: v_dual_mov_b32 v15, 0
	v_mov_b32_e32 v11, 0
	s_wait_alu 0xfffe
	s_and_not1_b32 vcc_lo, exec_lo, s10
	s_wait_alu 0xfffe
	s_cbranch_vccnz .LBB186_15
; %bb.7:                                ;   in Loop: Header=BB186_6 Depth=1
	s_mul_u64 s[2:3], s[12:13], s[28:29]
	s_mul_u64 s[16:17], s[18:19], s[28:29]
	s_wait_alu 0xfffe
	s_lshl_b64 s[2:3], s[2:3], 3
	v_mov_b32_e32 v10, 0
	s_wait_alu 0xfffe
	v_add_co_u32 v32, vcc_lo, v26, s2
	s_wait_alu 0xfffd
	v_add_co_ci_u32_e64 v33, null, s3, v27, vcc_lo
	s_lshl_b64 s[2:3], s[16:17], 3
	v_mov_b32_e32 v14, 0
	s_wait_alu 0xfffe
	v_add_co_u32 v34, vcc_lo, v28, s2
	v_dual_mov_b32 v11, 0 :: v_dual_mov_b32 v12, 0
	v_dual_mov_b32 v15, 0 :: v_dual_mov_b32 v16, 0
	v_mov_b32_e32 v13, 0
	v_mov_b32_e32 v17, 0
	s_wait_alu 0xfffd
	v_add_co_ci_u32_e64 v35, null, s3, v29, vcc_lo
	s_mov_b64 s[2:3], 0
	s_branch .LBB186_9
.LBB186_8:                              ;   in Loop: Header=BB186_9 Depth=2
	s_wait_alu 0xfffe
	s_or_b32 exec_lo, exec_lo, s15
	s_wait_loadcnt 0x0
	ds_store_b64 v25, v[20:21]
	s_wait_dscnt 0x0
	s_barrier_signal -1
	s_barrier_wait -1
	global_inv scope:SCOPE_SE
	ds_load_b128 v[18:21], v31
	ds_load_2addr_b64 v[36:39], v30 offset1:16
	ds_load_b128 v[40:43], v31 offset:1024
	ds_load_b128 v[44:47], v31 offset:16
	;; [unrolled: 1-line block ×3, first 2 shown]
	s_add_nc_u64 s[2:3], s[2:3], 8
	s_wait_alu 0xfffe
	v_cmp_gt_i64_e64 s15, s[4:5], s[2:3]
	s_and_b32 vcc_lo, exec_lo, s15
	s_wait_dscnt 0x3
	v_fma_f64 v[16:17], v[36:37], v[18:19], v[16:17]
	v_fma_f64 v[14:15], v[38:39], v[18:19], v[14:15]
	s_wait_dscnt 0x2
	v_fma_f64 v[18:19], v[36:37], v[40:41], v[12:13]
	v_fma_f64 v[36:37], v[38:39], v[40:41], v[10:11]
	ds_load_2addr_b64 v[10:13], v30 offset0:32 offset1:48
	s_wait_dscnt 0x0
	v_fma_f64 v[16:17], v[10:11], v[20:21], v[16:17]
	v_fma_f64 v[14:15], v[12:13], v[20:21], v[14:15]
	v_fma_f64 v[18:19], v[10:11], v[42:43], v[18:19]
	v_fma_f64 v[20:21], v[12:13], v[42:43], v[36:37]
	ds_load_2addr_b64 v[10:13], v30 offset0:64 offset1:80
	s_wait_dscnt 0x0
	v_fma_f64 v[16:17], v[10:11], v[44:45], v[16:17]
	v_fma_f64 v[14:15], v[12:13], v[44:45], v[14:15]
	;; [unrolled: 6-line block ×3, first 2 shown]
	v_fma_f64 v[48:49], v[10:11], v[50:51], v[18:19]
	v_fma_f64 v[50:51], v[12:13], v[50:51], v[20:21]
	ds_load_b128 v[10:13], v31 offset:32
	ds_load_2addr_b64 v[14:17], v30 offset0:128 offset1:144
	ds_load_b128 v[18:21], v31 offset:1056
	ds_load_b128 v[36:39], v31 offset:48
	;; [unrolled: 1-line block ×3, first 2 shown]
	s_wait_dscnt 0x3
	v_fma_f64 v[44:45], v[14:15], v[10:11], v[44:45]
	v_fma_f64 v[10:11], v[16:17], v[10:11], v[46:47]
	s_wait_dscnt 0x2
	v_fma_f64 v[46:47], v[14:15], v[18:19], v[48:49]
	v_fma_f64 v[18:19], v[16:17], v[18:19], v[50:51]
	ds_load_2addr_b64 v[14:17], v30 offset0:160 offset1:176
	s_wait_dscnt 0x0
	v_fma_f64 v[44:45], v[14:15], v[12:13], v[44:45]
	v_fma_f64 v[48:49], v[16:17], v[12:13], v[10:11]
	;; [unrolled: 1-line block ×4, first 2 shown]
	ds_load_2addr_b64 v[10:13], v30 offset0:192 offset1:208
	ds_load_2addr_b64 v[18:21], v30 offset0:224 offset1:240
	s_wait_loadcnt_dscnt 0x0
	s_barrier_signal -1
	s_barrier_wait -1
	global_inv scope:SCOPE_SE
	v_fma_f64 v[44:45], v[10:11], v[36:37], v[44:45]
	v_fma_f64 v[36:37], v[12:13], v[36:37], v[48:49]
	;; [unrolled: 1-line block ×4, first 2 shown]
	s_delay_alu instid0(VALU_DEP_4) | instskip(NEXT) | instid1(VALU_DEP_4)
	v_fma_f64 v[16:17], v[18:19], v[38:39], v[44:45]
	v_fma_f64 v[14:15], v[20:21], v[38:39], v[36:37]
	s_delay_alu instid0(VALU_DEP_4) | instskip(NEXT) | instid1(VALU_DEP_4)
	v_fma_f64 v[12:13], v[18:19], v[42:43], v[10:11]
	v_fma_f64 v[10:11], v[20:21], v[42:43], v[40:41]
	s_wait_alu 0xfffe
	s_cbranch_vccz .LBB186_15
.LBB186_9:                              ;   Parent Loop BB186_6 Depth=1
                                        ; =>  This Inner Loop Header: Depth=2
	v_mov_b32_e32 v18, 0
	v_mov_b32_e32 v19, 0
	s_and_saveexec_b32 s15, s0
	s_cbranch_execz .LBB186_13
; %bb.10:                               ;   in Loop: Header=BB186_9 Depth=2
	v_mov_b32_e32 v18, 0
	s_wait_alu 0xfffe
	v_dual_mov_b32 v19, 0 :: v_dual_add_nc_u32 v2, s2, v23
	s_mov_b32 s16, exec_lo
	s_delay_alu instid0(VALU_DEP_1)
	v_cmpx_gt_u64_e64 s[4:5], v[2:3]
	s_cbranch_execz .LBB186_12
; %bb.11:                               ;   in Loop: Header=BB186_9 Depth=2
	v_lshlrev_b64_e32 v[18:19], 3, v[2:3]
	s_delay_alu instid0(VALU_DEP_1) | instskip(SKIP_1) | instid1(VALU_DEP_2)
	v_add_co_u32 v18, vcc_lo, v32, v18
	s_wait_alu 0xfffd
	v_add_co_ci_u32_e64 v19, null, v33, v19, vcc_lo
	global_load_b64 v[18:19], v[18:19], off
.LBB186_12:                             ;   in Loop: Header=BB186_9 Depth=2
	s_wait_alu 0xfffe
	s_or_b32 exec_lo, exec_lo, s16
.LBB186_13:                             ;   in Loop: Header=BB186_9 Depth=2
	s_wait_alu 0xfffe
	s_or_b32 exec_lo, exec_lo, s15
	v_add_nc_u32_e32 v2, s2, v22
	v_mov_b32_e32 v20, 0
	v_mov_b32_e32 v21, 0
	s_wait_loadcnt 0x0
	ds_store_b64 v24, v[18:19]
	v_cmp_gt_u64_e32 vcc_lo, s[4:5], v[2:3]
	s_and_b32 s16, vcc_lo, s1
	s_wait_alu 0xfffe
	s_and_saveexec_b32 s15, s16
	s_cbranch_execz .LBB186_8
; %bb.14:                               ;   in Loop: Header=BB186_9 Depth=2
	v_lshlrev_b64_e32 v[18:19], 3, v[2:3]
	s_delay_alu instid0(VALU_DEP_1) | instskip(SKIP_1) | instid1(VALU_DEP_2)
	v_add_co_u32 v18, vcc_lo, v34, v18
	s_wait_alu 0xfffd
	v_add_co_ci_u32_e64 v19, null, v35, v19, vcc_lo
	global_load_b64 v[20:21], v[18:19], off
	s_branch .LBB186_8
.LBB186_15:                             ;   in Loop: Header=BB186_6 Depth=1
	s_mul_u64 s[2:3], s[26:27], s[28:29]
	s_wait_alu 0xfffe
	s_lshl_b64 s[2:3], s[2:3], 3
	s_wait_alu 0xfffe
	s_add_nc_u64 s[2:3], s[22:23], s[2:3]
	s_wait_alu 0xfffe
	v_add_co_u32 v2, vcc_lo, s2, v4
	s_wait_alu 0xfffd
	v_add_co_ci_u32_e64 v18, null, s3, v5, vcc_lo
	s_and_saveexec_b32 s15, s8
	s_cbranch_execz .LBB186_19
; %bb.16:                               ;   in Loop: Header=BB186_6 Depth=1
	v_mul_f64_e32 v[16:17], s[6:7], v[16:17]
	s_and_b32 vcc_lo, exec_lo, s31
	s_wait_alu 0xfffe
	s_cbranch_vccz .LBB186_30
; %bb.17:                               ;   in Loop: Header=BB186_6 Depth=1
	v_add_co_u32 v19, vcc_lo, v2, v8
	s_wait_alu 0xfffd
	v_add_co_ci_u32_e64 v20, null, v18, v9, vcc_lo
	global_load_b64 v[32:33], v[19:20], off
	s_wait_loadcnt 0x0
	v_fma_f64 v[32:33], s[20:21], v[32:33], v[16:17]
	global_store_b64 v[19:20], v[32:33], off
	s_cbranch_execnz .LBB186_19
.LBB186_18:                             ;   in Loop: Header=BB186_6 Depth=1
	v_add_co_u32 v19, vcc_lo, v2, v8
	s_wait_alu 0xfffd
	v_add_co_ci_u32_e64 v20, null, v18, v9, vcc_lo
	global_store_b64 v[19:20], v[16:17], off
.LBB186_19:                             ;   in Loop: Header=BB186_6 Depth=1
	s_wait_alu 0xfffe
	s_or_b32 exec_lo, exec_lo, s15
	s_and_saveexec_b32 s15, s9
	s_cbranch_execz .LBB186_23
; %bb.20:                               ;   in Loop: Header=BB186_6 Depth=1
	v_mul_f64_e32 v[14:15], s[6:7], v[14:15]
	s_and_not1_b32 vcc_lo, exec_lo, s31
	s_wait_alu 0xfffe
	s_cbranch_vccnz .LBB186_31
; %bb.21:                               ;   in Loop: Header=BB186_6 Depth=1
	v_lshlrev_b64_e32 v[16:17], 3, v[0:1]
	s_delay_alu instid0(VALU_DEP_1) | instskip(SKIP_1) | instid1(VALU_DEP_2)
	v_add_co_u32 v16, vcc_lo, v2, v16
	s_wait_alu 0xfffd
	v_add_co_ci_u32_e64 v17, null, v18, v17, vcc_lo
	global_load_b64 v[19:20], v[16:17], off
	s_wait_loadcnt 0x0
	v_fma_f64 v[19:20], s[20:21], v[19:20], v[14:15]
	global_store_b64 v[16:17], v[19:20], off
	s_cbranch_execnz .LBB186_23
.LBB186_22:                             ;   in Loop: Header=BB186_6 Depth=1
	v_lshlrev_b64_e32 v[16:17], 3, v[0:1]
	s_delay_alu instid0(VALU_DEP_1) | instskip(SKIP_1) | instid1(VALU_DEP_2)
	v_add_co_u32 v16, vcc_lo, v2, v16
	s_wait_alu 0xfffd
	v_add_co_ci_u32_e64 v17, null, v18, v17, vcc_lo
	global_store_b64 v[16:17], v[14:15], off
.LBB186_23:                             ;   in Loop: Header=BB186_6 Depth=1
	s_wait_alu 0xfffe
	s_or_b32 exec_lo, exec_lo, s15
	v_add_co_u32 v2, vcc_lo, s2, v6
	s_wait_alu 0xfffd
	v_add_co_ci_u32_e64 v14, null, s3, v7, vcc_lo
	s_and_saveexec_b32 s2, s11
	s_cbranch_execz .LBB186_27
; %bb.24:                               ;   in Loop: Header=BB186_6 Depth=1
	v_mul_f64_e32 v[12:13], s[6:7], v[12:13]
	s_and_not1_b32 vcc_lo, exec_lo, s31
	s_wait_alu 0xfffe
	s_cbranch_vccnz .LBB186_32
; %bb.25:                               ;   in Loop: Header=BB186_6 Depth=1
	v_add_co_u32 v15, vcc_lo, v2, v8
	s_wait_alu 0xfffd
	v_add_co_ci_u32_e64 v16, null, v14, v9, vcc_lo
	global_load_b64 v[17:18], v[15:16], off
	s_wait_loadcnt 0x0
	v_fma_f64 v[17:18], s[20:21], v[17:18], v[12:13]
	global_store_b64 v[15:16], v[17:18], off
	s_cbranch_execnz .LBB186_27
.LBB186_26:                             ;   in Loop: Header=BB186_6 Depth=1
	v_add_co_u32 v15, vcc_lo, v2, v8
	s_wait_alu 0xfffd
	v_add_co_ci_u32_e64 v16, null, v14, v9, vcc_lo
	global_store_b64 v[15:16], v[12:13], off
.LBB186_27:                             ;   in Loop: Header=BB186_6 Depth=1
	s_wait_alu 0xfffe
	s_or_b32 exec_lo, exec_lo, s2
	s_and_saveexec_b32 s2, s14
	s_cbranch_execz .LBB186_5
; %bb.28:                               ;   in Loop: Header=BB186_6 Depth=1
	v_mul_f64_e32 v[10:11], s[6:7], v[10:11]
	v_lshlrev_b64_e32 v[12:13], 3, v[0:1]
	s_and_not1_b32 vcc_lo, exec_lo, s31
	s_wait_alu 0xfffe
	s_cbranch_vccnz .LBB186_33
; %bb.29:                               ;   in Loop: Header=BB186_6 Depth=1
	s_delay_alu instid0(VALU_DEP_1)
	v_add_co_u32 v15, vcc_lo, v2, v12
	s_wait_alu 0xfffd
	v_add_co_ci_u32_e64 v16, null, v14, v13, vcc_lo
	global_load_b64 v[17:18], v[15:16], off
	s_wait_loadcnt 0x0
	v_fma_f64 v[17:18], s[20:21], v[17:18], v[10:11]
	global_store_b64 v[15:16], v[17:18], off
	s_cbranch_execnz .LBB186_5
	s_branch .LBB186_34
.LBB186_30:                             ;   in Loop: Header=BB186_6 Depth=1
	s_branch .LBB186_18
.LBB186_31:                             ;   in Loop: Header=BB186_6 Depth=1
	s_branch .LBB186_22
.LBB186_32:                             ;   in Loop: Header=BB186_6 Depth=1
	s_branch .LBB186_26
.LBB186_33:                             ;   in Loop: Header=BB186_6 Depth=1
.LBB186_34:                             ;   in Loop: Header=BB186_6 Depth=1
	s_delay_alu instid0(VALU_DEP_1)
	v_add_co_u32 v12, vcc_lo, v2, v12
	s_wait_alu 0xfffd
	v_add_co_ci_u32_e64 v13, null, v14, v13, vcc_lo
	global_store_b64 v[12:13], v[10:11], off
	s_branch .LBB186_5
.LBB186_35:
	s_endpgm
	.section	.rodata,"a",@progbits
	.p2align	6, 0x0
	.amdhsa_kernel _ZL29rocblas_internal_gemmt_kernelIlLi16ELi32ELi8ELc67ELc78ELc85ELb0ELb0EdPKdS1_PdEviT_T9_T10_S3_lS5_S3_lS4_T11_S3_li
		.amdhsa_group_segment_fixed_size 4096
		.amdhsa_private_segment_fixed_size 0
		.amdhsa_kernarg_size 108
		.amdhsa_user_sgpr_count 2
		.amdhsa_user_sgpr_dispatch_ptr 0
		.amdhsa_user_sgpr_queue_ptr 0
		.amdhsa_user_sgpr_kernarg_segment_ptr 1
		.amdhsa_user_sgpr_dispatch_id 0
		.amdhsa_user_sgpr_private_segment_size 0
		.amdhsa_wavefront_size32 1
		.amdhsa_uses_dynamic_stack 0
		.amdhsa_enable_private_segment 0
		.amdhsa_system_sgpr_workgroup_id_x 1
		.amdhsa_system_sgpr_workgroup_id_y 1
		.amdhsa_system_sgpr_workgroup_id_z 1
		.amdhsa_system_sgpr_workgroup_info 0
		.amdhsa_system_vgpr_workitem_id 1
		.amdhsa_next_free_vgpr 52
		.amdhsa_next_free_sgpr 35
		.amdhsa_reserve_vcc 1
		.amdhsa_float_round_mode_32 0
		.amdhsa_float_round_mode_16_64 0
		.amdhsa_float_denorm_mode_32 3
		.amdhsa_float_denorm_mode_16_64 3
		.amdhsa_fp16_overflow 0
		.amdhsa_workgroup_processor_mode 1
		.amdhsa_memory_ordered 1
		.amdhsa_forward_progress 1
		.amdhsa_inst_pref_size 17
		.amdhsa_round_robin_scheduling 0
		.amdhsa_exception_fp_ieee_invalid_op 0
		.amdhsa_exception_fp_denorm_src 0
		.amdhsa_exception_fp_ieee_div_zero 0
		.amdhsa_exception_fp_ieee_overflow 0
		.amdhsa_exception_fp_ieee_underflow 0
		.amdhsa_exception_fp_ieee_inexact 0
		.amdhsa_exception_int_div_zero 0
	.end_amdhsa_kernel
	.section	.text._ZL29rocblas_internal_gemmt_kernelIlLi16ELi32ELi8ELc67ELc78ELc85ELb0ELb0EdPKdS1_PdEviT_T9_T10_S3_lS5_S3_lS4_T11_S3_li,"axG",@progbits,_ZL29rocblas_internal_gemmt_kernelIlLi16ELi32ELi8ELc67ELc78ELc85ELb0ELb0EdPKdS1_PdEviT_T9_T10_S3_lS5_S3_lS4_T11_S3_li,comdat
.Lfunc_end186:
	.size	_ZL29rocblas_internal_gemmt_kernelIlLi16ELi32ELi8ELc67ELc78ELc85ELb0ELb0EdPKdS1_PdEviT_T9_T10_S3_lS5_S3_lS4_T11_S3_li, .Lfunc_end186-_ZL29rocblas_internal_gemmt_kernelIlLi16ELi32ELi8ELc67ELc78ELc85ELb0ELb0EdPKdS1_PdEviT_T9_T10_S3_lS5_S3_lS4_T11_S3_li
                                        ; -- End function
	.set _ZL29rocblas_internal_gemmt_kernelIlLi16ELi32ELi8ELc67ELc78ELc85ELb0ELb0EdPKdS1_PdEviT_T9_T10_S3_lS5_S3_lS4_T11_S3_li.num_vgpr, 52
	.set _ZL29rocblas_internal_gemmt_kernelIlLi16ELi32ELi8ELc67ELc78ELc85ELb0ELb0EdPKdS1_PdEviT_T9_T10_S3_lS5_S3_lS4_T11_S3_li.num_agpr, 0
	.set _ZL29rocblas_internal_gemmt_kernelIlLi16ELi32ELi8ELc67ELc78ELc85ELb0ELb0EdPKdS1_PdEviT_T9_T10_S3_lS5_S3_lS4_T11_S3_li.numbered_sgpr, 35
	.set _ZL29rocblas_internal_gemmt_kernelIlLi16ELi32ELi8ELc67ELc78ELc85ELb0ELb0EdPKdS1_PdEviT_T9_T10_S3_lS5_S3_lS4_T11_S3_li.num_named_barrier, 0
	.set _ZL29rocblas_internal_gemmt_kernelIlLi16ELi32ELi8ELc67ELc78ELc85ELb0ELb0EdPKdS1_PdEviT_T9_T10_S3_lS5_S3_lS4_T11_S3_li.private_seg_size, 0
	.set _ZL29rocblas_internal_gemmt_kernelIlLi16ELi32ELi8ELc67ELc78ELc85ELb0ELb0EdPKdS1_PdEviT_T9_T10_S3_lS5_S3_lS4_T11_S3_li.uses_vcc, 1
	.set _ZL29rocblas_internal_gemmt_kernelIlLi16ELi32ELi8ELc67ELc78ELc85ELb0ELb0EdPKdS1_PdEviT_T9_T10_S3_lS5_S3_lS4_T11_S3_li.uses_flat_scratch, 0
	.set _ZL29rocblas_internal_gemmt_kernelIlLi16ELi32ELi8ELc67ELc78ELc85ELb0ELb0EdPKdS1_PdEviT_T9_T10_S3_lS5_S3_lS4_T11_S3_li.has_dyn_sized_stack, 0
	.set _ZL29rocblas_internal_gemmt_kernelIlLi16ELi32ELi8ELc67ELc78ELc85ELb0ELb0EdPKdS1_PdEviT_T9_T10_S3_lS5_S3_lS4_T11_S3_li.has_recursion, 0
	.set _ZL29rocblas_internal_gemmt_kernelIlLi16ELi32ELi8ELc67ELc78ELc85ELb0ELb0EdPKdS1_PdEviT_T9_T10_S3_lS5_S3_lS4_T11_S3_li.has_indirect_call, 0
	.section	.AMDGPU.csdata,"",@progbits
; Kernel info:
; codeLenInByte = 2056
; TotalNumSgprs: 37
; NumVgprs: 52
; ScratchSize: 0
; MemoryBound: 0
; FloatMode: 240
; IeeeMode: 1
; LDSByteSize: 4096 bytes/workgroup (compile time only)
; SGPRBlocks: 0
; VGPRBlocks: 6
; NumSGPRsForWavesPerEU: 37
; NumVGPRsForWavesPerEU: 52
; Occupancy: 16
; WaveLimiterHint : 0
; COMPUTE_PGM_RSRC2:SCRATCH_EN: 0
; COMPUTE_PGM_RSRC2:USER_SGPR: 2
; COMPUTE_PGM_RSRC2:TRAP_HANDLER: 0
; COMPUTE_PGM_RSRC2:TGID_X_EN: 1
; COMPUTE_PGM_RSRC2:TGID_Y_EN: 1
; COMPUTE_PGM_RSRC2:TGID_Z_EN: 1
; COMPUTE_PGM_RSRC2:TIDIG_COMP_CNT: 1
	.section	.text._ZL29rocblas_internal_gemmt_kernelIlLi16ELi32ELi8ELc67ELc84ELc85ELb0ELb0EdPKdS1_PdEviT_T9_T10_S3_lS5_S3_lS4_T11_S3_li,"axG",@progbits,_ZL29rocblas_internal_gemmt_kernelIlLi16ELi32ELi8ELc67ELc84ELc85ELb0ELb0EdPKdS1_PdEviT_T9_T10_S3_lS5_S3_lS4_T11_S3_li,comdat
	.globl	_ZL29rocblas_internal_gemmt_kernelIlLi16ELi32ELi8ELc67ELc84ELc85ELb0ELb0EdPKdS1_PdEviT_T9_T10_S3_lS5_S3_lS4_T11_S3_li ; -- Begin function _ZL29rocblas_internal_gemmt_kernelIlLi16ELi32ELi8ELc67ELc84ELc85ELb0ELb0EdPKdS1_PdEviT_T9_T10_S3_lS5_S3_lS4_T11_S3_li
	.p2align	8
	.type	_ZL29rocblas_internal_gemmt_kernelIlLi16ELi32ELi8ELc67ELc84ELc85ELb0ELb0EdPKdS1_PdEviT_T9_T10_S3_lS5_S3_lS4_T11_S3_li,@function
_ZL29rocblas_internal_gemmt_kernelIlLi16ELi32ELi8ELc67ELc84ELc85ELb0ELb0EdPKdS1_PdEviT_T9_T10_S3_lS5_S3_lS4_T11_S3_li: ; @_ZL29rocblas_internal_gemmt_kernelIlLi16ELi32ELi8ELc67ELc84ELc85ELb0ELb0EdPKdS1_PdEviT_T9_T10_S3_lS5_S3_lS4_T11_S3_li
; %bb.0:
	s_clause 0x1
	s_load_b256 s[20:27], s[0:1], 0x48
	s_load_b512 s[4:19], s[0:1], 0x8
	s_wait_kmcnt 0x0
	s_load_b64 s[20:21], s[20:21], 0x0
	s_load_b64 s[6:7], s[6:7], 0x0
	s_wait_kmcnt 0x0
	v_cmp_neq_f64_e64 s2, s[20:21], 1.0
	s_and_b32 vcc_lo, exec_lo, s2
	s_cbranch_vccnz .LBB187_2
; %bb.1:
	v_cmp_neq_f64_e64 s2, s[6:7], 0
	s_cmp_lg_u64 s[4:5], 0
	s_cselect_b32 s3, -1, 0
	s_delay_alu instid0(SALU_CYCLE_1)
	s_and_b32 s2, s3, s2
.LBB187_2:
	s_delay_alu instid0(SALU_CYCLE_1)
	s_and_not1_b32 vcc_lo, exec_lo, s2
	s_cbranch_vccnz .LBB187_35
; %bb.3:
	s_load_b32 s30, s[0:1], 0x68
	s_lshr_b32 s28, ttmp7, 16
	s_wait_kmcnt 0x0
	s_cmp_ge_u32 s28, s30
	s_cbranch_scc1 .LBB187_35
; %bb.4:
	v_and_b32_e32 v9, 0x3ff, v0
	v_bfe_u32 v12, v0, 10, 10
	v_dual_mov_b32 v1, 0 :: v_dual_and_b32 v22, 7, v0
	s_load_b32 s29, s[0:1], 0x0
	s_lshl_b32 s2, ttmp9, 5
	s_delay_alu instid0(VALU_DEP_2)
	v_lshl_add_u32 v4, v12, 4, v9
	s_lshl_b32 s0, ttmp7, 5
	v_lshlrev_b32_e32 v8, 3, v22
	s_and_b32 s0, s0, 0x1fffe0
	s_ashr_i32 s1, s2, 31
	v_and_b32_e32 v0, 31, v4
	v_add_nc_u32_e32 v13, s0, v12
	v_lshrrev_b32_e32 v10, 3, v4
	v_cmp_neq_f64_e64 s33, s[6:7], 0
	s_mul_i32 s1, s10, s1
	v_or_b32_e32 v6, s2, v0
	v_cmp_neq_f64_e64 s31, s[20:21], 0
	v_lshrrev_b32_e32 v23, 5, v4
	v_mad_co_u64_u32 v[4:5], null, s24, v13, 0
	s_delay_alu instid0(VALU_DEP_4)
	v_mul_lo_u32 v7, s11, v6
	v_mad_co_u64_u32 v[2:3], null, s10, v6, 0
	v_add_nc_u32_e32 v14, 16, v13
	v_lshl_or_b32 v8, v10, 6, v8
	v_lshlrev_b32_e32 v0, 3, v0
	v_cmp_gt_i64_e64 s34, s[4:5], 0
	v_lshl_add_u32 v31, v12, 6, 0x800
	s_wait_alu 0xfffe
	v_add3_u32 v3, v3, s1, v7
	v_add_nc_u32_e32 v7, s0, v10
	s_wait_kmcnt 0x0
	v_cmp_gt_i32_e64 s0, s29, v6
	v_add_nc_u32_e32 v25, 0x800, v8
	v_lshl_or_b32 v24, v23, 8, v0
	v_mov_b32_e32 v0, v5
	v_cmp_gt_i32_e64 s1, s29, v7
	v_lshlrev_b32_e32 v8, 3, v7
	v_mad_co_u64_u32 v[6:7], null, s24, v14, 0
	v_lshlrev_b32_e32 v30, 3, v9
	v_lshlrev_b64_e32 v[2:3], 3, v[2:3]
	s_delay_alu instid0(VALU_DEP_4) | instskip(SKIP_4) | instid1(VALU_DEP_4)
	v_add_co_u32 v28, s3, s14, v8
	v_add_nc_u32_e32 v8, s2, v9
	v_mad_co_u64_u32 v[9:10], null, s25, v13, v[0:1]
	v_mov_b32_e32 v0, v7
	v_add_co_u32 v26, vcc_lo, s8, v2
	v_add_nc_u32_e32 v2, 16, v8
	v_add_co_ci_u32_e64 v27, null, s9, v3, vcc_lo
	s_delay_alu instid0(VALU_DEP_4)
	v_mad_co_u64_u32 v[10:11], null, s25, v14, v[0:1]
	s_wait_alu 0xf1ff
	v_add_co_ci_u32_e64 v29, null, s15, 0, s3
	v_cmp_gt_i32_e32 vcc_lo, s29, v13
	v_cmp_le_i32_e64 s2, v8, v13
	v_cmp_le_i32_e64 s3, v2, v13
	v_mov_b32_e32 v5, v9
	v_ashrrev_i32_e32 v9, 31, v8
	v_mov_b32_e32 v7, v10
	s_and_b32 s8, vcc_lo, s2
	s_and_b32 s9, vcc_lo, s3
	v_cmp_gt_i32_e32 vcc_lo, s29, v14
	v_cmp_le_i32_e64 s2, v8, v14
	v_cmp_le_i32_e64 s3, v2, v14
	v_lshlrev_b64_e32 v[4:5], 3, v[4:5]
	v_lshlrev_b64_e32 v[6:7], 3, v[6:7]
	;; [unrolled: 1-line block ×3, first 2 shown]
	v_ashrrev_i32_e32 v3, 31, v2
	s_and_b32 s10, s33, s34
	s_and_b32 s11, vcc_lo, s2
	s_and_b32 s14, vcc_lo, s3
	s_mov_b32 s29, 0
	s_branch .LBB187_6
.LBB187_5:                              ;   in Loop: Header=BB187_6 Depth=1
	s_wait_alu 0xfffe
	s_or_b32 exec_lo, exec_lo, s2
	s_add_co_i32 s28, s28, 0x10000
	s_wait_alu 0xfffe
	s_cmp_lt_u32 s28, s30
	s_cbranch_scc0 .LBB187_35
.LBB187_6:                              ; =>This Loop Header: Depth=1
                                        ;     Child Loop BB187_9 Depth 2
	v_mov_b32_e32 v16, 0
	v_dual_mov_b32 v12, 0 :: v_dual_mov_b32 v17, 0
	v_dual_mov_b32 v14, 0 :: v_dual_mov_b32 v13, 0
	;; [unrolled: 1-line block ×3, first 2 shown]
	v_mov_b32_e32 v11, 0
	s_wait_alu 0xfffe
	s_and_not1_b32 vcc_lo, exec_lo, s10
	s_wait_alu 0xfffe
	s_cbranch_vccnz .LBB187_15
; %bb.7:                                ;   in Loop: Header=BB187_6 Depth=1
	s_mul_u64 s[2:3], s[12:13], s[28:29]
	s_mul_u64 s[24:25], s[18:19], s[28:29]
	s_wait_alu 0xfffe
	s_lshl_b64 s[2:3], s[2:3], 3
	v_mov_b32_e32 v10, 0
	s_wait_alu 0xfffe
	v_add_co_u32 v32, vcc_lo, v26, s2
	s_wait_alu 0xfffd
	v_add_co_ci_u32_e64 v33, null, s3, v27, vcc_lo
	s_lshl_b64 s[2:3], s[24:25], 3
	v_mov_b32_e32 v14, 0
	s_wait_alu 0xfffe
	v_add_co_u32 v34, vcc_lo, v28, s2
	v_dual_mov_b32 v11, 0 :: v_dual_mov_b32 v12, 0
	v_dual_mov_b32 v15, 0 :: v_dual_mov_b32 v16, 0
	v_mov_b32_e32 v13, 0
	v_mov_b32_e32 v17, 0
	s_wait_alu 0xfffd
	v_add_co_ci_u32_e64 v35, null, s3, v29, vcc_lo
	s_mov_b64 s[2:3], 0
	s_branch .LBB187_9
.LBB187_8:                              ;   in Loop: Header=BB187_9 Depth=2
	s_wait_alu 0xfffe
	s_or_b32 exec_lo, exec_lo, s15
	s_wait_loadcnt 0x0
	ds_store_b64 v25, v[20:21]
	s_wait_dscnt 0x0
	s_barrier_signal -1
	s_barrier_wait -1
	global_inv scope:SCOPE_SE
	ds_load_b128 v[18:21], v31
	ds_load_2addr_b64 v[36:39], v30 offset1:16
	ds_load_b128 v[40:43], v31 offset:1024
	ds_load_b128 v[44:47], v31 offset:16
	;; [unrolled: 1-line block ×3, first 2 shown]
	s_add_nc_u64 s[2:3], s[2:3], 8
	s_wait_alu 0xfffe
	v_cmp_gt_i64_e64 s15, s[4:5], s[2:3]
	s_and_b32 vcc_lo, exec_lo, s15
	s_wait_dscnt 0x3
	v_fma_f64 v[16:17], v[36:37], v[18:19], v[16:17]
	v_fma_f64 v[14:15], v[38:39], v[18:19], v[14:15]
	s_wait_dscnt 0x2
	v_fma_f64 v[18:19], v[36:37], v[40:41], v[12:13]
	v_fma_f64 v[36:37], v[38:39], v[40:41], v[10:11]
	ds_load_2addr_b64 v[10:13], v30 offset0:32 offset1:48
	s_wait_dscnt 0x0
	v_fma_f64 v[16:17], v[10:11], v[20:21], v[16:17]
	v_fma_f64 v[14:15], v[12:13], v[20:21], v[14:15]
	v_fma_f64 v[18:19], v[10:11], v[42:43], v[18:19]
	v_fma_f64 v[20:21], v[12:13], v[42:43], v[36:37]
	ds_load_2addr_b64 v[10:13], v30 offset0:64 offset1:80
	s_wait_dscnt 0x0
	v_fma_f64 v[16:17], v[10:11], v[44:45], v[16:17]
	v_fma_f64 v[14:15], v[12:13], v[44:45], v[14:15]
	;; [unrolled: 6-line block ×3, first 2 shown]
	v_fma_f64 v[48:49], v[10:11], v[50:51], v[18:19]
	v_fma_f64 v[50:51], v[12:13], v[50:51], v[20:21]
	ds_load_b128 v[10:13], v31 offset:32
	ds_load_2addr_b64 v[14:17], v30 offset0:128 offset1:144
	ds_load_b128 v[18:21], v31 offset:1056
	ds_load_b128 v[36:39], v31 offset:48
	;; [unrolled: 1-line block ×3, first 2 shown]
	s_wait_dscnt 0x3
	v_fma_f64 v[44:45], v[14:15], v[10:11], v[44:45]
	v_fma_f64 v[10:11], v[16:17], v[10:11], v[46:47]
	s_wait_dscnt 0x2
	v_fma_f64 v[46:47], v[14:15], v[18:19], v[48:49]
	v_fma_f64 v[18:19], v[16:17], v[18:19], v[50:51]
	ds_load_2addr_b64 v[14:17], v30 offset0:160 offset1:176
	s_wait_dscnt 0x0
	v_fma_f64 v[44:45], v[14:15], v[12:13], v[44:45]
	v_fma_f64 v[48:49], v[16:17], v[12:13], v[10:11]
	;; [unrolled: 1-line block ×4, first 2 shown]
	ds_load_2addr_b64 v[10:13], v30 offset0:192 offset1:208
	ds_load_2addr_b64 v[18:21], v30 offset0:224 offset1:240
	s_wait_loadcnt_dscnt 0x0
	s_barrier_signal -1
	s_barrier_wait -1
	global_inv scope:SCOPE_SE
	v_fma_f64 v[44:45], v[10:11], v[36:37], v[44:45]
	v_fma_f64 v[36:37], v[12:13], v[36:37], v[48:49]
	;; [unrolled: 1-line block ×4, first 2 shown]
	s_delay_alu instid0(VALU_DEP_4) | instskip(NEXT) | instid1(VALU_DEP_4)
	v_fma_f64 v[16:17], v[18:19], v[38:39], v[44:45]
	v_fma_f64 v[14:15], v[20:21], v[38:39], v[36:37]
	s_delay_alu instid0(VALU_DEP_4) | instskip(NEXT) | instid1(VALU_DEP_4)
	v_fma_f64 v[12:13], v[18:19], v[42:43], v[10:11]
	v_fma_f64 v[10:11], v[20:21], v[42:43], v[40:41]
	s_wait_alu 0xfffe
	s_cbranch_vccz .LBB187_15
.LBB187_9:                              ;   Parent Loop BB187_6 Depth=1
                                        ; =>  This Inner Loop Header: Depth=2
	v_mov_b32_e32 v18, 0
	v_mov_b32_e32 v19, 0
	s_and_saveexec_b32 s15, s0
	s_cbranch_execz .LBB187_13
; %bb.10:                               ;   in Loop: Header=BB187_9 Depth=2
	v_mov_b32_e32 v18, 0
	s_wait_alu 0xfffe
	v_dual_mov_b32 v19, 0 :: v_dual_add_nc_u32 v0, s2, v23
	s_mov_b32 s24, exec_lo
	s_delay_alu instid0(VALU_DEP_1)
	v_cmpx_gt_u64_e64 s[4:5], v[0:1]
	s_cbranch_execz .LBB187_12
; %bb.11:                               ;   in Loop: Header=BB187_9 Depth=2
	v_lshlrev_b64_e32 v[18:19], 3, v[0:1]
	s_delay_alu instid0(VALU_DEP_1) | instskip(SKIP_1) | instid1(VALU_DEP_2)
	v_add_co_u32 v18, vcc_lo, v32, v18
	s_wait_alu 0xfffd
	v_add_co_ci_u32_e64 v19, null, v33, v19, vcc_lo
	global_load_b64 v[18:19], v[18:19], off
.LBB187_12:                             ;   in Loop: Header=BB187_9 Depth=2
	s_wait_alu 0xfffe
	s_or_b32 exec_lo, exec_lo, s24
.LBB187_13:                             ;   in Loop: Header=BB187_9 Depth=2
	s_wait_alu 0xfffe
	s_or_b32 exec_lo, exec_lo, s15
	v_add_nc_u32_e32 v0, s2, v22
	v_mov_b32_e32 v20, 0
	v_mov_b32_e32 v21, 0
	s_wait_loadcnt 0x0
	ds_store_b64 v24, v[18:19]
	v_cmp_gt_u64_e32 vcc_lo, s[4:5], v[0:1]
	s_and_b32 s24, vcc_lo, s1
	s_wait_alu 0xfffe
	s_and_saveexec_b32 s15, s24
	s_cbranch_execz .LBB187_8
; %bb.14:                               ;   in Loop: Header=BB187_9 Depth=2
	v_mad_co_u64_u32 v[18:19], null, s16, v0, 0
	s_delay_alu instid0(VALU_DEP_1) | instskip(NEXT) | instid1(VALU_DEP_1)
	v_mad_co_u64_u32 v[19:20], null, s17, v0, v[19:20]
	v_lshlrev_b64_e32 v[18:19], 3, v[18:19]
	s_delay_alu instid0(VALU_DEP_1) | instskip(SKIP_1) | instid1(VALU_DEP_2)
	v_add_co_u32 v18, vcc_lo, v34, v18
	s_wait_alu 0xfffd
	v_add_co_ci_u32_e64 v19, null, v35, v19, vcc_lo
	global_load_b64 v[20:21], v[18:19], off
	s_branch .LBB187_8
.LBB187_15:                             ;   in Loop: Header=BB187_6 Depth=1
	s_mul_u64 s[2:3], s[26:27], s[28:29]
	s_wait_alu 0xfffe
	s_lshl_b64 s[2:3], s[2:3], 3
	s_wait_alu 0xfffe
	s_add_nc_u64 s[2:3], s[22:23], s[2:3]
	s_wait_alu 0xfffe
	v_add_co_u32 v0, vcc_lo, s2, v4
	s_wait_alu 0xfffd
	v_add_co_ci_u32_e64 v18, null, s3, v5, vcc_lo
	s_and_saveexec_b32 s15, s8
	s_cbranch_execz .LBB187_19
; %bb.16:                               ;   in Loop: Header=BB187_6 Depth=1
	v_mul_f64_e32 v[16:17], s[6:7], v[16:17]
	s_and_b32 vcc_lo, exec_lo, s31
	s_wait_alu 0xfffe
	s_cbranch_vccz .LBB187_30
; %bb.17:                               ;   in Loop: Header=BB187_6 Depth=1
	v_add_co_u32 v19, vcc_lo, v0, v8
	s_wait_alu 0xfffd
	v_add_co_ci_u32_e64 v20, null, v18, v9, vcc_lo
	global_load_b64 v[32:33], v[19:20], off
	s_wait_loadcnt 0x0
	v_fma_f64 v[32:33], s[20:21], v[32:33], v[16:17]
	global_store_b64 v[19:20], v[32:33], off
	s_cbranch_execnz .LBB187_19
.LBB187_18:                             ;   in Loop: Header=BB187_6 Depth=1
	v_add_co_u32 v19, vcc_lo, v0, v8
	s_wait_alu 0xfffd
	v_add_co_ci_u32_e64 v20, null, v18, v9, vcc_lo
	global_store_b64 v[19:20], v[16:17], off
.LBB187_19:                             ;   in Loop: Header=BB187_6 Depth=1
	s_wait_alu 0xfffe
	s_or_b32 exec_lo, exec_lo, s15
	s_and_saveexec_b32 s15, s9
	s_cbranch_execz .LBB187_23
; %bb.20:                               ;   in Loop: Header=BB187_6 Depth=1
	v_mul_f64_e32 v[14:15], s[6:7], v[14:15]
	s_and_not1_b32 vcc_lo, exec_lo, s31
	s_wait_alu 0xfffe
	s_cbranch_vccnz .LBB187_31
; %bb.21:                               ;   in Loop: Header=BB187_6 Depth=1
	v_lshlrev_b64_e32 v[16:17], 3, v[2:3]
	s_delay_alu instid0(VALU_DEP_1) | instskip(SKIP_1) | instid1(VALU_DEP_2)
	v_add_co_u32 v16, vcc_lo, v0, v16
	s_wait_alu 0xfffd
	v_add_co_ci_u32_e64 v17, null, v18, v17, vcc_lo
	global_load_b64 v[19:20], v[16:17], off
	s_wait_loadcnt 0x0
	v_fma_f64 v[19:20], s[20:21], v[19:20], v[14:15]
	global_store_b64 v[16:17], v[19:20], off
	s_cbranch_execnz .LBB187_23
.LBB187_22:                             ;   in Loop: Header=BB187_6 Depth=1
	v_lshlrev_b64_e32 v[16:17], 3, v[2:3]
	s_delay_alu instid0(VALU_DEP_1) | instskip(SKIP_1) | instid1(VALU_DEP_2)
	v_add_co_u32 v16, vcc_lo, v0, v16
	s_wait_alu 0xfffd
	v_add_co_ci_u32_e64 v17, null, v18, v17, vcc_lo
	global_store_b64 v[16:17], v[14:15], off
.LBB187_23:                             ;   in Loop: Header=BB187_6 Depth=1
	s_wait_alu 0xfffe
	s_or_b32 exec_lo, exec_lo, s15
	v_add_co_u32 v0, vcc_lo, s2, v6
	s_wait_alu 0xfffd
	v_add_co_ci_u32_e64 v14, null, s3, v7, vcc_lo
	s_and_saveexec_b32 s2, s11
	s_cbranch_execz .LBB187_27
; %bb.24:                               ;   in Loop: Header=BB187_6 Depth=1
	v_mul_f64_e32 v[12:13], s[6:7], v[12:13]
	s_and_not1_b32 vcc_lo, exec_lo, s31
	s_wait_alu 0xfffe
	s_cbranch_vccnz .LBB187_32
; %bb.25:                               ;   in Loop: Header=BB187_6 Depth=1
	v_add_co_u32 v15, vcc_lo, v0, v8
	s_wait_alu 0xfffd
	v_add_co_ci_u32_e64 v16, null, v14, v9, vcc_lo
	global_load_b64 v[17:18], v[15:16], off
	s_wait_loadcnt 0x0
	v_fma_f64 v[17:18], s[20:21], v[17:18], v[12:13]
	global_store_b64 v[15:16], v[17:18], off
	s_cbranch_execnz .LBB187_27
.LBB187_26:                             ;   in Loop: Header=BB187_6 Depth=1
	v_add_co_u32 v15, vcc_lo, v0, v8
	s_wait_alu 0xfffd
	v_add_co_ci_u32_e64 v16, null, v14, v9, vcc_lo
	global_store_b64 v[15:16], v[12:13], off
.LBB187_27:                             ;   in Loop: Header=BB187_6 Depth=1
	s_wait_alu 0xfffe
	s_or_b32 exec_lo, exec_lo, s2
	s_and_saveexec_b32 s2, s14
	s_cbranch_execz .LBB187_5
; %bb.28:                               ;   in Loop: Header=BB187_6 Depth=1
	v_mul_f64_e32 v[10:11], s[6:7], v[10:11]
	v_lshlrev_b64_e32 v[12:13], 3, v[2:3]
	s_and_not1_b32 vcc_lo, exec_lo, s31
	s_wait_alu 0xfffe
	s_cbranch_vccnz .LBB187_33
; %bb.29:                               ;   in Loop: Header=BB187_6 Depth=1
	s_delay_alu instid0(VALU_DEP_1)
	v_add_co_u32 v15, vcc_lo, v0, v12
	s_wait_alu 0xfffd
	v_add_co_ci_u32_e64 v16, null, v14, v13, vcc_lo
	global_load_b64 v[17:18], v[15:16], off
	s_wait_loadcnt 0x0
	v_fma_f64 v[17:18], s[20:21], v[17:18], v[10:11]
	global_store_b64 v[15:16], v[17:18], off
	s_cbranch_execnz .LBB187_5
	s_branch .LBB187_34
.LBB187_30:                             ;   in Loop: Header=BB187_6 Depth=1
	s_branch .LBB187_18
.LBB187_31:                             ;   in Loop: Header=BB187_6 Depth=1
	s_branch .LBB187_22
.LBB187_32:                             ;   in Loop: Header=BB187_6 Depth=1
	s_branch .LBB187_26
.LBB187_33:                             ;   in Loop: Header=BB187_6 Depth=1
.LBB187_34:                             ;   in Loop: Header=BB187_6 Depth=1
	s_delay_alu instid0(VALU_DEP_1)
	v_add_co_u32 v12, vcc_lo, v0, v12
	s_wait_alu 0xfffd
	v_add_co_ci_u32_e64 v13, null, v14, v13, vcc_lo
	global_store_b64 v[12:13], v[10:11], off
	s_branch .LBB187_5
.LBB187_35:
	s_endpgm
	.section	.rodata,"a",@progbits
	.p2align	6, 0x0
	.amdhsa_kernel _ZL29rocblas_internal_gemmt_kernelIlLi16ELi32ELi8ELc67ELc84ELc85ELb0ELb0EdPKdS1_PdEviT_T9_T10_S3_lS5_S3_lS4_T11_S3_li
		.amdhsa_group_segment_fixed_size 4096
		.amdhsa_private_segment_fixed_size 0
		.amdhsa_kernarg_size 108
		.amdhsa_user_sgpr_count 2
		.amdhsa_user_sgpr_dispatch_ptr 0
		.amdhsa_user_sgpr_queue_ptr 0
		.amdhsa_user_sgpr_kernarg_segment_ptr 1
		.amdhsa_user_sgpr_dispatch_id 0
		.amdhsa_user_sgpr_private_segment_size 0
		.amdhsa_wavefront_size32 1
		.amdhsa_uses_dynamic_stack 0
		.amdhsa_enable_private_segment 0
		.amdhsa_system_sgpr_workgroup_id_x 1
		.amdhsa_system_sgpr_workgroup_id_y 1
		.amdhsa_system_sgpr_workgroup_id_z 1
		.amdhsa_system_sgpr_workgroup_info 0
		.amdhsa_system_vgpr_workitem_id 1
		.amdhsa_next_free_vgpr 52
		.amdhsa_next_free_sgpr 35
		.amdhsa_reserve_vcc 1
		.amdhsa_float_round_mode_32 0
		.amdhsa_float_round_mode_16_64 0
		.amdhsa_float_denorm_mode_32 3
		.amdhsa_float_denorm_mode_16_64 3
		.amdhsa_fp16_overflow 0
		.amdhsa_workgroup_processor_mode 1
		.amdhsa_memory_ordered 1
		.amdhsa_forward_progress 1
		.amdhsa_inst_pref_size 17
		.amdhsa_round_robin_scheduling 0
		.amdhsa_exception_fp_ieee_invalid_op 0
		.amdhsa_exception_fp_denorm_src 0
		.amdhsa_exception_fp_ieee_div_zero 0
		.amdhsa_exception_fp_ieee_overflow 0
		.amdhsa_exception_fp_ieee_underflow 0
		.amdhsa_exception_fp_ieee_inexact 0
		.amdhsa_exception_int_div_zero 0
	.end_amdhsa_kernel
	.section	.text._ZL29rocblas_internal_gemmt_kernelIlLi16ELi32ELi8ELc67ELc84ELc85ELb0ELb0EdPKdS1_PdEviT_T9_T10_S3_lS5_S3_lS4_T11_S3_li,"axG",@progbits,_ZL29rocblas_internal_gemmt_kernelIlLi16ELi32ELi8ELc67ELc84ELc85ELb0ELb0EdPKdS1_PdEviT_T9_T10_S3_lS5_S3_lS4_T11_S3_li,comdat
.Lfunc_end187:
	.size	_ZL29rocblas_internal_gemmt_kernelIlLi16ELi32ELi8ELc67ELc84ELc85ELb0ELb0EdPKdS1_PdEviT_T9_T10_S3_lS5_S3_lS4_T11_S3_li, .Lfunc_end187-_ZL29rocblas_internal_gemmt_kernelIlLi16ELi32ELi8ELc67ELc84ELc85ELb0ELb0EdPKdS1_PdEviT_T9_T10_S3_lS5_S3_lS4_T11_S3_li
                                        ; -- End function
	.set _ZL29rocblas_internal_gemmt_kernelIlLi16ELi32ELi8ELc67ELc84ELc85ELb0ELb0EdPKdS1_PdEviT_T9_T10_S3_lS5_S3_lS4_T11_S3_li.num_vgpr, 52
	.set _ZL29rocblas_internal_gemmt_kernelIlLi16ELi32ELi8ELc67ELc84ELc85ELb0ELb0EdPKdS1_PdEviT_T9_T10_S3_lS5_S3_lS4_T11_S3_li.num_agpr, 0
	.set _ZL29rocblas_internal_gemmt_kernelIlLi16ELi32ELi8ELc67ELc84ELc85ELb0ELb0EdPKdS1_PdEviT_T9_T10_S3_lS5_S3_lS4_T11_S3_li.numbered_sgpr, 35
	.set _ZL29rocblas_internal_gemmt_kernelIlLi16ELi32ELi8ELc67ELc84ELc85ELb0ELb0EdPKdS1_PdEviT_T9_T10_S3_lS5_S3_lS4_T11_S3_li.num_named_barrier, 0
	.set _ZL29rocblas_internal_gemmt_kernelIlLi16ELi32ELi8ELc67ELc84ELc85ELb0ELb0EdPKdS1_PdEviT_T9_T10_S3_lS5_S3_lS4_T11_S3_li.private_seg_size, 0
	.set _ZL29rocblas_internal_gemmt_kernelIlLi16ELi32ELi8ELc67ELc84ELc85ELb0ELb0EdPKdS1_PdEviT_T9_T10_S3_lS5_S3_lS4_T11_S3_li.uses_vcc, 1
	.set _ZL29rocblas_internal_gemmt_kernelIlLi16ELi32ELi8ELc67ELc84ELc85ELb0ELb0EdPKdS1_PdEviT_T9_T10_S3_lS5_S3_lS4_T11_S3_li.uses_flat_scratch, 0
	.set _ZL29rocblas_internal_gemmt_kernelIlLi16ELi32ELi8ELc67ELc84ELc85ELb0ELb0EdPKdS1_PdEviT_T9_T10_S3_lS5_S3_lS4_T11_S3_li.has_dyn_sized_stack, 0
	.set _ZL29rocblas_internal_gemmt_kernelIlLi16ELi32ELi8ELc67ELc84ELc85ELb0ELb0EdPKdS1_PdEviT_T9_T10_S3_lS5_S3_lS4_T11_S3_li.has_recursion, 0
	.set _ZL29rocblas_internal_gemmt_kernelIlLi16ELi32ELi8ELc67ELc84ELc85ELb0ELb0EdPKdS1_PdEviT_T9_T10_S3_lS5_S3_lS4_T11_S3_li.has_indirect_call, 0
	.section	.AMDGPU.csdata,"",@progbits
; Kernel info:
; codeLenInByte = 2060
; TotalNumSgprs: 37
; NumVgprs: 52
; ScratchSize: 0
; MemoryBound: 0
; FloatMode: 240
; IeeeMode: 1
; LDSByteSize: 4096 bytes/workgroup (compile time only)
; SGPRBlocks: 0
; VGPRBlocks: 6
; NumSGPRsForWavesPerEU: 37
; NumVGPRsForWavesPerEU: 52
; Occupancy: 16
; WaveLimiterHint : 0
; COMPUTE_PGM_RSRC2:SCRATCH_EN: 0
; COMPUTE_PGM_RSRC2:USER_SGPR: 2
; COMPUTE_PGM_RSRC2:TRAP_HANDLER: 0
; COMPUTE_PGM_RSRC2:TGID_X_EN: 1
; COMPUTE_PGM_RSRC2:TGID_Y_EN: 1
; COMPUTE_PGM_RSRC2:TGID_Z_EN: 1
; COMPUTE_PGM_RSRC2:TIDIG_COMP_CNT: 1
	.section	.text._ZL29rocblas_internal_gemmt_kernelIlLi16ELi32ELi8ELc67ELc67ELc85ELb0ELb0EdPKdS1_PdEviT_T9_T10_S3_lS5_S3_lS4_T11_S3_li,"axG",@progbits,_ZL29rocblas_internal_gemmt_kernelIlLi16ELi32ELi8ELc67ELc67ELc85ELb0ELb0EdPKdS1_PdEviT_T9_T10_S3_lS5_S3_lS4_T11_S3_li,comdat
	.globl	_ZL29rocblas_internal_gemmt_kernelIlLi16ELi32ELi8ELc67ELc67ELc85ELb0ELb0EdPKdS1_PdEviT_T9_T10_S3_lS5_S3_lS4_T11_S3_li ; -- Begin function _ZL29rocblas_internal_gemmt_kernelIlLi16ELi32ELi8ELc67ELc67ELc85ELb0ELb0EdPKdS1_PdEviT_T9_T10_S3_lS5_S3_lS4_T11_S3_li
	.p2align	8
	.type	_ZL29rocblas_internal_gemmt_kernelIlLi16ELi32ELi8ELc67ELc67ELc85ELb0ELb0EdPKdS1_PdEviT_T9_T10_S3_lS5_S3_lS4_T11_S3_li,@function
_ZL29rocblas_internal_gemmt_kernelIlLi16ELi32ELi8ELc67ELc67ELc85ELb0ELb0EdPKdS1_PdEviT_T9_T10_S3_lS5_S3_lS4_T11_S3_li: ; @_ZL29rocblas_internal_gemmt_kernelIlLi16ELi32ELi8ELc67ELc67ELc85ELb0ELb0EdPKdS1_PdEviT_T9_T10_S3_lS5_S3_lS4_T11_S3_li
; %bb.0:
	s_clause 0x1
	s_load_b256 s[20:27], s[0:1], 0x48
	s_load_b512 s[4:19], s[0:1], 0x8
	s_wait_kmcnt 0x0
	s_load_b64 s[20:21], s[20:21], 0x0
	s_load_b64 s[6:7], s[6:7], 0x0
	s_wait_kmcnt 0x0
	v_cmp_neq_f64_e64 s2, s[20:21], 1.0
	s_and_b32 vcc_lo, exec_lo, s2
	s_cbranch_vccnz .LBB188_2
; %bb.1:
	v_cmp_neq_f64_e64 s2, s[6:7], 0
	s_cmp_lg_u64 s[4:5], 0
	s_cselect_b32 s3, -1, 0
	s_delay_alu instid0(SALU_CYCLE_1)
	s_and_b32 s2, s3, s2
.LBB188_2:
	s_delay_alu instid0(SALU_CYCLE_1)
	s_and_not1_b32 vcc_lo, exec_lo, s2
	s_cbranch_vccnz .LBB188_35
; %bb.3:
	s_load_b32 s30, s[0:1], 0x68
	s_lshr_b32 s28, ttmp7, 16
	s_wait_kmcnt 0x0
	s_cmp_ge_u32 s28, s30
	s_cbranch_scc1 .LBB188_35
; %bb.4:
	v_and_b32_e32 v9, 0x3ff, v0
	v_bfe_u32 v12, v0, 10, 10
	v_dual_mov_b32 v1, 0 :: v_dual_and_b32 v22, 7, v0
	s_load_b32 s29, s[0:1], 0x0
	s_lshl_b32 s2, ttmp9, 5
	s_delay_alu instid0(VALU_DEP_2)
	v_lshl_add_u32 v4, v12, 4, v9
	s_lshl_b32 s0, ttmp7, 5
	v_lshlrev_b32_e32 v8, 3, v22
	s_and_b32 s0, s0, 0x1fffe0
	s_ashr_i32 s1, s2, 31
	v_and_b32_e32 v0, 31, v4
	v_add_nc_u32_e32 v13, s0, v12
	v_lshrrev_b32_e32 v10, 3, v4
	v_cmp_neq_f64_e64 s33, s[6:7], 0
	s_mul_i32 s1, s10, s1
	v_or_b32_e32 v6, s2, v0
	v_cmp_neq_f64_e64 s31, s[20:21], 0
	v_lshrrev_b32_e32 v23, 5, v4
	v_mad_co_u64_u32 v[4:5], null, s24, v13, 0
	s_delay_alu instid0(VALU_DEP_4)
	v_mul_lo_u32 v7, s11, v6
	v_mad_co_u64_u32 v[2:3], null, s10, v6, 0
	v_add_nc_u32_e32 v14, 16, v13
	v_lshl_or_b32 v8, v10, 6, v8
	v_lshlrev_b32_e32 v0, 3, v0
	v_cmp_gt_i64_e64 s34, s[4:5], 0
	v_lshl_add_u32 v31, v12, 6, 0x800
	s_wait_alu 0xfffe
	v_add3_u32 v3, v3, s1, v7
	v_add_nc_u32_e32 v7, s0, v10
	s_wait_kmcnt 0x0
	v_cmp_gt_i32_e64 s0, s29, v6
	v_add_nc_u32_e32 v25, 0x800, v8
	v_lshl_or_b32 v24, v23, 8, v0
	v_mov_b32_e32 v0, v5
	v_cmp_gt_i32_e64 s1, s29, v7
	v_lshlrev_b32_e32 v8, 3, v7
	v_mad_co_u64_u32 v[6:7], null, s24, v14, 0
	v_lshlrev_b32_e32 v30, 3, v9
	v_lshlrev_b64_e32 v[2:3], 3, v[2:3]
	s_delay_alu instid0(VALU_DEP_4) | instskip(SKIP_4) | instid1(VALU_DEP_4)
	v_add_co_u32 v28, s3, s14, v8
	v_add_nc_u32_e32 v8, s2, v9
	v_mad_co_u64_u32 v[9:10], null, s25, v13, v[0:1]
	v_mov_b32_e32 v0, v7
	v_add_co_u32 v26, vcc_lo, s8, v2
	v_add_nc_u32_e32 v2, 16, v8
	v_add_co_ci_u32_e64 v27, null, s9, v3, vcc_lo
	s_delay_alu instid0(VALU_DEP_4)
	v_mad_co_u64_u32 v[10:11], null, s25, v14, v[0:1]
	s_wait_alu 0xf1ff
	v_add_co_ci_u32_e64 v29, null, s15, 0, s3
	v_cmp_gt_i32_e32 vcc_lo, s29, v13
	v_cmp_le_i32_e64 s2, v8, v13
	v_cmp_le_i32_e64 s3, v2, v13
	v_mov_b32_e32 v5, v9
	v_ashrrev_i32_e32 v9, 31, v8
	v_mov_b32_e32 v7, v10
	s_and_b32 s8, vcc_lo, s2
	s_and_b32 s9, vcc_lo, s3
	v_cmp_gt_i32_e32 vcc_lo, s29, v14
	v_cmp_le_i32_e64 s2, v8, v14
	v_cmp_le_i32_e64 s3, v2, v14
	v_lshlrev_b64_e32 v[4:5], 3, v[4:5]
	v_lshlrev_b64_e32 v[6:7], 3, v[6:7]
	;; [unrolled: 1-line block ×3, first 2 shown]
	v_ashrrev_i32_e32 v3, 31, v2
	s_and_b32 s10, s33, s34
	s_and_b32 s11, vcc_lo, s2
	s_and_b32 s14, vcc_lo, s3
	s_mov_b32 s29, 0
	s_branch .LBB188_6
.LBB188_5:                              ;   in Loop: Header=BB188_6 Depth=1
	s_wait_alu 0xfffe
	s_or_b32 exec_lo, exec_lo, s2
	s_add_co_i32 s28, s28, 0x10000
	s_wait_alu 0xfffe
	s_cmp_lt_u32 s28, s30
	s_cbranch_scc0 .LBB188_35
.LBB188_6:                              ; =>This Loop Header: Depth=1
                                        ;     Child Loop BB188_9 Depth 2
	v_mov_b32_e32 v16, 0
	v_dual_mov_b32 v12, 0 :: v_dual_mov_b32 v17, 0
	v_dual_mov_b32 v14, 0 :: v_dual_mov_b32 v13, 0
	;; [unrolled: 1-line block ×3, first 2 shown]
	v_mov_b32_e32 v11, 0
	s_wait_alu 0xfffe
	s_and_not1_b32 vcc_lo, exec_lo, s10
	s_wait_alu 0xfffe
	s_cbranch_vccnz .LBB188_15
; %bb.7:                                ;   in Loop: Header=BB188_6 Depth=1
	s_mul_u64 s[2:3], s[12:13], s[28:29]
	s_mul_u64 s[24:25], s[18:19], s[28:29]
	s_wait_alu 0xfffe
	s_lshl_b64 s[2:3], s[2:3], 3
	v_mov_b32_e32 v10, 0
	s_wait_alu 0xfffe
	v_add_co_u32 v32, vcc_lo, v26, s2
	s_wait_alu 0xfffd
	v_add_co_ci_u32_e64 v33, null, s3, v27, vcc_lo
	s_lshl_b64 s[2:3], s[24:25], 3
	v_mov_b32_e32 v14, 0
	s_wait_alu 0xfffe
	v_add_co_u32 v34, vcc_lo, v28, s2
	v_dual_mov_b32 v11, 0 :: v_dual_mov_b32 v12, 0
	v_dual_mov_b32 v15, 0 :: v_dual_mov_b32 v16, 0
	v_mov_b32_e32 v13, 0
	v_mov_b32_e32 v17, 0
	s_wait_alu 0xfffd
	v_add_co_ci_u32_e64 v35, null, s3, v29, vcc_lo
	s_mov_b64 s[2:3], 0
	s_branch .LBB188_9
.LBB188_8:                              ;   in Loop: Header=BB188_9 Depth=2
	s_wait_alu 0xfffe
	s_or_b32 exec_lo, exec_lo, s15
	s_wait_loadcnt 0x0
	ds_store_b64 v25, v[20:21]
	s_wait_dscnt 0x0
	s_barrier_signal -1
	s_barrier_wait -1
	global_inv scope:SCOPE_SE
	ds_load_b128 v[18:21], v31
	ds_load_2addr_b64 v[36:39], v30 offset1:16
	ds_load_b128 v[40:43], v31 offset:1024
	ds_load_b128 v[44:47], v31 offset:16
	;; [unrolled: 1-line block ×3, first 2 shown]
	s_add_nc_u64 s[2:3], s[2:3], 8
	s_wait_alu 0xfffe
	v_cmp_gt_i64_e64 s15, s[4:5], s[2:3]
	s_and_b32 vcc_lo, exec_lo, s15
	s_wait_dscnt 0x3
	v_fma_f64 v[16:17], v[36:37], v[18:19], v[16:17]
	v_fma_f64 v[14:15], v[38:39], v[18:19], v[14:15]
	s_wait_dscnt 0x2
	v_fma_f64 v[18:19], v[36:37], v[40:41], v[12:13]
	v_fma_f64 v[36:37], v[38:39], v[40:41], v[10:11]
	ds_load_2addr_b64 v[10:13], v30 offset0:32 offset1:48
	s_wait_dscnt 0x0
	v_fma_f64 v[16:17], v[10:11], v[20:21], v[16:17]
	v_fma_f64 v[14:15], v[12:13], v[20:21], v[14:15]
	v_fma_f64 v[18:19], v[10:11], v[42:43], v[18:19]
	v_fma_f64 v[20:21], v[12:13], v[42:43], v[36:37]
	ds_load_2addr_b64 v[10:13], v30 offset0:64 offset1:80
	s_wait_dscnt 0x0
	v_fma_f64 v[16:17], v[10:11], v[44:45], v[16:17]
	v_fma_f64 v[14:15], v[12:13], v[44:45], v[14:15]
	v_fma_f64 v[18:19], v[10:11], v[48:49], v[18:19]
	v_fma_f64 v[20:21], v[12:13], v[48:49], v[20:21]
	ds_load_2addr_b64 v[10:13], v30 offset0:96 offset1:112
	s_wait_dscnt 0x0
	v_fma_f64 v[44:45], v[10:11], v[46:47], v[16:17]
	v_fma_f64 v[46:47], v[12:13], v[46:47], v[14:15]
	v_fma_f64 v[48:49], v[10:11], v[50:51], v[18:19]
	v_fma_f64 v[50:51], v[12:13], v[50:51], v[20:21]
	ds_load_b128 v[10:13], v31 offset:32
	ds_load_2addr_b64 v[14:17], v30 offset0:128 offset1:144
	ds_load_b128 v[18:21], v31 offset:1056
	ds_load_b128 v[36:39], v31 offset:48
	;; [unrolled: 1-line block ×3, first 2 shown]
	s_wait_dscnt 0x3
	v_fma_f64 v[44:45], v[14:15], v[10:11], v[44:45]
	v_fma_f64 v[10:11], v[16:17], v[10:11], v[46:47]
	s_wait_dscnt 0x2
	v_fma_f64 v[46:47], v[14:15], v[18:19], v[48:49]
	v_fma_f64 v[18:19], v[16:17], v[18:19], v[50:51]
	ds_load_2addr_b64 v[14:17], v30 offset0:160 offset1:176
	s_wait_dscnt 0x0
	v_fma_f64 v[44:45], v[14:15], v[12:13], v[44:45]
	v_fma_f64 v[48:49], v[16:17], v[12:13], v[10:11]
	;; [unrolled: 1-line block ×4, first 2 shown]
	ds_load_2addr_b64 v[10:13], v30 offset0:192 offset1:208
	ds_load_2addr_b64 v[18:21], v30 offset0:224 offset1:240
	s_wait_loadcnt_dscnt 0x0
	s_barrier_signal -1
	s_barrier_wait -1
	global_inv scope:SCOPE_SE
	v_fma_f64 v[44:45], v[10:11], v[36:37], v[44:45]
	v_fma_f64 v[36:37], v[12:13], v[36:37], v[48:49]
	;; [unrolled: 1-line block ×4, first 2 shown]
	s_delay_alu instid0(VALU_DEP_4) | instskip(NEXT) | instid1(VALU_DEP_4)
	v_fma_f64 v[16:17], v[18:19], v[38:39], v[44:45]
	v_fma_f64 v[14:15], v[20:21], v[38:39], v[36:37]
	s_delay_alu instid0(VALU_DEP_4) | instskip(NEXT) | instid1(VALU_DEP_4)
	v_fma_f64 v[12:13], v[18:19], v[42:43], v[10:11]
	v_fma_f64 v[10:11], v[20:21], v[42:43], v[40:41]
	s_wait_alu 0xfffe
	s_cbranch_vccz .LBB188_15
.LBB188_9:                              ;   Parent Loop BB188_6 Depth=1
                                        ; =>  This Inner Loop Header: Depth=2
	v_mov_b32_e32 v18, 0
	v_mov_b32_e32 v19, 0
	s_and_saveexec_b32 s15, s0
	s_cbranch_execz .LBB188_13
; %bb.10:                               ;   in Loop: Header=BB188_9 Depth=2
	v_mov_b32_e32 v18, 0
	s_wait_alu 0xfffe
	v_dual_mov_b32 v19, 0 :: v_dual_add_nc_u32 v0, s2, v23
	s_mov_b32 s24, exec_lo
	s_delay_alu instid0(VALU_DEP_1)
	v_cmpx_gt_u64_e64 s[4:5], v[0:1]
	s_cbranch_execz .LBB188_12
; %bb.11:                               ;   in Loop: Header=BB188_9 Depth=2
	v_lshlrev_b64_e32 v[18:19], 3, v[0:1]
	s_delay_alu instid0(VALU_DEP_1) | instskip(SKIP_1) | instid1(VALU_DEP_2)
	v_add_co_u32 v18, vcc_lo, v32, v18
	s_wait_alu 0xfffd
	v_add_co_ci_u32_e64 v19, null, v33, v19, vcc_lo
	global_load_b64 v[18:19], v[18:19], off
.LBB188_12:                             ;   in Loop: Header=BB188_9 Depth=2
	s_wait_alu 0xfffe
	s_or_b32 exec_lo, exec_lo, s24
.LBB188_13:                             ;   in Loop: Header=BB188_9 Depth=2
	s_wait_alu 0xfffe
	s_or_b32 exec_lo, exec_lo, s15
	v_add_nc_u32_e32 v0, s2, v22
	v_mov_b32_e32 v20, 0
	v_mov_b32_e32 v21, 0
	s_wait_loadcnt 0x0
	ds_store_b64 v24, v[18:19]
	v_cmp_gt_u64_e32 vcc_lo, s[4:5], v[0:1]
	s_and_b32 s24, vcc_lo, s1
	s_wait_alu 0xfffe
	s_and_saveexec_b32 s15, s24
	s_cbranch_execz .LBB188_8
; %bb.14:                               ;   in Loop: Header=BB188_9 Depth=2
	v_mad_co_u64_u32 v[18:19], null, s16, v0, 0
	s_delay_alu instid0(VALU_DEP_1) | instskip(NEXT) | instid1(VALU_DEP_1)
	v_mad_co_u64_u32 v[19:20], null, s17, v0, v[19:20]
	v_lshlrev_b64_e32 v[18:19], 3, v[18:19]
	s_delay_alu instid0(VALU_DEP_1) | instskip(SKIP_1) | instid1(VALU_DEP_2)
	v_add_co_u32 v18, vcc_lo, v34, v18
	s_wait_alu 0xfffd
	v_add_co_ci_u32_e64 v19, null, v35, v19, vcc_lo
	global_load_b64 v[20:21], v[18:19], off
	s_branch .LBB188_8
.LBB188_15:                             ;   in Loop: Header=BB188_6 Depth=1
	s_mul_u64 s[2:3], s[26:27], s[28:29]
	s_wait_alu 0xfffe
	s_lshl_b64 s[2:3], s[2:3], 3
	s_wait_alu 0xfffe
	s_add_nc_u64 s[2:3], s[22:23], s[2:3]
	s_wait_alu 0xfffe
	v_add_co_u32 v0, vcc_lo, s2, v4
	s_wait_alu 0xfffd
	v_add_co_ci_u32_e64 v18, null, s3, v5, vcc_lo
	s_and_saveexec_b32 s15, s8
	s_cbranch_execz .LBB188_19
; %bb.16:                               ;   in Loop: Header=BB188_6 Depth=1
	v_mul_f64_e32 v[16:17], s[6:7], v[16:17]
	s_and_b32 vcc_lo, exec_lo, s31
	s_wait_alu 0xfffe
	s_cbranch_vccz .LBB188_30
; %bb.17:                               ;   in Loop: Header=BB188_6 Depth=1
	v_add_co_u32 v19, vcc_lo, v0, v8
	s_wait_alu 0xfffd
	v_add_co_ci_u32_e64 v20, null, v18, v9, vcc_lo
	global_load_b64 v[32:33], v[19:20], off
	s_wait_loadcnt 0x0
	v_fma_f64 v[32:33], s[20:21], v[32:33], v[16:17]
	global_store_b64 v[19:20], v[32:33], off
	s_cbranch_execnz .LBB188_19
.LBB188_18:                             ;   in Loop: Header=BB188_6 Depth=1
	v_add_co_u32 v19, vcc_lo, v0, v8
	s_wait_alu 0xfffd
	v_add_co_ci_u32_e64 v20, null, v18, v9, vcc_lo
	global_store_b64 v[19:20], v[16:17], off
.LBB188_19:                             ;   in Loop: Header=BB188_6 Depth=1
	s_wait_alu 0xfffe
	s_or_b32 exec_lo, exec_lo, s15
	s_and_saveexec_b32 s15, s9
	s_cbranch_execz .LBB188_23
; %bb.20:                               ;   in Loop: Header=BB188_6 Depth=1
	v_mul_f64_e32 v[14:15], s[6:7], v[14:15]
	s_and_not1_b32 vcc_lo, exec_lo, s31
	s_wait_alu 0xfffe
	s_cbranch_vccnz .LBB188_31
; %bb.21:                               ;   in Loop: Header=BB188_6 Depth=1
	v_lshlrev_b64_e32 v[16:17], 3, v[2:3]
	s_delay_alu instid0(VALU_DEP_1) | instskip(SKIP_1) | instid1(VALU_DEP_2)
	v_add_co_u32 v16, vcc_lo, v0, v16
	s_wait_alu 0xfffd
	v_add_co_ci_u32_e64 v17, null, v18, v17, vcc_lo
	global_load_b64 v[19:20], v[16:17], off
	s_wait_loadcnt 0x0
	v_fma_f64 v[19:20], s[20:21], v[19:20], v[14:15]
	global_store_b64 v[16:17], v[19:20], off
	s_cbranch_execnz .LBB188_23
.LBB188_22:                             ;   in Loop: Header=BB188_6 Depth=1
	v_lshlrev_b64_e32 v[16:17], 3, v[2:3]
	s_delay_alu instid0(VALU_DEP_1) | instskip(SKIP_1) | instid1(VALU_DEP_2)
	v_add_co_u32 v16, vcc_lo, v0, v16
	s_wait_alu 0xfffd
	v_add_co_ci_u32_e64 v17, null, v18, v17, vcc_lo
	global_store_b64 v[16:17], v[14:15], off
.LBB188_23:                             ;   in Loop: Header=BB188_6 Depth=1
	s_wait_alu 0xfffe
	s_or_b32 exec_lo, exec_lo, s15
	v_add_co_u32 v0, vcc_lo, s2, v6
	s_wait_alu 0xfffd
	v_add_co_ci_u32_e64 v14, null, s3, v7, vcc_lo
	s_and_saveexec_b32 s2, s11
	s_cbranch_execz .LBB188_27
; %bb.24:                               ;   in Loop: Header=BB188_6 Depth=1
	v_mul_f64_e32 v[12:13], s[6:7], v[12:13]
	s_and_not1_b32 vcc_lo, exec_lo, s31
	s_wait_alu 0xfffe
	s_cbranch_vccnz .LBB188_32
; %bb.25:                               ;   in Loop: Header=BB188_6 Depth=1
	v_add_co_u32 v15, vcc_lo, v0, v8
	s_wait_alu 0xfffd
	v_add_co_ci_u32_e64 v16, null, v14, v9, vcc_lo
	global_load_b64 v[17:18], v[15:16], off
	s_wait_loadcnt 0x0
	v_fma_f64 v[17:18], s[20:21], v[17:18], v[12:13]
	global_store_b64 v[15:16], v[17:18], off
	s_cbranch_execnz .LBB188_27
.LBB188_26:                             ;   in Loop: Header=BB188_6 Depth=1
	v_add_co_u32 v15, vcc_lo, v0, v8
	s_wait_alu 0xfffd
	v_add_co_ci_u32_e64 v16, null, v14, v9, vcc_lo
	global_store_b64 v[15:16], v[12:13], off
.LBB188_27:                             ;   in Loop: Header=BB188_6 Depth=1
	s_wait_alu 0xfffe
	s_or_b32 exec_lo, exec_lo, s2
	s_and_saveexec_b32 s2, s14
	s_cbranch_execz .LBB188_5
; %bb.28:                               ;   in Loop: Header=BB188_6 Depth=1
	v_mul_f64_e32 v[10:11], s[6:7], v[10:11]
	v_lshlrev_b64_e32 v[12:13], 3, v[2:3]
	s_and_not1_b32 vcc_lo, exec_lo, s31
	s_wait_alu 0xfffe
	s_cbranch_vccnz .LBB188_33
; %bb.29:                               ;   in Loop: Header=BB188_6 Depth=1
	s_delay_alu instid0(VALU_DEP_1)
	v_add_co_u32 v15, vcc_lo, v0, v12
	s_wait_alu 0xfffd
	v_add_co_ci_u32_e64 v16, null, v14, v13, vcc_lo
	global_load_b64 v[17:18], v[15:16], off
	s_wait_loadcnt 0x0
	v_fma_f64 v[17:18], s[20:21], v[17:18], v[10:11]
	global_store_b64 v[15:16], v[17:18], off
	s_cbranch_execnz .LBB188_5
	s_branch .LBB188_34
.LBB188_30:                             ;   in Loop: Header=BB188_6 Depth=1
	s_branch .LBB188_18
.LBB188_31:                             ;   in Loop: Header=BB188_6 Depth=1
	s_branch .LBB188_22
.LBB188_32:                             ;   in Loop: Header=BB188_6 Depth=1
	s_branch .LBB188_26
.LBB188_33:                             ;   in Loop: Header=BB188_6 Depth=1
.LBB188_34:                             ;   in Loop: Header=BB188_6 Depth=1
	s_delay_alu instid0(VALU_DEP_1)
	v_add_co_u32 v12, vcc_lo, v0, v12
	s_wait_alu 0xfffd
	v_add_co_ci_u32_e64 v13, null, v14, v13, vcc_lo
	global_store_b64 v[12:13], v[10:11], off
	s_branch .LBB188_5
.LBB188_35:
	s_endpgm
	.section	.rodata,"a",@progbits
	.p2align	6, 0x0
	.amdhsa_kernel _ZL29rocblas_internal_gemmt_kernelIlLi16ELi32ELi8ELc67ELc67ELc85ELb0ELb0EdPKdS1_PdEviT_T9_T10_S3_lS5_S3_lS4_T11_S3_li
		.amdhsa_group_segment_fixed_size 4096
		.amdhsa_private_segment_fixed_size 0
		.amdhsa_kernarg_size 108
		.amdhsa_user_sgpr_count 2
		.amdhsa_user_sgpr_dispatch_ptr 0
		.amdhsa_user_sgpr_queue_ptr 0
		.amdhsa_user_sgpr_kernarg_segment_ptr 1
		.amdhsa_user_sgpr_dispatch_id 0
		.amdhsa_user_sgpr_private_segment_size 0
		.amdhsa_wavefront_size32 1
		.amdhsa_uses_dynamic_stack 0
		.amdhsa_enable_private_segment 0
		.amdhsa_system_sgpr_workgroup_id_x 1
		.amdhsa_system_sgpr_workgroup_id_y 1
		.amdhsa_system_sgpr_workgroup_id_z 1
		.amdhsa_system_sgpr_workgroup_info 0
		.amdhsa_system_vgpr_workitem_id 1
		.amdhsa_next_free_vgpr 52
		.amdhsa_next_free_sgpr 35
		.amdhsa_reserve_vcc 1
		.amdhsa_float_round_mode_32 0
		.amdhsa_float_round_mode_16_64 0
		.amdhsa_float_denorm_mode_32 3
		.amdhsa_float_denorm_mode_16_64 3
		.amdhsa_fp16_overflow 0
		.amdhsa_workgroup_processor_mode 1
		.amdhsa_memory_ordered 1
		.amdhsa_forward_progress 1
		.amdhsa_inst_pref_size 17
		.amdhsa_round_robin_scheduling 0
		.amdhsa_exception_fp_ieee_invalid_op 0
		.amdhsa_exception_fp_denorm_src 0
		.amdhsa_exception_fp_ieee_div_zero 0
		.amdhsa_exception_fp_ieee_overflow 0
		.amdhsa_exception_fp_ieee_underflow 0
		.amdhsa_exception_fp_ieee_inexact 0
		.amdhsa_exception_int_div_zero 0
	.end_amdhsa_kernel
	.section	.text._ZL29rocblas_internal_gemmt_kernelIlLi16ELi32ELi8ELc67ELc67ELc85ELb0ELb0EdPKdS1_PdEviT_T9_T10_S3_lS5_S3_lS4_T11_S3_li,"axG",@progbits,_ZL29rocblas_internal_gemmt_kernelIlLi16ELi32ELi8ELc67ELc67ELc85ELb0ELb0EdPKdS1_PdEviT_T9_T10_S3_lS5_S3_lS4_T11_S3_li,comdat
.Lfunc_end188:
	.size	_ZL29rocblas_internal_gemmt_kernelIlLi16ELi32ELi8ELc67ELc67ELc85ELb0ELb0EdPKdS1_PdEviT_T9_T10_S3_lS5_S3_lS4_T11_S3_li, .Lfunc_end188-_ZL29rocblas_internal_gemmt_kernelIlLi16ELi32ELi8ELc67ELc67ELc85ELb0ELb0EdPKdS1_PdEviT_T9_T10_S3_lS5_S3_lS4_T11_S3_li
                                        ; -- End function
	.set _ZL29rocblas_internal_gemmt_kernelIlLi16ELi32ELi8ELc67ELc67ELc85ELb0ELb0EdPKdS1_PdEviT_T9_T10_S3_lS5_S3_lS4_T11_S3_li.num_vgpr, 52
	.set _ZL29rocblas_internal_gemmt_kernelIlLi16ELi32ELi8ELc67ELc67ELc85ELb0ELb0EdPKdS1_PdEviT_T9_T10_S3_lS5_S3_lS4_T11_S3_li.num_agpr, 0
	.set _ZL29rocblas_internal_gemmt_kernelIlLi16ELi32ELi8ELc67ELc67ELc85ELb0ELb0EdPKdS1_PdEviT_T9_T10_S3_lS5_S3_lS4_T11_S3_li.numbered_sgpr, 35
	.set _ZL29rocblas_internal_gemmt_kernelIlLi16ELi32ELi8ELc67ELc67ELc85ELb0ELb0EdPKdS1_PdEviT_T9_T10_S3_lS5_S3_lS4_T11_S3_li.num_named_barrier, 0
	.set _ZL29rocblas_internal_gemmt_kernelIlLi16ELi32ELi8ELc67ELc67ELc85ELb0ELb0EdPKdS1_PdEviT_T9_T10_S3_lS5_S3_lS4_T11_S3_li.private_seg_size, 0
	.set _ZL29rocblas_internal_gemmt_kernelIlLi16ELi32ELi8ELc67ELc67ELc85ELb0ELb0EdPKdS1_PdEviT_T9_T10_S3_lS5_S3_lS4_T11_S3_li.uses_vcc, 1
	.set _ZL29rocblas_internal_gemmt_kernelIlLi16ELi32ELi8ELc67ELc67ELc85ELb0ELb0EdPKdS1_PdEviT_T9_T10_S3_lS5_S3_lS4_T11_S3_li.uses_flat_scratch, 0
	.set _ZL29rocblas_internal_gemmt_kernelIlLi16ELi32ELi8ELc67ELc67ELc85ELb0ELb0EdPKdS1_PdEviT_T9_T10_S3_lS5_S3_lS4_T11_S3_li.has_dyn_sized_stack, 0
	.set _ZL29rocblas_internal_gemmt_kernelIlLi16ELi32ELi8ELc67ELc67ELc85ELb0ELb0EdPKdS1_PdEviT_T9_T10_S3_lS5_S3_lS4_T11_S3_li.has_recursion, 0
	.set _ZL29rocblas_internal_gemmt_kernelIlLi16ELi32ELi8ELc67ELc67ELc85ELb0ELb0EdPKdS1_PdEviT_T9_T10_S3_lS5_S3_lS4_T11_S3_li.has_indirect_call, 0
	.section	.AMDGPU.csdata,"",@progbits
; Kernel info:
; codeLenInByte = 2060
; TotalNumSgprs: 37
; NumVgprs: 52
; ScratchSize: 0
; MemoryBound: 0
; FloatMode: 240
; IeeeMode: 1
; LDSByteSize: 4096 bytes/workgroup (compile time only)
; SGPRBlocks: 0
; VGPRBlocks: 6
; NumSGPRsForWavesPerEU: 37
; NumVGPRsForWavesPerEU: 52
; Occupancy: 16
; WaveLimiterHint : 0
; COMPUTE_PGM_RSRC2:SCRATCH_EN: 0
; COMPUTE_PGM_RSRC2:USER_SGPR: 2
; COMPUTE_PGM_RSRC2:TRAP_HANDLER: 0
; COMPUTE_PGM_RSRC2:TGID_X_EN: 1
; COMPUTE_PGM_RSRC2:TGID_Y_EN: 1
; COMPUTE_PGM_RSRC2:TGID_Z_EN: 1
; COMPUTE_PGM_RSRC2:TIDIG_COMP_CNT: 1
	.section	.text._ZL29rocblas_internal_gemmt_kernelIlLi16ELi32ELi8ELc78ELc78ELc76ELb0ELb0EdPKdS1_PdEviT_T9_T10_S3_lS5_S3_lS4_T11_S3_li,"axG",@progbits,_ZL29rocblas_internal_gemmt_kernelIlLi16ELi32ELi8ELc78ELc78ELc76ELb0ELb0EdPKdS1_PdEviT_T9_T10_S3_lS5_S3_lS4_T11_S3_li,comdat
	.globl	_ZL29rocblas_internal_gemmt_kernelIlLi16ELi32ELi8ELc78ELc78ELc76ELb0ELb0EdPKdS1_PdEviT_T9_T10_S3_lS5_S3_lS4_T11_S3_li ; -- Begin function _ZL29rocblas_internal_gemmt_kernelIlLi16ELi32ELi8ELc78ELc78ELc76ELb0ELb0EdPKdS1_PdEviT_T9_T10_S3_lS5_S3_lS4_T11_S3_li
	.p2align	8
	.type	_ZL29rocblas_internal_gemmt_kernelIlLi16ELi32ELi8ELc78ELc78ELc76ELb0ELb0EdPKdS1_PdEviT_T9_T10_S3_lS5_S3_lS4_T11_S3_li,@function
_ZL29rocblas_internal_gemmt_kernelIlLi16ELi32ELi8ELc78ELc78ELc76ELb0ELb0EdPKdS1_PdEviT_T9_T10_S3_lS5_S3_lS4_T11_S3_li: ; @_ZL29rocblas_internal_gemmt_kernelIlLi16ELi32ELi8ELc78ELc78ELc76ELb0ELb0EdPKdS1_PdEviT_T9_T10_S3_lS5_S3_lS4_T11_S3_li
; %bb.0:
	s_clause 0x1
	s_load_b256 s[24:31], s[0:1], 0x48
	s_load_b512 s[8:23], s[0:1], 0x8
	s_wait_kmcnt 0x0
	s_load_b64 s[6:7], s[24:25], 0x0
	s_load_b64 s[10:11], s[10:11], 0x0
	s_wait_kmcnt 0x0
	v_cmp_neq_f64_e64 s2, s[6:7], 1.0
	s_and_b32 vcc_lo, exec_lo, s2
	s_cbranch_vccnz .LBB189_2
; %bb.1:
	v_cmp_neq_f64_e64 s2, s[10:11], 0
	s_cmp_lg_u64 s[8:9], 0
	s_cselect_b32 s3, -1, 0
	s_delay_alu instid0(SALU_CYCLE_1)
	s_and_b32 s2, s3, s2
.LBB189_2:
	s_delay_alu instid0(SALU_CYCLE_1)
	s_and_not1_b32 vcc_lo, exec_lo, s2
	s_cbranch_vccnz .LBB189_35
; %bb.3:
	s_load_b32 s5, s[0:1], 0x68
	s_lshr_b32 s24, ttmp7, 16
	s_wait_kmcnt 0x0
	s_cmp_ge_u32 s24, s5
	s_cbranch_scc1 .LBB189_35
; %bb.4:
	v_and_b32_e32 v1, 0x3ff, v0
	v_bfe_u32 v14, v0, 10, 10
	s_load_b32 s4, s[0:1], 0x0
	s_lshl_b32 s1, ttmp7, 5
	s_lshl_b32 s0, ttmp9, 5
	s_and_b32 s1, s1, 0x1fffe0
	v_lshl_add_u32 v2, v14, 4, v1
	v_add_nc_u32_e32 v15, s1, v14
	v_lshlrev_b32_e32 v23, 3, v1
	v_cmp_neq_f64_e64 s25, s[10:11], 0
	v_cmp_neq_f64_e64 s33, s[6:7], 0
	v_lshrrev_b32_e32 v5, 3, v2
	v_mad_co_u64_u32 v[6:7], null, s28, v15, 0
	v_and_b32_e32 v10, 31, v2
	v_add_nc_u32_e32 v16, 16, v15
	s_delay_alu instid0(VALU_DEP_4)
	v_add_nc_u32_e32 v12, s1, v5
	v_lshrrev_b32_e32 v24, 5, v2
	v_cmp_gt_i64_e64 s34, s[8:9], 0
	v_or_b32_e32 v8, s0, v10
	v_lshlrev_b32_e32 v13, 3, v10
	v_mad_co_u64_u32 v[3:4], null, s20, v12, 0
	v_and_b32_e32 v22, 7, v0
	v_mad_co_u64_u32 v[10:11], null, s28, v16, 0
	v_add_nc_u32_e32 v0, s0, v1
	s_wait_kmcnt 0x0
	v_cmp_gt_i32_e64 s0, s4, v8
	v_lshl_or_b32 v25, v24, 8, v13
	v_mov_b32_e32 v1, v4
	v_lshlrev_b32_e32 v9, 3, v22
	v_add_nc_u32_e32 v2, 16, v0
	v_lshl_add_u32 v31, v14, 6, 0x800
	s_delay_alu instid0(VALU_DEP_3) | instskip(NEXT) | instid1(VALU_DEP_3)
	v_lshl_or_b32 v17, v5, 6, v9
	v_mad_co_u64_u32 v[4:5], null, s21, v12, v[1:2]
	v_ashrrev_i32_e32 v9, 31, v8
	v_mov_b32_e32 v1, v7
	v_cmp_gt_i32_e64 s1, s4, v12
	v_add_nc_u32_e32 v26, 0x800, v17
	s_delay_alu instid0(VALU_DEP_4)
	v_lshlrev_b64_e32 v[7:8], 3, v[8:9]
	v_lshlrev_b64_e32 v[3:4], 3, v[3:4]
	v_mad_co_u64_u32 v[12:13], null, s29, v15, v[1:2]
	v_mov_b32_e32 v1, v11
	v_cmp_gt_i32_e64 s2, s4, v0
	v_add_co_u32 v27, vcc_lo, s12, v7
	s_delay_alu instid0(VALU_DEP_1)
	v_add_co_ci_u32_e64 v28, null, s13, v8, vcc_lo
	v_add_co_u32 v29, vcc_lo, s18, v3
	s_wait_alu 0xfffd
	v_add_co_ci_u32_e64 v30, null, s19, v4, vcc_lo
	v_mad_co_u64_u32 v[4:5], null, s29, v16, v[1:2]
	v_cmp_le_i32_e32 vcc_lo, v15, v0
	v_mov_b32_e32 v7, v12
	v_mov_b32_e32 v5, 0
	v_ashrrev_i32_e32 v1, 31, v0
	s_and_b32 s18, s25, s34
	s_and_b32 s12, vcc_lo, s2
	v_mov_b32_e32 v11, v4
	v_cmp_le_i32_e64 s3, v15, v2
	v_cmp_gt_i32_e64 s4, s4, v2
	v_cmp_le_i32_e32 vcc_lo, v16, v0
	v_lshlrev_b64_e32 v[6:7], 3, v[6:7]
	v_lshlrev_b64_e32 v[8:9], 3, v[10:11]
	v_ashrrev_i32_e32 v3, 31, v2
	s_and_b32 s13, s3, s4
	v_cmp_le_i32_e64 s3, v16, v2
	s_and_b32 s19, vcc_lo, s2
	s_mov_b32 s25, 0
	s_and_b32 s4, s3, s4
	s_branch .LBB189_6
.LBB189_5:                              ;   in Loop: Header=BB189_6 Depth=1
	s_wait_alu 0xfffe
	s_or_b32 exec_lo, exec_lo, s2
	s_add_co_i32 s24, s24, 0x10000
	s_delay_alu instid0(SALU_CYCLE_1)
	s_cmp_lt_u32 s24, s5
	s_cbranch_scc0 .LBB189_35
.LBB189_6:                              ; =>This Loop Header: Depth=1
                                        ;     Child Loop BB189_9 Depth 2
	v_mov_b32_e32 v16, 0
	v_dual_mov_b32 v12, 0 :: v_dual_mov_b32 v17, 0
	v_dual_mov_b32 v14, 0 :: v_dual_mov_b32 v13, 0
	;; [unrolled: 1-line block ×3, first 2 shown]
	v_mov_b32_e32 v11, 0
	s_wait_alu 0xfffe
	s_and_not1_b32 vcc_lo, exec_lo, s18
	s_wait_alu 0xfffe
	s_cbranch_vccnz .LBB189_15
; %bb.7:                                ;   in Loop: Header=BB189_6 Depth=1
	s_mul_u64 s[2:3], s[16:17], s[24:25]
	s_mul_u64 s[20:21], s[22:23], s[24:25]
	s_wait_alu 0xfffe
	s_lshl_b64 s[2:3], s[2:3], 3
	v_mov_b32_e32 v10, 0
	s_wait_alu 0xfffe
	v_add_co_u32 v32, vcc_lo, v27, s2
	s_wait_alu 0xfffd
	v_add_co_ci_u32_e64 v33, null, s3, v28, vcc_lo
	s_lshl_b64 s[2:3], s[20:21], 3
	v_mov_b32_e32 v14, 0
	s_wait_alu 0xfffe
	v_add_co_u32 v34, vcc_lo, v29, s2
	v_dual_mov_b32 v11, 0 :: v_dual_mov_b32 v12, 0
	v_dual_mov_b32 v15, 0 :: v_dual_mov_b32 v16, 0
	v_mov_b32_e32 v13, 0
	v_mov_b32_e32 v17, 0
	s_wait_alu 0xfffd
	v_add_co_ci_u32_e64 v35, null, s3, v30, vcc_lo
	s_mov_b64 s[2:3], 0
	s_branch .LBB189_9
.LBB189_8:                              ;   in Loop: Header=BB189_9 Depth=2
	s_wait_alu 0xfffe
	s_or_b32 exec_lo, exec_lo, s20
	s_wait_loadcnt 0x0
	ds_store_b64 v26, v[20:21]
	s_wait_dscnt 0x0
	s_barrier_signal -1
	s_barrier_wait -1
	global_inv scope:SCOPE_SE
	ds_load_b128 v[18:21], v31
	ds_load_2addr_b64 v[36:39], v23 offset1:16
	ds_load_b128 v[40:43], v31 offset:1024
	ds_load_b128 v[44:47], v31 offset:16
	;; [unrolled: 1-line block ×3, first 2 shown]
	s_add_nc_u64 s[2:3], s[2:3], 8
	s_wait_alu 0xfffe
	v_cmp_gt_i64_e64 s20, s[8:9], s[2:3]
	s_and_b32 vcc_lo, exec_lo, s20
	s_wait_dscnt 0x3
	v_fma_f64 v[16:17], v[36:37], v[18:19], v[16:17]
	v_fma_f64 v[14:15], v[38:39], v[18:19], v[14:15]
	s_wait_dscnt 0x2
	v_fma_f64 v[18:19], v[36:37], v[40:41], v[12:13]
	v_fma_f64 v[36:37], v[38:39], v[40:41], v[10:11]
	ds_load_2addr_b64 v[10:13], v23 offset0:32 offset1:48
	s_wait_dscnt 0x0
	v_fma_f64 v[16:17], v[10:11], v[20:21], v[16:17]
	v_fma_f64 v[14:15], v[12:13], v[20:21], v[14:15]
	v_fma_f64 v[18:19], v[10:11], v[42:43], v[18:19]
	v_fma_f64 v[20:21], v[12:13], v[42:43], v[36:37]
	ds_load_2addr_b64 v[10:13], v23 offset0:64 offset1:80
	s_wait_dscnt 0x0
	v_fma_f64 v[16:17], v[10:11], v[44:45], v[16:17]
	v_fma_f64 v[14:15], v[12:13], v[44:45], v[14:15]
	;; [unrolled: 6-line block ×3, first 2 shown]
	v_fma_f64 v[48:49], v[10:11], v[50:51], v[18:19]
	v_fma_f64 v[50:51], v[12:13], v[50:51], v[20:21]
	ds_load_b128 v[10:13], v31 offset:32
	ds_load_2addr_b64 v[14:17], v23 offset0:128 offset1:144
	ds_load_b128 v[18:21], v31 offset:1056
	ds_load_b128 v[36:39], v31 offset:48
	;; [unrolled: 1-line block ×3, first 2 shown]
	s_wait_dscnt 0x3
	v_fma_f64 v[44:45], v[14:15], v[10:11], v[44:45]
	v_fma_f64 v[10:11], v[16:17], v[10:11], v[46:47]
	s_wait_dscnt 0x2
	v_fma_f64 v[46:47], v[14:15], v[18:19], v[48:49]
	v_fma_f64 v[18:19], v[16:17], v[18:19], v[50:51]
	ds_load_2addr_b64 v[14:17], v23 offset0:160 offset1:176
	s_wait_dscnt 0x0
	v_fma_f64 v[44:45], v[14:15], v[12:13], v[44:45]
	v_fma_f64 v[48:49], v[16:17], v[12:13], v[10:11]
	;; [unrolled: 1-line block ×4, first 2 shown]
	ds_load_2addr_b64 v[10:13], v23 offset0:192 offset1:208
	ds_load_2addr_b64 v[18:21], v23 offset0:224 offset1:240
	s_wait_loadcnt_dscnt 0x0
	s_barrier_signal -1
	s_barrier_wait -1
	global_inv scope:SCOPE_SE
	v_fma_f64 v[44:45], v[10:11], v[36:37], v[44:45]
	v_fma_f64 v[36:37], v[12:13], v[36:37], v[48:49]
	;; [unrolled: 1-line block ×4, first 2 shown]
	s_delay_alu instid0(VALU_DEP_4) | instskip(NEXT) | instid1(VALU_DEP_4)
	v_fma_f64 v[16:17], v[18:19], v[38:39], v[44:45]
	v_fma_f64 v[14:15], v[20:21], v[38:39], v[36:37]
	s_delay_alu instid0(VALU_DEP_4) | instskip(NEXT) | instid1(VALU_DEP_4)
	v_fma_f64 v[12:13], v[18:19], v[42:43], v[10:11]
	v_fma_f64 v[10:11], v[20:21], v[42:43], v[40:41]
	s_wait_alu 0xfffe
	s_cbranch_vccz .LBB189_15
.LBB189_9:                              ;   Parent Loop BB189_6 Depth=1
                                        ; =>  This Inner Loop Header: Depth=2
	v_mov_b32_e32 v18, 0
	v_mov_b32_e32 v19, 0
	s_and_saveexec_b32 s20, s0
	s_cbranch_execz .LBB189_13
; %bb.10:                               ;   in Loop: Header=BB189_9 Depth=2
	v_mov_b32_e32 v18, 0
	s_wait_alu 0xfffe
	v_dual_mov_b32 v19, 0 :: v_dual_add_nc_u32 v4, s2, v24
	s_mov_b32 s21, exec_lo
	s_delay_alu instid0(VALU_DEP_1)
	v_cmpx_gt_u64_e64 s[8:9], v[4:5]
	s_cbranch_execz .LBB189_12
; %bb.11:                               ;   in Loop: Header=BB189_9 Depth=2
	v_mad_co_u64_u32 v[18:19], null, s14, v4, 0
	s_delay_alu instid0(VALU_DEP_1) | instskip(NEXT) | instid1(VALU_DEP_1)
	v_mad_co_u64_u32 v[19:20], null, s15, v4, v[19:20]
	v_lshlrev_b64_e32 v[18:19], 3, v[18:19]
	s_delay_alu instid0(VALU_DEP_1) | instskip(SKIP_1) | instid1(VALU_DEP_2)
	v_add_co_u32 v18, vcc_lo, v32, v18
	s_wait_alu 0xfffd
	v_add_co_ci_u32_e64 v19, null, v33, v19, vcc_lo
	global_load_b64 v[18:19], v[18:19], off
.LBB189_12:                             ;   in Loop: Header=BB189_9 Depth=2
	s_wait_alu 0xfffe
	s_or_b32 exec_lo, exec_lo, s21
.LBB189_13:                             ;   in Loop: Header=BB189_9 Depth=2
	s_wait_alu 0xfffe
	s_or_b32 exec_lo, exec_lo, s20
	v_add_nc_u32_e32 v4, s2, v22
	v_mov_b32_e32 v20, 0
	v_mov_b32_e32 v21, 0
	s_wait_loadcnt 0x0
	ds_store_b64 v25, v[18:19]
	v_cmp_gt_u64_e32 vcc_lo, s[8:9], v[4:5]
	s_and_b32 s21, vcc_lo, s1
	s_wait_alu 0xfffe
	s_and_saveexec_b32 s20, s21
	s_cbranch_execz .LBB189_8
; %bb.14:                               ;   in Loop: Header=BB189_9 Depth=2
	v_lshlrev_b64_e32 v[18:19], 3, v[4:5]
	s_delay_alu instid0(VALU_DEP_1) | instskip(SKIP_1) | instid1(VALU_DEP_2)
	v_add_co_u32 v18, vcc_lo, v34, v18
	s_wait_alu 0xfffd
	v_add_co_ci_u32_e64 v19, null, v35, v19, vcc_lo
	global_load_b64 v[20:21], v[18:19], off
	s_branch .LBB189_8
.LBB189_15:                             ;   in Loop: Header=BB189_6 Depth=1
	s_mul_u64 s[2:3], s[30:31], s[24:25]
	s_wait_alu 0xfffe
	s_lshl_b64 s[2:3], s[2:3], 3
	s_wait_alu 0xfffe
	s_add_nc_u64 s[2:3], s[26:27], s[2:3]
	s_wait_alu 0xfffe
	v_add_co_u32 v4, vcc_lo, s2, v6
	s_wait_alu 0xfffd
	v_add_co_ci_u32_e64 v18, null, s3, v7, vcc_lo
	s_and_saveexec_b32 s20, s12
	s_cbranch_execz .LBB189_19
; %bb.16:                               ;   in Loop: Header=BB189_6 Depth=1
	v_mul_f64_e32 v[16:17], s[10:11], v[16:17]
	s_and_b32 vcc_lo, exec_lo, s33
	s_wait_alu 0xfffe
	s_cbranch_vccz .LBB189_30
; %bb.17:                               ;   in Loop: Header=BB189_6 Depth=1
	v_lshlrev_b64_e32 v[19:20], 3, v[0:1]
	s_delay_alu instid0(VALU_DEP_1) | instskip(SKIP_1) | instid1(VALU_DEP_2)
	v_add_co_u32 v19, vcc_lo, v4, v19
	s_wait_alu 0xfffd
	v_add_co_ci_u32_e64 v20, null, v18, v20, vcc_lo
	global_load_b64 v[32:33], v[19:20], off
	s_wait_loadcnt 0x0
	v_fma_f64 v[32:33], s[6:7], v[32:33], v[16:17]
	global_store_b64 v[19:20], v[32:33], off
	s_cbranch_execnz .LBB189_19
.LBB189_18:                             ;   in Loop: Header=BB189_6 Depth=1
	v_lshlrev_b64_e32 v[19:20], 3, v[0:1]
	s_delay_alu instid0(VALU_DEP_1) | instskip(SKIP_1) | instid1(VALU_DEP_2)
	v_add_co_u32 v19, vcc_lo, v4, v19
	s_wait_alu 0xfffd
	v_add_co_ci_u32_e64 v20, null, v18, v20, vcc_lo
	global_store_b64 v[19:20], v[16:17], off
.LBB189_19:                             ;   in Loop: Header=BB189_6 Depth=1
	s_wait_alu 0xfffe
	s_or_b32 exec_lo, exec_lo, s20
	s_and_saveexec_b32 s20, s13
	s_cbranch_execz .LBB189_23
; %bb.20:                               ;   in Loop: Header=BB189_6 Depth=1
	v_mul_f64_e32 v[14:15], s[10:11], v[14:15]
	s_and_not1_b32 vcc_lo, exec_lo, s33
	s_wait_alu 0xfffe
	s_cbranch_vccnz .LBB189_31
; %bb.21:                               ;   in Loop: Header=BB189_6 Depth=1
	v_lshlrev_b64_e32 v[16:17], 3, v[2:3]
	s_delay_alu instid0(VALU_DEP_1) | instskip(SKIP_1) | instid1(VALU_DEP_2)
	v_add_co_u32 v16, vcc_lo, v4, v16
	s_wait_alu 0xfffd
	v_add_co_ci_u32_e64 v17, null, v18, v17, vcc_lo
	global_load_b64 v[19:20], v[16:17], off
	s_wait_loadcnt 0x0
	v_fma_f64 v[19:20], s[6:7], v[19:20], v[14:15]
	global_store_b64 v[16:17], v[19:20], off
	s_cbranch_execnz .LBB189_23
.LBB189_22:                             ;   in Loop: Header=BB189_6 Depth=1
	v_lshlrev_b64_e32 v[16:17], 3, v[2:3]
	s_delay_alu instid0(VALU_DEP_1) | instskip(SKIP_1) | instid1(VALU_DEP_2)
	v_add_co_u32 v16, vcc_lo, v4, v16
	s_wait_alu 0xfffd
	v_add_co_ci_u32_e64 v17, null, v18, v17, vcc_lo
	global_store_b64 v[16:17], v[14:15], off
.LBB189_23:                             ;   in Loop: Header=BB189_6 Depth=1
	s_wait_alu 0xfffe
	s_or_b32 exec_lo, exec_lo, s20
	v_add_co_u32 v4, vcc_lo, s2, v8
	s_wait_alu 0xfffd
	v_add_co_ci_u32_e64 v16, null, s3, v9, vcc_lo
	s_and_saveexec_b32 s2, s19
	s_cbranch_execz .LBB189_27
; %bb.24:                               ;   in Loop: Header=BB189_6 Depth=1
	v_mul_f64_e32 v[12:13], s[10:11], v[12:13]
	v_lshlrev_b64_e32 v[14:15], 3, v[0:1]
	s_and_not1_b32 vcc_lo, exec_lo, s33
	s_wait_alu 0xfffe
	s_cbranch_vccnz .LBB189_32
; %bb.25:                               ;   in Loop: Header=BB189_6 Depth=1
	s_delay_alu instid0(VALU_DEP_1)
	v_add_co_u32 v17, vcc_lo, v4, v14
	s_wait_alu 0xfffd
	v_add_co_ci_u32_e64 v18, null, v16, v15, vcc_lo
	global_load_b64 v[19:20], v[17:18], off
	s_wait_loadcnt 0x0
	v_fma_f64 v[19:20], s[6:7], v[19:20], v[12:13]
	global_store_b64 v[17:18], v[19:20], off
	s_cbranch_execnz .LBB189_27
.LBB189_26:                             ;   in Loop: Header=BB189_6 Depth=1
	s_delay_alu instid0(VALU_DEP_1)
	v_add_co_u32 v14, vcc_lo, v4, v14
	s_wait_alu 0xfffd
	v_add_co_ci_u32_e64 v15, null, v16, v15, vcc_lo
	global_store_b64 v[14:15], v[12:13], off
.LBB189_27:                             ;   in Loop: Header=BB189_6 Depth=1
	s_wait_alu 0xfffe
	s_or_b32 exec_lo, exec_lo, s2
	s_and_saveexec_b32 s2, s4
	s_cbranch_execz .LBB189_5
; %bb.28:                               ;   in Loop: Header=BB189_6 Depth=1
	v_mul_f64_e32 v[10:11], s[10:11], v[10:11]
	v_lshlrev_b64_e32 v[12:13], 3, v[2:3]
	s_and_not1_b32 vcc_lo, exec_lo, s33
	s_wait_alu 0xfffe
	s_cbranch_vccnz .LBB189_33
; %bb.29:                               ;   in Loop: Header=BB189_6 Depth=1
	s_delay_alu instid0(VALU_DEP_1)
	v_add_co_u32 v14, vcc_lo, v4, v12
	s_wait_alu 0xfffd
	v_add_co_ci_u32_e64 v15, null, v16, v13, vcc_lo
	global_load_b64 v[17:18], v[14:15], off
	s_wait_loadcnt 0x0
	v_fma_f64 v[17:18], s[6:7], v[17:18], v[10:11]
	global_store_b64 v[14:15], v[17:18], off
	s_cbranch_execnz .LBB189_5
	s_branch .LBB189_34
.LBB189_30:                             ;   in Loop: Header=BB189_6 Depth=1
	s_branch .LBB189_18
.LBB189_31:                             ;   in Loop: Header=BB189_6 Depth=1
	s_branch .LBB189_22
.LBB189_32:                             ;   in Loop: Header=BB189_6 Depth=1
	s_branch .LBB189_26
.LBB189_33:                             ;   in Loop: Header=BB189_6 Depth=1
.LBB189_34:                             ;   in Loop: Header=BB189_6 Depth=1
	s_delay_alu instid0(VALU_DEP_1)
	v_add_co_u32 v12, vcc_lo, v4, v12
	s_wait_alu 0xfffd
	v_add_co_ci_u32_e64 v13, null, v16, v13, vcc_lo
	global_store_b64 v[12:13], v[10:11], off
	s_branch .LBB189_5
.LBB189_35:
	s_endpgm
	.section	.rodata,"a",@progbits
	.p2align	6, 0x0
	.amdhsa_kernel _ZL29rocblas_internal_gemmt_kernelIlLi16ELi32ELi8ELc78ELc78ELc76ELb0ELb0EdPKdS1_PdEviT_T9_T10_S3_lS5_S3_lS4_T11_S3_li
		.amdhsa_group_segment_fixed_size 4096
		.amdhsa_private_segment_fixed_size 0
		.amdhsa_kernarg_size 108
		.amdhsa_user_sgpr_count 2
		.amdhsa_user_sgpr_dispatch_ptr 0
		.amdhsa_user_sgpr_queue_ptr 0
		.amdhsa_user_sgpr_kernarg_segment_ptr 1
		.amdhsa_user_sgpr_dispatch_id 0
		.amdhsa_user_sgpr_private_segment_size 0
		.amdhsa_wavefront_size32 1
		.amdhsa_uses_dynamic_stack 0
		.amdhsa_enable_private_segment 0
		.amdhsa_system_sgpr_workgroup_id_x 1
		.amdhsa_system_sgpr_workgroup_id_y 1
		.amdhsa_system_sgpr_workgroup_id_z 1
		.amdhsa_system_sgpr_workgroup_info 0
		.amdhsa_system_vgpr_workitem_id 1
		.amdhsa_next_free_vgpr 52
		.amdhsa_next_free_sgpr 35
		.amdhsa_reserve_vcc 1
		.amdhsa_float_round_mode_32 0
		.amdhsa_float_round_mode_16_64 0
		.amdhsa_float_denorm_mode_32 3
		.amdhsa_float_denorm_mode_16_64 3
		.amdhsa_fp16_overflow 0
		.amdhsa_workgroup_processor_mode 1
		.amdhsa_memory_ordered 1
		.amdhsa_forward_progress 1
		.amdhsa_inst_pref_size 17
		.amdhsa_round_robin_scheduling 0
		.amdhsa_exception_fp_ieee_invalid_op 0
		.amdhsa_exception_fp_denorm_src 0
		.amdhsa_exception_fp_ieee_div_zero 0
		.amdhsa_exception_fp_ieee_overflow 0
		.amdhsa_exception_fp_ieee_underflow 0
		.amdhsa_exception_fp_ieee_inexact 0
		.amdhsa_exception_int_div_zero 0
	.end_amdhsa_kernel
	.section	.text._ZL29rocblas_internal_gemmt_kernelIlLi16ELi32ELi8ELc78ELc78ELc76ELb0ELb0EdPKdS1_PdEviT_T9_T10_S3_lS5_S3_lS4_T11_S3_li,"axG",@progbits,_ZL29rocblas_internal_gemmt_kernelIlLi16ELi32ELi8ELc78ELc78ELc76ELb0ELb0EdPKdS1_PdEviT_T9_T10_S3_lS5_S3_lS4_T11_S3_li,comdat
.Lfunc_end189:
	.size	_ZL29rocblas_internal_gemmt_kernelIlLi16ELi32ELi8ELc78ELc78ELc76ELb0ELb0EdPKdS1_PdEviT_T9_T10_S3_lS5_S3_lS4_T11_S3_li, .Lfunc_end189-_ZL29rocblas_internal_gemmt_kernelIlLi16ELi32ELi8ELc78ELc78ELc76ELb0ELb0EdPKdS1_PdEviT_T9_T10_S3_lS5_S3_lS4_T11_S3_li
                                        ; -- End function
	.set _ZL29rocblas_internal_gemmt_kernelIlLi16ELi32ELi8ELc78ELc78ELc76ELb0ELb0EdPKdS1_PdEviT_T9_T10_S3_lS5_S3_lS4_T11_S3_li.num_vgpr, 52
	.set _ZL29rocblas_internal_gemmt_kernelIlLi16ELi32ELi8ELc78ELc78ELc76ELb0ELb0EdPKdS1_PdEviT_T9_T10_S3_lS5_S3_lS4_T11_S3_li.num_agpr, 0
	.set _ZL29rocblas_internal_gemmt_kernelIlLi16ELi32ELi8ELc78ELc78ELc76ELb0ELb0EdPKdS1_PdEviT_T9_T10_S3_lS5_S3_lS4_T11_S3_li.numbered_sgpr, 35
	.set _ZL29rocblas_internal_gemmt_kernelIlLi16ELi32ELi8ELc78ELc78ELc76ELb0ELb0EdPKdS1_PdEviT_T9_T10_S3_lS5_S3_lS4_T11_S3_li.num_named_barrier, 0
	.set _ZL29rocblas_internal_gemmt_kernelIlLi16ELi32ELi8ELc78ELc78ELc76ELb0ELb0EdPKdS1_PdEviT_T9_T10_S3_lS5_S3_lS4_T11_S3_li.private_seg_size, 0
	.set _ZL29rocblas_internal_gemmt_kernelIlLi16ELi32ELi8ELc78ELc78ELc76ELb0ELb0EdPKdS1_PdEviT_T9_T10_S3_lS5_S3_lS4_T11_S3_li.uses_vcc, 1
	.set _ZL29rocblas_internal_gemmt_kernelIlLi16ELi32ELi8ELc78ELc78ELc76ELb0ELb0EdPKdS1_PdEviT_T9_T10_S3_lS5_S3_lS4_T11_S3_li.uses_flat_scratch, 0
	.set _ZL29rocblas_internal_gemmt_kernelIlLi16ELi32ELi8ELc78ELc78ELc76ELb0ELb0EdPKdS1_PdEviT_T9_T10_S3_lS5_S3_lS4_T11_S3_li.has_dyn_sized_stack, 0
	.set _ZL29rocblas_internal_gemmt_kernelIlLi16ELi32ELi8ELc78ELc78ELc76ELb0ELb0EdPKdS1_PdEviT_T9_T10_S3_lS5_S3_lS4_T11_S3_li.has_recursion, 0
	.set _ZL29rocblas_internal_gemmt_kernelIlLi16ELi32ELi8ELc78ELc78ELc76ELb0ELb0EdPKdS1_PdEviT_T9_T10_S3_lS5_S3_lS4_T11_S3_li.has_indirect_call, 0
	.section	.AMDGPU.csdata,"",@progbits
; Kernel info:
; codeLenInByte = 2072
; TotalNumSgprs: 37
; NumVgprs: 52
; ScratchSize: 0
; MemoryBound: 0
; FloatMode: 240
; IeeeMode: 1
; LDSByteSize: 4096 bytes/workgroup (compile time only)
; SGPRBlocks: 0
; VGPRBlocks: 6
; NumSGPRsForWavesPerEU: 37
; NumVGPRsForWavesPerEU: 52
; Occupancy: 16
; WaveLimiterHint : 0
; COMPUTE_PGM_RSRC2:SCRATCH_EN: 0
; COMPUTE_PGM_RSRC2:USER_SGPR: 2
; COMPUTE_PGM_RSRC2:TRAP_HANDLER: 0
; COMPUTE_PGM_RSRC2:TGID_X_EN: 1
; COMPUTE_PGM_RSRC2:TGID_Y_EN: 1
; COMPUTE_PGM_RSRC2:TGID_Z_EN: 1
; COMPUTE_PGM_RSRC2:TIDIG_COMP_CNT: 1
	.section	.text._ZL29rocblas_internal_gemmt_kernelIlLi16ELi32ELi8ELc78ELc84ELc76ELb0ELb0EdPKdS1_PdEviT_T9_T10_S3_lS5_S3_lS4_T11_S3_li,"axG",@progbits,_ZL29rocblas_internal_gemmt_kernelIlLi16ELi32ELi8ELc78ELc84ELc76ELb0ELb0EdPKdS1_PdEviT_T9_T10_S3_lS5_S3_lS4_T11_S3_li,comdat
	.globl	_ZL29rocblas_internal_gemmt_kernelIlLi16ELi32ELi8ELc78ELc84ELc76ELb0ELb0EdPKdS1_PdEviT_T9_T10_S3_lS5_S3_lS4_T11_S3_li ; -- Begin function _ZL29rocblas_internal_gemmt_kernelIlLi16ELi32ELi8ELc78ELc84ELc76ELb0ELb0EdPKdS1_PdEviT_T9_T10_S3_lS5_S3_lS4_T11_S3_li
	.p2align	8
	.type	_ZL29rocblas_internal_gemmt_kernelIlLi16ELi32ELi8ELc78ELc84ELc76ELb0ELb0EdPKdS1_PdEviT_T9_T10_S3_lS5_S3_lS4_T11_S3_li,@function
_ZL29rocblas_internal_gemmt_kernelIlLi16ELi32ELi8ELc78ELc84ELc76ELb0ELb0EdPKdS1_PdEviT_T9_T10_S3_lS5_S3_lS4_T11_S3_li: ; @_ZL29rocblas_internal_gemmt_kernelIlLi16ELi32ELi8ELc78ELc84ELc76ELb0ELb0EdPKdS1_PdEviT_T9_T10_S3_lS5_S3_lS4_T11_S3_li
; %bb.0:
	s_clause 0x1
	s_load_b256 s[24:31], s[0:1], 0x48
	s_load_b512 s[8:23], s[0:1], 0x8
	s_wait_kmcnt 0x0
	s_load_b64 s[6:7], s[24:25], 0x0
	s_load_b64 s[10:11], s[10:11], 0x0
	s_wait_kmcnt 0x0
	v_cmp_neq_f64_e64 s2, s[6:7], 1.0
	s_and_b32 vcc_lo, exec_lo, s2
	s_cbranch_vccnz .LBB190_2
; %bb.1:
	v_cmp_neq_f64_e64 s2, s[10:11], 0
	s_cmp_lg_u64 s[8:9], 0
	s_cselect_b32 s3, -1, 0
	s_delay_alu instid0(SALU_CYCLE_1)
	s_and_b32 s2, s3, s2
.LBB190_2:
	s_delay_alu instid0(SALU_CYCLE_1)
	s_and_not1_b32 vcc_lo, exec_lo, s2
	s_cbranch_vccnz .LBB190_35
; %bb.3:
	s_load_b32 s5, s[0:1], 0x68
	s_lshr_b32 s24, ttmp7, 16
	s_wait_kmcnt 0x0
	s_cmp_ge_u32 s24, s5
	s_cbranch_scc1 .LBB190_35
; %bb.4:
	v_and_b32_e32 v2, 0x3ff, v0
	v_bfe_u32 v3, v0, 10, 10
	s_load_b32 s4, s[0:1], 0x0
	s_lshl_b32 s2, ttmp9, 5
	v_and_b32_e32 v22, 7, v0
	s_lshl_b32 s0, ttmp7, 5
	v_lshl_add_u32 v1, v3, 4, v2
	s_and_b32 s0, s0, 0x1fffe0
	v_cmp_neq_f64_e64 s25, s[10:11], 0
	v_add_nc_u32_e32 v12, s0, v3
	v_cmp_gt_i64_e64 s33, s[8:9], 0
	v_and_b32_e32 v6, 31, v1
	v_lshrrev_b32_e32 v23, 5, v1
	v_lshrrev_b32_e32 v8, 3, v1
	v_mad_co_u64_u32 v[4:5], null, s28, v12, 0
	s_delay_alu instid0(VALU_DEP_4) | instskip(SKIP_1) | instid1(VALU_DEP_4)
	v_or_b32_e32 v0, s2, v6
	v_lshlrev_b32_e32 v7, 3, v22
	v_add_nc_u32_e32 v9, s0, v8
	v_lshlrev_b32_e32 v6, 3, v6
	v_add_nc_u32_e32 v13, 16, v12
	v_ashrrev_i32_e32 v1, 31, v0
	s_wait_kmcnt 0x0
	v_cmp_gt_i32_e64 s0, s4, v0
	v_cmp_gt_i32_e64 s1, s4, v9
	v_lshl_or_b32 v24, v23, 8, v6
	v_lshl_add_u32 v31, v3, 6, 0x800
	v_lshlrev_b64_e32 v[0:1], 3, v[0:1]
	s_delay_alu instid0(VALU_DEP_1)
	v_add_co_u32 v26, vcc_lo, s12, v0
	v_cmp_neq_f64_e64 s12, s[6:7], 0
	v_mov_b32_e32 v0, v5
	v_lshl_or_b32 v7, v8, 6, v7
	v_add_co_ci_u32_e64 v27, null, s13, v1, vcc_lo
	v_dual_mov_b32 v1, 0 :: v_dual_lshlrev_b32 v8, 3, v9
	s_delay_alu instid0(VALU_DEP_3) | instskip(SKIP_1) | instid1(VALU_DEP_3)
	v_add_nc_u32_e32 v25, 0x800, v7
	v_mad_co_u64_u32 v[6:7], null, s28, v13, 0
	v_mad_co_u64_u32 v[9:10], null, s29, v12, v[0:1]
	s_delay_alu instid0(VALU_DEP_4)
	v_add_co_u32 v28, s3, s18, v8
	v_add_nc_u32_e32 v8, s2, v2
	v_lshlrev_b32_e32 v30, 3, v2
	v_mov_b32_e32 v0, v7
	s_wait_alu 0xf1ff
	v_add_co_ci_u32_e64 v29, null, s19, 0, s3
	v_add_nc_u32_e32 v2, 16, v8
	v_cmp_le_i32_e32 vcc_lo, v12, v8
	v_mad_co_u64_u32 v[10:11], null, s29, v13, v[0:1]
	v_cmp_gt_i32_e64 s2, s4, v8
	s_delay_alu instid0(VALU_DEP_4)
	v_cmp_le_i32_e64 s3, v12, v2
	v_cmp_gt_i32_e64 s4, s4, v2
	v_mov_b32_e32 v5, v9
	v_ashrrev_i32_e32 v9, 31, v8
	s_and_b32 s13, vcc_lo, s2
	v_mov_b32_e32 v7, v10
	s_and_b32 s18, s3, s4
	v_cmp_le_i32_e32 vcc_lo, v13, v8
	v_cmp_le_i32_e64 s3, v13, v2
	v_lshlrev_b64_e32 v[4:5], 3, v[4:5]
	v_lshlrev_b64_e32 v[6:7], 3, v[6:7]
	;; [unrolled: 1-line block ×3, first 2 shown]
	v_ashrrev_i32_e32 v3, 31, v2
	s_and_b32 s19, s25, s33
	s_and_b32 s28, vcc_lo, s2
	s_and_b32 s4, s3, s4
	s_mov_b32 s25, 0
	s_branch .LBB190_6
.LBB190_5:                              ;   in Loop: Header=BB190_6 Depth=1
	s_wait_alu 0xfffe
	s_or_b32 exec_lo, exec_lo, s2
	s_add_co_i32 s24, s24, 0x10000
	s_delay_alu instid0(SALU_CYCLE_1)
	s_cmp_lt_u32 s24, s5
	s_cbranch_scc0 .LBB190_35
.LBB190_6:                              ; =>This Loop Header: Depth=1
                                        ;     Child Loop BB190_9 Depth 2
	v_mov_b32_e32 v16, 0
	v_dual_mov_b32 v12, 0 :: v_dual_mov_b32 v17, 0
	v_dual_mov_b32 v14, 0 :: v_dual_mov_b32 v13, 0
	;; [unrolled: 1-line block ×3, first 2 shown]
	v_mov_b32_e32 v11, 0
	s_wait_alu 0xfffe
	s_and_not1_b32 vcc_lo, exec_lo, s19
	s_wait_alu 0xfffe
	s_cbranch_vccnz .LBB190_15
; %bb.7:                                ;   in Loop: Header=BB190_6 Depth=1
	s_mul_u64 s[2:3], s[16:17], s[24:25]
	s_mul_u64 s[34:35], s[22:23], s[24:25]
	s_wait_alu 0xfffe
	s_lshl_b64 s[2:3], s[2:3], 3
	v_mov_b32_e32 v10, 0
	s_wait_alu 0xfffe
	v_add_co_u32 v32, vcc_lo, v26, s2
	s_wait_alu 0xfffd
	v_add_co_ci_u32_e64 v33, null, s3, v27, vcc_lo
	s_lshl_b64 s[2:3], s[34:35], 3
	v_mov_b32_e32 v14, 0
	s_wait_alu 0xfffe
	v_add_co_u32 v34, vcc_lo, v28, s2
	v_dual_mov_b32 v11, 0 :: v_dual_mov_b32 v12, 0
	v_dual_mov_b32 v15, 0 :: v_dual_mov_b32 v16, 0
	v_mov_b32_e32 v13, 0
	v_mov_b32_e32 v17, 0
	s_wait_alu 0xfffd
	v_add_co_ci_u32_e64 v35, null, s3, v29, vcc_lo
	s_mov_b64 s[2:3], 0
	s_branch .LBB190_9
.LBB190_8:                              ;   in Loop: Header=BB190_9 Depth=2
	s_wait_alu 0xfffe
	s_or_b32 exec_lo, exec_lo, s29
	s_wait_loadcnt 0x0
	ds_store_b64 v25, v[20:21]
	s_wait_dscnt 0x0
	s_barrier_signal -1
	s_barrier_wait -1
	global_inv scope:SCOPE_SE
	ds_load_b128 v[18:21], v31
	ds_load_2addr_b64 v[36:39], v30 offset1:16
	ds_load_b128 v[40:43], v31 offset:1024
	ds_load_b128 v[44:47], v31 offset:16
	;; [unrolled: 1-line block ×3, first 2 shown]
	s_add_nc_u64 s[2:3], s[2:3], 8
	s_wait_alu 0xfffe
	v_cmp_gt_i64_e64 s29, s[8:9], s[2:3]
	s_and_b32 vcc_lo, exec_lo, s29
	s_wait_dscnt 0x3
	v_fma_f64 v[16:17], v[36:37], v[18:19], v[16:17]
	v_fma_f64 v[14:15], v[38:39], v[18:19], v[14:15]
	s_wait_dscnt 0x2
	v_fma_f64 v[18:19], v[36:37], v[40:41], v[12:13]
	v_fma_f64 v[36:37], v[38:39], v[40:41], v[10:11]
	ds_load_2addr_b64 v[10:13], v30 offset0:32 offset1:48
	s_wait_dscnt 0x0
	v_fma_f64 v[16:17], v[10:11], v[20:21], v[16:17]
	v_fma_f64 v[14:15], v[12:13], v[20:21], v[14:15]
	v_fma_f64 v[18:19], v[10:11], v[42:43], v[18:19]
	v_fma_f64 v[20:21], v[12:13], v[42:43], v[36:37]
	ds_load_2addr_b64 v[10:13], v30 offset0:64 offset1:80
	s_wait_dscnt 0x0
	v_fma_f64 v[16:17], v[10:11], v[44:45], v[16:17]
	v_fma_f64 v[14:15], v[12:13], v[44:45], v[14:15]
	;; [unrolled: 6-line block ×3, first 2 shown]
	v_fma_f64 v[48:49], v[10:11], v[50:51], v[18:19]
	v_fma_f64 v[50:51], v[12:13], v[50:51], v[20:21]
	ds_load_b128 v[10:13], v31 offset:32
	ds_load_2addr_b64 v[14:17], v30 offset0:128 offset1:144
	ds_load_b128 v[18:21], v31 offset:1056
	ds_load_b128 v[36:39], v31 offset:48
	;; [unrolled: 1-line block ×3, first 2 shown]
	s_wait_dscnt 0x3
	v_fma_f64 v[44:45], v[14:15], v[10:11], v[44:45]
	v_fma_f64 v[10:11], v[16:17], v[10:11], v[46:47]
	s_wait_dscnt 0x2
	v_fma_f64 v[46:47], v[14:15], v[18:19], v[48:49]
	v_fma_f64 v[18:19], v[16:17], v[18:19], v[50:51]
	ds_load_2addr_b64 v[14:17], v30 offset0:160 offset1:176
	s_wait_dscnt 0x0
	v_fma_f64 v[44:45], v[14:15], v[12:13], v[44:45]
	v_fma_f64 v[48:49], v[16:17], v[12:13], v[10:11]
	;; [unrolled: 1-line block ×4, first 2 shown]
	ds_load_2addr_b64 v[10:13], v30 offset0:192 offset1:208
	ds_load_2addr_b64 v[18:21], v30 offset0:224 offset1:240
	s_wait_loadcnt_dscnt 0x0
	s_barrier_signal -1
	s_barrier_wait -1
	global_inv scope:SCOPE_SE
	v_fma_f64 v[44:45], v[10:11], v[36:37], v[44:45]
	v_fma_f64 v[36:37], v[12:13], v[36:37], v[48:49]
	;; [unrolled: 1-line block ×4, first 2 shown]
	s_delay_alu instid0(VALU_DEP_4) | instskip(NEXT) | instid1(VALU_DEP_4)
	v_fma_f64 v[16:17], v[18:19], v[38:39], v[44:45]
	v_fma_f64 v[14:15], v[20:21], v[38:39], v[36:37]
	s_delay_alu instid0(VALU_DEP_4) | instskip(NEXT) | instid1(VALU_DEP_4)
	v_fma_f64 v[12:13], v[18:19], v[42:43], v[10:11]
	v_fma_f64 v[10:11], v[20:21], v[42:43], v[40:41]
	s_wait_alu 0xfffe
	s_cbranch_vccz .LBB190_15
.LBB190_9:                              ;   Parent Loop BB190_6 Depth=1
                                        ; =>  This Inner Loop Header: Depth=2
	v_mov_b32_e32 v18, 0
	v_mov_b32_e32 v19, 0
	s_and_saveexec_b32 s29, s0
	s_cbranch_execz .LBB190_13
; %bb.10:                               ;   in Loop: Header=BB190_9 Depth=2
	v_mov_b32_e32 v18, 0
	s_wait_alu 0xfffe
	v_dual_mov_b32 v19, 0 :: v_dual_add_nc_u32 v0, s2, v23
	s_mov_b32 s33, exec_lo
	s_delay_alu instid0(VALU_DEP_1)
	v_cmpx_gt_u64_e64 s[8:9], v[0:1]
	s_cbranch_execz .LBB190_12
; %bb.11:                               ;   in Loop: Header=BB190_9 Depth=2
	v_mad_co_u64_u32 v[18:19], null, s14, v0, 0
	s_delay_alu instid0(VALU_DEP_1) | instskip(NEXT) | instid1(VALU_DEP_1)
	v_mad_co_u64_u32 v[19:20], null, s15, v0, v[19:20]
	v_lshlrev_b64_e32 v[18:19], 3, v[18:19]
	s_delay_alu instid0(VALU_DEP_1) | instskip(SKIP_1) | instid1(VALU_DEP_2)
	v_add_co_u32 v18, vcc_lo, v32, v18
	s_wait_alu 0xfffd
	v_add_co_ci_u32_e64 v19, null, v33, v19, vcc_lo
	global_load_b64 v[18:19], v[18:19], off
.LBB190_12:                             ;   in Loop: Header=BB190_9 Depth=2
	s_or_b32 exec_lo, exec_lo, s33
.LBB190_13:                             ;   in Loop: Header=BB190_9 Depth=2
	s_wait_alu 0xfffe
	s_or_b32 exec_lo, exec_lo, s29
	v_add_nc_u32_e32 v0, s2, v22
	v_mov_b32_e32 v20, 0
	v_mov_b32_e32 v21, 0
	s_wait_loadcnt 0x0
	ds_store_b64 v24, v[18:19]
	v_cmp_gt_u64_e32 vcc_lo, s[8:9], v[0:1]
	s_and_b32 s33, vcc_lo, s1
	s_delay_alu instid0(SALU_CYCLE_1)
	s_and_saveexec_b32 s29, s33
	s_cbranch_execz .LBB190_8
; %bb.14:                               ;   in Loop: Header=BB190_9 Depth=2
	v_mad_co_u64_u32 v[18:19], null, s20, v0, 0
	s_delay_alu instid0(VALU_DEP_1) | instskip(NEXT) | instid1(VALU_DEP_1)
	v_mad_co_u64_u32 v[19:20], null, s21, v0, v[19:20]
	v_lshlrev_b64_e32 v[18:19], 3, v[18:19]
	s_delay_alu instid0(VALU_DEP_1) | instskip(SKIP_1) | instid1(VALU_DEP_2)
	v_add_co_u32 v18, vcc_lo, v34, v18
	s_wait_alu 0xfffd
	v_add_co_ci_u32_e64 v19, null, v35, v19, vcc_lo
	global_load_b64 v[20:21], v[18:19], off
	s_branch .LBB190_8
.LBB190_15:                             ;   in Loop: Header=BB190_6 Depth=1
	s_mul_u64 s[2:3], s[30:31], s[24:25]
	s_wait_alu 0xfffe
	s_lshl_b64 s[2:3], s[2:3], 3
	s_wait_alu 0xfffe
	s_add_nc_u64 s[2:3], s[26:27], s[2:3]
	s_wait_alu 0xfffe
	v_add_co_u32 v0, vcc_lo, s2, v4
	s_wait_alu 0xfffd
	v_add_co_ci_u32_e64 v18, null, s3, v5, vcc_lo
	s_and_saveexec_b32 s29, s13
	s_cbranch_execz .LBB190_19
; %bb.16:                               ;   in Loop: Header=BB190_6 Depth=1
	v_mul_f64_e32 v[16:17], s[10:11], v[16:17]
	s_and_b32 vcc_lo, exec_lo, s12
	s_wait_alu 0xfffe
	s_cbranch_vccz .LBB190_30
; %bb.17:                               ;   in Loop: Header=BB190_6 Depth=1
	v_add_co_u32 v19, vcc_lo, v0, v8
	s_wait_alu 0xfffd
	v_add_co_ci_u32_e64 v20, null, v18, v9, vcc_lo
	global_load_b64 v[32:33], v[19:20], off
	s_wait_loadcnt 0x0
	v_fma_f64 v[32:33], s[6:7], v[32:33], v[16:17]
	global_store_b64 v[19:20], v[32:33], off
	s_cbranch_execnz .LBB190_19
.LBB190_18:                             ;   in Loop: Header=BB190_6 Depth=1
	v_add_co_u32 v19, vcc_lo, v0, v8
	s_wait_alu 0xfffd
	v_add_co_ci_u32_e64 v20, null, v18, v9, vcc_lo
	global_store_b64 v[19:20], v[16:17], off
.LBB190_19:                             ;   in Loop: Header=BB190_6 Depth=1
	s_wait_alu 0xfffe
	s_or_b32 exec_lo, exec_lo, s29
	s_and_saveexec_b32 s29, s18
	s_cbranch_execz .LBB190_23
; %bb.20:                               ;   in Loop: Header=BB190_6 Depth=1
	v_mul_f64_e32 v[14:15], s[10:11], v[14:15]
	s_and_not1_b32 vcc_lo, exec_lo, s12
	s_wait_alu 0xfffe
	s_cbranch_vccnz .LBB190_31
; %bb.21:                               ;   in Loop: Header=BB190_6 Depth=1
	v_lshlrev_b64_e32 v[16:17], 3, v[2:3]
	s_delay_alu instid0(VALU_DEP_1) | instskip(SKIP_1) | instid1(VALU_DEP_2)
	v_add_co_u32 v16, vcc_lo, v0, v16
	s_wait_alu 0xfffd
	v_add_co_ci_u32_e64 v17, null, v18, v17, vcc_lo
	global_load_b64 v[19:20], v[16:17], off
	s_wait_loadcnt 0x0
	v_fma_f64 v[19:20], s[6:7], v[19:20], v[14:15]
	global_store_b64 v[16:17], v[19:20], off
	s_cbranch_execnz .LBB190_23
.LBB190_22:                             ;   in Loop: Header=BB190_6 Depth=1
	v_lshlrev_b64_e32 v[16:17], 3, v[2:3]
	s_delay_alu instid0(VALU_DEP_1) | instskip(SKIP_1) | instid1(VALU_DEP_2)
	v_add_co_u32 v16, vcc_lo, v0, v16
	s_wait_alu 0xfffd
	v_add_co_ci_u32_e64 v17, null, v18, v17, vcc_lo
	global_store_b64 v[16:17], v[14:15], off
.LBB190_23:                             ;   in Loop: Header=BB190_6 Depth=1
	s_wait_alu 0xfffe
	s_or_b32 exec_lo, exec_lo, s29
	v_add_co_u32 v0, vcc_lo, s2, v6
	s_wait_alu 0xfffd
	v_add_co_ci_u32_e64 v14, null, s3, v7, vcc_lo
	s_and_saveexec_b32 s2, s28
	s_cbranch_execz .LBB190_27
; %bb.24:                               ;   in Loop: Header=BB190_6 Depth=1
	v_mul_f64_e32 v[12:13], s[10:11], v[12:13]
	s_and_not1_b32 vcc_lo, exec_lo, s12
	s_wait_alu 0xfffe
	s_cbranch_vccnz .LBB190_32
; %bb.25:                               ;   in Loop: Header=BB190_6 Depth=1
	v_add_co_u32 v15, vcc_lo, v0, v8
	s_wait_alu 0xfffd
	v_add_co_ci_u32_e64 v16, null, v14, v9, vcc_lo
	global_load_b64 v[17:18], v[15:16], off
	s_wait_loadcnt 0x0
	v_fma_f64 v[17:18], s[6:7], v[17:18], v[12:13]
	global_store_b64 v[15:16], v[17:18], off
	s_cbranch_execnz .LBB190_27
.LBB190_26:                             ;   in Loop: Header=BB190_6 Depth=1
	v_add_co_u32 v15, vcc_lo, v0, v8
	s_wait_alu 0xfffd
	v_add_co_ci_u32_e64 v16, null, v14, v9, vcc_lo
	global_store_b64 v[15:16], v[12:13], off
.LBB190_27:                             ;   in Loop: Header=BB190_6 Depth=1
	s_wait_alu 0xfffe
	s_or_b32 exec_lo, exec_lo, s2
	s_and_saveexec_b32 s2, s4
	s_cbranch_execz .LBB190_5
; %bb.28:                               ;   in Loop: Header=BB190_6 Depth=1
	v_mul_f64_e32 v[10:11], s[10:11], v[10:11]
	v_lshlrev_b64_e32 v[12:13], 3, v[2:3]
	s_and_not1_b32 vcc_lo, exec_lo, s12
	s_wait_alu 0xfffe
	s_cbranch_vccnz .LBB190_33
; %bb.29:                               ;   in Loop: Header=BB190_6 Depth=1
	s_delay_alu instid0(VALU_DEP_1)
	v_add_co_u32 v15, vcc_lo, v0, v12
	s_wait_alu 0xfffd
	v_add_co_ci_u32_e64 v16, null, v14, v13, vcc_lo
	global_load_b64 v[17:18], v[15:16], off
	s_wait_loadcnt 0x0
	v_fma_f64 v[17:18], s[6:7], v[17:18], v[10:11]
	global_store_b64 v[15:16], v[17:18], off
	s_cbranch_execnz .LBB190_5
	s_branch .LBB190_34
.LBB190_30:                             ;   in Loop: Header=BB190_6 Depth=1
	s_branch .LBB190_18
.LBB190_31:                             ;   in Loop: Header=BB190_6 Depth=1
	s_branch .LBB190_22
.LBB190_32:                             ;   in Loop: Header=BB190_6 Depth=1
	s_branch .LBB190_26
.LBB190_33:                             ;   in Loop: Header=BB190_6 Depth=1
.LBB190_34:                             ;   in Loop: Header=BB190_6 Depth=1
	s_delay_alu instid0(VALU_DEP_1)
	v_add_co_u32 v12, vcc_lo, v0, v12
	s_wait_alu 0xfffd
	v_add_co_ci_u32_e64 v13, null, v14, v13, vcc_lo
	global_store_b64 v[12:13], v[10:11], off
	s_branch .LBB190_5
.LBB190_35:
	s_endpgm
	.section	.rodata,"a",@progbits
	.p2align	6, 0x0
	.amdhsa_kernel _ZL29rocblas_internal_gemmt_kernelIlLi16ELi32ELi8ELc78ELc84ELc76ELb0ELb0EdPKdS1_PdEviT_T9_T10_S3_lS5_S3_lS4_T11_S3_li
		.amdhsa_group_segment_fixed_size 4096
		.amdhsa_private_segment_fixed_size 0
		.amdhsa_kernarg_size 108
		.amdhsa_user_sgpr_count 2
		.amdhsa_user_sgpr_dispatch_ptr 0
		.amdhsa_user_sgpr_queue_ptr 0
		.amdhsa_user_sgpr_kernarg_segment_ptr 1
		.amdhsa_user_sgpr_dispatch_id 0
		.amdhsa_user_sgpr_private_segment_size 0
		.amdhsa_wavefront_size32 1
		.amdhsa_uses_dynamic_stack 0
		.amdhsa_enable_private_segment 0
		.amdhsa_system_sgpr_workgroup_id_x 1
		.amdhsa_system_sgpr_workgroup_id_y 1
		.amdhsa_system_sgpr_workgroup_id_z 1
		.amdhsa_system_sgpr_workgroup_info 0
		.amdhsa_system_vgpr_workitem_id 1
		.amdhsa_next_free_vgpr 52
		.amdhsa_next_free_sgpr 36
		.amdhsa_reserve_vcc 1
		.amdhsa_float_round_mode_32 0
		.amdhsa_float_round_mode_16_64 0
		.amdhsa_float_denorm_mode_32 3
		.amdhsa_float_denorm_mode_16_64 3
		.amdhsa_fp16_overflow 0
		.amdhsa_workgroup_processor_mode 1
		.amdhsa_memory_ordered 1
		.amdhsa_forward_progress 1
		.amdhsa_inst_pref_size 16
		.amdhsa_round_robin_scheduling 0
		.amdhsa_exception_fp_ieee_invalid_op 0
		.amdhsa_exception_fp_denorm_src 0
		.amdhsa_exception_fp_ieee_div_zero 0
		.amdhsa_exception_fp_ieee_overflow 0
		.amdhsa_exception_fp_ieee_underflow 0
		.amdhsa_exception_fp_ieee_inexact 0
		.amdhsa_exception_int_div_zero 0
	.end_amdhsa_kernel
	.section	.text._ZL29rocblas_internal_gemmt_kernelIlLi16ELi32ELi8ELc78ELc84ELc76ELb0ELb0EdPKdS1_PdEviT_T9_T10_S3_lS5_S3_lS4_T11_S3_li,"axG",@progbits,_ZL29rocblas_internal_gemmt_kernelIlLi16ELi32ELi8ELc78ELc84ELc76ELb0ELb0EdPKdS1_PdEviT_T9_T10_S3_lS5_S3_lS4_T11_S3_li,comdat
.Lfunc_end190:
	.size	_ZL29rocblas_internal_gemmt_kernelIlLi16ELi32ELi8ELc78ELc84ELc76ELb0ELb0EdPKdS1_PdEviT_T9_T10_S3_lS5_S3_lS4_T11_S3_li, .Lfunc_end190-_ZL29rocblas_internal_gemmt_kernelIlLi16ELi32ELi8ELc78ELc84ELc76ELb0ELb0EdPKdS1_PdEviT_T9_T10_S3_lS5_S3_lS4_T11_S3_li
                                        ; -- End function
	.set _ZL29rocblas_internal_gemmt_kernelIlLi16ELi32ELi8ELc78ELc84ELc76ELb0ELb0EdPKdS1_PdEviT_T9_T10_S3_lS5_S3_lS4_T11_S3_li.num_vgpr, 52
	.set _ZL29rocblas_internal_gemmt_kernelIlLi16ELi32ELi8ELc78ELc84ELc76ELb0ELb0EdPKdS1_PdEviT_T9_T10_S3_lS5_S3_lS4_T11_S3_li.num_agpr, 0
	.set _ZL29rocblas_internal_gemmt_kernelIlLi16ELi32ELi8ELc78ELc84ELc76ELb0ELb0EdPKdS1_PdEviT_T9_T10_S3_lS5_S3_lS4_T11_S3_li.numbered_sgpr, 36
	.set _ZL29rocblas_internal_gemmt_kernelIlLi16ELi32ELi8ELc78ELc84ELc76ELb0ELb0EdPKdS1_PdEviT_T9_T10_S3_lS5_S3_lS4_T11_S3_li.num_named_barrier, 0
	.set _ZL29rocblas_internal_gemmt_kernelIlLi16ELi32ELi8ELc78ELc84ELc76ELb0ELb0EdPKdS1_PdEviT_T9_T10_S3_lS5_S3_lS4_T11_S3_li.private_seg_size, 0
	.set _ZL29rocblas_internal_gemmt_kernelIlLi16ELi32ELi8ELc78ELc84ELc76ELb0ELb0EdPKdS1_PdEviT_T9_T10_S3_lS5_S3_lS4_T11_S3_li.uses_vcc, 1
	.set _ZL29rocblas_internal_gemmt_kernelIlLi16ELi32ELi8ELc78ELc84ELc76ELb0ELb0EdPKdS1_PdEviT_T9_T10_S3_lS5_S3_lS4_T11_S3_li.uses_flat_scratch, 0
	.set _ZL29rocblas_internal_gemmt_kernelIlLi16ELi32ELi8ELc78ELc84ELc76ELb0ELb0EdPKdS1_PdEviT_T9_T10_S3_lS5_S3_lS4_T11_S3_li.has_dyn_sized_stack, 0
	.set _ZL29rocblas_internal_gemmt_kernelIlLi16ELi32ELi8ELc78ELc84ELc76ELb0ELb0EdPKdS1_PdEviT_T9_T10_S3_lS5_S3_lS4_T11_S3_li.has_recursion, 0
	.set _ZL29rocblas_internal_gemmt_kernelIlLi16ELi32ELi8ELc78ELc84ELc76ELb0ELb0EdPKdS1_PdEviT_T9_T10_S3_lS5_S3_lS4_T11_S3_li.has_indirect_call, 0
	.section	.AMDGPU.csdata,"",@progbits
; Kernel info:
; codeLenInByte = 2048
; TotalNumSgprs: 38
; NumVgprs: 52
; ScratchSize: 0
; MemoryBound: 0
; FloatMode: 240
; IeeeMode: 1
; LDSByteSize: 4096 bytes/workgroup (compile time only)
; SGPRBlocks: 0
; VGPRBlocks: 6
; NumSGPRsForWavesPerEU: 38
; NumVGPRsForWavesPerEU: 52
; Occupancy: 16
; WaveLimiterHint : 0
; COMPUTE_PGM_RSRC2:SCRATCH_EN: 0
; COMPUTE_PGM_RSRC2:USER_SGPR: 2
; COMPUTE_PGM_RSRC2:TRAP_HANDLER: 0
; COMPUTE_PGM_RSRC2:TGID_X_EN: 1
; COMPUTE_PGM_RSRC2:TGID_Y_EN: 1
; COMPUTE_PGM_RSRC2:TGID_Z_EN: 1
; COMPUTE_PGM_RSRC2:TIDIG_COMP_CNT: 1
	.section	.text._ZL29rocblas_internal_gemmt_kernelIlLi16ELi32ELi8ELc78ELc67ELc76ELb0ELb0EdPKdS1_PdEviT_T9_T10_S3_lS5_S3_lS4_T11_S3_li,"axG",@progbits,_ZL29rocblas_internal_gemmt_kernelIlLi16ELi32ELi8ELc78ELc67ELc76ELb0ELb0EdPKdS1_PdEviT_T9_T10_S3_lS5_S3_lS4_T11_S3_li,comdat
	.globl	_ZL29rocblas_internal_gemmt_kernelIlLi16ELi32ELi8ELc78ELc67ELc76ELb0ELb0EdPKdS1_PdEviT_T9_T10_S3_lS5_S3_lS4_T11_S3_li ; -- Begin function _ZL29rocblas_internal_gemmt_kernelIlLi16ELi32ELi8ELc78ELc67ELc76ELb0ELb0EdPKdS1_PdEviT_T9_T10_S3_lS5_S3_lS4_T11_S3_li
	.p2align	8
	.type	_ZL29rocblas_internal_gemmt_kernelIlLi16ELi32ELi8ELc78ELc67ELc76ELb0ELb0EdPKdS1_PdEviT_T9_T10_S3_lS5_S3_lS4_T11_S3_li,@function
_ZL29rocblas_internal_gemmt_kernelIlLi16ELi32ELi8ELc78ELc67ELc76ELb0ELb0EdPKdS1_PdEviT_T9_T10_S3_lS5_S3_lS4_T11_S3_li: ; @_ZL29rocblas_internal_gemmt_kernelIlLi16ELi32ELi8ELc78ELc67ELc76ELb0ELb0EdPKdS1_PdEviT_T9_T10_S3_lS5_S3_lS4_T11_S3_li
; %bb.0:
	s_clause 0x1
	s_load_b256 s[24:31], s[0:1], 0x48
	s_load_b512 s[8:23], s[0:1], 0x8
	s_wait_kmcnt 0x0
	s_load_b64 s[6:7], s[24:25], 0x0
	s_load_b64 s[10:11], s[10:11], 0x0
	s_wait_kmcnt 0x0
	v_cmp_neq_f64_e64 s2, s[6:7], 1.0
	s_and_b32 vcc_lo, exec_lo, s2
	s_cbranch_vccnz .LBB191_2
; %bb.1:
	v_cmp_neq_f64_e64 s2, s[10:11], 0
	s_cmp_lg_u64 s[8:9], 0
	s_cselect_b32 s3, -1, 0
	s_delay_alu instid0(SALU_CYCLE_1)
	s_and_b32 s2, s3, s2
.LBB191_2:
	s_delay_alu instid0(SALU_CYCLE_1)
	s_and_not1_b32 vcc_lo, exec_lo, s2
	s_cbranch_vccnz .LBB191_35
; %bb.3:
	s_load_b32 s5, s[0:1], 0x68
	s_lshr_b32 s24, ttmp7, 16
	s_wait_kmcnt 0x0
	s_cmp_ge_u32 s24, s5
	s_cbranch_scc1 .LBB191_35
; %bb.4:
	v_and_b32_e32 v2, 0x3ff, v0
	v_bfe_u32 v3, v0, 10, 10
	s_load_b32 s4, s[0:1], 0x0
	s_lshl_b32 s2, ttmp9, 5
	v_and_b32_e32 v22, 7, v0
	s_lshl_b32 s0, ttmp7, 5
	v_lshl_add_u32 v1, v3, 4, v2
	s_and_b32 s0, s0, 0x1fffe0
	v_cmp_neq_f64_e64 s25, s[10:11], 0
	v_add_nc_u32_e32 v12, s0, v3
	v_cmp_gt_i64_e64 s33, s[8:9], 0
	v_and_b32_e32 v6, 31, v1
	v_lshrrev_b32_e32 v23, 5, v1
	v_lshrrev_b32_e32 v8, 3, v1
	v_mad_co_u64_u32 v[4:5], null, s28, v12, 0
	s_delay_alu instid0(VALU_DEP_4) | instskip(SKIP_1) | instid1(VALU_DEP_4)
	v_or_b32_e32 v0, s2, v6
	v_lshlrev_b32_e32 v7, 3, v22
	v_add_nc_u32_e32 v9, s0, v8
	v_lshlrev_b32_e32 v6, 3, v6
	v_add_nc_u32_e32 v13, 16, v12
	v_ashrrev_i32_e32 v1, 31, v0
	s_wait_kmcnt 0x0
	v_cmp_gt_i32_e64 s0, s4, v0
	v_cmp_gt_i32_e64 s1, s4, v9
	v_lshl_or_b32 v24, v23, 8, v6
	v_lshl_add_u32 v31, v3, 6, 0x800
	v_lshlrev_b64_e32 v[0:1], 3, v[0:1]
	s_delay_alu instid0(VALU_DEP_1)
	v_add_co_u32 v26, vcc_lo, s12, v0
	v_cmp_neq_f64_e64 s12, s[6:7], 0
	v_mov_b32_e32 v0, v5
	v_lshl_or_b32 v7, v8, 6, v7
	v_add_co_ci_u32_e64 v27, null, s13, v1, vcc_lo
	v_dual_mov_b32 v1, 0 :: v_dual_lshlrev_b32 v8, 3, v9
	s_delay_alu instid0(VALU_DEP_3) | instskip(SKIP_1) | instid1(VALU_DEP_3)
	v_add_nc_u32_e32 v25, 0x800, v7
	v_mad_co_u64_u32 v[6:7], null, s28, v13, 0
	v_mad_co_u64_u32 v[9:10], null, s29, v12, v[0:1]
	s_delay_alu instid0(VALU_DEP_4)
	v_add_co_u32 v28, s3, s18, v8
	v_add_nc_u32_e32 v8, s2, v2
	v_lshlrev_b32_e32 v30, 3, v2
	v_mov_b32_e32 v0, v7
	s_wait_alu 0xf1ff
	v_add_co_ci_u32_e64 v29, null, s19, 0, s3
	v_add_nc_u32_e32 v2, 16, v8
	v_cmp_le_i32_e32 vcc_lo, v12, v8
	v_mad_co_u64_u32 v[10:11], null, s29, v13, v[0:1]
	v_cmp_gt_i32_e64 s2, s4, v8
	s_delay_alu instid0(VALU_DEP_4)
	v_cmp_le_i32_e64 s3, v12, v2
	v_cmp_gt_i32_e64 s4, s4, v2
	v_mov_b32_e32 v5, v9
	v_ashrrev_i32_e32 v9, 31, v8
	s_and_b32 s13, vcc_lo, s2
	v_mov_b32_e32 v7, v10
	s_and_b32 s18, s3, s4
	v_cmp_le_i32_e32 vcc_lo, v13, v8
	v_cmp_le_i32_e64 s3, v13, v2
	v_lshlrev_b64_e32 v[4:5], 3, v[4:5]
	v_lshlrev_b64_e32 v[6:7], 3, v[6:7]
	;; [unrolled: 1-line block ×3, first 2 shown]
	v_ashrrev_i32_e32 v3, 31, v2
	s_and_b32 s19, s25, s33
	s_and_b32 s28, vcc_lo, s2
	s_and_b32 s4, s3, s4
	s_mov_b32 s25, 0
	s_branch .LBB191_6
.LBB191_5:                              ;   in Loop: Header=BB191_6 Depth=1
	s_wait_alu 0xfffe
	s_or_b32 exec_lo, exec_lo, s2
	s_add_co_i32 s24, s24, 0x10000
	s_delay_alu instid0(SALU_CYCLE_1)
	s_cmp_lt_u32 s24, s5
	s_cbranch_scc0 .LBB191_35
.LBB191_6:                              ; =>This Loop Header: Depth=1
                                        ;     Child Loop BB191_9 Depth 2
	v_mov_b32_e32 v16, 0
	v_dual_mov_b32 v12, 0 :: v_dual_mov_b32 v17, 0
	v_dual_mov_b32 v14, 0 :: v_dual_mov_b32 v13, 0
	;; [unrolled: 1-line block ×3, first 2 shown]
	v_mov_b32_e32 v11, 0
	s_wait_alu 0xfffe
	s_and_not1_b32 vcc_lo, exec_lo, s19
	s_wait_alu 0xfffe
	s_cbranch_vccnz .LBB191_15
; %bb.7:                                ;   in Loop: Header=BB191_6 Depth=1
	s_mul_u64 s[2:3], s[16:17], s[24:25]
	s_mul_u64 s[34:35], s[22:23], s[24:25]
	s_wait_alu 0xfffe
	s_lshl_b64 s[2:3], s[2:3], 3
	v_mov_b32_e32 v10, 0
	s_wait_alu 0xfffe
	v_add_co_u32 v32, vcc_lo, v26, s2
	s_wait_alu 0xfffd
	v_add_co_ci_u32_e64 v33, null, s3, v27, vcc_lo
	s_lshl_b64 s[2:3], s[34:35], 3
	v_mov_b32_e32 v14, 0
	s_wait_alu 0xfffe
	v_add_co_u32 v34, vcc_lo, v28, s2
	v_dual_mov_b32 v11, 0 :: v_dual_mov_b32 v12, 0
	v_dual_mov_b32 v15, 0 :: v_dual_mov_b32 v16, 0
	v_mov_b32_e32 v13, 0
	v_mov_b32_e32 v17, 0
	s_wait_alu 0xfffd
	v_add_co_ci_u32_e64 v35, null, s3, v29, vcc_lo
	s_mov_b64 s[2:3], 0
	s_branch .LBB191_9
.LBB191_8:                              ;   in Loop: Header=BB191_9 Depth=2
	s_wait_alu 0xfffe
	s_or_b32 exec_lo, exec_lo, s29
	s_wait_loadcnt 0x0
	ds_store_b64 v25, v[20:21]
	s_wait_dscnt 0x0
	s_barrier_signal -1
	s_barrier_wait -1
	global_inv scope:SCOPE_SE
	ds_load_b128 v[18:21], v31
	ds_load_2addr_b64 v[36:39], v30 offset1:16
	ds_load_b128 v[40:43], v31 offset:1024
	ds_load_b128 v[44:47], v31 offset:16
	;; [unrolled: 1-line block ×3, first 2 shown]
	s_add_nc_u64 s[2:3], s[2:3], 8
	s_wait_alu 0xfffe
	v_cmp_gt_i64_e64 s29, s[8:9], s[2:3]
	s_and_b32 vcc_lo, exec_lo, s29
	s_wait_dscnt 0x3
	v_fma_f64 v[16:17], v[36:37], v[18:19], v[16:17]
	v_fma_f64 v[14:15], v[38:39], v[18:19], v[14:15]
	s_wait_dscnt 0x2
	v_fma_f64 v[18:19], v[36:37], v[40:41], v[12:13]
	v_fma_f64 v[36:37], v[38:39], v[40:41], v[10:11]
	ds_load_2addr_b64 v[10:13], v30 offset0:32 offset1:48
	s_wait_dscnt 0x0
	v_fma_f64 v[16:17], v[10:11], v[20:21], v[16:17]
	v_fma_f64 v[14:15], v[12:13], v[20:21], v[14:15]
	v_fma_f64 v[18:19], v[10:11], v[42:43], v[18:19]
	v_fma_f64 v[20:21], v[12:13], v[42:43], v[36:37]
	ds_load_2addr_b64 v[10:13], v30 offset0:64 offset1:80
	s_wait_dscnt 0x0
	v_fma_f64 v[16:17], v[10:11], v[44:45], v[16:17]
	v_fma_f64 v[14:15], v[12:13], v[44:45], v[14:15]
	;; [unrolled: 6-line block ×3, first 2 shown]
	v_fma_f64 v[48:49], v[10:11], v[50:51], v[18:19]
	v_fma_f64 v[50:51], v[12:13], v[50:51], v[20:21]
	ds_load_b128 v[10:13], v31 offset:32
	ds_load_2addr_b64 v[14:17], v30 offset0:128 offset1:144
	ds_load_b128 v[18:21], v31 offset:1056
	ds_load_b128 v[36:39], v31 offset:48
	;; [unrolled: 1-line block ×3, first 2 shown]
	s_wait_dscnt 0x3
	v_fma_f64 v[44:45], v[14:15], v[10:11], v[44:45]
	v_fma_f64 v[10:11], v[16:17], v[10:11], v[46:47]
	s_wait_dscnt 0x2
	v_fma_f64 v[46:47], v[14:15], v[18:19], v[48:49]
	v_fma_f64 v[18:19], v[16:17], v[18:19], v[50:51]
	ds_load_2addr_b64 v[14:17], v30 offset0:160 offset1:176
	s_wait_dscnt 0x0
	v_fma_f64 v[44:45], v[14:15], v[12:13], v[44:45]
	v_fma_f64 v[48:49], v[16:17], v[12:13], v[10:11]
	;; [unrolled: 1-line block ×4, first 2 shown]
	ds_load_2addr_b64 v[10:13], v30 offset0:192 offset1:208
	ds_load_2addr_b64 v[18:21], v30 offset0:224 offset1:240
	s_wait_loadcnt_dscnt 0x0
	s_barrier_signal -1
	s_barrier_wait -1
	global_inv scope:SCOPE_SE
	v_fma_f64 v[44:45], v[10:11], v[36:37], v[44:45]
	v_fma_f64 v[36:37], v[12:13], v[36:37], v[48:49]
	;; [unrolled: 1-line block ×4, first 2 shown]
	s_delay_alu instid0(VALU_DEP_4) | instskip(NEXT) | instid1(VALU_DEP_4)
	v_fma_f64 v[16:17], v[18:19], v[38:39], v[44:45]
	v_fma_f64 v[14:15], v[20:21], v[38:39], v[36:37]
	s_delay_alu instid0(VALU_DEP_4) | instskip(NEXT) | instid1(VALU_DEP_4)
	v_fma_f64 v[12:13], v[18:19], v[42:43], v[10:11]
	v_fma_f64 v[10:11], v[20:21], v[42:43], v[40:41]
	s_wait_alu 0xfffe
	s_cbranch_vccz .LBB191_15
.LBB191_9:                              ;   Parent Loop BB191_6 Depth=1
                                        ; =>  This Inner Loop Header: Depth=2
	v_mov_b32_e32 v18, 0
	v_mov_b32_e32 v19, 0
	s_and_saveexec_b32 s29, s0
	s_cbranch_execz .LBB191_13
; %bb.10:                               ;   in Loop: Header=BB191_9 Depth=2
	v_mov_b32_e32 v18, 0
	s_wait_alu 0xfffe
	v_dual_mov_b32 v19, 0 :: v_dual_add_nc_u32 v0, s2, v23
	s_mov_b32 s33, exec_lo
	s_delay_alu instid0(VALU_DEP_1)
	v_cmpx_gt_u64_e64 s[8:9], v[0:1]
	s_cbranch_execz .LBB191_12
; %bb.11:                               ;   in Loop: Header=BB191_9 Depth=2
	v_mad_co_u64_u32 v[18:19], null, s14, v0, 0
	s_delay_alu instid0(VALU_DEP_1) | instskip(NEXT) | instid1(VALU_DEP_1)
	v_mad_co_u64_u32 v[19:20], null, s15, v0, v[19:20]
	v_lshlrev_b64_e32 v[18:19], 3, v[18:19]
	s_delay_alu instid0(VALU_DEP_1) | instskip(SKIP_1) | instid1(VALU_DEP_2)
	v_add_co_u32 v18, vcc_lo, v32, v18
	s_wait_alu 0xfffd
	v_add_co_ci_u32_e64 v19, null, v33, v19, vcc_lo
	global_load_b64 v[18:19], v[18:19], off
.LBB191_12:                             ;   in Loop: Header=BB191_9 Depth=2
	s_or_b32 exec_lo, exec_lo, s33
.LBB191_13:                             ;   in Loop: Header=BB191_9 Depth=2
	s_wait_alu 0xfffe
	s_or_b32 exec_lo, exec_lo, s29
	v_add_nc_u32_e32 v0, s2, v22
	v_mov_b32_e32 v20, 0
	v_mov_b32_e32 v21, 0
	s_wait_loadcnt 0x0
	ds_store_b64 v24, v[18:19]
	v_cmp_gt_u64_e32 vcc_lo, s[8:9], v[0:1]
	s_and_b32 s33, vcc_lo, s1
	s_delay_alu instid0(SALU_CYCLE_1)
	s_and_saveexec_b32 s29, s33
	s_cbranch_execz .LBB191_8
; %bb.14:                               ;   in Loop: Header=BB191_9 Depth=2
	v_mad_co_u64_u32 v[18:19], null, s20, v0, 0
	s_delay_alu instid0(VALU_DEP_1) | instskip(NEXT) | instid1(VALU_DEP_1)
	v_mad_co_u64_u32 v[19:20], null, s21, v0, v[19:20]
	v_lshlrev_b64_e32 v[18:19], 3, v[18:19]
	s_delay_alu instid0(VALU_DEP_1) | instskip(SKIP_1) | instid1(VALU_DEP_2)
	v_add_co_u32 v18, vcc_lo, v34, v18
	s_wait_alu 0xfffd
	v_add_co_ci_u32_e64 v19, null, v35, v19, vcc_lo
	global_load_b64 v[20:21], v[18:19], off
	s_branch .LBB191_8
.LBB191_15:                             ;   in Loop: Header=BB191_6 Depth=1
	s_mul_u64 s[2:3], s[30:31], s[24:25]
	s_wait_alu 0xfffe
	s_lshl_b64 s[2:3], s[2:3], 3
	s_wait_alu 0xfffe
	s_add_nc_u64 s[2:3], s[26:27], s[2:3]
	s_wait_alu 0xfffe
	v_add_co_u32 v0, vcc_lo, s2, v4
	s_wait_alu 0xfffd
	v_add_co_ci_u32_e64 v18, null, s3, v5, vcc_lo
	s_and_saveexec_b32 s29, s13
	s_cbranch_execz .LBB191_19
; %bb.16:                               ;   in Loop: Header=BB191_6 Depth=1
	v_mul_f64_e32 v[16:17], s[10:11], v[16:17]
	s_and_b32 vcc_lo, exec_lo, s12
	s_wait_alu 0xfffe
	s_cbranch_vccz .LBB191_30
; %bb.17:                               ;   in Loop: Header=BB191_6 Depth=1
	v_add_co_u32 v19, vcc_lo, v0, v8
	s_wait_alu 0xfffd
	v_add_co_ci_u32_e64 v20, null, v18, v9, vcc_lo
	global_load_b64 v[32:33], v[19:20], off
	s_wait_loadcnt 0x0
	v_fma_f64 v[32:33], s[6:7], v[32:33], v[16:17]
	global_store_b64 v[19:20], v[32:33], off
	s_cbranch_execnz .LBB191_19
.LBB191_18:                             ;   in Loop: Header=BB191_6 Depth=1
	v_add_co_u32 v19, vcc_lo, v0, v8
	s_wait_alu 0xfffd
	v_add_co_ci_u32_e64 v20, null, v18, v9, vcc_lo
	global_store_b64 v[19:20], v[16:17], off
.LBB191_19:                             ;   in Loop: Header=BB191_6 Depth=1
	s_wait_alu 0xfffe
	s_or_b32 exec_lo, exec_lo, s29
	s_and_saveexec_b32 s29, s18
	s_cbranch_execz .LBB191_23
; %bb.20:                               ;   in Loop: Header=BB191_6 Depth=1
	v_mul_f64_e32 v[14:15], s[10:11], v[14:15]
	s_and_not1_b32 vcc_lo, exec_lo, s12
	s_wait_alu 0xfffe
	s_cbranch_vccnz .LBB191_31
; %bb.21:                               ;   in Loop: Header=BB191_6 Depth=1
	v_lshlrev_b64_e32 v[16:17], 3, v[2:3]
	s_delay_alu instid0(VALU_DEP_1) | instskip(SKIP_1) | instid1(VALU_DEP_2)
	v_add_co_u32 v16, vcc_lo, v0, v16
	s_wait_alu 0xfffd
	v_add_co_ci_u32_e64 v17, null, v18, v17, vcc_lo
	global_load_b64 v[19:20], v[16:17], off
	s_wait_loadcnt 0x0
	v_fma_f64 v[19:20], s[6:7], v[19:20], v[14:15]
	global_store_b64 v[16:17], v[19:20], off
	s_cbranch_execnz .LBB191_23
.LBB191_22:                             ;   in Loop: Header=BB191_6 Depth=1
	v_lshlrev_b64_e32 v[16:17], 3, v[2:3]
	s_delay_alu instid0(VALU_DEP_1) | instskip(SKIP_1) | instid1(VALU_DEP_2)
	v_add_co_u32 v16, vcc_lo, v0, v16
	s_wait_alu 0xfffd
	v_add_co_ci_u32_e64 v17, null, v18, v17, vcc_lo
	global_store_b64 v[16:17], v[14:15], off
.LBB191_23:                             ;   in Loop: Header=BB191_6 Depth=1
	s_wait_alu 0xfffe
	s_or_b32 exec_lo, exec_lo, s29
	v_add_co_u32 v0, vcc_lo, s2, v6
	s_wait_alu 0xfffd
	v_add_co_ci_u32_e64 v14, null, s3, v7, vcc_lo
	s_and_saveexec_b32 s2, s28
	s_cbranch_execz .LBB191_27
; %bb.24:                               ;   in Loop: Header=BB191_6 Depth=1
	v_mul_f64_e32 v[12:13], s[10:11], v[12:13]
	s_and_not1_b32 vcc_lo, exec_lo, s12
	s_wait_alu 0xfffe
	s_cbranch_vccnz .LBB191_32
; %bb.25:                               ;   in Loop: Header=BB191_6 Depth=1
	v_add_co_u32 v15, vcc_lo, v0, v8
	s_wait_alu 0xfffd
	v_add_co_ci_u32_e64 v16, null, v14, v9, vcc_lo
	global_load_b64 v[17:18], v[15:16], off
	s_wait_loadcnt 0x0
	v_fma_f64 v[17:18], s[6:7], v[17:18], v[12:13]
	global_store_b64 v[15:16], v[17:18], off
	s_cbranch_execnz .LBB191_27
.LBB191_26:                             ;   in Loop: Header=BB191_6 Depth=1
	v_add_co_u32 v15, vcc_lo, v0, v8
	s_wait_alu 0xfffd
	v_add_co_ci_u32_e64 v16, null, v14, v9, vcc_lo
	global_store_b64 v[15:16], v[12:13], off
.LBB191_27:                             ;   in Loop: Header=BB191_6 Depth=1
	s_wait_alu 0xfffe
	s_or_b32 exec_lo, exec_lo, s2
	s_and_saveexec_b32 s2, s4
	s_cbranch_execz .LBB191_5
; %bb.28:                               ;   in Loop: Header=BB191_6 Depth=1
	v_mul_f64_e32 v[10:11], s[10:11], v[10:11]
	v_lshlrev_b64_e32 v[12:13], 3, v[2:3]
	s_and_not1_b32 vcc_lo, exec_lo, s12
	s_wait_alu 0xfffe
	s_cbranch_vccnz .LBB191_33
; %bb.29:                               ;   in Loop: Header=BB191_6 Depth=1
	s_delay_alu instid0(VALU_DEP_1)
	v_add_co_u32 v15, vcc_lo, v0, v12
	s_wait_alu 0xfffd
	v_add_co_ci_u32_e64 v16, null, v14, v13, vcc_lo
	global_load_b64 v[17:18], v[15:16], off
	s_wait_loadcnt 0x0
	v_fma_f64 v[17:18], s[6:7], v[17:18], v[10:11]
	global_store_b64 v[15:16], v[17:18], off
	s_cbranch_execnz .LBB191_5
	s_branch .LBB191_34
.LBB191_30:                             ;   in Loop: Header=BB191_6 Depth=1
	s_branch .LBB191_18
.LBB191_31:                             ;   in Loop: Header=BB191_6 Depth=1
	s_branch .LBB191_22
.LBB191_32:                             ;   in Loop: Header=BB191_6 Depth=1
	s_branch .LBB191_26
.LBB191_33:                             ;   in Loop: Header=BB191_6 Depth=1
.LBB191_34:                             ;   in Loop: Header=BB191_6 Depth=1
	s_delay_alu instid0(VALU_DEP_1)
	v_add_co_u32 v12, vcc_lo, v0, v12
	s_wait_alu 0xfffd
	v_add_co_ci_u32_e64 v13, null, v14, v13, vcc_lo
	global_store_b64 v[12:13], v[10:11], off
	s_branch .LBB191_5
.LBB191_35:
	s_endpgm
	.section	.rodata,"a",@progbits
	.p2align	6, 0x0
	.amdhsa_kernel _ZL29rocblas_internal_gemmt_kernelIlLi16ELi32ELi8ELc78ELc67ELc76ELb0ELb0EdPKdS1_PdEviT_T9_T10_S3_lS5_S3_lS4_T11_S3_li
		.amdhsa_group_segment_fixed_size 4096
		.amdhsa_private_segment_fixed_size 0
		.amdhsa_kernarg_size 108
		.amdhsa_user_sgpr_count 2
		.amdhsa_user_sgpr_dispatch_ptr 0
		.amdhsa_user_sgpr_queue_ptr 0
		.amdhsa_user_sgpr_kernarg_segment_ptr 1
		.amdhsa_user_sgpr_dispatch_id 0
		.amdhsa_user_sgpr_private_segment_size 0
		.amdhsa_wavefront_size32 1
		.amdhsa_uses_dynamic_stack 0
		.amdhsa_enable_private_segment 0
		.amdhsa_system_sgpr_workgroup_id_x 1
		.amdhsa_system_sgpr_workgroup_id_y 1
		.amdhsa_system_sgpr_workgroup_id_z 1
		.amdhsa_system_sgpr_workgroup_info 0
		.amdhsa_system_vgpr_workitem_id 1
		.amdhsa_next_free_vgpr 52
		.amdhsa_next_free_sgpr 36
		.amdhsa_reserve_vcc 1
		.amdhsa_float_round_mode_32 0
		.amdhsa_float_round_mode_16_64 0
		.amdhsa_float_denorm_mode_32 3
		.amdhsa_float_denorm_mode_16_64 3
		.amdhsa_fp16_overflow 0
		.amdhsa_workgroup_processor_mode 1
		.amdhsa_memory_ordered 1
		.amdhsa_forward_progress 1
		.amdhsa_inst_pref_size 16
		.amdhsa_round_robin_scheduling 0
		.amdhsa_exception_fp_ieee_invalid_op 0
		.amdhsa_exception_fp_denorm_src 0
		.amdhsa_exception_fp_ieee_div_zero 0
		.amdhsa_exception_fp_ieee_overflow 0
		.amdhsa_exception_fp_ieee_underflow 0
		.amdhsa_exception_fp_ieee_inexact 0
		.amdhsa_exception_int_div_zero 0
	.end_amdhsa_kernel
	.section	.text._ZL29rocblas_internal_gemmt_kernelIlLi16ELi32ELi8ELc78ELc67ELc76ELb0ELb0EdPKdS1_PdEviT_T9_T10_S3_lS5_S3_lS4_T11_S3_li,"axG",@progbits,_ZL29rocblas_internal_gemmt_kernelIlLi16ELi32ELi8ELc78ELc67ELc76ELb0ELb0EdPKdS1_PdEviT_T9_T10_S3_lS5_S3_lS4_T11_S3_li,comdat
.Lfunc_end191:
	.size	_ZL29rocblas_internal_gemmt_kernelIlLi16ELi32ELi8ELc78ELc67ELc76ELb0ELb0EdPKdS1_PdEviT_T9_T10_S3_lS5_S3_lS4_T11_S3_li, .Lfunc_end191-_ZL29rocblas_internal_gemmt_kernelIlLi16ELi32ELi8ELc78ELc67ELc76ELb0ELb0EdPKdS1_PdEviT_T9_T10_S3_lS5_S3_lS4_T11_S3_li
                                        ; -- End function
	.set _ZL29rocblas_internal_gemmt_kernelIlLi16ELi32ELi8ELc78ELc67ELc76ELb0ELb0EdPKdS1_PdEviT_T9_T10_S3_lS5_S3_lS4_T11_S3_li.num_vgpr, 52
	.set _ZL29rocblas_internal_gemmt_kernelIlLi16ELi32ELi8ELc78ELc67ELc76ELb0ELb0EdPKdS1_PdEviT_T9_T10_S3_lS5_S3_lS4_T11_S3_li.num_agpr, 0
	.set _ZL29rocblas_internal_gemmt_kernelIlLi16ELi32ELi8ELc78ELc67ELc76ELb0ELb0EdPKdS1_PdEviT_T9_T10_S3_lS5_S3_lS4_T11_S3_li.numbered_sgpr, 36
	.set _ZL29rocblas_internal_gemmt_kernelIlLi16ELi32ELi8ELc78ELc67ELc76ELb0ELb0EdPKdS1_PdEviT_T9_T10_S3_lS5_S3_lS4_T11_S3_li.num_named_barrier, 0
	.set _ZL29rocblas_internal_gemmt_kernelIlLi16ELi32ELi8ELc78ELc67ELc76ELb0ELb0EdPKdS1_PdEviT_T9_T10_S3_lS5_S3_lS4_T11_S3_li.private_seg_size, 0
	.set _ZL29rocblas_internal_gemmt_kernelIlLi16ELi32ELi8ELc78ELc67ELc76ELb0ELb0EdPKdS1_PdEviT_T9_T10_S3_lS5_S3_lS4_T11_S3_li.uses_vcc, 1
	.set _ZL29rocblas_internal_gemmt_kernelIlLi16ELi32ELi8ELc78ELc67ELc76ELb0ELb0EdPKdS1_PdEviT_T9_T10_S3_lS5_S3_lS4_T11_S3_li.uses_flat_scratch, 0
	.set _ZL29rocblas_internal_gemmt_kernelIlLi16ELi32ELi8ELc78ELc67ELc76ELb0ELb0EdPKdS1_PdEviT_T9_T10_S3_lS5_S3_lS4_T11_S3_li.has_dyn_sized_stack, 0
	.set _ZL29rocblas_internal_gemmt_kernelIlLi16ELi32ELi8ELc78ELc67ELc76ELb0ELb0EdPKdS1_PdEviT_T9_T10_S3_lS5_S3_lS4_T11_S3_li.has_recursion, 0
	.set _ZL29rocblas_internal_gemmt_kernelIlLi16ELi32ELi8ELc78ELc67ELc76ELb0ELb0EdPKdS1_PdEviT_T9_T10_S3_lS5_S3_lS4_T11_S3_li.has_indirect_call, 0
	.section	.AMDGPU.csdata,"",@progbits
; Kernel info:
; codeLenInByte = 2048
; TotalNumSgprs: 38
; NumVgprs: 52
; ScratchSize: 0
; MemoryBound: 0
; FloatMode: 240
; IeeeMode: 1
; LDSByteSize: 4096 bytes/workgroup (compile time only)
; SGPRBlocks: 0
; VGPRBlocks: 6
; NumSGPRsForWavesPerEU: 38
; NumVGPRsForWavesPerEU: 52
; Occupancy: 16
; WaveLimiterHint : 0
; COMPUTE_PGM_RSRC2:SCRATCH_EN: 0
; COMPUTE_PGM_RSRC2:USER_SGPR: 2
; COMPUTE_PGM_RSRC2:TRAP_HANDLER: 0
; COMPUTE_PGM_RSRC2:TGID_X_EN: 1
; COMPUTE_PGM_RSRC2:TGID_Y_EN: 1
; COMPUTE_PGM_RSRC2:TGID_Z_EN: 1
; COMPUTE_PGM_RSRC2:TIDIG_COMP_CNT: 1
	.section	.text._ZL29rocblas_internal_gemmt_kernelIlLi16ELi32ELi8ELc84ELc78ELc76ELb0ELb0EdPKdS1_PdEviT_T9_T10_S3_lS5_S3_lS4_T11_S3_li,"axG",@progbits,_ZL29rocblas_internal_gemmt_kernelIlLi16ELi32ELi8ELc84ELc78ELc76ELb0ELb0EdPKdS1_PdEviT_T9_T10_S3_lS5_S3_lS4_T11_S3_li,comdat
	.globl	_ZL29rocblas_internal_gemmt_kernelIlLi16ELi32ELi8ELc84ELc78ELc76ELb0ELb0EdPKdS1_PdEviT_T9_T10_S3_lS5_S3_lS4_T11_S3_li ; -- Begin function _ZL29rocblas_internal_gemmt_kernelIlLi16ELi32ELi8ELc84ELc78ELc76ELb0ELb0EdPKdS1_PdEviT_T9_T10_S3_lS5_S3_lS4_T11_S3_li
	.p2align	8
	.type	_ZL29rocblas_internal_gemmt_kernelIlLi16ELi32ELi8ELc84ELc78ELc76ELb0ELb0EdPKdS1_PdEviT_T9_T10_S3_lS5_S3_lS4_T11_S3_li,@function
_ZL29rocblas_internal_gemmt_kernelIlLi16ELi32ELi8ELc84ELc78ELc76ELb0ELb0EdPKdS1_PdEviT_T9_T10_S3_lS5_S3_lS4_T11_S3_li: ; @_ZL29rocblas_internal_gemmt_kernelIlLi16ELi32ELi8ELc84ELc78ELc76ELb0ELb0EdPKdS1_PdEviT_T9_T10_S3_lS5_S3_lS4_T11_S3_li
; %bb.0:
	s_clause 0x1
	s_load_b256 s[24:31], s[0:1], 0x48
	s_load_b512 s[8:23], s[0:1], 0x8
	s_wait_kmcnt 0x0
	s_load_b64 s[6:7], s[24:25], 0x0
	s_load_b64 s[10:11], s[10:11], 0x0
	s_wait_kmcnt 0x0
	v_cmp_neq_f64_e64 s2, s[6:7], 1.0
	s_and_b32 vcc_lo, exec_lo, s2
	s_cbranch_vccnz .LBB192_2
; %bb.1:
	v_cmp_neq_f64_e64 s2, s[10:11], 0
	s_cmp_lg_u64 s[8:9], 0
	s_cselect_b32 s3, -1, 0
	s_delay_alu instid0(SALU_CYCLE_1)
	s_and_b32 s2, s3, s2
.LBB192_2:
	s_delay_alu instid0(SALU_CYCLE_1)
	s_and_not1_b32 vcc_lo, exec_lo, s2
	s_cbranch_vccnz .LBB192_35
; %bb.3:
	s_load_b32 s5, s[0:1], 0x68
	s_lshr_b32 s24, ttmp7, 16
	s_wait_kmcnt 0x0
	s_cmp_ge_u32 s24, s5
	s_cbranch_scc1 .LBB192_35
; %bb.4:
	v_and_b32_e32 v9, 0x3ff, v0
	v_bfe_u32 v12, v0, 10, 10
	s_load_b32 s4, s[0:1], 0x0
	s_lshl_b32 s1, ttmp7, 5
	s_lshl_b32 s0, ttmp9, 5
	s_and_b32 s1, s1, 0x1fffe0
	v_lshl_add_u32 v2, v12, 4, v9
	v_and_b32_e32 v22, 7, v0
	s_ashr_i32 s2, s0, 31
	v_add_nc_u32_e32 v16, s1, v12
	s_mul_i32 s2, s14, s2
	v_lshrrev_b32_e32 v10, 3, v2
	v_and_b32_e32 v11, 31, v2
	v_lshrrev_b32_e32 v23, 5, v2
	v_cmp_neq_f64_e64 s25, s[10:11], 0
	v_cmp_neq_f64_e64 s33, s[6:7], 0
	v_add_nc_u32_e32 v13, s1, v10
	v_or_b32_e32 v14, s0, v11
	v_add_nc_u32_e32 v18, 16, v16
	v_mad_co_u64_u32 v[4:5], null, s28, v16, 0
	s_delay_alu instid0(VALU_DEP_4) | instskip(NEXT) | instid1(VALU_DEP_4)
	v_mad_co_u64_u32 v[0:1], null, s20, v13, 0
	v_mad_co_u64_u32 v[2:3], null, s14, v14, 0
	v_mul_lo_u32 v17, s15, v14
	s_wait_kmcnt 0x0
	v_cmp_gt_i32_e64 s1, s4, v13
	v_cmp_gt_i64_e64 s34, s[8:9], 0
	v_lshl_add_u32 v31, v12, 6, 0x800
	v_mad_co_u64_u32 v[6:7], null, s21, v13, v[1:2]
	v_add3_u32 v3, v3, s2, v17
	v_lshlrev_b32_e32 v7, 3, v11
	s_delay_alu instid0(VALU_DEP_2) | instskip(NEXT) | instid1(VALU_DEP_4)
	v_lshlrev_b64_e32 v[2:3], 3, v[2:3]
	v_mov_b32_e32 v1, v6
	v_lshlrev_b32_e32 v15, 3, v22
	s_delay_alu instid0(VALU_DEP_4) | instskip(NEXT) | instid1(VALU_DEP_3)
	v_lshl_or_b32 v24, v23, 8, v7
	v_lshlrev_b64_e32 v[0:1], 3, v[0:1]
	s_delay_alu instid0(VALU_DEP_3) | instskip(SKIP_2) | instid1(VALU_DEP_1)
	v_lshl_or_b32 v15, v10, 6, v15
	v_mad_co_u64_u32 v[10:11], null, s28, v18, 0
	v_add_co_u32 v26, vcc_lo, s12, v2
	v_add_co_ci_u32_e64 v27, null, s13, v3, vcc_lo
	v_add_co_u32 v28, vcc_lo, s18, v0
	s_wait_alu 0xfffd
	v_add_co_ci_u32_e64 v29, null, s19, v1, vcc_lo
	v_mad_co_u64_u32 v[1:2], null, s29, v16, v[5:6]
	v_mov_b32_e32 v2, v11
	v_add_nc_u32_e32 v8, s0, v9
	v_cmp_gt_i32_e64 s0, s4, v14
	v_lshlrev_b32_e32 v30, 3, v9
	v_add_nc_u32_e32 v25, 0x800, v15
	v_mad_co_u64_u32 v[2:3], null, s29, v18, v[2:3]
	v_dual_mov_b32 v5, v1 :: v_dual_add_nc_u32 v0, 16, v8
	v_cmp_gt_i32_e64 s2, s4, v8
	v_ashrrev_i32_e32 v9, 31, v8
	v_mov_b32_e32 v3, 0
	s_delay_alu instid0(VALU_DEP_4)
	v_lshlrev_b64_e32 v[4:5], 3, v[4:5]
	v_cmp_gt_i32_e64 s4, s4, v0
	v_mov_b32_e32 v11, v2
	v_cmp_le_i32_e32 vcc_lo, v16, v8
	v_cmp_le_i32_e64 s3, v16, v0
	v_ashrrev_i32_e32 v1, 31, v0
	s_and_b32 s14, s25, s34
	v_lshlrev_b64_e32 v[6:7], 3, v[10:11]
	s_and_b32 s12, vcc_lo, s2
	s_and_b32 s13, s3, s4
	v_cmp_le_i32_e32 vcc_lo, v18, v8
	v_cmp_le_i32_e64 s3, v18, v0
	v_lshlrev_b64_e32 v[8:9], 3, v[8:9]
	s_mov_b32 s25, 0
	s_and_b32 s15, vcc_lo, s2
	s_and_b32 s4, s3, s4
	s_branch .LBB192_6
.LBB192_5:                              ;   in Loop: Header=BB192_6 Depth=1
	s_wait_alu 0xfffe
	s_or_b32 exec_lo, exec_lo, s2
	s_add_co_i32 s24, s24, 0x10000
	s_delay_alu instid0(SALU_CYCLE_1)
	s_cmp_lt_u32 s24, s5
	s_cbranch_scc0 .LBB192_35
.LBB192_6:                              ; =>This Loop Header: Depth=1
                                        ;     Child Loop BB192_9 Depth 2
	v_mov_b32_e32 v16, 0
	v_dual_mov_b32 v12, 0 :: v_dual_mov_b32 v17, 0
	v_dual_mov_b32 v14, 0 :: v_dual_mov_b32 v13, 0
	;; [unrolled: 1-line block ×3, first 2 shown]
	v_mov_b32_e32 v11, 0
	s_wait_alu 0xfffe
	s_and_not1_b32 vcc_lo, exec_lo, s14
	s_wait_alu 0xfffe
	s_cbranch_vccnz .LBB192_15
; %bb.7:                                ;   in Loop: Header=BB192_6 Depth=1
	s_mul_u64 s[2:3], s[16:17], s[24:25]
	s_mul_u64 s[18:19], s[22:23], s[24:25]
	s_wait_alu 0xfffe
	s_lshl_b64 s[2:3], s[2:3], 3
	v_mov_b32_e32 v10, 0
	s_wait_alu 0xfffe
	v_add_co_u32 v32, vcc_lo, v26, s2
	s_wait_alu 0xfffd
	v_add_co_ci_u32_e64 v33, null, s3, v27, vcc_lo
	s_lshl_b64 s[2:3], s[18:19], 3
	v_mov_b32_e32 v14, 0
	s_wait_alu 0xfffe
	v_add_co_u32 v34, vcc_lo, v28, s2
	v_dual_mov_b32 v11, 0 :: v_dual_mov_b32 v12, 0
	v_dual_mov_b32 v15, 0 :: v_dual_mov_b32 v16, 0
	v_mov_b32_e32 v13, 0
	v_mov_b32_e32 v17, 0
	s_wait_alu 0xfffd
	v_add_co_ci_u32_e64 v35, null, s3, v29, vcc_lo
	s_mov_b64 s[2:3], 0
	s_branch .LBB192_9
.LBB192_8:                              ;   in Loop: Header=BB192_9 Depth=2
	s_wait_alu 0xfffe
	s_or_b32 exec_lo, exec_lo, s18
	s_wait_loadcnt 0x0
	ds_store_b64 v25, v[20:21]
	s_wait_dscnt 0x0
	s_barrier_signal -1
	s_barrier_wait -1
	global_inv scope:SCOPE_SE
	ds_load_b128 v[18:21], v31
	ds_load_2addr_b64 v[36:39], v30 offset1:16
	ds_load_b128 v[40:43], v31 offset:1024
	ds_load_b128 v[44:47], v31 offset:16
	;; [unrolled: 1-line block ×3, first 2 shown]
	s_add_nc_u64 s[2:3], s[2:3], 8
	s_wait_alu 0xfffe
	v_cmp_gt_i64_e64 s18, s[8:9], s[2:3]
	s_and_b32 vcc_lo, exec_lo, s18
	s_wait_dscnt 0x3
	v_fma_f64 v[16:17], v[36:37], v[18:19], v[16:17]
	v_fma_f64 v[14:15], v[38:39], v[18:19], v[14:15]
	s_wait_dscnt 0x2
	v_fma_f64 v[18:19], v[36:37], v[40:41], v[12:13]
	v_fma_f64 v[36:37], v[38:39], v[40:41], v[10:11]
	ds_load_2addr_b64 v[10:13], v30 offset0:32 offset1:48
	s_wait_dscnt 0x0
	v_fma_f64 v[16:17], v[10:11], v[20:21], v[16:17]
	v_fma_f64 v[14:15], v[12:13], v[20:21], v[14:15]
	v_fma_f64 v[18:19], v[10:11], v[42:43], v[18:19]
	v_fma_f64 v[20:21], v[12:13], v[42:43], v[36:37]
	ds_load_2addr_b64 v[10:13], v30 offset0:64 offset1:80
	s_wait_dscnt 0x0
	v_fma_f64 v[16:17], v[10:11], v[44:45], v[16:17]
	v_fma_f64 v[14:15], v[12:13], v[44:45], v[14:15]
	;; [unrolled: 6-line block ×3, first 2 shown]
	v_fma_f64 v[48:49], v[10:11], v[50:51], v[18:19]
	v_fma_f64 v[50:51], v[12:13], v[50:51], v[20:21]
	ds_load_b128 v[10:13], v31 offset:32
	ds_load_2addr_b64 v[14:17], v30 offset0:128 offset1:144
	ds_load_b128 v[18:21], v31 offset:1056
	ds_load_b128 v[36:39], v31 offset:48
	;; [unrolled: 1-line block ×3, first 2 shown]
	s_wait_dscnt 0x3
	v_fma_f64 v[44:45], v[14:15], v[10:11], v[44:45]
	v_fma_f64 v[10:11], v[16:17], v[10:11], v[46:47]
	s_wait_dscnt 0x2
	v_fma_f64 v[46:47], v[14:15], v[18:19], v[48:49]
	v_fma_f64 v[18:19], v[16:17], v[18:19], v[50:51]
	ds_load_2addr_b64 v[14:17], v30 offset0:160 offset1:176
	s_wait_dscnt 0x0
	v_fma_f64 v[44:45], v[14:15], v[12:13], v[44:45]
	v_fma_f64 v[48:49], v[16:17], v[12:13], v[10:11]
	;; [unrolled: 1-line block ×4, first 2 shown]
	ds_load_2addr_b64 v[10:13], v30 offset0:192 offset1:208
	ds_load_2addr_b64 v[18:21], v30 offset0:224 offset1:240
	s_wait_loadcnt_dscnt 0x0
	s_barrier_signal -1
	s_barrier_wait -1
	global_inv scope:SCOPE_SE
	v_fma_f64 v[44:45], v[10:11], v[36:37], v[44:45]
	v_fma_f64 v[36:37], v[12:13], v[36:37], v[48:49]
	;; [unrolled: 1-line block ×4, first 2 shown]
	s_delay_alu instid0(VALU_DEP_4) | instskip(NEXT) | instid1(VALU_DEP_4)
	v_fma_f64 v[16:17], v[18:19], v[38:39], v[44:45]
	v_fma_f64 v[14:15], v[20:21], v[38:39], v[36:37]
	s_delay_alu instid0(VALU_DEP_4) | instskip(NEXT) | instid1(VALU_DEP_4)
	v_fma_f64 v[12:13], v[18:19], v[42:43], v[10:11]
	v_fma_f64 v[10:11], v[20:21], v[42:43], v[40:41]
	s_wait_alu 0xfffe
	s_cbranch_vccz .LBB192_15
.LBB192_9:                              ;   Parent Loop BB192_6 Depth=1
                                        ; =>  This Inner Loop Header: Depth=2
	v_mov_b32_e32 v18, 0
	v_mov_b32_e32 v19, 0
	s_and_saveexec_b32 s18, s0
	s_cbranch_execz .LBB192_13
; %bb.10:                               ;   in Loop: Header=BB192_9 Depth=2
	v_mov_b32_e32 v18, 0
	s_wait_alu 0xfffe
	v_dual_mov_b32 v19, 0 :: v_dual_add_nc_u32 v2, s2, v23
	s_mov_b32 s19, exec_lo
	s_delay_alu instid0(VALU_DEP_1)
	v_cmpx_gt_u64_e64 s[8:9], v[2:3]
	s_cbranch_execz .LBB192_12
; %bb.11:                               ;   in Loop: Header=BB192_9 Depth=2
	v_lshlrev_b64_e32 v[18:19], 3, v[2:3]
	s_delay_alu instid0(VALU_DEP_1) | instskip(SKIP_1) | instid1(VALU_DEP_2)
	v_add_co_u32 v18, vcc_lo, v32, v18
	s_wait_alu 0xfffd
	v_add_co_ci_u32_e64 v19, null, v33, v19, vcc_lo
	global_load_b64 v[18:19], v[18:19], off
.LBB192_12:                             ;   in Loop: Header=BB192_9 Depth=2
	s_wait_alu 0xfffe
	s_or_b32 exec_lo, exec_lo, s19
.LBB192_13:                             ;   in Loop: Header=BB192_9 Depth=2
	s_wait_alu 0xfffe
	s_or_b32 exec_lo, exec_lo, s18
	v_add_nc_u32_e32 v2, s2, v22
	v_mov_b32_e32 v20, 0
	v_mov_b32_e32 v21, 0
	s_wait_loadcnt 0x0
	ds_store_b64 v24, v[18:19]
	v_cmp_gt_u64_e32 vcc_lo, s[8:9], v[2:3]
	s_and_b32 s19, vcc_lo, s1
	s_wait_alu 0xfffe
	s_and_saveexec_b32 s18, s19
	s_cbranch_execz .LBB192_8
; %bb.14:                               ;   in Loop: Header=BB192_9 Depth=2
	v_lshlrev_b64_e32 v[18:19], 3, v[2:3]
	s_delay_alu instid0(VALU_DEP_1) | instskip(SKIP_1) | instid1(VALU_DEP_2)
	v_add_co_u32 v18, vcc_lo, v34, v18
	s_wait_alu 0xfffd
	v_add_co_ci_u32_e64 v19, null, v35, v19, vcc_lo
	global_load_b64 v[20:21], v[18:19], off
	s_branch .LBB192_8
.LBB192_15:                             ;   in Loop: Header=BB192_6 Depth=1
	s_mul_u64 s[2:3], s[30:31], s[24:25]
	s_wait_alu 0xfffe
	s_lshl_b64 s[2:3], s[2:3], 3
	s_wait_alu 0xfffe
	s_add_nc_u64 s[2:3], s[26:27], s[2:3]
	s_wait_alu 0xfffe
	v_add_co_u32 v2, vcc_lo, s2, v4
	s_wait_alu 0xfffd
	v_add_co_ci_u32_e64 v18, null, s3, v5, vcc_lo
	s_and_saveexec_b32 s18, s12
	s_cbranch_execz .LBB192_19
; %bb.16:                               ;   in Loop: Header=BB192_6 Depth=1
	v_mul_f64_e32 v[16:17], s[10:11], v[16:17]
	s_and_b32 vcc_lo, exec_lo, s33
	s_wait_alu 0xfffe
	s_cbranch_vccz .LBB192_30
; %bb.17:                               ;   in Loop: Header=BB192_6 Depth=1
	v_add_co_u32 v19, vcc_lo, v2, v8
	s_wait_alu 0xfffd
	v_add_co_ci_u32_e64 v20, null, v18, v9, vcc_lo
	global_load_b64 v[32:33], v[19:20], off
	s_wait_loadcnt 0x0
	v_fma_f64 v[32:33], s[6:7], v[32:33], v[16:17]
	global_store_b64 v[19:20], v[32:33], off
	s_cbranch_execnz .LBB192_19
.LBB192_18:                             ;   in Loop: Header=BB192_6 Depth=1
	v_add_co_u32 v19, vcc_lo, v2, v8
	s_wait_alu 0xfffd
	v_add_co_ci_u32_e64 v20, null, v18, v9, vcc_lo
	global_store_b64 v[19:20], v[16:17], off
.LBB192_19:                             ;   in Loop: Header=BB192_6 Depth=1
	s_wait_alu 0xfffe
	s_or_b32 exec_lo, exec_lo, s18
	s_and_saveexec_b32 s18, s13
	s_cbranch_execz .LBB192_23
; %bb.20:                               ;   in Loop: Header=BB192_6 Depth=1
	v_mul_f64_e32 v[14:15], s[10:11], v[14:15]
	s_and_not1_b32 vcc_lo, exec_lo, s33
	s_wait_alu 0xfffe
	s_cbranch_vccnz .LBB192_31
; %bb.21:                               ;   in Loop: Header=BB192_6 Depth=1
	v_lshlrev_b64_e32 v[16:17], 3, v[0:1]
	s_delay_alu instid0(VALU_DEP_1) | instskip(SKIP_1) | instid1(VALU_DEP_2)
	v_add_co_u32 v16, vcc_lo, v2, v16
	s_wait_alu 0xfffd
	v_add_co_ci_u32_e64 v17, null, v18, v17, vcc_lo
	global_load_b64 v[19:20], v[16:17], off
	s_wait_loadcnt 0x0
	v_fma_f64 v[19:20], s[6:7], v[19:20], v[14:15]
	global_store_b64 v[16:17], v[19:20], off
	s_cbranch_execnz .LBB192_23
.LBB192_22:                             ;   in Loop: Header=BB192_6 Depth=1
	v_lshlrev_b64_e32 v[16:17], 3, v[0:1]
	s_delay_alu instid0(VALU_DEP_1) | instskip(SKIP_1) | instid1(VALU_DEP_2)
	v_add_co_u32 v16, vcc_lo, v2, v16
	s_wait_alu 0xfffd
	v_add_co_ci_u32_e64 v17, null, v18, v17, vcc_lo
	global_store_b64 v[16:17], v[14:15], off
.LBB192_23:                             ;   in Loop: Header=BB192_6 Depth=1
	s_wait_alu 0xfffe
	s_or_b32 exec_lo, exec_lo, s18
	v_add_co_u32 v2, vcc_lo, s2, v6
	s_wait_alu 0xfffd
	v_add_co_ci_u32_e64 v14, null, s3, v7, vcc_lo
	s_and_saveexec_b32 s2, s15
	s_cbranch_execz .LBB192_27
; %bb.24:                               ;   in Loop: Header=BB192_6 Depth=1
	v_mul_f64_e32 v[12:13], s[10:11], v[12:13]
	s_and_not1_b32 vcc_lo, exec_lo, s33
	s_wait_alu 0xfffe
	s_cbranch_vccnz .LBB192_32
; %bb.25:                               ;   in Loop: Header=BB192_6 Depth=1
	v_add_co_u32 v15, vcc_lo, v2, v8
	s_wait_alu 0xfffd
	v_add_co_ci_u32_e64 v16, null, v14, v9, vcc_lo
	global_load_b64 v[17:18], v[15:16], off
	s_wait_loadcnt 0x0
	v_fma_f64 v[17:18], s[6:7], v[17:18], v[12:13]
	global_store_b64 v[15:16], v[17:18], off
	s_cbranch_execnz .LBB192_27
.LBB192_26:                             ;   in Loop: Header=BB192_6 Depth=1
	v_add_co_u32 v15, vcc_lo, v2, v8
	s_wait_alu 0xfffd
	v_add_co_ci_u32_e64 v16, null, v14, v9, vcc_lo
	global_store_b64 v[15:16], v[12:13], off
.LBB192_27:                             ;   in Loop: Header=BB192_6 Depth=1
	s_wait_alu 0xfffe
	s_or_b32 exec_lo, exec_lo, s2
	s_and_saveexec_b32 s2, s4
	s_cbranch_execz .LBB192_5
; %bb.28:                               ;   in Loop: Header=BB192_6 Depth=1
	v_mul_f64_e32 v[10:11], s[10:11], v[10:11]
	v_lshlrev_b64_e32 v[12:13], 3, v[0:1]
	s_and_not1_b32 vcc_lo, exec_lo, s33
	s_wait_alu 0xfffe
	s_cbranch_vccnz .LBB192_33
; %bb.29:                               ;   in Loop: Header=BB192_6 Depth=1
	s_delay_alu instid0(VALU_DEP_1)
	v_add_co_u32 v15, vcc_lo, v2, v12
	s_wait_alu 0xfffd
	v_add_co_ci_u32_e64 v16, null, v14, v13, vcc_lo
	global_load_b64 v[17:18], v[15:16], off
	s_wait_loadcnt 0x0
	v_fma_f64 v[17:18], s[6:7], v[17:18], v[10:11]
	global_store_b64 v[15:16], v[17:18], off
	s_cbranch_execnz .LBB192_5
	s_branch .LBB192_34
.LBB192_30:                             ;   in Loop: Header=BB192_6 Depth=1
	s_branch .LBB192_18
.LBB192_31:                             ;   in Loop: Header=BB192_6 Depth=1
	s_branch .LBB192_22
.LBB192_32:                             ;   in Loop: Header=BB192_6 Depth=1
	s_branch .LBB192_26
.LBB192_33:                             ;   in Loop: Header=BB192_6 Depth=1
.LBB192_34:                             ;   in Loop: Header=BB192_6 Depth=1
	s_delay_alu instid0(VALU_DEP_1)
	v_add_co_u32 v12, vcc_lo, v2, v12
	s_wait_alu 0xfffd
	v_add_co_ci_u32_e64 v13, null, v14, v13, vcc_lo
	global_store_b64 v[12:13], v[10:11], off
	s_branch .LBB192_5
.LBB192_35:
	s_endpgm
	.section	.rodata,"a",@progbits
	.p2align	6, 0x0
	.amdhsa_kernel _ZL29rocblas_internal_gemmt_kernelIlLi16ELi32ELi8ELc84ELc78ELc76ELb0ELb0EdPKdS1_PdEviT_T9_T10_S3_lS5_S3_lS4_T11_S3_li
		.amdhsa_group_segment_fixed_size 4096
		.amdhsa_private_segment_fixed_size 0
		.amdhsa_kernarg_size 108
		.amdhsa_user_sgpr_count 2
		.amdhsa_user_sgpr_dispatch_ptr 0
		.amdhsa_user_sgpr_queue_ptr 0
		.amdhsa_user_sgpr_kernarg_segment_ptr 1
		.amdhsa_user_sgpr_dispatch_id 0
		.amdhsa_user_sgpr_private_segment_size 0
		.amdhsa_wavefront_size32 1
		.amdhsa_uses_dynamic_stack 0
		.amdhsa_enable_private_segment 0
		.amdhsa_system_sgpr_workgroup_id_x 1
		.amdhsa_system_sgpr_workgroup_id_y 1
		.amdhsa_system_sgpr_workgroup_id_z 1
		.amdhsa_system_sgpr_workgroup_info 0
		.amdhsa_system_vgpr_workitem_id 1
		.amdhsa_next_free_vgpr 52
		.amdhsa_next_free_sgpr 35
		.amdhsa_reserve_vcc 1
		.amdhsa_float_round_mode_32 0
		.amdhsa_float_round_mode_16_64 0
		.amdhsa_float_denorm_mode_32 3
		.amdhsa_float_denorm_mode_16_64 3
		.amdhsa_fp16_overflow 0
		.amdhsa_workgroup_processor_mode 1
		.amdhsa_memory_ordered 1
		.amdhsa_forward_progress 1
		.amdhsa_inst_pref_size 17
		.amdhsa_round_robin_scheduling 0
		.amdhsa_exception_fp_ieee_invalid_op 0
		.amdhsa_exception_fp_denorm_src 0
		.amdhsa_exception_fp_ieee_div_zero 0
		.amdhsa_exception_fp_ieee_overflow 0
		.amdhsa_exception_fp_ieee_underflow 0
		.amdhsa_exception_fp_ieee_inexact 0
		.amdhsa_exception_int_div_zero 0
	.end_amdhsa_kernel
	.section	.text._ZL29rocblas_internal_gemmt_kernelIlLi16ELi32ELi8ELc84ELc78ELc76ELb0ELb0EdPKdS1_PdEviT_T9_T10_S3_lS5_S3_lS4_T11_S3_li,"axG",@progbits,_ZL29rocblas_internal_gemmt_kernelIlLi16ELi32ELi8ELc84ELc78ELc76ELb0ELb0EdPKdS1_PdEviT_T9_T10_S3_lS5_S3_lS4_T11_S3_li,comdat
.Lfunc_end192:
	.size	_ZL29rocblas_internal_gemmt_kernelIlLi16ELi32ELi8ELc84ELc78ELc76ELb0ELb0EdPKdS1_PdEviT_T9_T10_S3_lS5_S3_lS4_T11_S3_li, .Lfunc_end192-_ZL29rocblas_internal_gemmt_kernelIlLi16ELi32ELi8ELc84ELc78ELc76ELb0ELb0EdPKdS1_PdEviT_T9_T10_S3_lS5_S3_lS4_T11_S3_li
                                        ; -- End function
	.set _ZL29rocblas_internal_gemmt_kernelIlLi16ELi32ELi8ELc84ELc78ELc76ELb0ELb0EdPKdS1_PdEviT_T9_T10_S3_lS5_S3_lS4_T11_S3_li.num_vgpr, 52
	.set _ZL29rocblas_internal_gemmt_kernelIlLi16ELi32ELi8ELc84ELc78ELc76ELb0ELb0EdPKdS1_PdEviT_T9_T10_S3_lS5_S3_lS4_T11_S3_li.num_agpr, 0
	.set _ZL29rocblas_internal_gemmt_kernelIlLi16ELi32ELi8ELc84ELc78ELc76ELb0ELb0EdPKdS1_PdEviT_T9_T10_S3_lS5_S3_lS4_T11_S3_li.numbered_sgpr, 35
	.set _ZL29rocblas_internal_gemmt_kernelIlLi16ELi32ELi8ELc84ELc78ELc76ELb0ELb0EdPKdS1_PdEviT_T9_T10_S3_lS5_S3_lS4_T11_S3_li.num_named_barrier, 0
	.set _ZL29rocblas_internal_gemmt_kernelIlLi16ELi32ELi8ELc84ELc78ELc76ELb0ELb0EdPKdS1_PdEviT_T9_T10_S3_lS5_S3_lS4_T11_S3_li.private_seg_size, 0
	.set _ZL29rocblas_internal_gemmt_kernelIlLi16ELi32ELi8ELc84ELc78ELc76ELb0ELb0EdPKdS1_PdEviT_T9_T10_S3_lS5_S3_lS4_T11_S3_li.uses_vcc, 1
	.set _ZL29rocblas_internal_gemmt_kernelIlLi16ELi32ELi8ELc84ELc78ELc76ELb0ELb0EdPKdS1_PdEviT_T9_T10_S3_lS5_S3_lS4_T11_S3_li.uses_flat_scratch, 0
	.set _ZL29rocblas_internal_gemmt_kernelIlLi16ELi32ELi8ELc84ELc78ELc76ELb0ELb0EdPKdS1_PdEviT_T9_T10_S3_lS5_S3_lS4_T11_S3_li.has_dyn_sized_stack, 0
	.set _ZL29rocblas_internal_gemmt_kernelIlLi16ELi32ELi8ELc84ELc78ELc76ELb0ELb0EdPKdS1_PdEviT_T9_T10_S3_lS5_S3_lS4_T11_S3_li.has_recursion, 0
	.set _ZL29rocblas_internal_gemmt_kernelIlLi16ELi32ELi8ELc84ELc78ELc76ELb0ELb0EdPKdS1_PdEviT_T9_T10_S3_lS5_S3_lS4_T11_S3_li.has_indirect_call, 0
	.section	.AMDGPU.csdata,"",@progbits
; Kernel info:
; codeLenInByte = 2056
; TotalNumSgprs: 37
; NumVgprs: 52
; ScratchSize: 0
; MemoryBound: 0
; FloatMode: 240
; IeeeMode: 1
; LDSByteSize: 4096 bytes/workgroup (compile time only)
; SGPRBlocks: 0
; VGPRBlocks: 6
; NumSGPRsForWavesPerEU: 37
; NumVGPRsForWavesPerEU: 52
; Occupancy: 16
; WaveLimiterHint : 0
; COMPUTE_PGM_RSRC2:SCRATCH_EN: 0
; COMPUTE_PGM_RSRC2:USER_SGPR: 2
; COMPUTE_PGM_RSRC2:TRAP_HANDLER: 0
; COMPUTE_PGM_RSRC2:TGID_X_EN: 1
; COMPUTE_PGM_RSRC2:TGID_Y_EN: 1
; COMPUTE_PGM_RSRC2:TGID_Z_EN: 1
; COMPUTE_PGM_RSRC2:TIDIG_COMP_CNT: 1
	.section	.text._ZL29rocblas_internal_gemmt_kernelIlLi16ELi32ELi8ELc84ELc84ELc76ELb0ELb0EdPKdS1_PdEviT_T9_T10_S3_lS5_S3_lS4_T11_S3_li,"axG",@progbits,_ZL29rocblas_internal_gemmt_kernelIlLi16ELi32ELi8ELc84ELc84ELc76ELb0ELb0EdPKdS1_PdEviT_T9_T10_S3_lS5_S3_lS4_T11_S3_li,comdat
	.globl	_ZL29rocblas_internal_gemmt_kernelIlLi16ELi32ELi8ELc84ELc84ELc76ELb0ELb0EdPKdS1_PdEviT_T9_T10_S3_lS5_S3_lS4_T11_S3_li ; -- Begin function _ZL29rocblas_internal_gemmt_kernelIlLi16ELi32ELi8ELc84ELc84ELc76ELb0ELb0EdPKdS1_PdEviT_T9_T10_S3_lS5_S3_lS4_T11_S3_li
	.p2align	8
	.type	_ZL29rocblas_internal_gemmt_kernelIlLi16ELi32ELi8ELc84ELc84ELc76ELb0ELb0EdPKdS1_PdEviT_T9_T10_S3_lS5_S3_lS4_T11_S3_li,@function
_ZL29rocblas_internal_gemmt_kernelIlLi16ELi32ELi8ELc84ELc84ELc76ELb0ELb0EdPKdS1_PdEviT_T9_T10_S3_lS5_S3_lS4_T11_S3_li: ; @_ZL29rocblas_internal_gemmt_kernelIlLi16ELi32ELi8ELc84ELc84ELc76ELb0ELb0EdPKdS1_PdEviT_T9_T10_S3_lS5_S3_lS4_T11_S3_li
; %bb.0:
	s_clause 0x1
	s_load_b256 s[24:31], s[0:1], 0x48
	s_load_b512 s[8:23], s[0:1], 0x8
	s_wait_kmcnt 0x0
	s_load_b64 s[6:7], s[24:25], 0x0
	s_load_b64 s[10:11], s[10:11], 0x0
	s_wait_kmcnt 0x0
	v_cmp_neq_f64_e64 s2, s[6:7], 1.0
	s_and_b32 vcc_lo, exec_lo, s2
	s_cbranch_vccnz .LBB193_2
; %bb.1:
	v_cmp_neq_f64_e64 s2, s[10:11], 0
	s_cmp_lg_u64 s[8:9], 0
	s_cselect_b32 s3, -1, 0
	s_delay_alu instid0(SALU_CYCLE_1)
	s_and_b32 s2, s3, s2
.LBB193_2:
	s_delay_alu instid0(SALU_CYCLE_1)
	s_and_not1_b32 vcc_lo, exec_lo, s2
	s_cbranch_vccnz .LBB193_35
; %bb.3:
	s_load_b32 s5, s[0:1], 0x68
	s_lshr_b32 s24, ttmp7, 16
	s_wait_kmcnt 0x0
	s_cmp_ge_u32 s24, s5
	s_cbranch_scc1 .LBB193_35
; %bb.4:
	v_and_b32_e32 v9, 0x3ff, v0
	v_bfe_u32 v12, v0, 10, 10
	v_dual_mov_b32 v1, 0 :: v_dual_and_b32 v22, 7, v0
	s_load_b32 s4, s[0:1], 0x0
	s_lshl_b32 s2, ttmp9, 5
	s_delay_alu instid0(VALU_DEP_2)
	v_lshl_add_u32 v4, v12, 4, v9
	s_lshl_b32 s0, ttmp7, 5
	v_lshlrev_b32_e32 v8, 3, v22
	s_and_b32 s0, s0, 0x1fffe0
	s_ashr_i32 s1, s2, 31
	v_and_b32_e32 v0, 31, v4
	v_add_nc_u32_e32 v13, s0, v12
	v_lshrrev_b32_e32 v10, 3, v4
	v_cmp_neq_f64_e64 s25, s[10:11], 0
	s_mul_i32 s1, s14, s1
	v_or_b32_e32 v6, s2, v0
	v_cmp_neq_f64_e64 s33, s[6:7], 0
	v_lshrrev_b32_e32 v23, 5, v4
	v_mad_co_u64_u32 v[4:5], null, s28, v13, 0
	s_delay_alu instid0(VALU_DEP_4)
	v_mul_lo_u32 v7, s15, v6
	v_mad_co_u64_u32 v[2:3], null, s14, v6, 0
	v_add_nc_u32_e32 v14, 16, v13
	v_lshl_or_b32 v8, v10, 6, v8
	v_lshlrev_b32_e32 v0, 3, v0
	v_cmp_gt_i64_e64 s34, s[8:9], 0
	v_lshl_add_u32 v31, v12, 6, 0x800
	s_wait_alu 0xfffe
	v_add3_u32 v3, v3, s1, v7
	v_add_nc_u32_e32 v7, s0, v10
	s_wait_kmcnt 0x0
	v_cmp_gt_i32_e64 s0, s4, v6
	v_add_nc_u32_e32 v25, 0x800, v8
	v_lshl_or_b32 v24, v23, 8, v0
	v_mov_b32_e32 v0, v5
	v_cmp_gt_i32_e64 s1, s4, v7
	v_lshlrev_b32_e32 v8, 3, v7
	v_mad_co_u64_u32 v[6:7], null, s28, v14, 0
	v_lshlrev_b32_e32 v30, 3, v9
	v_lshlrev_b64_e32 v[2:3], 3, v[2:3]
	s_delay_alu instid0(VALU_DEP_4) | instskip(SKIP_4) | instid1(VALU_DEP_4)
	v_add_co_u32 v28, s3, s18, v8
	v_add_nc_u32_e32 v8, s2, v9
	v_mad_co_u64_u32 v[9:10], null, s29, v13, v[0:1]
	v_mov_b32_e32 v0, v7
	v_add_co_u32 v26, vcc_lo, s12, v2
	v_add_nc_u32_e32 v2, 16, v8
	v_add_co_ci_u32_e64 v27, null, s13, v3, vcc_lo
	s_delay_alu instid0(VALU_DEP_4)
	v_mad_co_u64_u32 v[10:11], null, s29, v14, v[0:1]
	s_wait_alu 0xf1ff
	v_add_co_ci_u32_e64 v29, null, s19, 0, s3
	v_cmp_le_i32_e32 vcc_lo, v13, v8
	v_cmp_gt_i32_e64 s2, s4, v8
	v_cmp_le_i32_e64 s3, v13, v2
	v_cmp_gt_i32_e64 s4, s4, v2
	v_mov_b32_e32 v5, v9
	v_ashrrev_i32_e32 v9, 31, v8
	v_mov_b32_e32 v7, v10
	s_and_b32 s12, vcc_lo, s2
	s_and_b32 s13, s3, s4
	v_cmp_le_i32_e32 vcc_lo, v14, v8
	v_cmp_le_i32_e64 s3, v14, v2
	v_lshlrev_b64_e32 v[4:5], 3, v[4:5]
	v_lshlrev_b64_e32 v[6:7], 3, v[6:7]
	;; [unrolled: 1-line block ×3, first 2 shown]
	v_ashrrev_i32_e32 v3, 31, v2
	s_and_b32 s14, s25, s34
	s_and_b32 s15, vcc_lo, s2
	s_and_b32 s4, s3, s4
	s_mov_b32 s25, 0
	s_branch .LBB193_6
.LBB193_5:                              ;   in Loop: Header=BB193_6 Depth=1
	s_wait_alu 0xfffe
	s_or_b32 exec_lo, exec_lo, s2
	s_add_co_i32 s24, s24, 0x10000
	s_delay_alu instid0(SALU_CYCLE_1)
	s_cmp_lt_u32 s24, s5
	s_cbranch_scc0 .LBB193_35
.LBB193_6:                              ; =>This Loop Header: Depth=1
                                        ;     Child Loop BB193_9 Depth 2
	v_mov_b32_e32 v16, 0
	v_dual_mov_b32 v12, 0 :: v_dual_mov_b32 v17, 0
	v_dual_mov_b32 v14, 0 :: v_dual_mov_b32 v13, 0
	;; [unrolled: 1-line block ×3, first 2 shown]
	v_mov_b32_e32 v11, 0
	s_wait_alu 0xfffe
	s_and_not1_b32 vcc_lo, exec_lo, s14
	s_wait_alu 0xfffe
	s_cbranch_vccnz .LBB193_15
; %bb.7:                                ;   in Loop: Header=BB193_6 Depth=1
	s_mul_u64 s[2:3], s[16:17], s[24:25]
	s_mul_u64 s[18:19], s[22:23], s[24:25]
	s_wait_alu 0xfffe
	s_lshl_b64 s[2:3], s[2:3], 3
	v_mov_b32_e32 v10, 0
	s_wait_alu 0xfffe
	v_add_co_u32 v32, vcc_lo, v26, s2
	s_wait_alu 0xfffd
	v_add_co_ci_u32_e64 v33, null, s3, v27, vcc_lo
	s_lshl_b64 s[2:3], s[18:19], 3
	v_mov_b32_e32 v14, 0
	s_wait_alu 0xfffe
	v_add_co_u32 v34, vcc_lo, v28, s2
	v_dual_mov_b32 v11, 0 :: v_dual_mov_b32 v12, 0
	v_dual_mov_b32 v15, 0 :: v_dual_mov_b32 v16, 0
	v_mov_b32_e32 v13, 0
	v_mov_b32_e32 v17, 0
	s_wait_alu 0xfffd
	v_add_co_ci_u32_e64 v35, null, s3, v29, vcc_lo
	s_mov_b64 s[2:3], 0
	s_branch .LBB193_9
.LBB193_8:                              ;   in Loop: Header=BB193_9 Depth=2
	s_wait_alu 0xfffe
	s_or_b32 exec_lo, exec_lo, s18
	s_wait_loadcnt 0x0
	ds_store_b64 v25, v[20:21]
	s_wait_dscnt 0x0
	s_barrier_signal -1
	s_barrier_wait -1
	global_inv scope:SCOPE_SE
	ds_load_b128 v[18:21], v31
	ds_load_2addr_b64 v[36:39], v30 offset1:16
	ds_load_b128 v[40:43], v31 offset:1024
	ds_load_b128 v[44:47], v31 offset:16
	;; [unrolled: 1-line block ×3, first 2 shown]
	s_add_nc_u64 s[2:3], s[2:3], 8
	s_wait_alu 0xfffe
	v_cmp_gt_i64_e64 s18, s[8:9], s[2:3]
	s_and_b32 vcc_lo, exec_lo, s18
	s_wait_dscnt 0x3
	v_fma_f64 v[16:17], v[36:37], v[18:19], v[16:17]
	v_fma_f64 v[14:15], v[38:39], v[18:19], v[14:15]
	s_wait_dscnt 0x2
	v_fma_f64 v[18:19], v[36:37], v[40:41], v[12:13]
	v_fma_f64 v[36:37], v[38:39], v[40:41], v[10:11]
	ds_load_2addr_b64 v[10:13], v30 offset0:32 offset1:48
	s_wait_dscnt 0x0
	v_fma_f64 v[16:17], v[10:11], v[20:21], v[16:17]
	v_fma_f64 v[14:15], v[12:13], v[20:21], v[14:15]
	v_fma_f64 v[18:19], v[10:11], v[42:43], v[18:19]
	v_fma_f64 v[20:21], v[12:13], v[42:43], v[36:37]
	ds_load_2addr_b64 v[10:13], v30 offset0:64 offset1:80
	s_wait_dscnt 0x0
	v_fma_f64 v[16:17], v[10:11], v[44:45], v[16:17]
	v_fma_f64 v[14:15], v[12:13], v[44:45], v[14:15]
	;; [unrolled: 6-line block ×3, first 2 shown]
	v_fma_f64 v[48:49], v[10:11], v[50:51], v[18:19]
	v_fma_f64 v[50:51], v[12:13], v[50:51], v[20:21]
	ds_load_b128 v[10:13], v31 offset:32
	ds_load_2addr_b64 v[14:17], v30 offset0:128 offset1:144
	ds_load_b128 v[18:21], v31 offset:1056
	ds_load_b128 v[36:39], v31 offset:48
	;; [unrolled: 1-line block ×3, first 2 shown]
	s_wait_dscnt 0x3
	v_fma_f64 v[44:45], v[14:15], v[10:11], v[44:45]
	v_fma_f64 v[10:11], v[16:17], v[10:11], v[46:47]
	s_wait_dscnt 0x2
	v_fma_f64 v[46:47], v[14:15], v[18:19], v[48:49]
	v_fma_f64 v[18:19], v[16:17], v[18:19], v[50:51]
	ds_load_2addr_b64 v[14:17], v30 offset0:160 offset1:176
	s_wait_dscnt 0x0
	v_fma_f64 v[44:45], v[14:15], v[12:13], v[44:45]
	v_fma_f64 v[48:49], v[16:17], v[12:13], v[10:11]
	;; [unrolled: 1-line block ×4, first 2 shown]
	ds_load_2addr_b64 v[10:13], v30 offset0:192 offset1:208
	ds_load_2addr_b64 v[18:21], v30 offset0:224 offset1:240
	s_wait_loadcnt_dscnt 0x0
	s_barrier_signal -1
	s_barrier_wait -1
	global_inv scope:SCOPE_SE
	v_fma_f64 v[44:45], v[10:11], v[36:37], v[44:45]
	v_fma_f64 v[36:37], v[12:13], v[36:37], v[48:49]
	;; [unrolled: 1-line block ×4, first 2 shown]
	s_delay_alu instid0(VALU_DEP_4) | instskip(NEXT) | instid1(VALU_DEP_4)
	v_fma_f64 v[16:17], v[18:19], v[38:39], v[44:45]
	v_fma_f64 v[14:15], v[20:21], v[38:39], v[36:37]
	s_delay_alu instid0(VALU_DEP_4) | instskip(NEXT) | instid1(VALU_DEP_4)
	v_fma_f64 v[12:13], v[18:19], v[42:43], v[10:11]
	v_fma_f64 v[10:11], v[20:21], v[42:43], v[40:41]
	s_wait_alu 0xfffe
	s_cbranch_vccz .LBB193_15
.LBB193_9:                              ;   Parent Loop BB193_6 Depth=1
                                        ; =>  This Inner Loop Header: Depth=2
	v_mov_b32_e32 v18, 0
	v_mov_b32_e32 v19, 0
	s_and_saveexec_b32 s18, s0
	s_cbranch_execz .LBB193_13
; %bb.10:                               ;   in Loop: Header=BB193_9 Depth=2
	v_mov_b32_e32 v18, 0
	s_wait_alu 0xfffe
	v_dual_mov_b32 v19, 0 :: v_dual_add_nc_u32 v0, s2, v23
	s_mov_b32 s19, exec_lo
	s_delay_alu instid0(VALU_DEP_1)
	v_cmpx_gt_u64_e64 s[8:9], v[0:1]
	s_cbranch_execz .LBB193_12
; %bb.11:                               ;   in Loop: Header=BB193_9 Depth=2
	v_lshlrev_b64_e32 v[18:19], 3, v[0:1]
	s_delay_alu instid0(VALU_DEP_1) | instskip(SKIP_1) | instid1(VALU_DEP_2)
	v_add_co_u32 v18, vcc_lo, v32, v18
	s_wait_alu 0xfffd
	v_add_co_ci_u32_e64 v19, null, v33, v19, vcc_lo
	global_load_b64 v[18:19], v[18:19], off
.LBB193_12:                             ;   in Loop: Header=BB193_9 Depth=2
	s_wait_alu 0xfffe
	s_or_b32 exec_lo, exec_lo, s19
.LBB193_13:                             ;   in Loop: Header=BB193_9 Depth=2
	s_wait_alu 0xfffe
	s_or_b32 exec_lo, exec_lo, s18
	v_add_nc_u32_e32 v0, s2, v22
	v_mov_b32_e32 v20, 0
	v_mov_b32_e32 v21, 0
	s_wait_loadcnt 0x0
	ds_store_b64 v24, v[18:19]
	v_cmp_gt_u64_e32 vcc_lo, s[8:9], v[0:1]
	s_and_b32 s19, vcc_lo, s1
	s_wait_alu 0xfffe
	s_and_saveexec_b32 s18, s19
	s_cbranch_execz .LBB193_8
; %bb.14:                               ;   in Loop: Header=BB193_9 Depth=2
	v_mad_co_u64_u32 v[18:19], null, s20, v0, 0
	s_delay_alu instid0(VALU_DEP_1) | instskip(NEXT) | instid1(VALU_DEP_1)
	v_mad_co_u64_u32 v[19:20], null, s21, v0, v[19:20]
	v_lshlrev_b64_e32 v[18:19], 3, v[18:19]
	s_delay_alu instid0(VALU_DEP_1) | instskip(SKIP_1) | instid1(VALU_DEP_2)
	v_add_co_u32 v18, vcc_lo, v34, v18
	s_wait_alu 0xfffd
	v_add_co_ci_u32_e64 v19, null, v35, v19, vcc_lo
	global_load_b64 v[20:21], v[18:19], off
	s_branch .LBB193_8
.LBB193_15:                             ;   in Loop: Header=BB193_6 Depth=1
	s_mul_u64 s[2:3], s[30:31], s[24:25]
	s_wait_alu 0xfffe
	s_lshl_b64 s[2:3], s[2:3], 3
	s_wait_alu 0xfffe
	s_add_nc_u64 s[2:3], s[26:27], s[2:3]
	s_wait_alu 0xfffe
	v_add_co_u32 v0, vcc_lo, s2, v4
	s_wait_alu 0xfffd
	v_add_co_ci_u32_e64 v18, null, s3, v5, vcc_lo
	s_and_saveexec_b32 s18, s12
	s_cbranch_execz .LBB193_19
; %bb.16:                               ;   in Loop: Header=BB193_6 Depth=1
	v_mul_f64_e32 v[16:17], s[10:11], v[16:17]
	s_and_b32 vcc_lo, exec_lo, s33
	s_wait_alu 0xfffe
	s_cbranch_vccz .LBB193_30
; %bb.17:                               ;   in Loop: Header=BB193_6 Depth=1
	v_add_co_u32 v19, vcc_lo, v0, v8
	s_wait_alu 0xfffd
	v_add_co_ci_u32_e64 v20, null, v18, v9, vcc_lo
	global_load_b64 v[32:33], v[19:20], off
	s_wait_loadcnt 0x0
	v_fma_f64 v[32:33], s[6:7], v[32:33], v[16:17]
	global_store_b64 v[19:20], v[32:33], off
	s_cbranch_execnz .LBB193_19
.LBB193_18:                             ;   in Loop: Header=BB193_6 Depth=1
	v_add_co_u32 v19, vcc_lo, v0, v8
	s_wait_alu 0xfffd
	v_add_co_ci_u32_e64 v20, null, v18, v9, vcc_lo
	global_store_b64 v[19:20], v[16:17], off
.LBB193_19:                             ;   in Loop: Header=BB193_6 Depth=1
	s_wait_alu 0xfffe
	s_or_b32 exec_lo, exec_lo, s18
	s_and_saveexec_b32 s18, s13
	s_cbranch_execz .LBB193_23
; %bb.20:                               ;   in Loop: Header=BB193_6 Depth=1
	v_mul_f64_e32 v[14:15], s[10:11], v[14:15]
	s_and_not1_b32 vcc_lo, exec_lo, s33
	s_wait_alu 0xfffe
	s_cbranch_vccnz .LBB193_31
; %bb.21:                               ;   in Loop: Header=BB193_6 Depth=1
	v_lshlrev_b64_e32 v[16:17], 3, v[2:3]
	s_delay_alu instid0(VALU_DEP_1) | instskip(SKIP_1) | instid1(VALU_DEP_2)
	v_add_co_u32 v16, vcc_lo, v0, v16
	s_wait_alu 0xfffd
	v_add_co_ci_u32_e64 v17, null, v18, v17, vcc_lo
	global_load_b64 v[19:20], v[16:17], off
	s_wait_loadcnt 0x0
	v_fma_f64 v[19:20], s[6:7], v[19:20], v[14:15]
	global_store_b64 v[16:17], v[19:20], off
	s_cbranch_execnz .LBB193_23
.LBB193_22:                             ;   in Loop: Header=BB193_6 Depth=1
	v_lshlrev_b64_e32 v[16:17], 3, v[2:3]
	s_delay_alu instid0(VALU_DEP_1) | instskip(SKIP_1) | instid1(VALU_DEP_2)
	v_add_co_u32 v16, vcc_lo, v0, v16
	s_wait_alu 0xfffd
	v_add_co_ci_u32_e64 v17, null, v18, v17, vcc_lo
	global_store_b64 v[16:17], v[14:15], off
.LBB193_23:                             ;   in Loop: Header=BB193_6 Depth=1
	s_wait_alu 0xfffe
	s_or_b32 exec_lo, exec_lo, s18
	v_add_co_u32 v0, vcc_lo, s2, v6
	s_wait_alu 0xfffd
	v_add_co_ci_u32_e64 v14, null, s3, v7, vcc_lo
	s_and_saveexec_b32 s2, s15
	s_cbranch_execz .LBB193_27
; %bb.24:                               ;   in Loop: Header=BB193_6 Depth=1
	v_mul_f64_e32 v[12:13], s[10:11], v[12:13]
	s_and_not1_b32 vcc_lo, exec_lo, s33
	s_wait_alu 0xfffe
	s_cbranch_vccnz .LBB193_32
; %bb.25:                               ;   in Loop: Header=BB193_6 Depth=1
	v_add_co_u32 v15, vcc_lo, v0, v8
	s_wait_alu 0xfffd
	v_add_co_ci_u32_e64 v16, null, v14, v9, vcc_lo
	global_load_b64 v[17:18], v[15:16], off
	s_wait_loadcnt 0x0
	v_fma_f64 v[17:18], s[6:7], v[17:18], v[12:13]
	global_store_b64 v[15:16], v[17:18], off
	s_cbranch_execnz .LBB193_27
.LBB193_26:                             ;   in Loop: Header=BB193_6 Depth=1
	v_add_co_u32 v15, vcc_lo, v0, v8
	s_wait_alu 0xfffd
	v_add_co_ci_u32_e64 v16, null, v14, v9, vcc_lo
	global_store_b64 v[15:16], v[12:13], off
.LBB193_27:                             ;   in Loop: Header=BB193_6 Depth=1
	s_wait_alu 0xfffe
	s_or_b32 exec_lo, exec_lo, s2
	s_and_saveexec_b32 s2, s4
	s_cbranch_execz .LBB193_5
; %bb.28:                               ;   in Loop: Header=BB193_6 Depth=1
	v_mul_f64_e32 v[10:11], s[10:11], v[10:11]
	v_lshlrev_b64_e32 v[12:13], 3, v[2:3]
	s_and_not1_b32 vcc_lo, exec_lo, s33
	s_wait_alu 0xfffe
	s_cbranch_vccnz .LBB193_33
; %bb.29:                               ;   in Loop: Header=BB193_6 Depth=1
	s_delay_alu instid0(VALU_DEP_1)
	v_add_co_u32 v15, vcc_lo, v0, v12
	s_wait_alu 0xfffd
	v_add_co_ci_u32_e64 v16, null, v14, v13, vcc_lo
	global_load_b64 v[17:18], v[15:16], off
	s_wait_loadcnt 0x0
	v_fma_f64 v[17:18], s[6:7], v[17:18], v[10:11]
	global_store_b64 v[15:16], v[17:18], off
	s_cbranch_execnz .LBB193_5
	s_branch .LBB193_34
.LBB193_30:                             ;   in Loop: Header=BB193_6 Depth=1
	s_branch .LBB193_18
.LBB193_31:                             ;   in Loop: Header=BB193_6 Depth=1
	s_branch .LBB193_22
.LBB193_32:                             ;   in Loop: Header=BB193_6 Depth=1
	s_branch .LBB193_26
.LBB193_33:                             ;   in Loop: Header=BB193_6 Depth=1
.LBB193_34:                             ;   in Loop: Header=BB193_6 Depth=1
	s_delay_alu instid0(VALU_DEP_1)
	v_add_co_u32 v12, vcc_lo, v0, v12
	s_wait_alu 0xfffd
	v_add_co_ci_u32_e64 v13, null, v14, v13, vcc_lo
	global_store_b64 v[12:13], v[10:11], off
	s_branch .LBB193_5
.LBB193_35:
	s_endpgm
	.section	.rodata,"a",@progbits
	.p2align	6, 0x0
	.amdhsa_kernel _ZL29rocblas_internal_gemmt_kernelIlLi16ELi32ELi8ELc84ELc84ELc76ELb0ELb0EdPKdS1_PdEviT_T9_T10_S3_lS5_S3_lS4_T11_S3_li
		.amdhsa_group_segment_fixed_size 4096
		.amdhsa_private_segment_fixed_size 0
		.amdhsa_kernarg_size 108
		.amdhsa_user_sgpr_count 2
		.amdhsa_user_sgpr_dispatch_ptr 0
		.amdhsa_user_sgpr_queue_ptr 0
		.amdhsa_user_sgpr_kernarg_segment_ptr 1
		.amdhsa_user_sgpr_dispatch_id 0
		.amdhsa_user_sgpr_private_segment_size 0
		.amdhsa_wavefront_size32 1
		.amdhsa_uses_dynamic_stack 0
		.amdhsa_enable_private_segment 0
		.amdhsa_system_sgpr_workgroup_id_x 1
		.amdhsa_system_sgpr_workgroup_id_y 1
		.amdhsa_system_sgpr_workgroup_id_z 1
		.amdhsa_system_sgpr_workgroup_info 0
		.amdhsa_system_vgpr_workitem_id 1
		.amdhsa_next_free_vgpr 52
		.amdhsa_next_free_sgpr 35
		.amdhsa_reserve_vcc 1
		.amdhsa_float_round_mode_32 0
		.amdhsa_float_round_mode_16_64 0
		.amdhsa_float_denorm_mode_32 3
		.amdhsa_float_denorm_mode_16_64 3
		.amdhsa_fp16_overflow 0
		.amdhsa_workgroup_processor_mode 1
		.amdhsa_memory_ordered 1
		.amdhsa_forward_progress 1
		.amdhsa_inst_pref_size 17
		.amdhsa_round_robin_scheduling 0
		.amdhsa_exception_fp_ieee_invalid_op 0
		.amdhsa_exception_fp_denorm_src 0
		.amdhsa_exception_fp_ieee_div_zero 0
		.amdhsa_exception_fp_ieee_overflow 0
		.amdhsa_exception_fp_ieee_underflow 0
		.amdhsa_exception_fp_ieee_inexact 0
		.amdhsa_exception_int_div_zero 0
	.end_amdhsa_kernel
	.section	.text._ZL29rocblas_internal_gemmt_kernelIlLi16ELi32ELi8ELc84ELc84ELc76ELb0ELb0EdPKdS1_PdEviT_T9_T10_S3_lS5_S3_lS4_T11_S3_li,"axG",@progbits,_ZL29rocblas_internal_gemmt_kernelIlLi16ELi32ELi8ELc84ELc84ELc76ELb0ELb0EdPKdS1_PdEviT_T9_T10_S3_lS5_S3_lS4_T11_S3_li,comdat
.Lfunc_end193:
	.size	_ZL29rocblas_internal_gemmt_kernelIlLi16ELi32ELi8ELc84ELc84ELc76ELb0ELb0EdPKdS1_PdEviT_T9_T10_S3_lS5_S3_lS4_T11_S3_li, .Lfunc_end193-_ZL29rocblas_internal_gemmt_kernelIlLi16ELi32ELi8ELc84ELc84ELc76ELb0ELb0EdPKdS1_PdEviT_T9_T10_S3_lS5_S3_lS4_T11_S3_li
                                        ; -- End function
	.set _ZL29rocblas_internal_gemmt_kernelIlLi16ELi32ELi8ELc84ELc84ELc76ELb0ELb0EdPKdS1_PdEviT_T9_T10_S3_lS5_S3_lS4_T11_S3_li.num_vgpr, 52
	.set _ZL29rocblas_internal_gemmt_kernelIlLi16ELi32ELi8ELc84ELc84ELc76ELb0ELb0EdPKdS1_PdEviT_T9_T10_S3_lS5_S3_lS4_T11_S3_li.num_agpr, 0
	.set _ZL29rocblas_internal_gemmt_kernelIlLi16ELi32ELi8ELc84ELc84ELc76ELb0ELb0EdPKdS1_PdEviT_T9_T10_S3_lS5_S3_lS4_T11_S3_li.numbered_sgpr, 35
	.set _ZL29rocblas_internal_gemmt_kernelIlLi16ELi32ELi8ELc84ELc84ELc76ELb0ELb0EdPKdS1_PdEviT_T9_T10_S3_lS5_S3_lS4_T11_S3_li.num_named_barrier, 0
	.set _ZL29rocblas_internal_gemmt_kernelIlLi16ELi32ELi8ELc84ELc84ELc76ELb0ELb0EdPKdS1_PdEviT_T9_T10_S3_lS5_S3_lS4_T11_S3_li.private_seg_size, 0
	.set _ZL29rocblas_internal_gemmt_kernelIlLi16ELi32ELi8ELc84ELc84ELc76ELb0ELb0EdPKdS1_PdEviT_T9_T10_S3_lS5_S3_lS4_T11_S3_li.uses_vcc, 1
	.set _ZL29rocblas_internal_gemmt_kernelIlLi16ELi32ELi8ELc84ELc84ELc76ELb0ELb0EdPKdS1_PdEviT_T9_T10_S3_lS5_S3_lS4_T11_S3_li.uses_flat_scratch, 0
	.set _ZL29rocblas_internal_gemmt_kernelIlLi16ELi32ELi8ELc84ELc84ELc76ELb0ELb0EdPKdS1_PdEviT_T9_T10_S3_lS5_S3_lS4_T11_S3_li.has_dyn_sized_stack, 0
	.set _ZL29rocblas_internal_gemmt_kernelIlLi16ELi32ELi8ELc84ELc84ELc76ELb0ELb0EdPKdS1_PdEviT_T9_T10_S3_lS5_S3_lS4_T11_S3_li.has_recursion, 0
	.set _ZL29rocblas_internal_gemmt_kernelIlLi16ELi32ELi8ELc84ELc84ELc76ELb0ELb0EdPKdS1_PdEviT_T9_T10_S3_lS5_S3_lS4_T11_S3_li.has_indirect_call, 0
	.section	.AMDGPU.csdata,"",@progbits
; Kernel info:
; codeLenInByte = 2060
; TotalNumSgprs: 37
; NumVgprs: 52
; ScratchSize: 0
; MemoryBound: 0
; FloatMode: 240
; IeeeMode: 1
; LDSByteSize: 4096 bytes/workgroup (compile time only)
; SGPRBlocks: 0
; VGPRBlocks: 6
; NumSGPRsForWavesPerEU: 37
; NumVGPRsForWavesPerEU: 52
; Occupancy: 16
; WaveLimiterHint : 0
; COMPUTE_PGM_RSRC2:SCRATCH_EN: 0
; COMPUTE_PGM_RSRC2:USER_SGPR: 2
; COMPUTE_PGM_RSRC2:TRAP_HANDLER: 0
; COMPUTE_PGM_RSRC2:TGID_X_EN: 1
; COMPUTE_PGM_RSRC2:TGID_Y_EN: 1
; COMPUTE_PGM_RSRC2:TGID_Z_EN: 1
; COMPUTE_PGM_RSRC2:TIDIG_COMP_CNT: 1
	.section	.text._ZL29rocblas_internal_gemmt_kernelIlLi16ELi32ELi8ELc84ELc67ELc76ELb0ELb0EdPKdS1_PdEviT_T9_T10_S3_lS5_S3_lS4_T11_S3_li,"axG",@progbits,_ZL29rocblas_internal_gemmt_kernelIlLi16ELi32ELi8ELc84ELc67ELc76ELb0ELb0EdPKdS1_PdEviT_T9_T10_S3_lS5_S3_lS4_T11_S3_li,comdat
	.globl	_ZL29rocblas_internal_gemmt_kernelIlLi16ELi32ELi8ELc84ELc67ELc76ELb0ELb0EdPKdS1_PdEviT_T9_T10_S3_lS5_S3_lS4_T11_S3_li ; -- Begin function _ZL29rocblas_internal_gemmt_kernelIlLi16ELi32ELi8ELc84ELc67ELc76ELb0ELb0EdPKdS1_PdEviT_T9_T10_S3_lS5_S3_lS4_T11_S3_li
	.p2align	8
	.type	_ZL29rocblas_internal_gemmt_kernelIlLi16ELi32ELi8ELc84ELc67ELc76ELb0ELb0EdPKdS1_PdEviT_T9_T10_S3_lS5_S3_lS4_T11_S3_li,@function
_ZL29rocblas_internal_gemmt_kernelIlLi16ELi32ELi8ELc84ELc67ELc76ELb0ELb0EdPKdS1_PdEviT_T9_T10_S3_lS5_S3_lS4_T11_S3_li: ; @_ZL29rocblas_internal_gemmt_kernelIlLi16ELi32ELi8ELc84ELc67ELc76ELb0ELb0EdPKdS1_PdEviT_T9_T10_S3_lS5_S3_lS4_T11_S3_li
; %bb.0:
	s_clause 0x1
	s_load_b256 s[24:31], s[0:1], 0x48
	s_load_b512 s[8:23], s[0:1], 0x8
	s_wait_kmcnt 0x0
	s_load_b64 s[6:7], s[24:25], 0x0
	s_load_b64 s[10:11], s[10:11], 0x0
	s_wait_kmcnt 0x0
	v_cmp_neq_f64_e64 s2, s[6:7], 1.0
	s_and_b32 vcc_lo, exec_lo, s2
	s_cbranch_vccnz .LBB194_2
; %bb.1:
	v_cmp_neq_f64_e64 s2, s[10:11], 0
	s_cmp_lg_u64 s[8:9], 0
	s_cselect_b32 s3, -1, 0
	s_delay_alu instid0(SALU_CYCLE_1)
	s_and_b32 s2, s3, s2
.LBB194_2:
	s_delay_alu instid0(SALU_CYCLE_1)
	s_and_not1_b32 vcc_lo, exec_lo, s2
	s_cbranch_vccnz .LBB194_35
; %bb.3:
	s_load_b32 s5, s[0:1], 0x68
	s_lshr_b32 s24, ttmp7, 16
	s_wait_kmcnt 0x0
	s_cmp_ge_u32 s24, s5
	s_cbranch_scc1 .LBB194_35
; %bb.4:
	v_and_b32_e32 v9, 0x3ff, v0
	v_bfe_u32 v12, v0, 10, 10
	v_dual_mov_b32 v1, 0 :: v_dual_and_b32 v22, 7, v0
	s_load_b32 s4, s[0:1], 0x0
	s_lshl_b32 s2, ttmp9, 5
	s_delay_alu instid0(VALU_DEP_2)
	v_lshl_add_u32 v4, v12, 4, v9
	s_lshl_b32 s0, ttmp7, 5
	v_lshlrev_b32_e32 v8, 3, v22
	s_and_b32 s0, s0, 0x1fffe0
	s_ashr_i32 s1, s2, 31
	v_and_b32_e32 v0, 31, v4
	v_add_nc_u32_e32 v13, s0, v12
	v_lshrrev_b32_e32 v10, 3, v4
	v_cmp_neq_f64_e64 s25, s[10:11], 0
	s_mul_i32 s1, s14, s1
	v_or_b32_e32 v6, s2, v0
	v_cmp_neq_f64_e64 s33, s[6:7], 0
	v_lshrrev_b32_e32 v23, 5, v4
	v_mad_co_u64_u32 v[4:5], null, s28, v13, 0
	s_delay_alu instid0(VALU_DEP_4)
	v_mul_lo_u32 v7, s15, v6
	v_mad_co_u64_u32 v[2:3], null, s14, v6, 0
	v_add_nc_u32_e32 v14, 16, v13
	v_lshl_or_b32 v8, v10, 6, v8
	v_lshlrev_b32_e32 v0, 3, v0
	v_cmp_gt_i64_e64 s34, s[8:9], 0
	v_lshl_add_u32 v31, v12, 6, 0x800
	s_wait_alu 0xfffe
	v_add3_u32 v3, v3, s1, v7
	v_add_nc_u32_e32 v7, s0, v10
	s_wait_kmcnt 0x0
	v_cmp_gt_i32_e64 s0, s4, v6
	v_add_nc_u32_e32 v25, 0x800, v8
	v_lshl_or_b32 v24, v23, 8, v0
	v_mov_b32_e32 v0, v5
	v_cmp_gt_i32_e64 s1, s4, v7
	v_lshlrev_b32_e32 v8, 3, v7
	v_mad_co_u64_u32 v[6:7], null, s28, v14, 0
	v_lshlrev_b32_e32 v30, 3, v9
	v_lshlrev_b64_e32 v[2:3], 3, v[2:3]
	s_delay_alu instid0(VALU_DEP_4) | instskip(SKIP_4) | instid1(VALU_DEP_4)
	v_add_co_u32 v28, s3, s18, v8
	v_add_nc_u32_e32 v8, s2, v9
	v_mad_co_u64_u32 v[9:10], null, s29, v13, v[0:1]
	v_mov_b32_e32 v0, v7
	v_add_co_u32 v26, vcc_lo, s12, v2
	v_add_nc_u32_e32 v2, 16, v8
	v_add_co_ci_u32_e64 v27, null, s13, v3, vcc_lo
	s_delay_alu instid0(VALU_DEP_4)
	v_mad_co_u64_u32 v[10:11], null, s29, v14, v[0:1]
	s_wait_alu 0xf1ff
	v_add_co_ci_u32_e64 v29, null, s19, 0, s3
	v_cmp_le_i32_e32 vcc_lo, v13, v8
	v_cmp_gt_i32_e64 s2, s4, v8
	v_cmp_le_i32_e64 s3, v13, v2
	v_cmp_gt_i32_e64 s4, s4, v2
	v_mov_b32_e32 v5, v9
	v_ashrrev_i32_e32 v9, 31, v8
	v_mov_b32_e32 v7, v10
	s_and_b32 s12, vcc_lo, s2
	s_and_b32 s13, s3, s4
	v_cmp_le_i32_e32 vcc_lo, v14, v8
	v_cmp_le_i32_e64 s3, v14, v2
	v_lshlrev_b64_e32 v[4:5], 3, v[4:5]
	v_lshlrev_b64_e32 v[6:7], 3, v[6:7]
	;; [unrolled: 1-line block ×3, first 2 shown]
	v_ashrrev_i32_e32 v3, 31, v2
	s_and_b32 s14, s25, s34
	s_and_b32 s15, vcc_lo, s2
	s_and_b32 s4, s3, s4
	s_mov_b32 s25, 0
	s_branch .LBB194_6
.LBB194_5:                              ;   in Loop: Header=BB194_6 Depth=1
	s_wait_alu 0xfffe
	s_or_b32 exec_lo, exec_lo, s2
	s_add_co_i32 s24, s24, 0x10000
	s_delay_alu instid0(SALU_CYCLE_1)
	s_cmp_lt_u32 s24, s5
	s_cbranch_scc0 .LBB194_35
.LBB194_6:                              ; =>This Loop Header: Depth=1
                                        ;     Child Loop BB194_9 Depth 2
	v_mov_b32_e32 v16, 0
	v_dual_mov_b32 v12, 0 :: v_dual_mov_b32 v17, 0
	v_dual_mov_b32 v14, 0 :: v_dual_mov_b32 v13, 0
	;; [unrolled: 1-line block ×3, first 2 shown]
	v_mov_b32_e32 v11, 0
	s_wait_alu 0xfffe
	s_and_not1_b32 vcc_lo, exec_lo, s14
	s_wait_alu 0xfffe
	s_cbranch_vccnz .LBB194_15
; %bb.7:                                ;   in Loop: Header=BB194_6 Depth=1
	s_mul_u64 s[2:3], s[16:17], s[24:25]
	s_mul_u64 s[18:19], s[22:23], s[24:25]
	s_wait_alu 0xfffe
	s_lshl_b64 s[2:3], s[2:3], 3
	v_mov_b32_e32 v10, 0
	s_wait_alu 0xfffe
	v_add_co_u32 v32, vcc_lo, v26, s2
	s_wait_alu 0xfffd
	v_add_co_ci_u32_e64 v33, null, s3, v27, vcc_lo
	s_lshl_b64 s[2:3], s[18:19], 3
	v_mov_b32_e32 v14, 0
	s_wait_alu 0xfffe
	v_add_co_u32 v34, vcc_lo, v28, s2
	v_dual_mov_b32 v11, 0 :: v_dual_mov_b32 v12, 0
	v_dual_mov_b32 v15, 0 :: v_dual_mov_b32 v16, 0
	v_mov_b32_e32 v13, 0
	v_mov_b32_e32 v17, 0
	s_wait_alu 0xfffd
	v_add_co_ci_u32_e64 v35, null, s3, v29, vcc_lo
	s_mov_b64 s[2:3], 0
	s_branch .LBB194_9
.LBB194_8:                              ;   in Loop: Header=BB194_9 Depth=2
	s_wait_alu 0xfffe
	s_or_b32 exec_lo, exec_lo, s18
	s_wait_loadcnt 0x0
	ds_store_b64 v25, v[20:21]
	s_wait_dscnt 0x0
	s_barrier_signal -1
	s_barrier_wait -1
	global_inv scope:SCOPE_SE
	ds_load_b128 v[18:21], v31
	ds_load_2addr_b64 v[36:39], v30 offset1:16
	ds_load_b128 v[40:43], v31 offset:1024
	ds_load_b128 v[44:47], v31 offset:16
	;; [unrolled: 1-line block ×3, first 2 shown]
	s_add_nc_u64 s[2:3], s[2:3], 8
	s_wait_alu 0xfffe
	v_cmp_gt_i64_e64 s18, s[8:9], s[2:3]
	s_and_b32 vcc_lo, exec_lo, s18
	s_wait_dscnt 0x3
	v_fma_f64 v[16:17], v[36:37], v[18:19], v[16:17]
	v_fma_f64 v[14:15], v[38:39], v[18:19], v[14:15]
	s_wait_dscnt 0x2
	v_fma_f64 v[18:19], v[36:37], v[40:41], v[12:13]
	v_fma_f64 v[36:37], v[38:39], v[40:41], v[10:11]
	ds_load_2addr_b64 v[10:13], v30 offset0:32 offset1:48
	s_wait_dscnt 0x0
	v_fma_f64 v[16:17], v[10:11], v[20:21], v[16:17]
	v_fma_f64 v[14:15], v[12:13], v[20:21], v[14:15]
	v_fma_f64 v[18:19], v[10:11], v[42:43], v[18:19]
	v_fma_f64 v[20:21], v[12:13], v[42:43], v[36:37]
	ds_load_2addr_b64 v[10:13], v30 offset0:64 offset1:80
	s_wait_dscnt 0x0
	v_fma_f64 v[16:17], v[10:11], v[44:45], v[16:17]
	v_fma_f64 v[14:15], v[12:13], v[44:45], v[14:15]
	;; [unrolled: 6-line block ×3, first 2 shown]
	v_fma_f64 v[48:49], v[10:11], v[50:51], v[18:19]
	v_fma_f64 v[50:51], v[12:13], v[50:51], v[20:21]
	ds_load_b128 v[10:13], v31 offset:32
	ds_load_2addr_b64 v[14:17], v30 offset0:128 offset1:144
	ds_load_b128 v[18:21], v31 offset:1056
	ds_load_b128 v[36:39], v31 offset:48
	;; [unrolled: 1-line block ×3, first 2 shown]
	s_wait_dscnt 0x3
	v_fma_f64 v[44:45], v[14:15], v[10:11], v[44:45]
	v_fma_f64 v[10:11], v[16:17], v[10:11], v[46:47]
	s_wait_dscnt 0x2
	v_fma_f64 v[46:47], v[14:15], v[18:19], v[48:49]
	v_fma_f64 v[18:19], v[16:17], v[18:19], v[50:51]
	ds_load_2addr_b64 v[14:17], v30 offset0:160 offset1:176
	s_wait_dscnt 0x0
	v_fma_f64 v[44:45], v[14:15], v[12:13], v[44:45]
	v_fma_f64 v[48:49], v[16:17], v[12:13], v[10:11]
	;; [unrolled: 1-line block ×4, first 2 shown]
	ds_load_2addr_b64 v[10:13], v30 offset0:192 offset1:208
	ds_load_2addr_b64 v[18:21], v30 offset0:224 offset1:240
	s_wait_loadcnt_dscnt 0x0
	s_barrier_signal -1
	s_barrier_wait -1
	global_inv scope:SCOPE_SE
	v_fma_f64 v[44:45], v[10:11], v[36:37], v[44:45]
	v_fma_f64 v[36:37], v[12:13], v[36:37], v[48:49]
	;; [unrolled: 1-line block ×4, first 2 shown]
	s_delay_alu instid0(VALU_DEP_4) | instskip(NEXT) | instid1(VALU_DEP_4)
	v_fma_f64 v[16:17], v[18:19], v[38:39], v[44:45]
	v_fma_f64 v[14:15], v[20:21], v[38:39], v[36:37]
	s_delay_alu instid0(VALU_DEP_4) | instskip(NEXT) | instid1(VALU_DEP_4)
	v_fma_f64 v[12:13], v[18:19], v[42:43], v[10:11]
	v_fma_f64 v[10:11], v[20:21], v[42:43], v[40:41]
	s_wait_alu 0xfffe
	s_cbranch_vccz .LBB194_15
.LBB194_9:                              ;   Parent Loop BB194_6 Depth=1
                                        ; =>  This Inner Loop Header: Depth=2
	v_mov_b32_e32 v18, 0
	v_mov_b32_e32 v19, 0
	s_and_saveexec_b32 s18, s0
	s_cbranch_execz .LBB194_13
; %bb.10:                               ;   in Loop: Header=BB194_9 Depth=2
	v_mov_b32_e32 v18, 0
	s_wait_alu 0xfffe
	v_dual_mov_b32 v19, 0 :: v_dual_add_nc_u32 v0, s2, v23
	s_mov_b32 s19, exec_lo
	s_delay_alu instid0(VALU_DEP_1)
	v_cmpx_gt_u64_e64 s[8:9], v[0:1]
	s_cbranch_execz .LBB194_12
; %bb.11:                               ;   in Loop: Header=BB194_9 Depth=2
	v_lshlrev_b64_e32 v[18:19], 3, v[0:1]
	s_delay_alu instid0(VALU_DEP_1) | instskip(SKIP_1) | instid1(VALU_DEP_2)
	v_add_co_u32 v18, vcc_lo, v32, v18
	s_wait_alu 0xfffd
	v_add_co_ci_u32_e64 v19, null, v33, v19, vcc_lo
	global_load_b64 v[18:19], v[18:19], off
.LBB194_12:                             ;   in Loop: Header=BB194_9 Depth=2
	s_wait_alu 0xfffe
	s_or_b32 exec_lo, exec_lo, s19
.LBB194_13:                             ;   in Loop: Header=BB194_9 Depth=2
	s_wait_alu 0xfffe
	s_or_b32 exec_lo, exec_lo, s18
	v_add_nc_u32_e32 v0, s2, v22
	v_mov_b32_e32 v20, 0
	v_mov_b32_e32 v21, 0
	s_wait_loadcnt 0x0
	ds_store_b64 v24, v[18:19]
	v_cmp_gt_u64_e32 vcc_lo, s[8:9], v[0:1]
	s_and_b32 s19, vcc_lo, s1
	s_wait_alu 0xfffe
	s_and_saveexec_b32 s18, s19
	s_cbranch_execz .LBB194_8
; %bb.14:                               ;   in Loop: Header=BB194_9 Depth=2
	v_mad_co_u64_u32 v[18:19], null, s20, v0, 0
	s_delay_alu instid0(VALU_DEP_1) | instskip(NEXT) | instid1(VALU_DEP_1)
	v_mad_co_u64_u32 v[19:20], null, s21, v0, v[19:20]
	v_lshlrev_b64_e32 v[18:19], 3, v[18:19]
	s_delay_alu instid0(VALU_DEP_1) | instskip(SKIP_1) | instid1(VALU_DEP_2)
	v_add_co_u32 v18, vcc_lo, v34, v18
	s_wait_alu 0xfffd
	v_add_co_ci_u32_e64 v19, null, v35, v19, vcc_lo
	global_load_b64 v[20:21], v[18:19], off
	s_branch .LBB194_8
.LBB194_15:                             ;   in Loop: Header=BB194_6 Depth=1
	s_mul_u64 s[2:3], s[30:31], s[24:25]
	s_wait_alu 0xfffe
	s_lshl_b64 s[2:3], s[2:3], 3
	s_wait_alu 0xfffe
	s_add_nc_u64 s[2:3], s[26:27], s[2:3]
	s_wait_alu 0xfffe
	v_add_co_u32 v0, vcc_lo, s2, v4
	s_wait_alu 0xfffd
	v_add_co_ci_u32_e64 v18, null, s3, v5, vcc_lo
	s_and_saveexec_b32 s18, s12
	s_cbranch_execz .LBB194_19
; %bb.16:                               ;   in Loop: Header=BB194_6 Depth=1
	v_mul_f64_e32 v[16:17], s[10:11], v[16:17]
	s_and_b32 vcc_lo, exec_lo, s33
	s_wait_alu 0xfffe
	s_cbranch_vccz .LBB194_30
; %bb.17:                               ;   in Loop: Header=BB194_6 Depth=1
	v_add_co_u32 v19, vcc_lo, v0, v8
	s_wait_alu 0xfffd
	v_add_co_ci_u32_e64 v20, null, v18, v9, vcc_lo
	global_load_b64 v[32:33], v[19:20], off
	s_wait_loadcnt 0x0
	v_fma_f64 v[32:33], s[6:7], v[32:33], v[16:17]
	global_store_b64 v[19:20], v[32:33], off
	s_cbranch_execnz .LBB194_19
.LBB194_18:                             ;   in Loop: Header=BB194_6 Depth=1
	v_add_co_u32 v19, vcc_lo, v0, v8
	s_wait_alu 0xfffd
	v_add_co_ci_u32_e64 v20, null, v18, v9, vcc_lo
	global_store_b64 v[19:20], v[16:17], off
.LBB194_19:                             ;   in Loop: Header=BB194_6 Depth=1
	s_wait_alu 0xfffe
	s_or_b32 exec_lo, exec_lo, s18
	s_and_saveexec_b32 s18, s13
	s_cbranch_execz .LBB194_23
; %bb.20:                               ;   in Loop: Header=BB194_6 Depth=1
	v_mul_f64_e32 v[14:15], s[10:11], v[14:15]
	s_and_not1_b32 vcc_lo, exec_lo, s33
	s_wait_alu 0xfffe
	s_cbranch_vccnz .LBB194_31
; %bb.21:                               ;   in Loop: Header=BB194_6 Depth=1
	v_lshlrev_b64_e32 v[16:17], 3, v[2:3]
	s_delay_alu instid0(VALU_DEP_1) | instskip(SKIP_1) | instid1(VALU_DEP_2)
	v_add_co_u32 v16, vcc_lo, v0, v16
	s_wait_alu 0xfffd
	v_add_co_ci_u32_e64 v17, null, v18, v17, vcc_lo
	global_load_b64 v[19:20], v[16:17], off
	s_wait_loadcnt 0x0
	v_fma_f64 v[19:20], s[6:7], v[19:20], v[14:15]
	global_store_b64 v[16:17], v[19:20], off
	s_cbranch_execnz .LBB194_23
.LBB194_22:                             ;   in Loop: Header=BB194_6 Depth=1
	v_lshlrev_b64_e32 v[16:17], 3, v[2:3]
	s_delay_alu instid0(VALU_DEP_1) | instskip(SKIP_1) | instid1(VALU_DEP_2)
	v_add_co_u32 v16, vcc_lo, v0, v16
	s_wait_alu 0xfffd
	v_add_co_ci_u32_e64 v17, null, v18, v17, vcc_lo
	global_store_b64 v[16:17], v[14:15], off
.LBB194_23:                             ;   in Loop: Header=BB194_6 Depth=1
	s_wait_alu 0xfffe
	s_or_b32 exec_lo, exec_lo, s18
	v_add_co_u32 v0, vcc_lo, s2, v6
	s_wait_alu 0xfffd
	v_add_co_ci_u32_e64 v14, null, s3, v7, vcc_lo
	s_and_saveexec_b32 s2, s15
	s_cbranch_execz .LBB194_27
; %bb.24:                               ;   in Loop: Header=BB194_6 Depth=1
	v_mul_f64_e32 v[12:13], s[10:11], v[12:13]
	s_and_not1_b32 vcc_lo, exec_lo, s33
	s_wait_alu 0xfffe
	s_cbranch_vccnz .LBB194_32
; %bb.25:                               ;   in Loop: Header=BB194_6 Depth=1
	v_add_co_u32 v15, vcc_lo, v0, v8
	s_wait_alu 0xfffd
	v_add_co_ci_u32_e64 v16, null, v14, v9, vcc_lo
	global_load_b64 v[17:18], v[15:16], off
	s_wait_loadcnt 0x0
	v_fma_f64 v[17:18], s[6:7], v[17:18], v[12:13]
	global_store_b64 v[15:16], v[17:18], off
	s_cbranch_execnz .LBB194_27
.LBB194_26:                             ;   in Loop: Header=BB194_6 Depth=1
	v_add_co_u32 v15, vcc_lo, v0, v8
	s_wait_alu 0xfffd
	v_add_co_ci_u32_e64 v16, null, v14, v9, vcc_lo
	global_store_b64 v[15:16], v[12:13], off
.LBB194_27:                             ;   in Loop: Header=BB194_6 Depth=1
	s_wait_alu 0xfffe
	s_or_b32 exec_lo, exec_lo, s2
	s_and_saveexec_b32 s2, s4
	s_cbranch_execz .LBB194_5
; %bb.28:                               ;   in Loop: Header=BB194_6 Depth=1
	v_mul_f64_e32 v[10:11], s[10:11], v[10:11]
	v_lshlrev_b64_e32 v[12:13], 3, v[2:3]
	s_and_not1_b32 vcc_lo, exec_lo, s33
	s_wait_alu 0xfffe
	s_cbranch_vccnz .LBB194_33
; %bb.29:                               ;   in Loop: Header=BB194_6 Depth=1
	s_delay_alu instid0(VALU_DEP_1)
	v_add_co_u32 v15, vcc_lo, v0, v12
	s_wait_alu 0xfffd
	v_add_co_ci_u32_e64 v16, null, v14, v13, vcc_lo
	global_load_b64 v[17:18], v[15:16], off
	s_wait_loadcnt 0x0
	v_fma_f64 v[17:18], s[6:7], v[17:18], v[10:11]
	global_store_b64 v[15:16], v[17:18], off
	s_cbranch_execnz .LBB194_5
	s_branch .LBB194_34
.LBB194_30:                             ;   in Loop: Header=BB194_6 Depth=1
	s_branch .LBB194_18
.LBB194_31:                             ;   in Loop: Header=BB194_6 Depth=1
	s_branch .LBB194_22
.LBB194_32:                             ;   in Loop: Header=BB194_6 Depth=1
	s_branch .LBB194_26
.LBB194_33:                             ;   in Loop: Header=BB194_6 Depth=1
.LBB194_34:                             ;   in Loop: Header=BB194_6 Depth=1
	s_delay_alu instid0(VALU_DEP_1)
	v_add_co_u32 v12, vcc_lo, v0, v12
	s_wait_alu 0xfffd
	v_add_co_ci_u32_e64 v13, null, v14, v13, vcc_lo
	global_store_b64 v[12:13], v[10:11], off
	s_branch .LBB194_5
.LBB194_35:
	s_endpgm
	.section	.rodata,"a",@progbits
	.p2align	6, 0x0
	.amdhsa_kernel _ZL29rocblas_internal_gemmt_kernelIlLi16ELi32ELi8ELc84ELc67ELc76ELb0ELb0EdPKdS1_PdEviT_T9_T10_S3_lS5_S3_lS4_T11_S3_li
		.amdhsa_group_segment_fixed_size 4096
		.amdhsa_private_segment_fixed_size 0
		.amdhsa_kernarg_size 108
		.amdhsa_user_sgpr_count 2
		.amdhsa_user_sgpr_dispatch_ptr 0
		.amdhsa_user_sgpr_queue_ptr 0
		.amdhsa_user_sgpr_kernarg_segment_ptr 1
		.amdhsa_user_sgpr_dispatch_id 0
		.amdhsa_user_sgpr_private_segment_size 0
		.amdhsa_wavefront_size32 1
		.amdhsa_uses_dynamic_stack 0
		.amdhsa_enable_private_segment 0
		.amdhsa_system_sgpr_workgroup_id_x 1
		.amdhsa_system_sgpr_workgroup_id_y 1
		.amdhsa_system_sgpr_workgroup_id_z 1
		.amdhsa_system_sgpr_workgroup_info 0
		.amdhsa_system_vgpr_workitem_id 1
		.amdhsa_next_free_vgpr 52
		.amdhsa_next_free_sgpr 35
		.amdhsa_reserve_vcc 1
		.amdhsa_float_round_mode_32 0
		.amdhsa_float_round_mode_16_64 0
		.amdhsa_float_denorm_mode_32 3
		.amdhsa_float_denorm_mode_16_64 3
		.amdhsa_fp16_overflow 0
		.amdhsa_workgroup_processor_mode 1
		.amdhsa_memory_ordered 1
		.amdhsa_forward_progress 1
		.amdhsa_inst_pref_size 17
		.amdhsa_round_robin_scheduling 0
		.amdhsa_exception_fp_ieee_invalid_op 0
		.amdhsa_exception_fp_denorm_src 0
		.amdhsa_exception_fp_ieee_div_zero 0
		.amdhsa_exception_fp_ieee_overflow 0
		.amdhsa_exception_fp_ieee_underflow 0
		.amdhsa_exception_fp_ieee_inexact 0
		.amdhsa_exception_int_div_zero 0
	.end_amdhsa_kernel
	.section	.text._ZL29rocblas_internal_gemmt_kernelIlLi16ELi32ELi8ELc84ELc67ELc76ELb0ELb0EdPKdS1_PdEviT_T9_T10_S3_lS5_S3_lS4_T11_S3_li,"axG",@progbits,_ZL29rocblas_internal_gemmt_kernelIlLi16ELi32ELi8ELc84ELc67ELc76ELb0ELb0EdPKdS1_PdEviT_T9_T10_S3_lS5_S3_lS4_T11_S3_li,comdat
.Lfunc_end194:
	.size	_ZL29rocblas_internal_gemmt_kernelIlLi16ELi32ELi8ELc84ELc67ELc76ELb0ELb0EdPKdS1_PdEviT_T9_T10_S3_lS5_S3_lS4_T11_S3_li, .Lfunc_end194-_ZL29rocblas_internal_gemmt_kernelIlLi16ELi32ELi8ELc84ELc67ELc76ELb0ELb0EdPKdS1_PdEviT_T9_T10_S3_lS5_S3_lS4_T11_S3_li
                                        ; -- End function
	.set _ZL29rocblas_internal_gemmt_kernelIlLi16ELi32ELi8ELc84ELc67ELc76ELb0ELb0EdPKdS1_PdEviT_T9_T10_S3_lS5_S3_lS4_T11_S3_li.num_vgpr, 52
	.set _ZL29rocblas_internal_gemmt_kernelIlLi16ELi32ELi8ELc84ELc67ELc76ELb0ELb0EdPKdS1_PdEviT_T9_T10_S3_lS5_S3_lS4_T11_S3_li.num_agpr, 0
	.set _ZL29rocblas_internal_gemmt_kernelIlLi16ELi32ELi8ELc84ELc67ELc76ELb0ELb0EdPKdS1_PdEviT_T9_T10_S3_lS5_S3_lS4_T11_S3_li.numbered_sgpr, 35
	.set _ZL29rocblas_internal_gemmt_kernelIlLi16ELi32ELi8ELc84ELc67ELc76ELb0ELb0EdPKdS1_PdEviT_T9_T10_S3_lS5_S3_lS4_T11_S3_li.num_named_barrier, 0
	.set _ZL29rocblas_internal_gemmt_kernelIlLi16ELi32ELi8ELc84ELc67ELc76ELb0ELb0EdPKdS1_PdEviT_T9_T10_S3_lS5_S3_lS4_T11_S3_li.private_seg_size, 0
	.set _ZL29rocblas_internal_gemmt_kernelIlLi16ELi32ELi8ELc84ELc67ELc76ELb0ELb0EdPKdS1_PdEviT_T9_T10_S3_lS5_S3_lS4_T11_S3_li.uses_vcc, 1
	.set _ZL29rocblas_internal_gemmt_kernelIlLi16ELi32ELi8ELc84ELc67ELc76ELb0ELb0EdPKdS1_PdEviT_T9_T10_S3_lS5_S3_lS4_T11_S3_li.uses_flat_scratch, 0
	.set _ZL29rocblas_internal_gemmt_kernelIlLi16ELi32ELi8ELc84ELc67ELc76ELb0ELb0EdPKdS1_PdEviT_T9_T10_S3_lS5_S3_lS4_T11_S3_li.has_dyn_sized_stack, 0
	.set _ZL29rocblas_internal_gemmt_kernelIlLi16ELi32ELi8ELc84ELc67ELc76ELb0ELb0EdPKdS1_PdEviT_T9_T10_S3_lS5_S3_lS4_T11_S3_li.has_recursion, 0
	.set _ZL29rocblas_internal_gemmt_kernelIlLi16ELi32ELi8ELc84ELc67ELc76ELb0ELb0EdPKdS1_PdEviT_T9_T10_S3_lS5_S3_lS4_T11_S3_li.has_indirect_call, 0
	.section	.AMDGPU.csdata,"",@progbits
; Kernel info:
; codeLenInByte = 2060
; TotalNumSgprs: 37
; NumVgprs: 52
; ScratchSize: 0
; MemoryBound: 0
; FloatMode: 240
; IeeeMode: 1
; LDSByteSize: 4096 bytes/workgroup (compile time only)
; SGPRBlocks: 0
; VGPRBlocks: 6
; NumSGPRsForWavesPerEU: 37
; NumVGPRsForWavesPerEU: 52
; Occupancy: 16
; WaveLimiterHint : 0
; COMPUTE_PGM_RSRC2:SCRATCH_EN: 0
; COMPUTE_PGM_RSRC2:USER_SGPR: 2
; COMPUTE_PGM_RSRC2:TRAP_HANDLER: 0
; COMPUTE_PGM_RSRC2:TGID_X_EN: 1
; COMPUTE_PGM_RSRC2:TGID_Y_EN: 1
; COMPUTE_PGM_RSRC2:TGID_Z_EN: 1
; COMPUTE_PGM_RSRC2:TIDIG_COMP_CNT: 1
	.section	.text._ZL29rocblas_internal_gemmt_kernelIlLi16ELi32ELi8ELc67ELc78ELc76ELb0ELb0EdPKdS1_PdEviT_T9_T10_S3_lS5_S3_lS4_T11_S3_li,"axG",@progbits,_ZL29rocblas_internal_gemmt_kernelIlLi16ELi32ELi8ELc67ELc78ELc76ELb0ELb0EdPKdS1_PdEviT_T9_T10_S3_lS5_S3_lS4_T11_S3_li,comdat
	.globl	_ZL29rocblas_internal_gemmt_kernelIlLi16ELi32ELi8ELc67ELc78ELc76ELb0ELb0EdPKdS1_PdEviT_T9_T10_S3_lS5_S3_lS4_T11_S3_li ; -- Begin function _ZL29rocblas_internal_gemmt_kernelIlLi16ELi32ELi8ELc67ELc78ELc76ELb0ELb0EdPKdS1_PdEviT_T9_T10_S3_lS5_S3_lS4_T11_S3_li
	.p2align	8
	.type	_ZL29rocblas_internal_gemmt_kernelIlLi16ELi32ELi8ELc67ELc78ELc76ELb0ELb0EdPKdS1_PdEviT_T9_T10_S3_lS5_S3_lS4_T11_S3_li,@function
_ZL29rocblas_internal_gemmt_kernelIlLi16ELi32ELi8ELc67ELc78ELc76ELb0ELb0EdPKdS1_PdEviT_T9_T10_S3_lS5_S3_lS4_T11_S3_li: ; @_ZL29rocblas_internal_gemmt_kernelIlLi16ELi32ELi8ELc67ELc78ELc76ELb0ELb0EdPKdS1_PdEviT_T9_T10_S3_lS5_S3_lS4_T11_S3_li
; %bb.0:
	s_clause 0x1
	s_load_b256 s[24:31], s[0:1], 0x48
	s_load_b512 s[8:23], s[0:1], 0x8
	s_wait_kmcnt 0x0
	s_load_b64 s[6:7], s[24:25], 0x0
	s_load_b64 s[10:11], s[10:11], 0x0
	s_wait_kmcnt 0x0
	v_cmp_neq_f64_e64 s2, s[6:7], 1.0
	s_and_b32 vcc_lo, exec_lo, s2
	s_cbranch_vccnz .LBB195_2
; %bb.1:
	v_cmp_neq_f64_e64 s2, s[10:11], 0
	s_cmp_lg_u64 s[8:9], 0
	s_cselect_b32 s3, -1, 0
	s_delay_alu instid0(SALU_CYCLE_1)
	s_and_b32 s2, s3, s2
.LBB195_2:
	s_delay_alu instid0(SALU_CYCLE_1)
	s_and_not1_b32 vcc_lo, exec_lo, s2
	s_cbranch_vccnz .LBB195_35
; %bb.3:
	s_load_b32 s5, s[0:1], 0x68
	s_lshr_b32 s24, ttmp7, 16
	s_wait_kmcnt 0x0
	s_cmp_ge_u32 s24, s5
	s_cbranch_scc1 .LBB195_35
; %bb.4:
	v_and_b32_e32 v9, 0x3ff, v0
	v_bfe_u32 v12, v0, 10, 10
	s_load_b32 s4, s[0:1], 0x0
	s_lshl_b32 s1, ttmp7, 5
	s_lshl_b32 s0, ttmp9, 5
	s_and_b32 s1, s1, 0x1fffe0
	v_lshl_add_u32 v2, v12, 4, v9
	v_and_b32_e32 v22, 7, v0
	s_ashr_i32 s2, s0, 31
	v_add_nc_u32_e32 v16, s1, v12
	s_mul_i32 s2, s14, s2
	v_lshrrev_b32_e32 v10, 3, v2
	v_and_b32_e32 v11, 31, v2
	v_lshrrev_b32_e32 v23, 5, v2
	v_cmp_neq_f64_e64 s25, s[10:11], 0
	v_cmp_neq_f64_e64 s33, s[6:7], 0
	v_add_nc_u32_e32 v13, s1, v10
	v_or_b32_e32 v14, s0, v11
	v_add_nc_u32_e32 v18, 16, v16
	v_mad_co_u64_u32 v[4:5], null, s28, v16, 0
	s_delay_alu instid0(VALU_DEP_4) | instskip(NEXT) | instid1(VALU_DEP_4)
	v_mad_co_u64_u32 v[0:1], null, s20, v13, 0
	v_mad_co_u64_u32 v[2:3], null, s14, v14, 0
	v_mul_lo_u32 v17, s15, v14
	s_wait_kmcnt 0x0
	v_cmp_gt_i32_e64 s1, s4, v13
	v_cmp_gt_i64_e64 s34, s[8:9], 0
	v_lshl_add_u32 v31, v12, 6, 0x800
	v_mad_co_u64_u32 v[6:7], null, s21, v13, v[1:2]
	v_add3_u32 v3, v3, s2, v17
	v_lshlrev_b32_e32 v7, 3, v11
	s_delay_alu instid0(VALU_DEP_2) | instskip(NEXT) | instid1(VALU_DEP_4)
	v_lshlrev_b64_e32 v[2:3], 3, v[2:3]
	v_mov_b32_e32 v1, v6
	v_lshlrev_b32_e32 v15, 3, v22
	s_delay_alu instid0(VALU_DEP_4) | instskip(NEXT) | instid1(VALU_DEP_3)
	v_lshl_or_b32 v24, v23, 8, v7
	v_lshlrev_b64_e32 v[0:1], 3, v[0:1]
	s_delay_alu instid0(VALU_DEP_3) | instskip(SKIP_2) | instid1(VALU_DEP_1)
	v_lshl_or_b32 v15, v10, 6, v15
	v_mad_co_u64_u32 v[10:11], null, s28, v18, 0
	v_add_co_u32 v26, vcc_lo, s12, v2
	v_add_co_ci_u32_e64 v27, null, s13, v3, vcc_lo
	v_add_co_u32 v28, vcc_lo, s18, v0
	s_wait_alu 0xfffd
	v_add_co_ci_u32_e64 v29, null, s19, v1, vcc_lo
	v_mad_co_u64_u32 v[1:2], null, s29, v16, v[5:6]
	v_mov_b32_e32 v2, v11
	v_add_nc_u32_e32 v8, s0, v9
	v_cmp_gt_i32_e64 s0, s4, v14
	v_lshlrev_b32_e32 v30, 3, v9
	v_add_nc_u32_e32 v25, 0x800, v15
	v_mad_co_u64_u32 v[2:3], null, s29, v18, v[2:3]
	v_dual_mov_b32 v5, v1 :: v_dual_add_nc_u32 v0, 16, v8
	v_cmp_gt_i32_e64 s2, s4, v8
	v_ashrrev_i32_e32 v9, 31, v8
	v_mov_b32_e32 v3, 0
	s_delay_alu instid0(VALU_DEP_4)
	v_lshlrev_b64_e32 v[4:5], 3, v[4:5]
	v_cmp_gt_i32_e64 s4, s4, v0
	v_mov_b32_e32 v11, v2
	v_cmp_le_i32_e32 vcc_lo, v16, v8
	v_cmp_le_i32_e64 s3, v16, v0
	v_ashrrev_i32_e32 v1, 31, v0
	s_and_b32 s14, s25, s34
	v_lshlrev_b64_e32 v[6:7], 3, v[10:11]
	s_and_b32 s12, vcc_lo, s2
	s_and_b32 s13, s3, s4
	v_cmp_le_i32_e32 vcc_lo, v18, v8
	v_cmp_le_i32_e64 s3, v18, v0
	v_lshlrev_b64_e32 v[8:9], 3, v[8:9]
	s_mov_b32 s25, 0
	s_and_b32 s15, vcc_lo, s2
	s_and_b32 s4, s3, s4
	s_branch .LBB195_6
.LBB195_5:                              ;   in Loop: Header=BB195_6 Depth=1
	s_wait_alu 0xfffe
	s_or_b32 exec_lo, exec_lo, s2
	s_add_co_i32 s24, s24, 0x10000
	s_delay_alu instid0(SALU_CYCLE_1)
	s_cmp_lt_u32 s24, s5
	s_cbranch_scc0 .LBB195_35
.LBB195_6:                              ; =>This Loop Header: Depth=1
                                        ;     Child Loop BB195_9 Depth 2
	v_mov_b32_e32 v16, 0
	v_dual_mov_b32 v12, 0 :: v_dual_mov_b32 v17, 0
	v_dual_mov_b32 v14, 0 :: v_dual_mov_b32 v13, 0
	;; [unrolled: 1-line block ×3, first 2 shown]
	v_mov_b32_e32 v11, 0
	s_wait_alu 0xfffe
	s_and_not1_b32 vcc_lo, exec_lo, s14
	s_wait_alu 0xfffe
	s_cbranch_vccnz .LBB195_15
; %bb.7:                                ;   in Loop: Header=BB195_6 Depth=1
	s_mul_u64 s[2:3], s[16:17], s[24:25]
	s_mul_u64 s[18:19], s[22:23], s[24:25]
	s_wait_alu 0xfffe
	s_lshl_b64 s[2:3], s[2:3], 3
	v_mov_b32_e32 v10, 0
	s_wait_alu 0xfffe
	v_add_co_u32 v32, vcc_lo, v26, s2
	s_wait_alu 0xfffd
	v_add_co_ci_u32_e64 v33, null, s3, v27, vcc_lo
	s_lshl_b64 s[2:3], s[18:19], 3
	v_mov_b32_e32 v14, 0
	s_wait_alu 0xfffe
	v_add_co_u32 v34, vcc_lo, v28, s2
	v_dual_mov_b32 v11, 0 :: v_dual_mov_b32 v12, 0
	v_dual_mov_b32 v15, 0 :: v_dual_mov_b32 v16, 0
	v_mov_b32_e32 v13, 0
	v_mov_b32_e32 v17, 0
	s_wait_alu 0xfffd
	v_add_co_ci_u32_e64 v35, null, s3, v29, vcc_lo
	s_mov_b64 s[2:3], 0
	s_branch .LBB195_9
.LBB195_8:                              ;   in Loop: Header=BB195_9 Depth=2
	s_wait_alu 0xfffe
	s_or_b32 exec_lo, exec_lo, s18
	s_wait_loadcnt 0x0
	ds_store_b64 v25, v[20:21]
	s_wait_dscnt 0x0
	s_barrier_signal -1
	s_barrier_wait -1
	global_inv scope:SCOPE_SE
	ds_load_b128 v[18:21], v31
	ds_load_2addr_b64 v[36:39], v30 offset1:16
	ds_load_b128 v[40:43], v31 offset:1024
	ds_load_b128 v[44:47], v31 offset:16
	;; [unrolled: 1-line block ×3, first 2 shown]
	s_add_nc_u64 s[2:3], s[2:3], 8
	s_wait_alu 0xfffe
	v_cmp_gt_i64_e64 s18, s[8:9], s[2:3]
	s_and_b32 vcc_lo, exec_lo, s18
	s_wait_dscnt 0x3
	v_fma_f64 v[16:17], v[36:37], v[18:19], v[16:17]
	v_fma_f64 v[14:15], v[38:39], v[18:19], v[14:15]
	s_wait_dscnt 0x2
	v_fma_f64 v[18:19], v[36:37], v[40:41], v[12:13]
	v_fma_f64 v[36:37], v[38:39], v[40:41], v[10:11]
	ds_load_2addr_b64 v[10:13], v30 offset0:32 offset1:48
	s_wait_dscnt 0x0
	v_fma_f64 v[16:17], v[10:11], v[20:21], v[16:17]
	v_fma_f64 v[14:15], v[12:13], v[20:21], v[14:15]
	v_fma_f64 v[18:19], v[10:11], v[42:43], v[18:19]
	v_fma_f64 v[20:21], v[12:13], v[42:43], v[36:37]
	ds_load_2addr_b64 v[10:13], v30 offset0:64 offset1:80
	s_wait_dscnt 0x0
	v_fma_f64 v[16:17], v[10:11], v[44:45], v[16:17]
	v_fma_f64 v[14:15], v[12:13], v[44:45], v[14:15]
	;; [unrolled: 6-line block ×3, first 2 shown]
	v_fma_f64 v[48:49], v[10:11], v[50:51], v[18:19]
	v_fma_f64 v[50:51], v[12:13], v[50:51], v[20:21]
	ds_load_b128 v[10:13], v31 offset:32
	ds_load_2addr_b64 v[14:17], v30 offset0:128 offset1:144
	ds_load_b128 v[18:21], v31 offset:1056
	ds_load_b128 v[36:39], v31 offset:48
	;; [unrolled: 1-line block ×3, first 2 shown]
	s_wait_dscnt 0x3
	v_fma_f64 v[44:45], v[14:15], v[10:11], v[44:45]
	v_fma_f64 v[10:11], v[16:17], v[10:11], v[46:47]
	s_wait_dscnt 0x2
	v_fma_f64 v[46:47], v[14:15], v[18:19], v[48:49]
	v_fma_f64 v[18:19], v[16:17], v[18:19], v[50:51]
	ds_load_2addr_b64 v[14:17], v30 offset0:160 offset1:176
	s_wait_dscnt 0x0
	v_fma_f64 v[44:45], v[14:15], v[12:13], v[44:45]
	v_fma_f64 v[48:49], v[16:17], v[12:13], v[10:11]
	;; [unrolled: 1-line block ×4, first 2 shown]
	ds_load_2addr_b64 v[10:13], v30 offset0:192 offset1:208
	ds_load_2addr_b64 v[18:21], v30 offset0:224 offset1:240
	s_wait_loadcnt_dscnt 0x0
	s_barrier_signal -1
	s_barrier_wait -1
	global_inv scope:SCOPE_SE
	v_fma_f64 v[44:45], v[10:11], v[36:37], v[44:45]
	v_fma_f64 v[36:37], v[12:13], v[36:37], v[48:49]
	;; [unrolled: 1-line block ×4, first 2 shown]
	s_delay_alu instid0(VALU_DEP_4) | instskip(NEXT) | instid1(VALU_DEP_4)
	v_fma_f64 v[16:17], v[18:19], v[38:39], v[44:45]
	v_fma_f64 v[14:15], v[20:21], v[38:39], v[36:37]
	s_delay_alu instid0(VALU_DEP_4) | instskip(NEXT) | instid1(VALU_DEP_4)
	v_fma_f64 v[12:13], v[18:19], v[42:43], v[10:11]
	v_fma_f64 v[10:11], v[20:21], v[42:43], v[40:41]
	s_wait_alu 0xfffe
	s_cbranch_vccz .LBB195_15
.LBB195_9:                              ;   Parent Loop BB195_6 Depth=1
                                        ; =>  This Inner Loop Header: Depth=2
	v_mov_b32_e32 v18, 0
	v_mov_b32_e32 v19, 0
	s_and_saveexec_b32 s18, s0
	s_cbranch_execz .LBB195_13
; %bb.10:                               ;   in Loop: Header=BB195_9 Depth=2
	v_mov_b32_e32 v18, 0
	s_wait_alu 0xfffe
	v_dual_mov_b32 v19, 0 :: v_dual_add_nc_u32 v2, s2, v23
	s_mov_b32 s19, exec_lo
	s_delay_alu instid0(VALU_DEP_1)
	v_cmpx_gt_u64_e64 s[8:9], v[2:3]
	s_cbranch_execz .LBB195_12
; %bb.11:                               ;   in Loop: Header=BB195_9 Depth=2
	v_lshlrev_b64_e32 v[18:19], 3, v[2:3]
	s_delay_alu instid0(VALU_DEP_1) | instskip(SKIP_1) | instid1(VALU_DEP_2)
	v_add_co_u32 v18, vcc_lo, v32, v18
	s_wait_alu 0xfffd
	v_add_co_ci_u32_e64 v19, null, v33, v19, vcc_lo
	global_load_b64 v[18:19], v[18:19], off
.LBB195_12:                             ;   in Loop: Header=BB195_9 Depth=2
	s_wait_alu 0xfffe
	s_or_b32 exec_lo, exec_lo, s19
.LBB195_13:                             ;   in Loop: Header=BB195_9 Depth=2
	s_wait_alu 0xfffe
	s_or_b32 exec_lo, exec_lo, s18
	v_add_nc_u32_e32 v2, s2, v22
	v_mov_b32_e32 v20, 0
	v_mov_b32_e32 v21, 0
	s_wait_loadcnt 0x0
	ds_store_b64 v24, v[18:19]
	v_cmp_gt_u64_e32 vcc_lo, s[8:9], v[2:3]
	s_and_b32 s19, vcc_lo, s1
	s_wait_alu 0xfffe
	s_and_saveexec_b32 s18, s19
	s_cbranch_execz .LBB195_8
; %bb.14:                               ;   in Loop: Header=BB195_9 Depth=2
	v_lshlrev_b64_e32 v[18:19], 3, v[2:3]
	s_delay_alu instid0(VALU_DEP_1) | instskip(SKIP_1) | instid1(VALU_DEP_2)
	v_add_co_u32 v18, vcc_lo, v34, v18
	s_wait_alu 0xfffd
	v_add_co_ci_u32_e64 v19, null, v35, v19, vcc_lo
	global_load_b64 v[20:21], v[18:19], off
	s_branch .LBB195_8
.LBB195_15:                             ;   in Loop: Header=BB195_6 Depth=1
	s_mul_u64 s[2:3], s[30:31], s[24:25]
	s_wait_alu 0xfffe
	s_lshl_b64 s[2:3], s[2:3], 3
	s_wait_alu 0xfffe
	s_add_nc_u64 s[2:3], s[26:27], s[2:3]
	s_wait_alu 0xfffe
	v_add_co_u32 v2, vcc_lo, s2, v4
	s_wait_alu 0xfffd
	v_add_co_ci_u32_e64 v18, null, s3, v5, vcc_lo
	s_and_saveexec_b32 s18, s12
	s_cbranch_execz .LBB195_19
; %bb.16:                               ;   in Loop: Header=BB195_6 Depth=1
	v_mul_f64_e32 v[16:17], s[10:11], v[16:17]
	s_and_b32 vcc_lo, exec_lo, s33
	s_wait_alu 0xfffe
	s_cbranch_vccz .LBB195_30
; %bb.17:                               ;   in Loop: Header=BB195_6 Depth=1
	v_add_co_u32 v19, vcc_lo, v2, v8
	s_wait_alu 0xfffd
	v_add_co_ci_u32_e64 v20, null, v18, v9, vcc_lo
	global_load_b64 v[32:33], v[19:20], off
	s_wait_loadcnt 0x0
	v_fma_f64 v[32:33], s[6:7], v[32:33], v[16:17]
	global_store_b64 v[19:20], v[32:33], off
	s_cbranch_execnz .LBB195_19
.LBB195_18:                             ;   in Loop: Header=BB195_6 Depth=1
	v_add_co_u32 v19, vcc_lo, v2, v8
	s_wait_alu 0xfffd
	v_add_co_ci_u32_e64 v20, null, v18, v9, vcc_lo
	global_store_b64 v[19:20], v[16:17], off
.LBB195_19:                             ;   in Loop: Header=BB195_6 Depth=1
	s_wait_alu 0xfffe
	s_or_b32 exec_lo, exec_lo, s18
	s_and_saveexec_b32 s18, s13
	s_cbranch_execz .LBB195_23
; %bb.20:                               ;   in Loop: Header=BB195_6 Depth=1
	v_mul_f64_e32 v[14:15], s[10:11], v[14:15]
	s_and_not1_b32 vcc_lo, exec_lo, s33
	s_wait_alu 0xfffe
	s_cbranch_vccnz .LBB195_31
; %bb.21:                               ;   in Loop: Header=BB195_6 Depth=1
	v_lshlrev_b64_e32 v[16:17], 3, v[0:1]
	s_delay_alu instid0(VALU_DEP_1) | instskip(SKIP_1) | instid1(VALU_DEP_2)
	v_add_co_u32 v16, vcc_lo, v2, v16
	s_wait_alu 0xfffd
	v_add_co_ci_u32_e64 v17, null, v18, v17, vcc_lo
	global_load_b64 v[19:20], v[16:17], off
	s_wait_loadcnt 0x0
	v_fma_f64 v[19:20], s[6:7], v[19:20], v[14:15]
	global_store_b64 v[16:17], v[19:20], off
	s_cbranch_execnz .LBB195_23
.LBB195_22:                             ;   in Loop: Header=BB195_6 Depth=1
	v_lshlrev_b64_e32 v[16:17], 3, v[0:1]
	s_delay_alu instid0(VALU_DEP_1) | instskip(SKIP_1) | instid1(VALU_DEP_2)
	v_add_co_u32 v16, vcc_lo, v2, v16
	s_wait_alu 0xfffd
	v_add_co_ci_u32_e64 v17, null, v18, v17, vcc_lo
	global_store_b64 v[16:17], v[14:15], off
.LBB195_23:                             ;   in Loop: Header=BB195_6 Depth=1
	s_wait_alu 0xfffe
	s_or_b32 exec_lo, exec_lo, s18
	v_add_co_u32 v2, vcc_lo, s2, v6
	s_wait_alu 0xfffd
	v_add_co_ci_u32_e64 v14, null, s3, v7, vcc_lo
	s_and_saveexec_b32 s2, s15
	s_cbranch_execz .LBB195_27
; %bb.24:                               ;   in Loop: Header=BB195_6 Depth=1
	v_mul_f64_e32 v[12:13], s[10:11], v[12:13]
	s_and_not1_b32 vcc_lo, exec_lo, s33
	s_wait_alu 0xfffe
	s_cbranch_vccnz .LBB195_32
; %bb.25:                               ;   in Loop: Header=BB195_6 Depth=1
	v_add_co_u32 v15, vcc_lo, v2, v8
	s_wait_alu 0xfffd
	v_add_co_ci_u32_e64 v16, null, v14, v9, vcc_lo
	global_load_b64 v[17:18], v[15:16], off
	s_wait_loadcnt 0x0
	v_fma_f64 v[17:18], s[6:7], v[17:18], v[12:13]
	global_store_b64 v[15:16], v[17:18], off
	s_cbranch_execnz .LBB195_27
.LBB195_26:                             ;   in Loop: Header=BB195_6 Depth=1
	v_add_co_u32 v15, vcc_lo, v2, v8
	s_wait_alu 0xfffd
	v_add_co_ci_u32_e64 v16, null, v14, v9, vcc_lo
	global_store_b64 v[15:16], v[12:13], off
.LBB195_27:                             ;   in Loop: Header=BB195_6 Depth=1
	s_wait_alu 0xfffe
	s_or_b32 exec_lo, exec_lo, s2
	s_and_saveexec_b32 s2, s4
	s_cbranch_execz .LBB195_5
; %bb.28:                               ;   in Loop: Header=BB195_6 Depth=1
	v_mul_f64_e32 v[10:11], s[10:11], v[10:11]
	v_lshlrev_b64_e32 v[12:13], 3, v[0:1]
	s_and_not1_b32 vcc_lo, exec_lo, s33
	s_wait_alu 0xfffe
	s_cbranch_vccnz .LBB195_33
; %bb.29:                               ;   in Loop: Header=BB195_6 Depth=1
	s_delay_alu instid0(VALU_DEP_1)
	v_add_co_u32 v15, vcc_lo, v2, v12
	s_wait_alu 0xfffd
	v_add_co_ci_u32_e64 v16, null, v14, v13, vcc_lo
	global_load_b64 v[17:18], v[15:16], off
	s_wait_loadcnt 0x0
	v_fma_f64 v[17:18], s[6:7], v[17:18], v[10:11]
	global_store_b64 v[15:16], v[17:18], off
	s_cbranch_execnz .LBB195_5
	s_branch .LBB195_34
.LBB195_30:                             ;   in Loop: Header=BB195_6 Depth=1
	s_branch .LBB195_18
.LBB195_31:                             ;   in Loop: Header=BB195_6 Depth=1
	s_branch .LBB195_22
.LBB195_32:                             ;   in Loop: Header=BB195_6 Depth=1
	s_branch .LBB195_26
.LBB195_33:                             ;   in Loop: Header=BB195_6 Depth=1
.LBB195_34:                             ;   in Loop: Header=BB195_6 Depth=1
	s_delay_alu instid0(VALU_DEP_1)
	v_add_co_u32 v12, vcc_lo, v2, v12
	s_wait_alu 0xfffd
	v_add_co_ci_u32_e64 v13, null, v14, v13, vcc_lo
	global_store_b64 v[12:13], v[10:11], off
	s_branch .LBB195_5
.LBB195_35:
	s_endpgm
	.section	.rodata,"a",@progbits
	.p2align	6, 0x0
	.amdhsa_kernel _ZL29rocblas_internal_gemmt_kernelIlLi16ELi32ELi8ELc67ELc78ELc76ELb0ELb0EdPKdS1_PdEviT_T9_T10_S3_lS5_S3_lS4_T11_S3_li
		.amdhsa_group_segment_fixed_size 4096
		.amdhsa_private_segment_fixed_size 0
		.amdhsa_kernarg_size 108
		.amdhsa_user_sgpr_count 2
		.amdhsa_user_sgpr_dispatch_ptr 0
		.amdhsa_user_sgpr_queue_ptr 0
		.amdhsa_user_sgpr_kernarg_segment_ptr 1
		.amdhsa_user_sgpr_dispatch_id 0
		.amdhsa_user_sgpr_private_segment_size 0
		.amdhsa_wavefront_size32 1
		.amdhsa_uses_dynamic_stack 0
		.amdhsa_enable_private_segment 0
		.amdhsa_system_sgpr_workgroup_id_x 1
		.amdhsa_system_sgpr_workgroup_id_y 1
		.amdhsa_system_sgpr_workgroup_id_z 1
		.amdhsa_system_sgpr_workgroup_info 0
		.amdhsa_system_vgpr_workitem_id 1
		.amdhsa_next_free_vgpr 52
		.amdhsa_next_free_sgpr 35
		.amdhsa_reserve_vcc 1
		.amdhsa_float_round_mode_32 0
		.amdhsa_float_round_mode_16_64 0
		.amdhsa_float_denorm_mode_32 3
		.amdhsa_float_denorm_mode_16_64 3
		.amdhsa_fp16_overflow 0
		.amdhsa_workgroup_processor_mode 1
		.amdhsa_memory_ordered 1
		.amdhsa_forward_progress 1
		.amdhsa_inst_pref_size 17
		.amdhsa_round_robin_scheduling 0
		.amdhsa_exception_fp_ieee_invalid_op 0
		.amdhsa_exception_fp_denorm_src 0
		.amdhsa_exception_fp_ieee_div_zero 0
		.amdhsa_exception_fp_ieee_overflow 0
		.amdhsa_exception_fp_ieee_underflow 0
		.amdhsa_exception_fp_ieee_inexact 0
		.amdhsa_exception_int_div_zero 0
	.end_amdhsa_kernel
	.section	.text._ZL29rocblas_internal_gemmt_kernelIlLi16ELi32ELi8ELc67ELc78ELc76ELb0ELb0EdPKdS1_PdEviT_T9_T10_S3_lS5_S3_lS4_T11_S3_li,"axG",@progbits,_ZL29rocblas_internal_gemmt_kernelIlLi16ELi32ELi8ELc67ELc78ELc76ELb0ELb0EdPKdS1_PdEviT_T9_T10_S3_lS5_S3_lS4_T11_S3_li,comdat
.Lfunc_end195:
	.size	_ZL29rocblas_internal_gemmt_kernelIlLi16ELi32ELi8ELc67ELc78ELc76ELb0ELb0EdPKdS1_PdEviT_T9_T10_S3_lS5_S3_lS4_T11_S3_li, .Lfunc_end195-_ZL29rocblas_internal_gemmt_kernelIlLi16ELi32ELi8ELc67ELc78ELc76ELb0ELb0EdPKdS1_PdEviT_T9_T10_S3_lS5_S3_lS4_T11_S3_li
                                        ; -- End function
	.set _ZL29rocblas_internal_gemmt_kernelIlLi16ELi32ELi8ELc67ELc78ELc76ELb0ELb0EdPKdS1_PdEviT_T9_T10_S3_lS5_S3_lS4_T11_S3_li.num_vgpr, 52
	.set _ZL29rocblas_internal_gemmt_kernelIlLi16ELi32ELi8ELc67ELc78ELc76ELb0ELb0EdPKdS1_PdEviT_T9_T10_S3_lS5_S3_lS4_T11_S3_li.num_agpr, 0
	.set _ZL29rocblas_internal_gemmt_kernelIlLi16ELi32ELi8ELc67ELc78ELc76ELb0ELb0EdPKdS1_PdEviT_T9_T10_S3_lS5_S3_lS4_T11_S3_li.numbered_sgpr, 35
	.set _ZL29rocblas_internal_gemmt_kernelIlLi16ELi32ELi8ELc67ELc78ELc76ELb0ELb0EdPKdS1_PdEviT_T9_T10_S3_lS5_S3_lS4_T11_S3_li.num_named_barrier, 0
	.set _ZL29rocblas_internal_gemmt_kernelIlLi16ELi32ELi8ELc67ELc78ELc76ELb0ELb0EdPKdS1_PdEviT_T9_T10_S3_lS5_S3_lS4_T11_S3_li.private_seg_size, 0
	.set _ZL29rocblas_internal_gemmt_kernelIlLi16ELi32ELi8ELc67ELc78ELc76ELb0ELb0EdPKdS1_PdEviT_T9_T10_S3_lS5_S3_lS4_T11_S3_li.uses_vcc, 1
	.set _ZL29rocblas_internal_gemmt_kernelIlLi16ELi32ELi8ELc67ELc78ELc76ELb0ELb0EdPKdS1_PdEviT_T9_T10_S3_lS5_S3_lS4_T11_S3_li.uses_flat_scratch, 0
	.set _ZL29rocblas_internal_gemmt_kernelIlLi16ELi32ELi8ELc67ELc78ELc76ELb0ELb0EdPKdS1_PdEviT_T9_T10_S3_lS5_S3_lS4_T11_S3_li.has_dyn_sized_stack, 0
	.set _ZL29rocblas_internal_gemmt_kernelIlLi16ELi32ELi8ELc67ELc78ELc76ELb0ELb0EdPKdS1_PdEviT_T9_T10_S3_lS5_S3_lS4_T11_S3_li.has_recursion, 0
	.set _ZL29rocblas_internal_gemmt_kernelIlLi16ELi32ELi8ELc67ELc78ELc76ELb0ELb0EdPKdS1_PdEviT_T9_T10_S3_lS5_S3_lS4_T11_S3_li.has_indirect_call, 0
	.section	.AMDGPU.csdata,"",@progbits
; Kernel info:
; codeLenInByte = 2056
; TotalNumSgprs: 37
; NumVgprs: 52
; ScratchSize: 0
; MemoryBound: 0
; FloatMode: 240
; IeeeMode: 1
; LDSByteSize: 4096 bytes/workgroup (compile time only)
; SGPRBlocks: 0
; VGPRBlocks: 6
; NumSGPRsForWavesPerEU: 37
; NumVGPRsForWavesPerEU: 52
; Occupancy: 16
; WaveLimiterHint : 0
; COMPUTE_PGM_RSRC2:SCRATCH_EN: 0
; COMPUTE_PGM_RSRC2:USER_SGPR: 2
; COMPUTE_PGM_RSRC2:TRAP_HANDLER: 0
; COMPUTE_PGM_RSRC2:TGID_X_EN: 1
; COMPUTE_PGM_RSRC2:TGID_Y_EN: 1
; COMPUTE_PGM_RSRC2:TGID_Z_EN: 1
; COMPUTE_PGM_RSRC2:TIDIG_COMP_CNT: 1
	.section	.text._ZL29rocblas_internal_gemmt_kernelIlLi16ELi32ELi8ELc67ELc84ELc76ELb0ELb0EdPKdS1_PdEviT_T9_T10_S3_lS5_S3_lS4_T11_S3_li,"axG",@progbits,_ZL29rocblas_internal_gemmt_kernelIlLi16ELi32ELi8ELc67ELc84ELc76ELb0ELb0EdPKdS1_PdEviT_T9_T10_S3_lS5_S3_lS4_T11_S3_li,comdat
	.globl	_ZL29rocblas_internal_gemmt_kernelIlLi16ELi32ELi8ELc67ELc84ELc76ELb0ELb0EdPKdS1_PdEviT_T9_T10_S3_lS5_S3_lS4_T11_S3_li ; -- Begin function _ZL29rocblas_internal_gemmt_kernelIlLi16ELi32ELi8ELc67ELc84ELc76ELb0ELb0EdPKdS1_PdEviT_T9_T10_S3_lS5_S3_lS4_T11_S3_li
	.p2align	8
	.type	_ZL29rocblas_internal_gemmt_kernelIlLi16ELi32ELi8ELc67ELc84ELc76ELb0ELb0EdPKdS1_PdEviT_T9_T10_S3_lS5_S3_lS4_T11_S3_li,@function
_ZL29rocblas_internal_gemmt_kernelIlLi16ELi32ELi8ELc67ELc84ELc76ELb0ELb0EdPKdS1_PdEviT_T9_T10_S3_lS5_S3_lS4_T11_S3_li: ; @_ZL29rocblas_internal_gemmt_kernelIlLi16ELi32ELi8ELc67ELc84ELc76ELb0ELb0EdPKdS1_PdEviT_T9_T10_S3_lS5_S3_lS4_T11_S3_li
; %bb.0:
	s_clause 0x1
	s_load_b256 s[24:31], s[0:1], 0x48
	s_load_b512 s[8:23], s[0:1], 0x8
	s_wait_kmcnt 0x0
	s_load_b64 s[6:7], s[24:25], 0x0
	s_load_b64 s[10:11], s[10:11], 0x0
	s_wait_kmcnt 0x0
	v_cmp_neq_f64_e64 s2, s[6:7], 1.0
	s_and_b32 vcc_lo, exec_lo, s2
	s_cbranch_vccnz .LBB196_2
; %bb.1:
	v_cmp_neq_f64_e64 s2, s[10:11], 0
	s_cmp_lg_u64 s[8:9], 0
	s_cselect_b32 s3, -1, 0
	s_delay_alu instid0(SALU_CYCLE_1)
	s_and_b32 s2, s3, s2
.LBB196_2:
	s_delay_alu instid0(SALU_CYCLE_1)
	s_and_not1_b32 vcc_lo, exec_lo, s2
	s_cbranch_vccnz .LBB196_35
; %bb.3:
	s_load_b32 s5, s[0:1], 0x68
	s_lshr_b32 s24, ttmp7, 16
	s_wait_kmcnt 0x0
	s_cmp_ge_u32 s24, s5
	s_cbranch_scc1 .LBB196_35
; %bb.4:
	v_and_b32_e32 v9, 0x3ff, v0
	v_bfe_u32 v12, v0, 10, 10
	v_dual_mov_b32 v1, 0 :: v_dual_and_b32 v22, 7, v0
	s_load_b32 s4, s[0:1], 0x0
	s_lshl_b32 s2, ttmp9, 5
	s_delay_alu instid0(VALU_DEP_2)
	v_lshl_add_u32 v4, v12, 4, v9
	s_lshl_b32 s0, ttmp7, 5
	v_lshlrev_b32_e32 v8, 3, v22
	s_and_b32 s0, s0, 0x1fffe0
	s_ashr_i32 s1, s2, 31
	v_and_b32_e32 v0, 31, v4
	v_add_nc_u32_e32 v13, s0, v12
	v_lshrrev_b32_e32 v10, 3, v4
	v_cmp_neq_f64_e64 s25, s[10:11], 0
	s_mul_i32 s1, s14, s1
	v_or_b32_e32 v6, s2, v0
	v_cmp_neq_f64_e64 s33, s[6:7], 0
	v_lshrrev_b32_e32 v23, 5, v4
	v_mad_co_u64_u32 v[4:5], null, s28, v13, 0
	s_delay_alu instid0(VALU_DEP_4)
	v_mul_lo_u32 v7, s15, v6
	v_mad_co_u64_u32 v[2:3], null, s14, v6, 0
	v_add_nc_u32_e32 v14, 16, v13
	v_lshl_or_b32 v8, v10, 6, v8
	v_lshlrev_b32_e32 v0, 3, v0
	v_cmp_gt_i64_e64 s34, s[8:9], 0
	v_lshl_add_u32 v31, v12, 6, 0x800
	s_wait_alu 0xfffe
	v_add3_u32 v3, v3, s1, v7
	v_add_nc_u32_e32 v7, s0, v10
	s_wait_kmcnt 0x0
	v_cmp_gt_i32_e64 s0, s4, v6
	v_add_nc_u32_e32 v25, 0x800, v8
	v_lshl_or_b32 v24, v23, 8, v0
	v_mov_b32_e32 v0, v5
	v_cmp_gt_i32_e64 s1, s4, v7
	v_lshlrev_b32_e32 v8, 3, v7
	v_mad_co_u64_u32 v[6:7], null, s28, v14, 0
	v_lshlrev_b32_e32 v30, 3, v9
	v_lshlrev_b64_e32 v[2:3], 3, v[2:3]
	s_delay_alu instid0(VALU_DEP_4) | instskip(SKIP_4) | instid1(VALU_DEP_4)
	v_add_co_u32 v28, s3, s18, v8
	v_add_nc_u32_e32 v8, s2, v9
	v_mad_co_u64_u32 v[9:10], null, s29, v13, v[0:1]
	v_mov_b32_e32 v0, v7
	v_add_co_u32 v26, vcc_lo, s12, v2
	v_add_nc_u32_e32 v2, 16, v8
	v_add_co_ci_u32_e64 v27, null, s13, v3, vcc_lo
	s_delay_alu instid0(VALU_DEP_4)
	v_mad_co_u64_u32 v[10:11], null, s29, v14, v[0:1]
	s_wait_alu 0xf1ff
	v_add_co_ci_u32_e64 v29, null, s19, 0, s3
	v_cmp_le_i32_e32 vcc_lo, v13, v8
	v_cmp_gt_i32_e64 s2, s4, v8
	v_cmp_le_i32_e64 s3, v13, v2
	v_cmp_gt_i32_e64 s4, s4, v2
	v_mov_b32_e32 v5, v9
	v_ashrrev_i32_e32 v9, 31, v8
	v_mov_b32_e32 v7, v10
	s_and_b32 s12, vcc_lo, s2
	s_and_b32 s13, s3, s4
	v_cmp_le_i32_e32 vcc_lo, v14, v8
	v_cmp_le_i32_e64 s3, v14, v2
	v_lshlrev_b64_e32 v[4:5], 3, v[4:5]
	v_lshlrev_b64_e32 v[6:7], 3, v[6:7]
	;; [unrolled: 1-line block ×3, first 2 shown]
	v_ashrrev_i32_e32 v3, 31, v2
	s_and_b32 s14, s25, s34
	s_and_b32 s15, vcc_lo, s2
	s_and_b32 s4, s3, s4
	s_mov_b32 s25, 0
	s_branch .LBB196_6
.LBB196_5:                              ;   in Loop: Header=BB196_6 Depth=1
	s_wait_alu 0xfffe
	s_or_b32 exec_lo, exec_lo, s2
	s_add_co_i32 s24, s24, 0x10000
	s_delay_alu instid0(SALU_CYCLE_1)
	s_cmp_lt_u32 s24, s5
	s_cbranch_scc0 .LBB196_35
.LBB196_6:                              ; =>This Loop Header: Depth=1
                                        ;     Child Loop BB196_9 Depth 2
	v_mov_b32_e32 v16, 0
	v_dual_mov_b32 v12, 0 :: v_dual_mov_b32 v17, 0
	v_dual_mov_b32 v14, 0 :: v_dual_mov_b32 v13, 0
	;; [unrolled: 1-line block ×3, first 2 shown]
	v_mov_b32_e32 v11, 0
	s_wait_alu 0xfffe
	s_and_not1_b32 vcc_lo, exec_lo, s14
	s_wait_alu 0xfffe
	s_cbranch_vccnz .LBB196_15
; %bb.7:                                ;   in Loop: Header=BB196_6 Depth=1
	s_mul_u64 s[2:3], s[16:17], s[24:25]
	s_mul_u64 s[18:19], s[22:23], s[24:25]
	s_wait_alu 0xfffe
	s_lshl_b64 s[2:3], s[2:3], 3
	v_mov_b32_e32 v10, 0
	s_wait_alu 0xfffe
	v_add_co_u32 v32, vcc_lo, v26, s2
	s_wait_alu 0xfffd
	v_add_co_ci_u32_e64 v33, null, s3, v27, vcc_lo
	s_lshl_b64 s[2:3], s[18:19], 3
	v_mov_b32_e32 v14, 0
	s_wait_alu 0xfffe
	v_add_co_u32 v34, vcc_lo, v28, s2
	v_dual_mov_b32 v11, 0 :: v_dual_mov_b32 v12, 0
	v_dual_mov_b32 v15, 0 :: v_dual_mov_b32 v16, 0
	v_mov_b32_e32 v13, 0
	v_mov_b32_e32 v17, 0
	s_wait_alu 0xfffd
	v_add_co_ci_u32_e64 v35, null, s3, v29, vcc_lo
	s_mov_b64 s[2:3], 0
	s_branch .LBB196_9
.LBB196_8:                              ;   in Loop: Header=BB196_9 Depth=2
	s_wait_alu 0xfffe
	s_or_b32 exec_lo, exec_lo, s18
	s_wait_loadcnt 0x0
	ds_store_b64 v25, v[20:21]
	s_wait_dscnt 0x0
	s_barrier_signal -1
	s_barrier_wait -1
	global_inv scope:SCOPE_SE
	ds_load_b128 v[18:21], v31
	ds_load_2addr_b64 v[36:39], v30 offset1:16
	ds_load_b128 v[40:43], v31 offset:1024
	ds_load_b128 v[44:47], v31 offset:16
	;; [unrolled: 1-line block ×3, first 2 shown]
	s_add_nc_u64 s[2:3], s[2:3], 8
	s_wait_alu 0xfffe
	v_cmp_gt_i64_e64 s18, s[8:9], s[2:3]
	s_and_b32 vcc_lo, exec_lo, s18
	s_wait_dscnt 0x3
	v_fma_f64 v[16:17], v[36:37], v[18:19], v[16:17]
	v_fma_f64 v[14:15], v[38:39], v[18:19], v[14:15]
	s_wait_dscnt 0x2
	v_fma_f64 v[18:19], v[36:37], v[40:41], v[12:13]
	v_fma_f64 v[36:37], v[38:39], v[40:41], v[10:11]
	ds_load_2addr_b64 v[10:13], v30 offset0:32 offset1:48
	s_wait_dscnt 0x0
	v_fma_f64 v[16:17], v[10:11], v[20:21], v[16:17]
	v_fma_f64 v[14:15], v[12:13], v[20:21], v[14:15]
	v_fma_f64 v[18:19], v[10:11], v[42:43], v[18:19]
	v_fma_f64 v[20:21], v[12:13], v[42:43], v[36:37]
	ds_load_2addr_b64 v[10:13], v30 offset0:64 offset1:80
	s_wait_dscnt 0x0
	v_fma_f64 v[16:17], v[10:11], v[44:45], v[16:17]
	v_fma_f64 v[14:15], v[12:13], v[44:45], v[14:15]
	;; [unrolled: 6-line block ×3, first 2 shown]
	v_fma_f64 v[48:49], v[10:11], v[50:51], v[18:19]
	v_fma_f64 v[50:51], v[12:13], v[50:51], v[20:21]
	ds_load_b128 v[10:13], v31 offset:32
	ds_load_2addr_b64 v[14:17], v30 offset0:128 offset1:144
	ds_load_b128 v[18:21], v31 offset:1056
	ds_load_b128 v[36:39], v31 offset:48
	;; [unrolled: 1-line block ×3, first 2 shown]
	s_wait_dscnt 0x3
	v_fma_f64 v[44:45], v[14:15], v[10:11], v[44:45]
	v_fma_f64 v[10:11], v[16:17], v[10:11], v[46:47]
	s_wait_dscnt 0x2
	v_fma_f64 v[46:47], v[14:15], v[18:19], v[48:49]
	v_fma_f64 v[18:19], v[16:17], v[18:19], v[50:51]
	ds_load_2addr_b64 v[14:17], v30 offset0:160 offset1:176
	s_wait_dscnt 0x0
	v_fma_f64 v[44:45], v[14:15], v[12:13], v[44:45]
	v_fma_f64 v[48:49], v[16:17], v[12:13], v[10:11]
	v_fma_f64 v[14:15], v[14:15], v[20:21], v[46:47]
	v_fma_f64 v[16:17], v[16:17], v[20:21], v[18:19]
	ds_load_2addr_b64 v[10:13], v30 offset0:192 offset1:208
	ds_load_2addr_b64 v[18:21], v30 offset0:224 offset1:240
	s_wait_loadcnt_dscnt 0x0
	s_barrier_signal -1
	s_barrier_wait -1
	global_inv scope:SCOPE_SE
	v_fma_f64 v[44:45], v[10:11], v[36:37], v[44:45]
	v_fma_f64 v[36:37], v[12:13], v[36:37], v[48:49]
	;; [unrolled: 1-line block ×4, first 2 shown]
	s_delay_alu instid0(VALU_DEP_4) | instskip(NEXT) | instid1(VALU_DEP_4)
	v_fma_f64 v[16:17], v[18:19], v[38:39], v[44:45]
	v_fma_f64 v[14:15], v[20:21], v[38:39], v[36:37]
	s_delay_alu instid0(VALU_DEP_4) | instskip(NEXT) | instid1(VALU_DEP_4)
	v_fma_f64 v[12:13], v[18:19], v[42:43], v[10:11]
	v_fma_f64 v[10:11], v[20:21], v[42:43], v[40:41]
	s_wait_alu 0xfffe
	s_cbranch_vccz .LBB196_15
.LBB196_9:                              ;   Parent Loop BB196_6 Depth=1
                                        ; =>  This Inner Loop Header: Depth=2
	v_mov_b32_e32 v18, 0
	v_mov_b32_e32 v19, 0
	s_and_saveexec_b32 s18, s0
	s_cbranch_execz .LBB196_13
; %bb.10:                               ;   in Loop: Header=BB196_9 Depth=2
	v_mov_b32_e32 v18, 0
	s_wait_alu 0xfffe
	v_dual_mov_b32 v19, 0 :: v_dual_add_nc_u32 v0, s2, v23
	s_mov_b32 s19, exec_lo
	s_delay_alu instid0(VALU_DEP_1)
	v_cmpx_gt_u64_e64 s[8:9], v[0:1]
	s_cbranch_execz .LBB196_12
; %bb.11:                               ;   in Loop: Header=BB196_9 Depth=2
	v_lshlrev_b64_e32 v[18:19], 3, v[0:1]
	s_delay_alu instid0(VALU_DEP_1) | instskip(SKIP_1) | instid1(VALU_DEP_2)
	v_add_co_u32 v18, vcc_lo, v32, v18
	s_wait_alu 0xfffd
	v_add_co_ci_u32_e64 v19, null, v33, v19, vcc_lo
	global_load_b64 v[18:19], v[18:19], off
.LBB196_12:                             ;   in Loop: Header=BB196_9 Depth=2
	s_wait_alu 0xfffe
	s_or_b32 exec_lo, exec_lo, s19
.LBB196_13:                             ;   in Loop: Header=BB196_9 Depth=2
	s_wait_alu 0xfffe
	s_or_b32 exec_lo, exec_lo, s18
	v_add_nc_u32_e32 v0, s2, v22
	v_mov_b32_e32 v20, 0
	v_mov_b32_e32 v21, 0
	s_wait_loadcnt 0x0
	ds_store_b64 v24, v[18:19]
	v_cmp_gt_u64_e32 vcc_lo, s[8:9], v[0:1]
	s_and_b32 s19, vcc_lo, s1
	s_wait_alu 0xfffe
	s_and_saveexec_b32 s18, s19
	s_cbranch_execz .LBB196_8
; %bb.14:                               ;   in Loop: Header=BB196_9 Depth=2
	v_mad_co_u64_u32 v[18:19], null, s20, v0, 0
	s_delay_alu instid0(VALU_DEP_1) | instskip(NEXT) | instid1(VALU_DEP_1)
	v_mad_co_u64_u32 v[19:20], null, s21, v0, v[19:20]
	v_lshlrev_b64_e32 v[18:19], 3, v[18:19]
	s_delay_alu instid0(VALU_DEP_1) | instskip(SKIP_1) | instid1(VALU_DEP_2)
	v_add_co_u32 v18, vcc_lo, v34, v18
	s_wait_alu 0xfffd
	v_add_co_ci_u32_e64 v19, null, v35, v19, vcc_lo
	global_load_b64 v[20:21], v[18:19], off
	s_branch .LBB196_8
.LBB196_15:                             ;   in Loop: Header=BB196_6 Depth=1
	s_mul_u64 s[2:3], s[30:31], s[24:25]
	s_wait_alu 0xfffe
	s_lshl_b64 s[2:3], s[2:3], 3
	s_wait_alu 0xfffe
	s_add_nc_u64 s[2:3], s[26:27], s[2:3]
	s_wait_alu 0xfffe
	v_add_co_u32 v0, vcc_lo, s2, v4
	s_wait_alu 0xfffd
	v_add_co_ci_u32_e64 v18, null, s3, v5, vcc_lo
	s_and_saveexec_b32 s18, s12
	s_cbranch_execz .LBB196_19
; %bb.16:                               ;   in Loop: Header=BB196_6 Depth=1
	v_mul_f64_e32 v[16:17], s[10:11], v[16:17]
	s_and_b32 vcc_lo, exec_lo, s33
	s_wait_alu 0xfffe
	s_cbranch_vccz .LBB196_30
; %bb.17:                               ;   in Loop: Header=BB196_6 Depth=1
	v_add_co_u32 v19, vcc_lo, v0, v8
	s_wait_alu 0xfffd
	v_add_co_ci_u32_e64 v20, null, v18, v9, vcc_lo
	global_load_b64 v[32:33], v[19:20], off
	s_wait_loadcnt 0x0
	v_fma_f64 v[32:33], s[6:7], v[32:33], v[16:17]
	global_store_b64 v[19:20], v[32:33], off
	s_cbranch_execnz .LBB196_19
.LBB196_18:                             ;   in Loop: Header=BB196_6 Depth=1
	v_add_co_u32 v19, vcc_lo, v0, v8
	s_wait_alu 0xfffd
	v_add_co_ci_u32_e64 v20, null, v18, v9, vcc_lo
	global_store_b64 v[19:20], v[16:17], off
.LBB196_19:                             ;   in Loop: Header=BB196_6 Depth=1
	s_wait_alu 0xfffe
	s_or_b32 exec_lo, exec_lo, s18
	s_and_saveexec_b32 s18, s13
	s_cbranch_execz .LBB196_23
; %bb.20:                               ;   in Loop: Header=BB196_6 Depth=1
	v_mul_f64_e32 v[14:15], s[10:11], v[14:15]
	s_and_not1_b32 vcc_lo, exec_lo, s33
	s_wait_alu 0xfffe
	s_cbranch_vccnz .LBB196_31
; %bb.21:                               ;   in Loop: Header=BB196_6 Depth=1
	v_lshlrev_b64_e32 v[16:17], 3, v[2:3]
	s_delay_alu instid0(VALU_DEP_1) | instskip(SKIP_1) | instid1(VALU_DEP_2)
	v_add_co_u32 v16, vcc_lo, v0, v16
	s_wait_alu 0xfffd
	v_add_co_ci_u32_e64 v17, null, v18, v17, vcc_lo
	global_load_b64 v[19:20], v[16:17], off
	s_wait_loadcnt 0x0
	v_fma_f64 v[19:20], s[6:7], v[19:20], v[14:15]
	global_store_b64 v[16:17], v[19:20], off
	s_cbranch_execnz .LBB196_23
.LBB196_22:                             ;   in Loop: Header=BB196_6 Depth=1
	v_lshlrev_b64_e32 v[16:17], 3, v[2:3]
	s_delay_alu instid0(VALU_DEP_1) | instskip(SKIP_1) | instid1(VALU_DEP_2)
	v_add_co_u32 v16, vcc_lo, v0, v16
	s_wait_alu 0xfffd
	v_add_co_ci_u32_e64 v17, null, v18, v17, vcc_lo
	global_store_b64 v[16:17], v[14:15], off
.LBB196_23:                             ;   in Loop: Header=BB196_6 Depth=1
	s_wait_alu 0xfffe
	s_or_b32 exec_lo, exec_lo, s18
	v_add_co_u32 v0, vcc_lo, s2, v6
	s_wait_alu 0xfffd
	v_add_co_ci_u32_e64 v14, null, s3, v7, vcc_lo
	s_and_saveexec_b32 s2, s15
	s_cbranch_execz .LBB196_27
; %bb.24:                               ;   in Loop: Header=BB196_6 Depth=1
	v_mul_f64_e32 v[12:13], s[10:11], v[12:13]
	s_and_not1_b32 vcc_lo, exec_lo, s33
	s_wait_alu 0xfffe
	s_cbranch_vccnz .LBB196_32
; %bb.25:                               ;   in Loop: Header=BB196_6 Depth=1
	v_add_co_u32 v15, vcc_lo, v0, v8
	s_wait_alu 0xfffd
	v_add_co_ci_u32_e64 v16, null, v14, v9, vcc_lo
	global_load_b64 v[17:18], v[15:16], off
	s_wait_loadcnt 0x0
	v_fma_f64 v[17:18], s[6:7], v[17:18], v[12:13]
	global_store_b64 v[15:16], v[17:18], off
	s_cbranch_execnz .LBB196_27
.LBB196_26:                             ;   in Loop: Header=BB196_6 Depth=1
	v_add_co_u32 v15, vcc_lo, v0, v8
	s_wait_alu 0xfffd
	v_add_co_ci_u32_e64 v16, null, v14, v9, vcc_lo
	global_store_b64 v[15:16], v[12:13], off
.LBB196_27:                             ;   in Loop: Header=BB196_6 Depth=1
	s_wait_alu 0xfffe
	s_or_b32 exec_lo, exec_lo, s2
	s_and_saveexec_b32 s2, s4
	s_cbranch_execz .LBB196_5
; %bb.28:                               ;   in Loop: Header=BB196_6 Depth=1
	v_mul_f64_e32 v[10:11], s[10:11], v[10:11]
	v_lshlrev_b64_e32 v[12:13], 3, v[2:3]
	s_and_not1_b32 vcc_lo, exec_lo, s33
	s_wait_alu 0xfffe
	s_cbranch_vccnz .LBB196_33
; %bb.29:                               ;   in Loop: Header=BB196_6 Depth=1
	s_delay_alu instid0(VALU_DEP_1)
	v_add_co_u32 v15, vcc_lo, v0, v12
	s_wait_alu 0xfffd
	v_add_co_ci_u32_e64 v16, null, v14, v13, vcc_lo
	global_load_b64 v[17:18], v[15:16], off
	s_wait_loadcnt 0x0
	v_fma_f64 v[17:18], s[6:7], v[17:18], v[10:11]
	global_store_b64 v[15:16], v[17:18], off
	s_cbranch_execnz .LBB196_5
	s_branch .LBB196_34
.LBB196_30:                             ;   in Loop: Header=BB196_6 Depth=1
	s_branch .LBB196_18
.LBB196_31:                             ;   in Loop: Header=BB196_6 Depth=1
	s_branch .LBB196_22
.LBB196_32:                             ;   in Loop: Header=BB196_6 Depth=1
	s_branch .LBB196_26
.LBB196_33:                             ;   in Loop: Header=BB196_6 Depth=1
.LBB196_34:                             ;   in Loop: Header=BB196_6 Depth=1
	s_delay_alu instid0(VALU_DEP_1)
	v_add_co_u32 v12, vcc_lo, v0, v12
	s_wait_alu 0xfffd
	v_add_co_ci_u32_e64 v13, null, v14, v13, vcc_lo
	global_store_b64 v[12:13], v[10:11], off
	s_branch .LBB196_5
.LBB196_35:
	s_endpgm
	.section	.rodata,"a",@progbits
	.p2align	6, 0x0
	.amdhsa_kernel _ZL29rocblas_internal_gemmt_kernelIlLi16ELi32ELi8ELc67ELc84ELc76ELb0ELb0EdPKdS1_PdEviT_T9_T10_S3_lS5_S3_lS4_T11_S3_li
		.amdhsa_group_segment_fixed_size 4096
		.amdhsa_private_segment_fixed_size 0
		.amdhsa_kernarg_size 108
		.amdhsa_user_sgpr_count 2
		.amdhsa_user_sgpr_dispatch_ptr 0
		.amdhsa_user_sgpr_queue_ptr 0
		.amdhsa_user_sgpr_kernarg_segment_ptr 1
		.amdhsa_user_sgpr_dispatch_id 0
		.amdhsa_user_sgpr_private_segment_size 0
		.amdhsa_wavefront_size32 1
		.amdhsa_uses_dynamic_stack 0
		.amdhsa_enable_private_segment 0
		.amdhsa_system_sgpr_workgroup_id_x 1
		.amdhsa_system_sgpr_workgroup_id_y 1
		.amdhsa_system_sgpr_workgroup_id_z 1
		.amdhsa_system_sgpr_workgroup_info 0
		.amdhsa_system_vgpr_workitem_id 1
		.amdhsa_next_free_vgpr 52
		.amdhsa_next_free_sgpr 35
		.amdhsa_reserve_vcc 1
		.amdhsa_float_round_mode_32 0
		.amdhsa_float_round_mode_16_64 0
		.amdhsa_float_denorm_mode_32 3
		.amdhsa_float_denorm_mode_16_64 3
		.amdhsa_fp16_overflow 0
		.amdhsa_workgroup_processor_mode 1
		.amdhsa_memory_ordered 1
		.amdhsa_forward_progress 1
		.amdhsa_inst_pref_size 17
		.amdhsa_round_robin_scheduling 0
		.amdhsa_exception_fp_ieee_invalid_op 0
		.amdhsa_exception_fp_denorm_src 0
		.amdhsa_exception_fp_ieee_div_zero 0
		.amdhsa_exception_fp_ieee_overflow 0
		.amdhsa_exception_fp_ieee_underflow 0
		.amdhsa_exception_fp_ieee_inexact 0
		.amdhsa_exception_int_div_zero 0
	.end_amdhsa_kernel
	.section	.text._ZL29rocblas_internal_gemmt_kernelIlLi16ELi32ELi8ELc67ELc84ELc76ELb0ELb0EdPKdS1_PdEviT_T9_T10_S3_lS5_S3_lS4_T11_S3_li,"axG",@progbits,_ZL29rocblas_internal_gemmt_kernelIlLi16ELi32ELi8ELc67ELc84ELc76ELb0ELb0EdPKdS1_PdEviT_T9_T10_S3_lS5_S3_lS4_T11_S3_li,comdat
.Lfunc_end196:
	.size	_ZL29rocblas_internal_gemmt_kernelIlLi16ELi32ELi8ELc67ELc84ELc76ELb0ELb0EdPKdS1_PdEviT_T9_T10_S3_lS5_S3_lS4_T11_S3_li, .Lfunc_end196-_ZL29rocblas_internal_gemmt_kernelIlLi16ELi32ELi8ELc67ELc84ELc76ELb0ELb0EdPKdS1_PdEviT_T9_T10_S3_lS5_S3_lS4_T11_S3_li
                                        ; -- End function
	.set _ZL29rocblas_internal_gemmt_kernelIlLi16ELi32ELi8ELc67ELc84ELc76ELb0ELb0EdPKdS1_PdEviT_T9_T10_S3_lS5_S3_lS4_T11_S3_li.num_vgpr, 52
	.set _ZL29rocblas_internal_gemmt_kernelIlLi16ELi32ELi8ELc67ELc84ELc76ELb0ELb0EdPKdS1_PdEviT_T9_T10_S3_lS5_S3_lS4_T11_S3_li.num_agpr, 0
	.set _ZL29rocblas_internal_gemmt_kernelIlLi16ELi32ELi8ELc67ELc84ELc76ELb0ELb0EdPKdS1_PdEviT_T9_T10_S3_lS5_S3_lS4_T11_S3_li.numbered_sgpr, 35
	.set _ZL29rocblas_internal_gemmt_kernelIlLi16ELi32ELi8ELc67ELc84ELc76ELb0ELb0EdPKdS1_PdEviT_T9_T10_S3_lS5_S3_lS4_T11_S3_li.num_named_barrier, 0
	.set _ZL29rocblas_internal_gemmt_kernelIlLi16ELi32ELi8ELc67ELc84ELc76ELb0ELb0EdPKdS1_PdEviT_T9_T10_S3_lS5_S3_lS4_T11_S3_li.private_seg_size, 0
	.set _ZL29rocblas_internal_gemmt_kernelIlLi16ELi32ELi8ELc67ELc84ELc76ELb0ELb0EdPKdS1_PdEviT_T9_T10_S3_lS5_S3_lS4_T11_S3_li.uses_vcc, 1
	.set _ZL29rocblas_internal_gemmt_kernelIlLi16ELi32ELi8ELc67ELc84ELc76ELb0ELb0EdPKdS1_PdEviT_T9_T10_S3_lS5_S3_lS4_T11_S3_li.uses_flat_scratch, 0
	.set _ZL29rocblas_internal_gemmt_kernelIlLi16ELi32ELi8ELc67ELc84ELc76ELb0ELb0EdPKdS1_PdEviT_T9_T10_S3_lS5_S3_lS4_T11_S3_li.has_dyn_sized_stack, 0
	.set _ZL29rocblas_internal_gemmt_kernelIlLi16ELi32ELi8ELc67ELc84ELc76ELb0ELb0EdPKdS1_PdEviT_T9_T10_S3_lS5_S3_lS4_T11_S3_li.has_recursion, 0
	.set _ZL29rocblas_internal_gemmt_kernelIlLi16ELi32ELi8ELc67ELc84ELc76ELb0ELb0EdPKdS1_PdEviT_T9_T10_S3_lS5_S3_lS4_T11_S3_li.has_indirect_call, 0
	.section	.AMDGPU.csdata,"",@progbits
; Kernel info:
; codeLenInByte = 2060
; TotalNumSgprs: 37
; NumVgprs: 52
; ScratchSize: 0
; MemoryBound: 0
; FloatMode: 240
; IeeeMode: 1
; LDSByteSize: 4096 bytes/workgroup (compile time only)
; SGPRBlocks: 0
; VGPRBlocks: 6
; NumSGPRsForWavesPerEU: 37
; NumVGPRsForWavesPerEU: 52
; Occupancy: 16
; WaveLimiterHint : 0
; COMPUTE_PGM_RSRC2:SCRATCH_EN: 0
; COMPUTE_PGM_RSRC2:USER_SGPR: 2
; COMPUTE_PGM_RSRC2:TRAP_HANDLER: 0
; COMPUTE_PGM_RSRC2:TGID_X_EN: 1
; COMPUTE_PGM_RSRC2:TGID_Y_EN: 1
; COMPUTE_PGM_RSRC2:TGID_Z_EN: 1
; COMPUTE_PGM_RSRC2:TIDIG_COMP_CNT: 1
	.section	.text._ZL29rocblas_internal_gemmt_kernelIlLi16ELi32ELi8ELc67ELc67ELc76ELb0ELb0EdPKdS1_PdEviT_T9_T10_S3_lS5_S3_lS4_T11_S3_li,"axG",@progbits,_ZL29rocblas_internal_gemmt_kernelIlLi16ELi32ELi8ELc67ELc67ELc76ELb0ELb0EdPKdS1_PdEviT_T9_T10_S3_lS5_S3_lS4_T11_S3_li,comdat
	.globl	_ZL29rocblas_internal_gemmt_kernelIlLi16ELi32ELi8ELc67ELc67ELc76ELb0ELb0EdPKdS1_PdEviT_T9_T10_S3_lS5_S3_lS4_T11_S3_li ; -- Begin function _ZL29rocblas_internal_gemmt_kernelIlLi16ELi32ELi8ELc67ELc67ELc76ELb0ELb0EdPKdS1_PdEviT_T9_T10_S3_lS5_S3_lS4_T11_S3_li
	.p2align	8
	.type	_ZL29rocblas_internal_gemmt_kernelIlLi16ELi32ELi8ELc67ELc67ELc76ELb0ELb0EdPKdS1_PdEviT_T9_T10_S3_lS5_S3_lS4_T11_S3_li,@function
_ZL29rocblas_internal_gemmt_kernelIlLi16ELi32ELi8ELc67ELc67ELc76ELb0ELb0EdPKdS1_PdEviT_T9_T10_S3_lS5_S3_lS4_T11_S3_li: ; @_ZL29rocblas_internal_gemmt_kernelIlLi16ELi32ELi8ELc67ELc67ELc76ELb0ELb0EdPKdS1_PdEviT_T9_T10_S3_lS5_S3_lS4_T11_S3_li
; %bb.0:
	s_clause 0x1
	s_load_b256 s[24:31], s[0:1], 0x48
	s_load_b512 s[8:23], s[0:1], 0x8
	s_wait_kmcnt 0x0
	s_load_b64 s[6:7], s[24:25], 0x0
	s_load_b64 s[10:11], s[10:11], 0x0
	s_wait_kmcnt 0x0
	v_cmp_neq_f64_e64 s2, s[6:7], 1.0
	s_and_b32 vcc_lo, exec_lo, s2
	s_cbranch_vccnz .LBB197_2
; %bb.1:
	v_cmp_neq_f64_e64 s2, s[10:11], 0
	s_cmp_lg_u64 s[8:9], 0
	s_cselect_b32 s3, -1, 0
	s_delay_alu instid0(SALU_CYCLE_1)
	s_and_b32 s2, s3, s2
.LBB197_2:
	s_delay_alu instid0(SALU_CYCLE_1)
	s_and_not1_b32 vcc_lo, exec_lo, s2
	s_cbranch_vccnz .LBB197_35
; %bb.3:
	s_load_b32 s5, s[0:1], 0x68
	s_lshr_b32 s24, ttmp7, 16
	s_wait_kmcnt 0x0
	s_cmp_ge_u32 s24, s5
	s_cbranch_scc1 .LBB197_35
; %bb.4:
	v_and_b32_e32 v9, 0x3ff, v0
	v_bfe_u32 v12, v0, 10, 10
	v_dual_mov_b32 v1, 0 :: v_dual_and_b32 v22, 7, v0
	s_load_b32 s4, s[0:1], 0x0
	s_lshl_b32 s2, ttmp9, 5
	s_delay_alu instid0(VALU_DEP_2)
	v_lshl_add_u32 v4, v12, 4, v9
	s_lshl_b32 s0, ttmp7, 5
	v_lshlrev_b32_e32 v8, 3, v22
	s_and_b32 s0, s0, 0x1fffe0
	s_ashr_i32 s1, s2, 31
	v_and_b32_e32 v0, 31, v4
	v_add_nc_u32_e32 v13, s0, v12
	v_lshrrev_b32_e32 v10, 3, v4
	v_cmp_neq_f64_e64 s25, s[10:11], 0
	s_mul_i32 s1, s14, s1
	v_or_b32_e32 v6, s2, v0
	v_cmp_neq_f64_e64 s33, s[6:7], 0
	v_lshrrev_b32_e32 v23, 5, v4
	v_mad_co_u64_u32 v[4:5], null, s28, v13, 0
	s_delay_alu instid0(VALU_DEP_4)
	v_mul_lo_u32 v7, s15, v6
	v_mad_co_u64_u32 v[2:3], null, s14, v6, 0
	v_add_nc_u32_e32 v14, 16, v13
	v_lshl_or_b32 v8, v10, 6, v8
	v_lshlrev_b32_e32 v0, 3, v0
	v_cmp_gt_i64_e64 s34, s[8:9], 0
	v_lshl_add_u32 v31, v12, 6, 0x800
	s_wait_alu 0xfffe
	v_add3_u32 v3, v3, s1, v7
	v_add_nc_u32_e32 v7, s0, v10
	s_wait_kmcnt 0x0
	v_cmp_gt_i32_e64 s0, s4, v6
	v_add_nc_u32_e32 v25, 0x800, v8
	v_lshl_or_b32 v24, v23, 8, v0
	v_mov_b32_e32 v0, v5
	v_cmp_gt_i32_e64 s1, s4, v7
	v_lshlrev_b32_e32 v8, 3, v7
	v_mad_co_u64_u32 v[6:7], null, s28, v14, 0
	v_lshlrev_b32_e32 v30, 3, v9
	v_lshlrev_b64_e32 v[2:3], 3, v[2:3]
	s_delay_alu instid0(VALU_DEP_4) | instskip(SKIP_4) | instid1(VALU_DEP_4)
	v_add_co_u32 v28, s3, s18, v8
	v_add_nc_u32_e32 v8, s2, v9
	v_mad_co_u64_u32 v[9:10], null, s29, v13, v[0:1]
	v_mov_b32_e32 v0, v7
	v_add_co_u32 v26, vcc_lo, s12, v2
	v_add_nc_u32_e32 v2, 16, v8
	v_add_co_ci_u32_e64 v27, null, s13, v3, vcc_lo
	s_delay_alu instid0(VALU_DEP_4)
	v_mad_co_u64_u32 v[10:11], null, s29, v14, v[0:1]
	s_wait_alu 0xf1ff
	v_add_co_ci_u32_e64 v29, null, s19, 0, s3
	v_cmp_le_i32_e32 vcc_lo, v13, v8
	v_cmp_gt_i32_e64 s2, s4, v8
	v_cmp_le_i32_e64 s3, v13, v2
	v_cmp_gt_i32_e64 s4, s4, v2
	v_mov_b32_e32 v5, v9
	v_ashrrev_i32_e32 v9, 31, v8
	v_mov_b32_e32 v7, v10
	s_and_b32 s12, vcc_lo, s2
	s_and_b32 s13, s3, s4
	v_cmp_le_i32_e32 vcc_lo, v14, v8
	v_cmp_le_i32_e64 s3, v14, v2
	v_lshlrev_b64_e32 v[4:5], 3, v[4:5]
	v_lshlrev_b64_e32 v[6:7], 3, v[6:7]
	;; [unrolled: 1-line block ×3, first 2 shown]
	v_ashrrev_i32_e32 v3, 31, v2
	s_and_b32 s14, s25, s34
	s_and_b32 s15, vcc_lo, s2
	s_and_b32 s4, s3, s4
	s_mov_b32 s25, 0
	s_branch .LBB197_6
.LBB197_5:                              ;   in Loop: Header=BB197_6 Depth=1
	s_wait_alu 0xfffe
	s_or_b32 exec_lo, exec_lo, s2
	s_add_co_i32 s24, s24, 0x10000
	s_delay_alu instid0(SALU_CYCLE_1)
	s_cmp_lt_u32 s24, s5
	s_cbranch_scc0 .LBB197_35
.LBB197_6:                              ; =>This Loop Header: Depth=1
                                        ;     Child Loop BB197_9 Depth 2
	v_mov_b32_e32 v16, 0
	v_dual_mov_b32 v12, 0 :: v_dual_mov_b32 v17, 0
	v_dual_mov_b32 v14, 0 :: v_dual_mov_b32 v13, 0
	;; [unrolled: 1-line block ×3, first 2 shown]
	v_mov_b32_e32 v11, 0
	s_wait_alu 0xfffe
	s_and_not1_b32 vcc_lo, exec_lo, s14
	s_wait_alu 0xfffe
	s_cbranch_vccnz .LBB197_15
; %bb.7:                                ;   in Loop: Header=BB197_6 Depth=1
	s_mul_u64 s[2:3], s[16:17], s[24:25]
	s_mul_u64 s[18:19], s[22:23], s[24:25]
	s_wait_alu 0xfffe
	s_lshl_b64 s[2:3], s[2:3], 3
	v_mov_b32_e32 v10, 0
	s_wait_alu 0xfffe
	v_add_co_u32 v32, vcc_lo, v26, s2
	s_wait_alu 0xfffd
	v_add_co_ci_u32_e64 v33, null, s3, v27, vcc_lo
	s_lshl_b64 s[2:3], s[18:19], 3
	v_mov_b32_e32 v14, 0
	s_wait_alu 0xfffe
	v_add_co_u32 v34, vcc_lo, v28, s2
	v_dual_mov_b32 v11, 0 :: v_dual_mov_b32 v12, 0
	v_dual_mov_b32 v15, 0 :: v_dual_mov_b32 v16, 0
	v_mov_b32_e32 v13, 0
	v_mov_b32_e32 v17, 0
	s_wait_alu 0xfffd
	v_add_co_ci_u32_e64 v35, null, s3, v29, vcc_lo
	s_mov_b64 s[2:3], 0
	s_branch .LBB197_9
.LBB197_8:                              ;   in Loop: Header=BB197_9 Depth=2
	s_wait_alu 0xfffe
	s_or_b32 exec_lo, exec_lo, s18
	s_wait_loadcnt 0x0
	ds_store_b64 v25, v[20:21]
	s_wait_dscnt 0x0
	s_barrier_signal -1
	s_barrier_wait -1
	global_inv scope:SCOPE_SE
	ds_load_b128 v[18:21], v31
	ds_load_2addr_b64 v[36:39], v30 offset1:16
	ds_load_b128 v[40:43], v31 offset:1024
	ds_load_b128 v[44:47], v31 offset:16
	;; [unrolled: 1-line block ×3, first 2 shown]
	s_add_nc_u64 s[2:3], s[2:3], 8
	s_wait_alu 0xfffe
	v_cmp_gt_i64_e64 s18, s[8:9], s[2:3]
	s_and_b32 vcc_lo, exec_lo, s18
	s_wait_dscnt 0x3
	v_fma_f64 v[16:17], v[36:37], v[18:19], v[16:17]
	v_fma_f64 v[14:15], v[38:39], v[18:19], v[14:15]
	s_wait_dscnt 0x2
	v_fma_f64 v[18:19], v[36:37], v[40:41], v[12:13]
	v_fma_f64 v[36:37], v[38:39], v[40:41], v[10:11]
	ds_load_2addr_b64 v[10:13], v30 offset0:32 offset1:48
	s_wait_dscnt 0x0
	v_fma_f64 v[16:17], v[10:11], v[20:21], v[16:17]
	v_fma_f64 v[14:15], v[12:13], v[20:21], v[14:15]
	v_fma_f64 v[18:19], v[10:11], v[42:43], v[18:19]
	v_fma_f64 v[20:21], v[12:13], v[42:43], v[36:37]
	ds_load_2addr_b64 v[10:13], v30 offset0:64 offset1:80
	s_wait_dscnt 0x0
	v_fma_f64 v[16:17], v[10:11], v[44:45], v[16:17]
	v_fma_f64 v[14:15], v[12:13], v[44:45], v[14:15]
	;; [unrolled: 6-line block ×3, first 2 shown]
	v_fma_f64 v[48:49], v[10:11], v[50:51], v[18:19]
	v_fma_f64 v[50:51], v[12:13], v[50:51], v[20:21]
	ds_load_b128 v[10:13], v31 offset:32
	ds_load_2addr_b64 v[14:17], v30 offset0:128 offset1:144
	ds_load_b128 v[18:21], v31 offset:1056
	ds_load_b128 v[36:39], v31 offset:48
	;; [unrolled: 1-line block ×3, first 2 shown]
	s_wait_dscnt 0x3
	v_fma_f64 v[44:45], v[14:15], v[10:11], v[44:45]
	v_fma_f64 v[10:11], v[16:17], v[10:11], v[46:47]
	s_wait_dscnt 0x2
	v_fma_f64 v[46:47], v[14:15], v[18:19], v[48:49]
	v_fma_f64 v[18:19], v[16:17], v[18:19], v[50:51]
	ds_load_2addr_b64 v[14:17], v30 offset0:160 offset1:176
	s_wait_dscnt 0x0
	v_fma_f64 v[44:45], v[14:15], v[12:13], v[44:45]
	v_fma_f64 v[48:49], v[16:17], v[12:13], v[10:11]
	;; [unrolled: 1-line block ×4, first 2 shown]
	ds_load_2addr_b64 v[10:13], v30 offset0:192 offset1:208
	ds_load_2addr_b64 v[18:21], v30 offset0:224 offset1:240
	s_wait_loadcnt_dscnt 0x0
	s_barrier_signal -1
	s_barrier_wait -1
	global_inv scope:SCOPE_SE
	v_fma_f64 v[44:45], v[10:11], v[36:37], v[44:45]
	v_fma_f64 v[36:37], v[12:13], v[36:37], v[48:49]
	;; [unrolled: 1-line block ×4, first 2 shown]
	s_delay_alu instid0(VALU_DEP_4) | instskip(NEXT) | instid1(VALU_DEP_4)
	v_fma_f64 v[16:17], v[18:19], v[38:39], v[44:45]
	v_fma_f64 v[14:15], v[20:21], v[38:39], v[36:37]
	s_delay_alu instid0(VALU_DEP_4) | instskip(NEXT) | instid1(VALU_DEP_4)
	v_fma_f64 v[12:13], v[18:19], v[42:43], v[10:11]
	v_fma_f64 v[10:11], v[20:21], v[42:43], v[40:41]
	s_wait_alu 0xfffe
	s_cbranch_vccz .LBB197_15
.LBB197_9:                              ;   Parent Loop BB197_6 Depth=1
                                        ; =>  This Inner Loop Header: Depth=2
	v_mov_b32_e32 v18, 0
	v_mov_b32_e32 v19, 0
	s_and_saveexec_b32 s18, s0
	s_cbranch_execz .LBB197_13
; %bb.10:                               ;   in Loop: Header=BB197_9 Depth=2
	v_mov_b32_e32 v18, 0
	s_wait_alu 0xfffe
	v_dual_mov_b32 v19, 0 :: v_dual_add_nc_u32 v0, s2, v23
	s_mov_b32 s19, exec_lo
	s_delay_alu instid0(VALU_DEP_1)
	v_cmpx_gt_u64_e64 s[8:9], v[0:1]
	s_cbranch_execz .LBB197_12
; %bb.11:                               ;   in Loop: Header=BB197_9 Depth=2
	v_lshlrev_b64_e32 v[18:19], 3, v[0:1]
	s_delay_alu instid0(VALU_DEP_1) | instskip(SKIP_1) | instid1(VALU_DEP_2)
	v_add_co_u32 v18, vcc_lo, v32, v18
	s_wait_alu 0xfffd
	v_add_co_ci_u32_e64 v19, null, v33, v19, vcc_lo
	global_load_b64 v[18:19], v[18:19], off
.LBB197_12:                             ;   in Loop: Header=BB197_9 Depth=2
	s_wait_alu 0xfffe
	s_or_b32 exec_lo, exec_lo, s19
.LBB197_13:                             ;   in Loop: Header=BB197_9 Depth=2
	s_wait_alu 0xfffe
	s_or_b32 exec_lo, exec_lo, s18
	v_add_nc_u32_e32 v0, s2, v22
	v_mov_b32_e32 v20, 0
	v_mov_b32_e32 v21, 0
	s_wait_loadcnt 0x0
	ds_store_b64 v24, v[18:19]
	v_cmp_gt_u64_e32 vcc_lo, s[8:9], v[0:1]
	s_and_b32 s19, vcc_lo, s1
	s_wait_alu 0xfffe
	s_and_saveexec_b32 s18, s19
	s_cbranch_execz .LBB197_8
; %bb.14:                               ;   in Loop: Header=BB197_9 Depth=2
	v_mad_co_u64_u32 v[18:19], null, s20, v0, 0
	s_delay_alu instid0(VALU_DEP_1) | instskip(NEXT) | instid1(VALU_DEP_1)
	v_mad_co_u64_u32 v[19:20], null, s21, v0, v[19:20]
	v_lshlrev_b64_e32 v[18:19], 3, v[18:19]
	s_delay_alu instid0(VALU_DEP_1) | instskip(SKIP_1) | instid1(VALU_DEP_2)
	v_add_co_u32 v18, vcc_lo, v34, v18
	s_wait_alu 0xfffd
	v_add_co_ci_u32_e64 v19, null, v35, v19, vcc_lo
	global_load_b64 v[20:21], v[18:19], off
	s_branch .LBB197_8
.LBB197_15:                             ;   in Loop: Header=BB197_6 Depth=1
	s_mul_u64 s[2:3], s[30:31], s[24:25]
	s_wait_alu 0xfffe
	s_lshl_b64 s[2:3], s[2:3], 3
	s_wait_alu 0xfffe
	s_add_nc_u64 s[2:3], s[26:27], s[2:3]
	s_wait_alu 0xfffe
	v_add_co_u32 v0, vcc_lo, s2, v4
	s_wait_alu 0xfffd
	v_add_co_ci_u32_e64 v18, null, s3, v5, vcc_lo
	s_and_saveexec_b32 s18, s12
	s_cbranch_execz .LBB197_19
; %bb.16:                               ;   in Loop: Header=BB197_6 Depth=1
	v_mul_f64_e32 v[16:17], s[10:11], v[16:17]
	s_and_b32 vcc_lo, exec_lo, s33
	s_wait_alu 0xfffe
	s_cbranch_vccz .LBB197_30
; %bb.17:                               ;   in Loop: Header=BB197_6 Depth=1
	v_add_co_u32 v19, vcc_lo, v0, v8
	s_wait_alu 0xfffd
	v_add_co_ci_u32_e64 v20, null, v18, v9, vcc_lo
	global_load_b64 v[32:33], v[19:20], off
	s_wait_loadcnt 0x0
	v_fma_f64 v[32:33], s[6:7], v[32:33], v[16:17]
	global_store_b64 v[19:20], v[32:33], off
	s_cbranch_execnz .LBB197_19
.LBB197_18:                             ;   in Loop: Header=BB197_6 Depth=1
	v_add_co_u32 v19, vcc_lo, v0, v8
	s_wait_alu 0xfffd
	v_add_co_ci_u32_e64 v20, null, v18, v9, vcc_lo
	global_store_b64 v[19:20], v[16:17], off
.LBB197_19:                             ;   in Loop: Header=BB197_6 Depth=1
	s_wait_alu 0xfffe
	s_or_b32 exec_lo, exec_lo, s18
	s_and_saveexec_b32 s18, s13
	s_cbranch_execz .LBB197_23
; %bb.20:                               ;   in Loop: Header=BB197_6 Depth=1
	v_mul_f64_e32 v[14:15], s[10:11], v[14:15]
	s_and_not1_b32 vcc_lo, exec_lo, s33
	s_wait_alu 0xfffe
	s_cbranch_vccnz .LBB197_31
; %bb.21:                               ;   in Loop: Header=BB197_6 Depth=1
	v_lshlrev_b64_e32 v[16:17], 3, v[2:3]
	s_delay_alu instid0(VALU_DEP_1) | instskip(SKIP_1) | instid1(VALU_DEP_2)
	v_add_co_u32 v16, vcc_lo, v0, v16
	s_wait_alu 0xfffd
	v_add_co_ci_u32_e64 v17, null, v18, v17, vcc_lo
	global_load_b64 v[19:20], v[16:17], off
	s_wait_loadcnt 0x0
	v_fma_f64 v[19:20], s[6:7], v[19:20], v[14:15]
	global_store_b64 v[16:17], v[19:20], off
	s_cbranch_execnz .LBB197_23
.LBB197_22:                             ;   in Loop: Header=BB197_6 Depth=1
	v_lshlrev_b64_e32 v[16:17], 3, v[2:3]
	s_delay_alu instid0(VALU_DEP_1) | instskip(SKIP_1) | instid1(VALU_DEP_2)
	v_add_co_u32 v16, vcc_lo, v0, v16
	s_wait_alu 0xfffd
	v_add_co_ci_u32_e64 v17, null, v18, v17, vcc_lo
	global_store_b64 v[16:17], v[14:15], off
.LBB197_23:                             ;   in Loop: Header=BB197_6 Depth=1
	s_wait_alu 0xfffe
	s_or_b32 exec_lo, exec_lo, s18
	v_add_co_u32 v0, vcc_lo, s2, v6
	s_wait_alu 0xfffd
	v_add_co_ci_u32_e64 v14, null, s3, v7, vcc_lo
	s_and_saveexec_b32 s2, s15
	s_cbranch_execz .LBB197_27
; %bb.24:                               ;   in Loop: Header=BB197_6 Depth=1
	v_mul_f64_e32 v[12:13], s[10:11], v[12:13]
	s_and_not1_b32 vcc_lo, exec_lo, s33
	s_wait_alu 0xfffe
	s_cbranch_vccnz .LBB197_32
; %bb.25:                               ;   in Loop: Header=BB197_6 Depth=1
	v_add_co_u32 v15, vcc_lo, v0, v8
	s_wait_alu 0xfffd
	v_add_co_ci_u32_e64 v16, null, v14, v9, vcc_lo
	global_load_b64 v[17:18], v[15:16], off
	s_wait_loadcnt 0x0
	v_fma_f64 v[17:18], s[6:7], v[17:18], v[12:13]
	global_store_b64 v[15:16], v[17:18], off
	s_cbranch_execnz .LBB197_27
.LBB197_26:                             ;   in Loop: Header=BB197_6 Depth=1
	v_add_co_u32 v15, vcc_lo, v0, v8
	s_wait_alu 0xfffd
	v_add_co_ci_u32_e64 v16, null, v14, v9, vcc_lo
	global_store_b64 v[15:16], v[12:13], off
.LBB197_27:                             ;   in Loop: Header=BB197_6 Depth=1
	s_wait_alu 0xfffe
	s_or_b32 exec_lo, exec_lo, s2
	s_and_saveexec_b32 s2, s4
	s_cbranch_execz .LBB197_5
; %bb.28:                               ;   in Loop: Header=BB197_6 Depth=1
	v_mul_f64_e32 v[10:11], s[10:11], v[10:11]
	v_lshlrev_b64_e32 v[12:13], 3, v[2:3]
	s_and_not1_b32 vcc_lo, exec_lo, s33
	s_wait_alu 0xfffe
	s_cbranch_vccnz .LBB197_33
; %bb.29:                               ;   in Loop: Header=BB197_6 Depth=1
	s_delay_alu instid0(VALU_DEP_1)
	v_add_co_u32 v15, vcc_lo, v0, v12
	s_wait_alu 0xfffd
	v_add_co_ci_u32_e64 v16, null, v14, v13, vcc_lo
	global_load_b64 v[17:18], v[15:16], off
	s_wait_loadcnt 0x0
	v_fma_f64 v[17:18], s[6:7], v[17:18], v[10:11]
	global_store_b64 v[15:16], v[17:18], off
	s_cbranch_execnz .LBB197_5
	s_branch .LBB197_34
.LBB197_30:                             ;   in Loop: Header=BB197_6 Depth=1
	s_branch .LBB197_18
.LBB197_31:                             ;   in Loop: Header=BB197_6 Depth=1
	s_branch .LBB197_22
.LBB197_32:                             ;   in Loop: Header=BB197_6 Depth=1
	s_branch .LBB197_26
.LBB197_33:                             ;   in Loop: Header=BB197_6 Depth=1
.LBB197_34:                             ;   in Loop: Header=BB197_6 Depth=1
	s_delay_alu instid0(VALU_DEP_1)
	v_add_co_u32 v12, vcc_lo, v0, v12
	s_wait_alu 0xfffd
	v_add_co_ci_u32_e64 v13, null, v14, v13, vcc_lo
	global_store_b64 v[12:13], v[10:11], off
	s_branch .LBB197_5
.LBB197_35:
	s_endpgm
	.section	.rodata,"a",@progbits
	.p2align	6, 0x0
	.amdhsa_kernel _ZL29rocblas_internal_gemmt_kernelIlLi16ELi32ELi8ELc67ELc67ELc76ELb0ELb0EdPKdS1_PdEviT_T9_T10_S3_lS5_S3_lS4_T11_S3_li
		.amdhsa_group_segment_fixed_size 4096
		.amdhsa_private_segment_fixed_size 0
		.amdhsa_kernarg_size 108
		.amdhsa_user_sgpr_count 2
		.amdhsa_user_sgpr_dispatch_ptr 0
		.amdhsa_user_sgpr_queue_ptr 0
		.amdhsa_user_sgpr_kernarg_segment_ptr 1
		.amdhsa_user_sgpr_dispatch_id 0
		.amdhsa_user_sgpr_private_segment_size 0
		.amdhsa_wavefront_size32 1
		.amdhsa_uses_dynamic_stack 0
		.amdhsa_enable_private_segment 0
		.amdhsa_system_sgpr_workgroup_id_x 1
		.amdhsa_system_sgpr_workgroup_id_y 1
		.amdhsa_system_sgpr_workgroup_id_z 1
		.amdhsa_system_sgpr_workgroup_info 0
		.amdhsa_system_vgpr_workitem_id 1
		.amdhsa_next_free_vgpr 52
		.amdhsa_next_free_sgpr 35
		.amdhsa_reserve_vcc 1
		.amdhsa_float_round_mode_32 0
		.amdhsa_float_round_mode_16_64 0
		.amdhsa_float_denorm_mode_32 3
		.amdhsa_float_denorm_mode_16_64 3
		.amdhsa_fp16_overflow 0
		.amdhsa_workgroup_processor_mode 1
		.amdhsa_memory_ordered 1
		.amdhsa_forward_progress 1
		.amdhsa_inst_pref_size 17
		.amdhsa_round_robin_scheduling 0
		.amdhsa_exception_fp_ieee_invalid_op 0
		.amdhsa_exception_fp_denorm_src 0
		.amdhsa_exception_fp_ieee_div_zero 0
		.amdhsa_exception_fp_ieee_overflow 0
		.amdhsa_exception_fp_ieee_underflow 0
		.amdhsa_exception_fp_ieee_inexact 0
		.amdhsa_exception_int_div_zero 0
	.end_amdhsa_kernel
	.section	.text._ZL29rocblas_internal_gemmt_kernelIlLi16ELi32ELi8ELc67ELc67ELc76ELb0ELb0EdPKdS1_PdEviT_T9_T10_S3_lS5_S3_lS4_T11_S3_li,"axG",@progbits,_ZL29rocblas_internal_gemmt_kernelIlLi16ELi32ELi8ELc67ELc67ELc76ELb0ELb0EdPKdS1_PdEviT_T9_T10_S3_lS5_S3_lS4_T11_S3_li,comdat
.Lfunc_end197:
	.size	_ZL29rocblas_internal_gemmt_kernelIlLi16ELi32ELi8ELc67ELc67ELc76ELb0ELb0EdPKdS1_PdEviT_T9_T10_S3_lS5_S3_lS4_T11_S3_li, .Lfunc_end197-_ZL29rocblas_internal_gemmt_kernelIlLi16ELi32ELi8ELc67ELc67ELc76ELb0ELb0EdPKdS1_PdEviT_T9_T10_S3_lS5_S3_lS4_T11_S3_li
                                        ; -- End function
	.set _ZL29rocblas_internal_gemmt_kernelIlLi16ELi32ELi8ELc67ELc67ELc76ELb0ELb0EdPKdS1_PdEviT_T9_T10_S3_lS5_S3_lS4_T11_S3_li.num_vgpr, 52
	.set _ZL29rocblas_internal_gemmt_kernelIlLi16ELi32ELi8ELc67ELc67ELc76ELb0ELb0EdPKdS1_PdEviT_T9_T10_S3_lS5_S3_lS4_T11_S3_li.num_agpr, 0
	.set _ZL29rocblas_internal_gemmt_kernelIlLi16ELi32ELi8ELc67ELc67ELc76ELb0ELb0EdPKdS1_PdEviT_T9_T10_S3_lS5_S3_lS4_T11_S3_li.numbered_sgpr, 35
	.set _ZL29rocblas_internal_gemmt_kernelIlLi16ELi32ELi8ELc67ELc67ELc76ELb0ELb0EdPKdS1_PdEviT_T9_T10_S3_lS5_S3_lS4_T11_S3_li.num_named_barrier, 0
	.set _ZL29rocblas_internal_gemmt_kernelIlLi16ELi32ELi8ELc67ELc67ELc76ELb0ELb0EdPKdS1_PdEviT_T9_T10_S3_lS5_S3_lS4_T11_S3_li.private_seg_size, 0
	.set _ZL29rocblas_internal_gemmt_kernelIlLi16ELi32ELi8ELc67ELc67ELc76ELb0ELb0EdPKdS1_PdEviT_T9_T10_S3_lS5_S3_lS4_T11_S3_li.uses_vcc, 1
	.set _ZL29rocblas_internal_gemmt_kernelIlLi16ELi32ELi8ELc67ELc67ELc76ELb0ELb0EdPKdS1_PdEviT_T9_T10_S3_lS5_S3_lS4_T11_S3_li.uses_flat_scratch, 0
	.set _ZL29rocblas_internal_gemmt_kernelIlLi16ELi32ELi8ELc67ELc67ELc76ELb0ELb0EdPKdS1_PdEviT_T9_T10_S3_lS5_S3_lS4_T11_S3_li.has_dyn_sized_stack, 0
	.set _ZL29rocblas_internal_gemmt_kernelIlLi16ELi32ELi8ELc67ELc67ELc76ELb0ELb0EdPKdS1_PdEviT_T9_T10_S3_lS5_S3_lS4_T11_S3_li.has_recursion, 0
	.set _ZL29rocblas_internal_gemmt_kernelIlLi16ELi32ELi8ELc67ELc67ELc76ELb0ELb0EdPKdS1_PdEviT_T9_T10_S3_lS5_S3_lS4_T11_S3_li.has_indirect_call, 0
	.section	.AMDGPU.csdata,"",@progbits
; Kernel info:
; codeLenInByte = 2060
; TotalNumSgprs: 37
; NumVgprs: 52
; ScratchSize: 0
; MemoryBound: 0
; FloatMode: 240
; IeeeMode: 1
; LDSByteSize: 4096 bytes/workgroup (compile time only)
; SGPRBlocks: 0
; VGPRBlocks: 6
; NumSGPRsForWavesPerEU: 37
; NumVGPRsForWavesPerEU: 52
; Occupancy: 16
; WaveLimiterHint : 0
; COMPUTE_PGM_RSRC2:SCRATCH_EN: 0
; COMPUTE_PGM_RSRC2:USER_SGPR: 2
; COMPUTE_PGM_RSRC2:TRAP_HANDLER: 0
; COMPUTE_PGM_RSRC2:TGID_X_EN: 1
; COMPUTE_PGM_RSRC2:TGID_Y_EN: 1
; COMPUTE_PGM_RSRC2:TGID_Z_EN: 1
; COMPUTE_PGM_RSRC2:TIDIG_COMP_CNT: 1
	.section	.text._ZL29rocblas_internal_gemmt_kernelIlLi16ELi32ELi8ELc78ELc78ELc85ELb0ELb0EddPKdPdEviT_T9_T10_S3_lS5_S3_lS4_T11_S3_li,"axG",@progbits,_ZL29rocblas_internal_gemmt_kernelIlLi16ELi32ELi8ELc78ELc78ELc85ELb0ELb0EddPKdPdEviT_T9_T10_S3_lS5_S3_lS4_T11_S3_li,comdat
	.globl	_ZL29rocblas_internal_gemmt_kernelIlLi16ELi32ELi8ELc78ELc78ELc85ELb0ELb0EddPKdPdEviT_T9_T10_S3_lS5_S3_lS4_T11_S3_li ; -- Begin function _ZL29rocblas_internal_gemmt_kernelIlLi16ELi32ELi8ELc78ELc78ELc85ELb0ELb0EddPKdPdEviT_T9_T10_S3_lS5_S3_lS4_T11_S3_li
	.p2align	8
	.type	_ZL29rocblas_internal_gemmt_kernelIlLi16ELi32ELi8ELc78ELc78ELc85ELb0ELb0EddPKdPdEviT_T9_T10_S3_lS5_S3_lS4_T11_S3_li,@function
_ZL29rocblas_internal_gemmt_kernelIlLi16ELi32ELi8ELc78ELc78ELc85ELb0ELb0EddPKdPdEviT_T9_T10_S3_lS5_S3_lS4_T11_S3_li: ; @_ZL29rocblas_internal_gemmt_kernelIlLi16ELi32ELi8ELc78ELc78ELc85ELb0ELb0EddPKdPdEviT_T9_T10_S3_lS5_S3_lS4_T11_S3_li
; %bb.0:
	s_clause 0x1
	s_load_b256 s[20:27], s[0:1], 0x48
	s_load_b512 s[4:19], s[0:1], 0x8
	s_wait_kmcnt 0x0
	v_cmp_neq_f64_e64 s2, s[20:21], 1.0
	s_and_b32 vcc_lo, exec_lo, s2
	s_cbranch_vccnz .LBB198_2
; %bb.1:
	v_cmp_neq_f64_e64 s2, s[6:7], 0
	s_cmp_lg_u64 s[4:5], 0
	s_cselect_b32 s3, -1, 0
	s_delay_alu instid0(SALU_CYCLE_1)
	s_and_b32 s2, s3, s2
.LBB198_2:
	s_delay_alu instid0(SALU_CYCLE_1)
	s_and_not1_b32 vcc_lo, exec_lo, s2
	s_cbranch_vccnz .LBB198_35
; %bb.3:
	s_load_b32 s30, s[0:1], 0x68
	s_lshr_b32 s28, ttmp7, 16
	s_wait_kmcnt 0x0
	s_cmp_ge_u32 s28, s30
	s_cbranch_scc1 .LBB198_35
; %bb.4:
	v_and_b32_e32 v1, 0x3ff, v0
	v_bfe_u32 v14, v0, 10, 10
	s_load_b32 s29, s[0:1], 0x0
	s_lshl_b32 s1, ttmp7, 5
	s_lshl_b32 s0, ttmp9, 5
	s_and_b32 s1, s1, 0x1fffe0
	v_lshl_add_u32 v2, v14, 4, v1
	v_add_nc_u32_e32 v15, s1, v14
	v_lshlrev_b32_e32 v23, 3, v1
	v_cmp_neq_f64_e64 s33, s[6:7], 0
	v_cmp_neq_f64_e64 s31, s[20:21], 0
	v_lshrrev_b32_e32 v5, 3, v2
	v_mad_co_u64_u32 v[6:7], null, s24, v15, 0
	v_and_b32_e32 v10, 31, v2
	v_add_nc_u32_e32 v16, 16, v15
	s_delay_alu instid0(VALU_DEP_4)
	v_add_nc_u32_e32 v12, s1, v5
	v_lshrrev_b32_e32 v24, 5, v2
	v_cmp_gt_i64_e64 s34, s[4:5], 0
	v_or_b32_e32 v8, s0, v10
	v_lshlrev_b32_e32 v13, 3, v10
	v_mad_co_u64_u32 v[3:4], null, s16, v12, 0
	v_and_b32_e32 v22, 7, v0
	v_mad_co_u64_u32 v[10:11], null, s24, v16, 0
	v_add_nc_u32_e32 v0, s0, v1
	s_wait_kmcnt 0x0
	v_cmp_gt_i32_e64 s0, s29, v8
	v_lshl_or_b32 v25, v24, 8, v13
	v_mov_b32_e32 v1, v4
	v_lshlrev_b32_e32 v9, 3, v22
	v_add_nc_u32_e32 v2, 16, v0
	v_lshl_add_u32 v31, v14, 6, 0x800
	s_delay_alu instid0(VALU_DEP_3) | instskip(NEXT) | instid1(VALU_DEP_3)
	v_lshl_or_b32 v17, v5, 6, v9
	v_mad_co_u64_u32 v[4:5], null, s17, v12, v[1:2]
	v_ashrrev_i32_e32 v9, 31, v8
	v_mov_b32_e32 v1, v7
	v_cmp_gt_i32_e64 s1, s29, v12
	v_add_nc_u32_e32 v26, 0x800, v17
	s_delay_alu instid0(VALU_DEP_4)
	v_lshlrev_b64_e32 v[7:8], 3, v[8:9]
	v_lshlrev_b64_e32 v[3:4], 3, v[3:4]
	v_mad_co_u64_u32 v[12:13], null, s25, v15, v[1:2]
	v_mov_b32_e32 v1, v11
	v_cmp_le_i32_e64 s2, v0, v15
	v_add_co_u32 v27, vcc_lo, s8, v7
	s_delay_alu instid0(VALU_DEP_1)
	v_add_co_ci_u32_e64 v28, null, s9, v8, vcc_lo
	v_add_co_u32 v29, vcc_lo, s14, v3
	s_wait_alu 0xfffd
	v_add_co_ci_u32_e64 v30, null, s15, v4, vcc_lo
	v_mad_co_u64_u32 v[4:5], null, s25, v16, v[1:2]
	v_cmp_gt_i32_e32 vcc_lo, s29, v15
	v_mov_b32_e32 v7, v12
	v_mov_b32_e32 v5, 0
	v_ashrrev_i32_e32 v1, 31, v0
	s_and_b32 s14, s33, s34
	s_and_b32 s8, vcc_lo, s2
	v_mov_b32_e32 v11, v4
	v_cmp_le_i32_e64 s3, v2, v15
	v_cmp_le_i32_e64 s2, v0, v16
	v_lshlrev_b64_e32 v[6:7], 3, v[6:7]
	v_ashrrev_i32_e32 v3, 31, v2
	v_lshlrev_b64_e32 v[8:9], 3, v[10:11]
	s_and_b32 s9, vcc_lo, s3
	v_cmp_gt_i32_e32 vcc_lo, s29, v16
	v_cmp_le_i32_e64 s3, v2, v16
	s_mov_b32 s29, 0
	s_and_b32 s15, vcc_lo, s2
	s_and_b32 s16, vcc_lo, s3
	s_branch .LBB198_6
.LBB198_5:                              ;   in Loop: Header=BB198_6 Depth=1
	s_wait_alu 0xfffe
	s_or_b32 exec_lo, exec_lo, s2
	s_add_co_i32 s28, s28, 0x10000
	s_wait_alu 0xfffe
	s_cmp_lt_u32 s28, s30
	s_cbranch_scc0 .LBB198_35
.LBB198_6:                              ; =>This Loop Header: Depth=1
                                        ;     Child Loop BB198_9 Depth 2
	v_mov_b32_e32 v16, 0
	v_dual_mov_b32 v12, 0 :: v_dual_mov_b32 v17, 0
	v_dual_mov_b32 v14, 0 :: v_dual_mov_b32 v13, 0
	;; [unrolled: 1-line block ×3, first 2 shown]
	v_mov_b32_e32 v11, 0
	s_wait_alu 0xfffe
	s_and_not1_b32 vcc_lo, exec_lo, s14
	s_wait_alu 0xfffe
	s_cbranch_vccnz .LBB198_15
; %bb.7:                                ;   in Loop: Header=BB198_6 Depth=1
	s_mul_u64 s[2:3], s[12:13], s[28:29]
	s_mul_u64 s[24:25], s[18:19], s[28:29]
	s_wait_alu 0xfffe
	s_lshl_b64 s[2:3], s[2:3], 3
	v_mov_b32_e32 v10, 0
	s_wait_alu 0xfffe
	v_add_co_u32 v32, vcc_lo, v27, s2
	s_wait_alu 0xfffd
	v_add_co_ci_u32_e64 v33, null, s3, v28, vcc_lo
	s_lshl_b64 s[2:3], s[24:25], 3
	v_mov_b32_e32 v14, 0
	s_wait_alu 0xfffe
	v_add_co_u32 v34, vcc_lo, v29, s2
	v_dual_mov_b32 v11, 0 :: v_dual_mov_b32 v12, 0
	v_dual_mov_b32 v15, 0 :: v_dual_mov_b32 v16, 0
	v_mov_b32_e32 v13, 0
	v_mov_b32_e32 v17, 0
	s_wait_alu 0xfffd
	v_add_co_ci_u32_e64 v35, null, s3, v30, vcc_lo
	s_mov_b64 s[2:3], 0
	s_branch .LBB198_9
.LBB198_8:                              ;   in Loop: Header=BB198_9 Depth=2
	s_wait_alu 0xfffe
	s_or_b32 exec_lo, exec_lo, s17
	s_wait_loadcnt 0x0
	ds_store_b64 v26, v[20:21]
	s_wait_dscnt 0x0
	s_barrier_signal -1
	s_barrier_wait -1
	global_inv scope:SCOPE_SE
	ds_load_b128 v[18:21], v31
	ds_load_2addr_b64 v[36:39], v23 offset1:16
	ds_load_b128 v[40:43], v31 offset:1024
	ds_load_b128 v[44:47], v31 offset:16
	;; [unrolled: 1-line block ×3, first 2 shown]
	s_add_nc_u64 s[2:3], s[2:3], 8
	s_wait_alu 0xfffe
	v_cmp_gt_i64_e64 s17, s[4:5], s[2:3]
	s_and_b32 vcc_lo, exec_lo, s17
	s_wait_dscnt 0x3
	v_fma_f64 v[16:17], v[36:37], v[18:19], v[16:17]
	v_fma_f64 v[14:15], v[38:39], v[18:19], v[14:15]
	s_wait_dscnt 0x2
	v_fma_f64 v[18:19], v[36:37], v[40:41], v[12:13]
	v_fma_f64 v[36:37], v[38:39], v[40:41], v[10:11]
	ds_load_2addr_b64 v[10:13], v23 offset0:32 offset1:48
	s_wait_dscnt 0x0
	v_fma_f64 v[16:17], v[10:11], v[20:21], v[16:17]
	v_fma_f64 v[14:15], v[12:13], v[20:21], v[14:15]
	v_fma_f64 v[18:19], v[10:11], v[42:43], v[18:19]
	v_fma_f64 v[20:21], v[12:13], v[42:43], v[36:37]
	ds_load_2addr_b64 v[10:13], v23 offset0:64 offset1:80
	s_wait_dscnt 0x0
	v_fma_f64 v[16:17], v[10:11], v[44:45], v[16:17]
	v_fma_f64 v[14:15], v[12:13], v[44:45], v[14:15]
	;; [unrolled: 6-line block ×3, first 2 shown]
	v_fma_f64 v[48:49], v[10:11], v[50:51], v[18:19]
	v_fma_f64 v[50:51], v[12:13], v[50:51], v[20:21]
	ds_load_b128 v[10:13], v31 offset:32
	ds_load_2addr_b64 v[14:17], v23 offset0:128 offset1:144
	ds_load_b128 v[18:21], v31 offset:1056
	ds_load_b128 v[36:39], v31 offset:48
	;; [unrolled: 1-line block ×3, first 2 shown]
	s_wait_dscnt 0x3
	v_fma_f64 v[44:45], v[14:15], v[10:11], v[44:45]
	v_fma_f64 v[10:11], v[16:17], v[10:11], v[46:47]
	s_wait_dscnt 0x2
	v_fma_f64 v[46:47], v[14:15], v[18:19], v[48:49]
	v_fma_f64 v[18:19], v[16:17], v[18:19], v[50:51]
	ds_load_2addr_b64 v[14:17], v23 offset0:160 offset1:176
	s_wait_dscnt 0x0
	v_fma_f64 v[44:45], v[14:15], v[12:13], v[44:45]
	v_fma_f64 v[48:49], v[16:17], v[12:13], v[10:11]
	;; [unrolled: 1-line block ×4, first 2 shown]
	ds_load_2addr_b64 v[10:13], v23 offset0:192 offset1:208
	ds_load_2addr_b64 v[18:21], v23 offset0:224 offset1:240
	s_wait_loadcnt_dscnt 0x0
	s_barrier_signal -1
	s_barrier_wait -1
	global_inv scope:SCOPE_SE
	v_fma_f64 v[44:45], v[10:11], v[36:37], v[44:45]
	v_fma_f64 v[36:37], v[12:13], v[36:37], v[48:49]
	;; [unrolled: 1-line block ×4, first 2 shown]
	s_delay_alu instid0(VALU_DEP_4) | instskip(NEXT) | instid1(VALU_DEP_4)
	v_fma_f64 v[16:17], v[18:19], v[38:39], v[44:45]
	v_fma_f64 v[14:15], v[20:21], v[38:39], v[36:37]
	s_delay_alu instid0(VALU_DEP_4) | instskip(NEXT) | instid1(VALU_DEP_4)
	v_fma_f64 v[12:13], v[18:19], v[42:43], v[10:11]
	v_fma_f64 v[10:11], v[20:21], v[42:43], v[40:41]
	s_wait_alu 0xfffe
	s_cbranch_vccz .LBB198_15
.LBB198_9:                              ;   Parent Loop BB198_6 Depth=1
                                        ; =>  This Inner Loop Header: Depth=2
	v_mov_b32_e32 v18, 0
	v_mov_b32_e32 v19, 0
	s_and_saveexec_b32 s17, s0
	s_cbranch_execz .LBB198_13
; %bb.10:                               ;   in Loop: Header=BB198_9 Depth=2
	v_mov_b32_e32 v18, 0
	s_wait_alu 0xfffe
	v_dual_mov_b32 v19, 0 :: v_dual_add_nc_u32 v4, s2, v24
	s_mov_b32 s24, exec_lo
	s_delay_alu instid0(VALU_DEP_1)
	v_cmpx_gt_u64_e64 s[4:5], v[4:5]
	s_cbranch_execz .LBB198_12
; %bb.11:                               ;   in Loop: Header=BB198_9 Depth=2
	v_mad_co_u64_u32 v[18:19], null, s10, v4, 0
	s_delay_alu instid0(VALU_DEP_1) | instskip(NEXT) | instid1(VALU_DEP_1)
	v_mad_co_u64_u32 v[19:20], null, s11, v4, v[19:20]
	v_lshlrev_b64_e32 v[18:19], 3, v[18:19]
	s_delay_alu instid0(VALU_DEP_1) | instskip(SKIP_1) | instid1(VALU_DEP_2)
	v_add_co_u32 v18, vcc_lo, v32, v18
	s_wait_alu 0xfffd
	v_add_co_ci_u32_e64 v19, null, v33, v19, vcc_lo
	global_load_b64 v[18:19], v[18:19], off
.LBB198_12:                             ;   in Loop: Header=BB198_9 Depth=2
	s_wait_alu 0xfffe
	s_or_b32 exec_lo, exec_lo, s24
.LBB198_13:                             ;   in Loop: Header=BB198_9 Depth=2
	s_wait_alu 0xfffe
	s_or_b32 exec_lo, exec_lo, s17
	v_add_nc_u32_e32 v4, s2, v22
	v_mov_b32_e32 v20, 0
	v_mov_b32_e32 v21, 0
	s_wait_loadcnt 0x0
	ds_store_b64 v25, v[18:19]
	v_cmp_gt_u64_e32 vcc_lo, s[4:5], v[4:5]
	s_and_b32 s24, vcc_lo, s1
	s_wait_alu 0xfffe
	s_and_saveexec_b32 s17, s24
	s_cbranch_execz .LBB198_8
; %bb.14:                               ;   in Loop: Header=BB198_9 Depth=2
	v_lshlrev_b64_e32 v[18:19], 3, v[4:5]
	s_delay_alu instid0(VALU_DEP_1) | instskip(SKIP_1) | instid1(VALU_DEP_2)
	v_add_co_u32 v18, vcc_lo, v34, v18
	s_wait_alu 0xfffd
	v_add_co_ci_u32_e64 v19, null, v35, v19, vcc_lo
	global_load_b64 v[20:21], v[18:19], off
	s_branch .LBB198_8
.LBB198_15:                             ;   in Loop: Header=BB198_6 Depth=1
	s_mul_u64 s[2:3], s[26:27], s[28:29]
	s_wait_alu 0xfffe
	s_lshl_b64 s[2:3], s[2:3], 3
	s_wait_alu 0xfffe
	s_add_nc_u64 s[2:3], s[22:23], s[2:3]
	s_wait_alu 0xfffe
	v_add_co_u32 v4, vcc_lo, s2, v6
	s_wait_alu 0xfffd
	v_add_co_ci_u32_e64 v18, null, s3, v7, vcc_lo
	s_and_saveexec_b32 s17, s8
	s_cbranch_execz .LBB198_19
; %bb.16:                               ;   in Loop: Header=BB198_6 Depth=1
	v_mul_f64_e32 v[16:17], s[6:7], v[16:17]
	s_and_b32 vcc_lo, exec_lo, s31
	s_wait_alu 0xfffe
	s_cbranch_vccz .LBB198_30
; %bb.17:                               ;   in Loop: Header=BB198_6 Depth=1
	v_lshlrev_b64_e32 v[19:20], 3, v[0:1]
	s_delay_alu instid0(VALU_DEP_1) | instskip(SKIP_1) | instid1(VALU_DEP_2)
	v_add_co_u32 v19, vcc_lo, v4, v19
	s_wait_alu 0xfffd
	v_add_co_ci_u32_e64 v20, null, v18, v20, vcc_lo
	global_load_b64 v[32:33], v[19:20], off
	s_wait_loadcnt 0x0
	v_fma_f64 v[32:33], s[20:21], v[32:33], v[16:17]
	global_store_b64 v[19:20], v[32:33], off
	s_cbranch_execnz .LBB198_19
.LBB198_18:                             ;   in Loop: Header=BB198_6 Depth=1
	v_lshlrev_b64_e32 v[19:20], 3, v[0:1]
	s_delay_alu instid0(VALU_DEP_1) | instskip(SKIP_1) | instid1(VALU_DEP_2)
	v_add_co_u32 v19, vcc_lo, v4, v19
	s_wait_alu 0xfffd
	v_add_co_ci_u32_e64 v20, null, v18, v20, vcc_lo
	global_store_b64 v[19:20], v[16:17], off
.LBB198_19:                             ;   in Loop: Header=BB198_6 Depth=1
	s_wait_alu 0xfffe
	s_or_b32 exec_lo, exec_lo, s17
	s_and_saveexec_b32 s17, s9
	s_cbranch_execz .LBB198_23
; %bb.20:                               ;   in Loop: Header=BB198_6 Depth=1
	v_mul_f64_e32 v[14:15], s[6:7], v[14:15]
	s_and_not1_b32 vcc_lo, exec_lo, s31
	s_wait_alu 0xfffe
	s_cbranch_vccnz .LBB198_31
; %bb.21:                               ;   in Loop: Header=BB198_6 Depth=1
	v_lshlrev_b64_e32 v[16:17], 3, v[2:3]
	s_delay_alu instid0(VALU_DEP_1) | instskip(SKIP_1) | instid1(VALU_DEP_2)
	v_add_co_u32 v16, vcc_lo, v4, v16
	s_wait_alu 0xfffd
	v_add_co_ci_u32_e64 v17, null, v18, v17, vcc_lo
	global_load_b64 v[19:20], v[16:17], off
	s_wait_loadcnt 0x0
	v_fma_f64 v[19:20], s[20:21], v[19:20], v[14:15]
	global_store_b64 v[16:17], v[19:20], off
	s_cbranch_execnz .LBB198_23
.LBB198_22:                             ;   in Loop: Header=BB198_6 Depth=1
	v_lshlrev_b64_e32 v[16:17], 3, v[2:3]
	s_delay_alu instid0(VALU_DEP_1) | instskip(SKIP_1) | instid1(VALU_DEP_2)
	v_add_co_u32 v16, vcc_lo, v4, v16
	s_wait_alu 0xfffd
	v_add_co_ci_u32_e64 v17, null, v18, v17, vcc_lo
	global_store_b64 v[16:17], v[14:15], off
.LBB198_23:                             ;   in Loop: Header=BB198_6 Depth=1
	s_wait_alu 0xfffe
	s_or_b32 exec_lo, exec_lo, s17
	v_add_co_u32 v4, vcc_lo, s2, v8
	s_wait_alu 0xfffd
	v_add_co_ci_u32_e64 v16, null, s3, v9, vcc_lo
	s_and_saveexec_b32 s2, s15
	s_cbranch_execz .LBB198_27
; %bb.24:                               ;   in Loop: Header=BB198_6 Depth=1
	v_mul_f64_e32 v[12:13], s[6:7], v[12:13]
	v_lshlrev_b64_e32 v[14:15], 3, v[0:1]
	s_and_not1_b32 vcc_lo, exec_lo, s31
	s_wait_alu 0xfffe
	s_cbranch_vccnz .LBB198_32
; %bb.25:                               ;   in Loop: Header=BB198_6 Depth=1
	s_delay_alu instid0(VALU_DEP_1)
	v_add_co_u32 v17, vcc_lo, v4, v14
	s_wait_alu 0xfffd
	v_add_co_ci_u32_e64 v18, null, v16, v15, vcc_lo
	global_load_b64 v[19:20], v[17:18], off
	s_wait_loadcnt 0x0
	v_fma_f64 v[19:20], s[20:21], v[19:20], v[12:13]
	global_store_b64 v[17:18], v[19:20], off
	s_cbranch_execnz .LBB198_27
.LBB198_26:                             ;   in Loop: Header=BB198_6 Depth=1
	s_delay_alu instid0(VALU_DEP_1)
	v_add_co_u32 v14, vcc_lo, v4, v14
	s_wait_alu 0xfffd
	v_add_co_ci_u32_e64 v15, null, v16, v15, vcc_lo
	global_store_b64 v[14:15], v[12:13], off
.LBB198_27:                             ;   in Loop: Header=BB198_6 Depth=1
	s_wait_alu 0xfffe
	s_or_b32 exec_lo, exec_lo, s2
	s_and_saveexec_b32 s2, s16
	s_cbranch_execz .LBB198_5
; %bb.28:                               ;   in Loop: Header=BB198_6 Depth=1
	v_mul_f64_e32 v[10:11], s[6:7], v[10:11]
	v_lshlrev_b64_e32 v[12:13], 3, v[2:3]
	s_and_not1_b32 vcc_lo, exec_lo, s31
	s_wait_alu 0xfffe
	s_cbranch_vccnz .LBB198_33
; %bb.29:                               ;   in Loop: Header=BB198_6 Depth=1
	s_delay_alu instid0(VALU_DEP_1)
	v_add_co_u32 v14, vcc_lo, v4, v12
	s_wait_alu 0xfffd
	v_add_co_ci_u32_e64 v15, null, v16, v13, vcc_lo
	global_load_b64 v[17:18], v[14:15], off
	s_wait_loadcnt 0x0
	v_fma_f64 v[17:18], s[20:21], v[17:18], v[10:11]
	global_store_b64 v[14:15], v[17:18], off
	s_cbranch_execnz .LBB198_5
	s_branch .LBB198_34
.LBB198_30:                             ;   in Loop: Header=BB198_6 Depth=1
	s_branch .LBB198_18
.LBB198_31:                             ;   in Loop: Header=BB198_6 Depth=1
	s_branch .LBB198_22
.LBB198_32:                             ;   in Loop: Header=BB198_6 Depth=1
	s_branch .LBB198_26
.LBB198_33:                             ;   in Loop: Header=BB198_6 Depth=1
.LBB198_34:                             ;   in Loop: Header=BB198_6 Depth=1
	s_delay_alu instid0(VALU_DEP_1)
	v_add_co_u32 v12, vcc_lo, v4, v12
	s_wait_alu 0xfffd
	v_add_co_ci_u32_e64 v13, null, v16, v13, vcc_lo
	global_store_b64 v[12:13], v[10:11], off
	s_branch .LBB198_5
.LBB198_35:
	s_endpgm
	.section	.rodata,"a",@progbits
	.p2align	6, 0x0
	.amdhsa_kernel _ZL29rocblas_internal_gemmt_kernelIlLi16ELi32ELi8ELc78ELc78ELc85ELb0ELb0EddPKdPdEviT_T9_T10_S3_lS5_S3_lS4_T11_S3_li
		.amdhsa_group_segment_fixed_size 4096
		.amdhsa_private_segment_fixed_size 0
		.amdhsa_kernarg_size 108
		.amdhsa_user_sgpr_count 2
		.amdhsa_user_sgpr_dispatch_ptr 0
		.amdhsa_user_sgpr_queue_ptr 0
		.amdhsa_user_sgpr_kernarg_segment_ptr 1
		.amdhsa_user_sgpr_dispatch_id 0
		.amdhsa_user_sgpr_private_segment_size 0
		.amdhsa_wavefront_size32 1
		.amdhsa_uses_dynamic_stack 0
		.amdhsa_enable_private_segment 0
		.amdhsa_system_sgpr_workgroup_id_x 1
		.amdhsa_system_sgpr_workgroup_id_y 1
		.amdhsa_system_sgpr_workgroup_id_z 1
		.amdhsa_system_sgpr_workgroup_info 0
		.amdhsa_system_vgpr_workitem_id 1
		.amdhsa_next_free_vgpr 52
		.amdhsa_next_free_sgpr 35
		.amdhsa_reserve_vcc 1
		.amdhsa_float_round_mode_32 0
		.amdhsa_float_round_mode_16_64 0
		.amdhsa_float_denorm_mode_32 3
		.amdhsa_float_denorm_mode_16_64 3
		.amdhsa_fp16_overflow 0
		.amdhsa_workgroup_processor_mode 1
		.amdhsa_memory_ordered 1
		.amdhsa_forward_progress 1
		.amdhsa_inst_pref_size 17
		.amdhsa_round_robin_scheduling 0
		.amdhsa_exception_fp_ieee_invalid_op 0
		.amdhsa_exception_fp_denorm_src 0
		.amdhsa_exception_fp_ieee_div_zero 0
		.amdhsa_exception_fp_ieee_overflow 0
		.amdhsa_exception_fp_ieee_underflow 0
		.amdhsa_exception_fp_ieee_inexact 0
		.amdhsa_exception_int_div_zero 0
	.end_amdhsa_kernel
	.section	.text._ZL29rocblas_internal_gemmt_kernelIlLi16ELi32ELi8ELc78ELc78ELc85ELb0ELb0EddPKdPdEviT_T9_T10_S3_lS5_S3_lS4_T11_S3_li,"axG",@progbits,_ZL29rocblas_internal_gemmt_kernelIlLi16ELi32ELi8ELc78ELc78ELc85ELb0ELb0EddPKdPdEviT_T9_T10_S3_lS5_S3_lS4_T11_S3_li,comdat
.Lfunc_end198:
	.size	_ZL29rocblas_internal_gemmt_kernelIlLi16ELi32ELi8ELc78ELc78ELc85ELb0ELb0EddPKdPdEviT_T9_T10_S3_lS5_S3_lS4_T11_S3_li, .Lfunc_end198-_ZL29rocblas_internal_gemmt_kernelIlLi16ELi32ELi8ELc78ELc78ELc85ELb0ELb0EddPKdPdEviT_T9_T10_S3_lS5_S3_lS4_T11_S3_li
                                        ; -- End function
	.set _ZL29rocblas_internal_gemmt_kernelIlLi16ELi32ELi8ELc78ELc78ELc85ELb0ELb0EddPKdPdEviT_T9_T10_S3_lS5_S3_lS4_T11_S3_li.num_vgpr, 52
	.set _ZL29rocblas_internal_gemmt_kernelIlLi16ELi32ELi8ELc78ELc78ELc85ELb0ELb0EddPKdPdEviT_T9_T10_S3_lS5_S3_lS4_T11_S3_li.num_agpr, 0
	.set _ZL29rocblas_internal_gemmt_kernelIlLi16ELi32ELi8ELc78ELc78ELc85ELb0ELb0EddPKdPdEviT_T9_T10_S3_lS5_S3_lS4_T11_S3_li.numbered_sgpr, 35
	.set _ZL29rocblas_internal_gemmt_kernelIlLi16ELi32ELi8ELc78ELc78ELc85ELb0ELb0EddPKdPdEviT_T9_T10_S3_lS5_S3_lS4_T11_S3_li.num_named_barrier, 0
	.set _ZL29rocblas_internal_gemmt_kernelIlLi16ELi32ELi8ELc78ELc78ELc85ELb0ELb0EddPKdPdEviT_T9_T10_S3_lS5_S3_lS4_T11_S3_li.private_seg_size, 0
	.set _ZL29rocblas_internal_gemmt_kernelIlLi16ELi32ELi8ELc78ELc78ELc85ELb0ELb0EddPKdPdEviT_T9_T10_S3_lS5_S3_lS4_T11_S3_li.uses_vcc, 1
	.set _ZL29rocblas_internal_gemmt_kernelIlLi16ELi32ELi8ELc78ELc78ELc85ELb0ELb0EddPKdPdEviT_T9_T10_S3_lS5_S3_lS4_T11_S3_li.uses_flat_scratch, 0
	.set _ZL29rocblas_internal_gemmt_kernelIlLi16ELi32ELi8ELc78ELc78ELc85ELb0ELb0EddPKdPdEviT_T9_T10_S3_lS5_S3_lS4_T11_S3_li.has_dyn_sized_stack, 0
	.set _ZL29rocblas_internal_gemmt_kernelIlLi16ELi32ELi8ELc78ELc78ELc85ELb0ELb0EddPKdPdEviT_T9_T10_S3_lS5_S3_lS4_T11_S3_li.has_recursion, 0
	.set _ZL29rocblas_internal_gemmt_kernelIlLi16ELi32ELi8ELc78ELc78ELc85ELb0ELb0EddPKdPdEviT_T9_T10_S3_lS5_S3_lS4_T11_S3_li.has_indirect_call, 0
	.section	.AMDGPU.csdata,"",@progbits
; Kernel info:
; codeLenInByte = 2052
; TotalNumSgprs: 37
; NumVgprs: 52
; ScratchSize: 0
; MemoryBound: 0
; FloatMode: 240
; IeeeMode: 1
; LDSByteSize: 4096 bytes/workgroup (compile time only)
; SGPRBlocks: 0
; VGPRBlocks: 6
; NumSGPRsForWavesPerEU: 37
; NumVGPRsForWavesPerEU: 52
; Occupancy: 16
; WaveLimiterHint : 0
; COMPUTE_PGM_RSRC2:SCRATCH_EN: 0
; COMPUTE_PGM_RSRC2:USER_SGPR: 2
; COMPUTE_PGM_RSRC2:TRAP_HANDLER: 0
; COMPUTE_PGM_RSRC2:TGID_X_EN: 1
; COMPUTE_PGM_RSRC2:TGID_Y_EN: 1
; COMPUTE_PGM_RSRC2:TGID_Z_EN: 1
; COMPUTE_PGM_RSRC2:TIDIG_COMP_CNT: 1
	.section	.text._ZL29rocblas_internal_gemmt_kernelIlLi16ELi32ELi8ELc78ELc84ELc85ELb0ELb0EddPKdPdEviT_T9_T10_S3_lS5_S3_lS4_T11_S3_li,"axG",@progbits,_ZL29rocblas_internal_gemmt_kernelIlLi16ELi32ELi8ELc78ELc84ELc85ELb0ELb0EddPKdPdEviT_T9_T10_S3_lS5_S3_lS4_T11_S3_li,comdat
	.globl	_ZL29rocblas_internal_gemmt_kernelIlLi16ELi32ELi8ELc78ELc84ELc85ELb0ELb0EddPKdPdEviT_T9_T10_S3_lS5_S3_lS4_T11_S3_li ; -- Begin function _ZL29rocblas_internal_gemmt_kernelIlLi16ELi32ELi8ELc78ELc84ELc85ELb0ELb0EddPKdPdEviT_T9_T10_S3_lS5_S3_lS4_T11_S3_li
	.p2align	8
	.type	_ZL29rocblas_internal_gemmt_kernelIlLi16ELi32ELi8ELc78ELc84ELc85ELb0ELb0EddPKdPdEviT_T9_T10_S3_lS5_S3_lS4_T11_S3_li,@function
_ZL29rocblas_internal_gemmt_kernelIlLi16ELi32ELi8ELc78ELc84ELc85ELb0ELb0EddPKdPdEviT_T9_T10_S3_lS5_S3_lS4_T11_S3_li: ; @_ZL29rocblas_internal_gemmt_kernelIlLi16ELi32ELi8ELc78ELc84ELc85ELb0ELb0EddPKdPdEviT_T9_T10_S3_lS5_S3_lS4_T11_S3_li
; %bb.0:
	s_clause 0x1
	s_load_b256 s[20:27], s[0:1], 0x48
	s_load_b512 s[4:19], s[0:1], 0x8
	s_wait_kmcnt 0x0
	v_cmp_neq_f64_e64 s2, s[20:21], 1.0
	s_and_b32 vcc_lo, exec_lo, s2
	s_cbranch_vccnz .LBB199_2
; %bb.1:
	v_cmp_neq_f64_e64 s2, s[6:7], 0
	s_cmp_lg_u64 s[4:5], 0
	s_cselect_b32 s3, -1, 0
	s_delay_alu instid0(SALU_CYCLE_1)
	s_and_b32 s2, s3, s2
.LBB199_2:
	s_delay_alu instid0(SALU_CYCLE_1)
	s_and_not1_b32 vcc_lo, exec_lo, s2
	s_cbranch_vccnz .LBB199_35
; %bb.3:
	s_load_b32 s30, s[0:1], 0x68
	s_lshr_b32 s28, ttmp7, 16
	s_wait_kmcnt 0x0
	s_cmp_ge_u32 s28, s30
	s_cbranch_scc1 .LBB199_35
; %bb.4:
	v_and_b32_e32 v2, 0x3ff, v0
	v_bfe_u32 v3, v0, 10, 10
	s_load_b32 s29, s[0:1], 0x0
	s_lshl_b32 s2, ttmp9, 5
	v_and_b32_e32 v22, 7, v0
	s_lshl_b32 s0, ttmp7, 5
	v_lshl_add_u32 v1, v3, 4, v2
	s_and_b32 s0, s0, 0x1fffe0
	v_cmp_neq_f64_e64 s31, s[6:7], 0
	v_add_nc_u32_e32 v12, s0, v3
	v_cmp_gt_i64_e64 s33, s[4:5], 0
	v_and_b32_e32 v6, 31, v1
	v_lshrrev_b32_e32 v23, 5, v1
	v_lshrrev_b32_e32 v8, 3, v1
	v_mad_co_u64_u32 v[4:5], null, s24, v12, 0
	s_delay_alu instid0(VALU_DEP_4) | instskip(SKIP_1) | instid1(VALU_DEP_4)
	v_or_b32_e32 v0, s2, v6
	v_lshlrev_b32_e32 v7, 3, v22
	v_add_nc_u32_e32 v9, s0, v8
	v_lshlrev_b32_e32 v6, 3, v6
	v_add_nc_u32_e32 v13, 16, v12
	v_ashrrev_i32_e32 v1, 31, v0
	s_wait_kmcnt 0x0
	v_cmp_gt_i32_e64 s0, s29, v0
	v_cmp_gt_i32_e64 s1, s29, v9
	v_lshl_or_b32 v24, v23, 8, v6
	v_lshl_add_u32 v31, v3, 6, 0x800
	v_lshlrev_b64_e32 v[0:1], 3, v[0:1]
	s_delay_alu instid0(VALU_DEP_1)
	v_add_co_u32 v26, vcc_lo, s8, v0
	v_cmp_neq_f64_e64 s8, s[20:21], 0
	v_mov_b32_e32 v0, v5
	v_lshl_or_b32 v7, v8, 6, v7
	v_add_co_ci_u32_e64 v27, null, s9, v1, vcc_lo
	v_dual_mov_b32 v1, 0 :: v_dual_lshlrev_b32 v8, 3, v9
	s_delay_alu instid0(VALU_DEP_3) | instskip(SKIP_1) | instid1(VALU_DEP_3)
	v_add_nc_u32_e32 v25, 0x800, v7
	v_mad_co_u64_u32 v[6:7], null, s24, v13, 0
	v_mad_co_u64_u32 v[9:10], null, s25, v12, v[0:1]
	s_delay_alu instid0(VALU_DEP_4)
	v_add_co_u32 v28, s3, s14, v8
	v_add_nc_u32_e32 v8, s2, v2
	v_lshlrev_b32_e32 v30, 3, v2
	v_mov_b32_e32 v0, v7
	s_wait_alu 0xf1ff
	v_add_co_ci_u32_e64 v29, null, s15, 0, s3
	v_add_nc_u32_e32 v2, 16, v8
	v_cmp_gt_i32_e32 vcc_lo, s29, v12
	v_mad_co_u64_u32 v[10:11], null, s25, v13, v[0:1]
	v_cmp_le_i32_e64 s2, v8, v12
	s_delay_alu instid0(VALU_DEP_4)
	v_cmp_le_i32_e64 s3, v2, v12
	v_mov_b32_e32 v5, v9
	v_ashrrev_i32_e32 v9, 31, v8
	v_ashrrev_i32_e32 v3, 31, v2
	s_and_b32 s9, vcc_lo, s2
	v_mov_b32_e32 v7, v10
	s_and_b32 s14, vcc_lo, s3
	v_cmp_gt_i32_e32 vcc_lo, s29, v13
	v_cmp_le_i32_e64 s2, v8, v13
	v_cmp_le_i32_e64 s3, v2, v13
	v_lshlrev_b64_e32 v[4:5], 3, v[4:5]
	v_lshlrev_b64_e32 v[6:7], 3, v[6:7]
	;; [unrolled: 1-line block ×3, first 2 shown]
	s_and_b32 s15, s31, s33
	s_and_b32 s24, vcc_lo, s2
	s_and_b32 s25, vcc_lo, s3
	s_mov_b32 s29, 0
	s_branch .LBB199_6
.LBB199_5:                              ;   in Loop: Header=BB199_6 Depth=1
	s_wait_alu 0xfffe
	s_or_b32 exec_lo, exec_lo, s2
	s_add_co_i32 s28, s28, 0x10000
	s_wait_alu 0xfffe
	s_cmp_lt_u32 s28, s30
	s_cbranch_scc0 .LBB199_35
.LBB199_6:                              ; =>This Loop Header: Depth=1
                                        ;     Child Loop BB199_9 Depth 2
	v_mov_b32_e32 v16, 0
	v_dual_mov_b32 v12, 0 :: v_dual_mov_b32 v17, 0
	v_dual_mov_b32 v14, 0 :: v_dual_mov_b32 v13, 0
	;; [unrolled: 1-line block ×3, first 2 shown]
	v_mov_b32_e32 v11, 0
	s_wait_alu 0xfffe
	s_and_not1_b32 vcc_lo, exec_lo, s15
	s_wait_alu 0xfffe
	s_cbranch_vccnz .LBB199_15
; %bb.7:                                ;   in Loop: Header=BB199_6 Depth=1
	s_mul_u64 s[2:3], s[12:13], s[28:29]
	s_mul_u64 s[34:35], s[18:19], s[28:29]
	s_wait_alu 0xfffe
	s_lshl_b64 s[2:3], s[2:3], 3
	v_mov_b32_e32 v10, 0
	s_wait_alu 0xfffe
	v_add_co_u32 v32, vcc_lo, v26, s2
	s_wait_alu 0xfffd
	v_add_co_ci_u32_e64 v33, null, s3, v27, vcc_lo
	s_lshl_b64 s[2:3], s[34:35], 3
	v_mov_b32_e32 v14, 0
	s_wait_alu 0xfffe
	v_add_co_u32 v34, vcc_lo, v28, s2
	v_dual_mov_b32 v11, 0 :: v_dual_mov_b32 v12, 0
	v_dual_mov_b32 v15, 0 :: v_dual_mov_b32 v16, 0
	v_mov_b32_e32 v13, 0
	v_mov_b32_e32 v17, 0
	s_wait_alu 0xfffd
	v_add_co_ci_u32_e64 v35, null, s3, v29, vcc_lo
	s_mov_b64 s[2:3], 0
	s_branch .LBB199_9
.LBB199_8:                              ;   in Loop: Header=BB199_9 Depth=2
	s_or_b32 exec_lo, exec_lo, s31
	s_wait_loadcnt 0x0
	ds_store_b64 v25, v[20:21]
	s_wait_dscnt 0x0
	s_barrier_signal -1
	s_barrier_wait -1
	global_inv scope:SCOPE_SE
	ds_load_b128 v[18:21], v31
	ds_load_2addr_b64 v[36:39], v30 offset1:16
	ds_load_b128 v[40:43], v31 offset:1024
	ds_load_b128 v[44:47], v31 offset:16
	;; [unrolled: 1-line block ×3, first 2 shown]
	s_add_nc_u64 s[2:3], s[2:3], 8
	s_wait_alu 0xfffe
	v_cmp_gt_i64_e64 s31, s[4:5], s[2:3]
	s_and_b32 vcc_lo, exec_lo, s31
	s_wait_dscnt 0x3
	v_fma_f64 v[16:17], v[36:37], v[18:19], v[16:17]
	v_fma_f64 v[14:15], v[38:39], v[18:19], v[14:15]
	s_wait_dscnt 0x2
	v_fma_f64 v[18:19], v[36:37], v[40:41], v[12:13]
	v_fma_f64 v[36:37], v[38:39], v[40:41], v[10:11]
	ds_load_2addr_b64 v[10:13], v30 offset0:32 offset1:48
	s_wait_dscnt 0x0
	v_fma_f64 v[16:17], v[10:11], v[20:21], v[16:17]
	v_fma_f64 v[14:15], v[12:13], v[20:21], v[14:15]
	v_fma_f64 v[18:19], v[10:11], v[42:43], v[18:19]
	v_fma_f64 v[20:21], v[12:13], v[42:43], v[36:37]
	ds_load_2addr_b64 v[10:13], v30 offset0:64 offset1:80
	s_wait_dscnt 0x0
	v_fma_f64 v[16:17], v[10:11], v[44:45], v[16:17]
	v_fma_f64 v[14:15], v[12:13], v[44:45], v[14:15]
	;; [unrolled: 6-line block ×3, first 2 shown]
	v_fma_f64 v[48:49], v[10:11], v[50:51], v[18:19]
	v_fma_f64 v[50:51], v[12:13], v[50:51], v[20:21]
	ds_load_b128 v[10:13], v31 offset:32
	ds_load_2addr_b64 v[14:17], v30 offset0:128 offset1:144
	ds_load_b128 v[18:21], v31 offset:1056
	ds_load_b128 v[36:39], v31 offset:48
	;; [unrolled: 1-line block ×3, first 2 shown]
	s_wait_dscnt 0x3
	v_fma_f64 v[44:45], v[14:15], v[10:11], v[44:45]
	v_fma_f64 v[10:11], v[16:17], v[10:11], v[46:47]
	s_wait_dscnt 0x2
	v_fma_f64 v[46:47], v[14:15], v[18:19], v[48:49]
	v_fma_f64 v[18:19], v[16:17], v[18:19], v[50:51]
	ds_load_2addr_b64 v[14:17], v30 offset0:160 offset1:176
	s_wait_dscnt 0x0
	v_fma_f64 v[44:45], v[14:15], v[12:13], v[44:45]
	v_fma_f64 v[48:49], v[16:17], v[12:13], v[10:11]
	;; [unrolled: 1-line block ×4, first 2 shown]
	ds_load_2addr_b64 v[10:13], v30 offset0:192 offset1:208
	ds_load_2addr_b64 v[18:21], v30 offset0:224 offset1:240
	s_wait_loadcnt_dscnt 0x0
	s_barrier_signal -1
	s_barrier_wait -1
	global_inv scope:SCOPE_SE
	v_fma_f64 v[44:45], v[10:11], v[36:37], v[44:45]
	v_fma_f64 v[36:37], v[12:13], v[36:37], v[48:49]
	;; [unrolled: 1-line block ×4, first 2 shown]
	s_delay_alu instid0(VALU_DEP_4) | instskip(NEXT) | instid1(VALU_DEP_4)
	v_fma_f64 v[16:17], v[18:19], v[38:39], v[44:45]
	v_fma_f64 v[14:15], v[20:21], v[38:39], v[36:37]
	s_delay_alu instid0(VALU_DEP_4) | instskip(NEXT) | instid1(VALU_DEP_4)
	v_fma_f64 v[12:13], v[18:19], v[42:43], v[10:11]
	v_fma_f64 v[10:11], v[20:21], v[42:43], v[40:41]
	s_wait_alu 0xfffe
	s_cbranch_vccz .LBB199_15
.LBB199_9:                              ;   Parent Loop BB199_6 Depth=1
                                        ; =>  This Inner Loop Header: Depth=2
	v_mov_b32_e32 v18, 0
	v_mov_b32_e32 v19, 0
	s_and_saveexec_b32 s31, s0
	s_cbranch_execz .LBB199_13
; %bb.10:                               ;   in Loop: Header=BB199_9 Depth=2
	v_mov_b32_e32 v18, 0
	s_wait_alu 0xfffe
	v_dual_mov_b32 v19, 0 :: v_dual_add_nc_u32 v0, s2, v23
	s_mov_b32 s33, exec_lo
	s_delay_alu instid0(VALU_DEP_1)
	v_cmpx_gt_u64_e64 s[4:5], v[0:1]
	s_cbranch_execz .LBB199_12
; %bb.11:                               ;   in Loop: Header=BB199_9 Depth=2
	v_mad_co_u64_u32 v[18:19], null, s10, v0, 0
	s_delay_alu instid0(VALU_DEP_1) | instskip(NEXT) | instid1(VALU_DEP_1)
	v_mad_co_u64_u32 v[19:20], null, s11, v0, v[19:20]
	v_lshlrev_b64_e32 v[18:19], 3, v[18:19]
	s_delay_alu instid0(VALU_DEP_1) | instskip(SKIP_1) | instid1(VALU_DEP_2)
	v_add_co_u32 v18, vcc_lo, v32, v18
	s_wait_alu 0xfffd
	v_add_co_ci_u32_e64 v19, null, v33, v19, vcc_lo
	global_load_b64 v[18:19], v[18:19], off
.LBB199_12:                             ;   in Loop: Header=BB199_9 Depth=2
	s_or_b32 exec_lo, exec_lo, s33
.LBB199_13:                             ;   in Loop: Header=BB199_9 Depth=2
	s_delay_alu instid0(SALU_CYCLE_1)
	s_or_b32 exec_lo, exec_lo, s31
	s_wait_alu 0xfffe
	v_add_nc_u32_e32 v0, s2, v22
	v_mov_b32_e32 v20, 0
	v_mov_b32_e32 v21, 0
	s_wait_loadcnt 0x0
	ds_store_b64 v24, v[18:19]
	v_cmp_gt_u64_e32 vcc_lo, s[4:5], v[0:1]
	s_and_b32 s33, vcc_lo, s1
	s_delay_alu instid0(SALU_CYCLE_1)
	s_and_saveexec_b32 s31, s33
	s_cbranch_execz .LBB199_8
; %bb.14:                               ;   in Loop: Header=BB199_9 Depth=2
	v_mad_co_u64_u32 v[18:19], null, s16, v0, 0
	s_delay_alu instid0(VALU_DEP_1) | instskip(NEXT) | instid1(VALU_DEP_1)
	v_mad_co_u64_u32 v[19:20], null, s17, v0, v[19:20]
	v_lshlrev_b64_e32 v[18:19], 3, v[18:19]
	s_delay_alu instid0(VALU_DEP_1) | instskip(SKIP_1) | instid1(VALU_DEP_2)
	v_add_co_u32 v18, vcc_lo, v34, v18
	s_wait_alu 0xfffd
	v_add_co_ci_u32_e64 v19, null, v35, v19, vcc_lo
	global_load_b64 v[20:21], v[18:19], off
	s_branch .LBB199_8
.LBB199_15:                             ;   in Loop: Header=BB199_6 Depth=1
	s_mul_u64 s[2:3], s[26:27], s[28:29]
	s_wait_alu 0xfffe
	s_lshl_b64 s[2:3], s[2:3], 3
	s_wait_alu 0xfffe
	s_add_nc_u64 s[2:3], s[22:23], s[2:3]
	s_wait_alu 0xfffe
	v_add_co_u32 v0, vcc_lo, s2, v4
	s_wait_alu 0xfffd
	v_add_co_ci_u32_e64 v18, null, s3, v5, vcc_lo
	s_and_saveexec_b32 s31, s9
	s_cbranch_execz .LBB199_19
; %bb.16:                               ;   in Loop: Header=BB199_6 Depth=1
	v_mul_f64_e32 v[16:17], s[6:7], v[16:17]
	s_and_b32 vcc_lo, exec_lo, s8
	s_wait_alu 0xfffe
	s_cbranch_vccz .LBB199_30
; %bb.17:                               ;   in Loop: Header=BB199_6 Depth=1
	v_add_co_u32 v19, vcc_lo, v0, v8
	s_wait_alu 0xfffd
	v_add_co_ci_u32_e64 v20, null, v18, v9, vcc_lo
	global_load_b64 v[32:33], v[19:20], off
	s_wait_loadcnt 0x0
	v_fma_f64 v[32:33], s[20:21], v[32:33], v[16:17]
	global_store_b64 v[19:20], v[32:33], off
	s_cbranch_execnz .LBB199_19
.LBB199_18:                             ;   in Loop: Header=BB199_6 Depth=1
	v_add_co_u32 v19, vcc_lo, v0, v8
	s_wait_alu 0xfffd
	v_add_co_ci_u32_e64 v20, null, v18, v9, vcc_lo
	global_store_b64 v[19:20], v[16:17], off
.LBB199_19:                             ;   in Loop: Header=BB199_6 Depth=1
	s_or_b32 exec_lo, exec_lo, s31
	s_and_saveexec_b32 s31, s14
	s_cbranch_execz .LBB199_23
; %bb.20:                               ;   in Loop: Header=BB199_6 Depth=1
	v_mul_f64_e32 v[14:15], s[6:7], v[14:15]
	s_and_not1_b32 vcc_lo, exec_lo, s8
	s_wait_alu 0xfffe
	s_cbranch_vccnz .LBB199_31
; %bb.21:                               ;   in Loop: Header=BB199_6 Depth=1
	v_lshlrev_b64_e32 v[16:17], 3, v[2:3]
	s_delay_alu instid0(VALU_DEP_1) | instskip(SKIP_1) | instid1(VALU_DEP_2)
	v_add_co_u32 v16, vcc_lo, v0, v16
	s_wait_alu 0xfffd
	v_add_co_ci_u32_e64 v17, null, v18, v17, vcc_lo
	global_load_b64 v[19:20], v[16:17], off
	s_wait_loadcnt 0x0
	v_fma_f64 v[19:20], s[20:21], v[19:20], v[14:15]
	global_store_b64 v[16:17], v[19:20], off
	s_cbranch_execnz .LBB199_23
.LBB199_22:                             ;   in Loop: Header=BB199_6 Depth=1
	v_lshlrev_b64_e32 v[16:17], 3, v[2:3]
	s_delay_alu instid0(VALU_DEP_1) | instskip(SKIP_1) | instid1(VALU_DEP_2)
	v_add_co_u32 v16, vcc_lo, v0, v16
	s_wait_alu 0xfffd
	v_add_co_ci_u32_e64 v17, null, v18, v17, vcc_lo
	global_store_b64 v[16:17], v[14:15], off
.LBB199_23:                             ;   in Loop: Header=BB199_6 Depth=1
	s_or_b32 exec_lo, exec_lo, s31
	v_add_co_u32 v0, vcc_lo, s2, v6
	s_wait_alu 0xfffd
	v_add_co_ci_u32_e64 v14, null, s3, v7, vcc_lo
	s_and_saveexec_b32 s2, s24
	s_cbranch_execz .LBB199_27
; %bb.24:                               ;   in Loop: Header=BB199_6 Depth=1
	v_mul_f64_e32 v[12:13], s[6:7], v[12:13]
	s_and_not1_b32 vcc_lo, exec_lo, s8
	s_wait_alu 0xfffe
	s_cbranch_vccnz .LBB199_32
; %bb.25:                               ;   in Loop: Header=BB199_6 Depth=1
	v_add_co_u32 v15, vcc_lo, v0, v8
	s_wait_alu 0xfffd
	v_add_co_ci_u32_e64 v16, null, v14, v9, vcc_lo
	global_load_b64 v[17:18], v[15:16], off
	s_wait_loadcnt 0x0
	v_fma_f64 v[17:18], s[20:21], v[17:18], v[12:13]
	global_store_b64 v[15:16], v[17:18], off
	s_cbranch_execnz .LBB199_27
.LBB199_26:                             ;   in Loop: Header=BB199_6 Depth=1
	v_add_co_u32 v15, vcc_lo, v0, v8
	s_wait_alu 0xfffd
	v_add_co_ci_u32_e64 v16, null, v14, v9, vcc_lo
	global_store_b64 v[15:16], v[12:13], off
.LBB199_27:                             ;   in Loop: Header=BB199_6 Depth=1
	s_wait_alu 0xfffe
	s_or_b32 exec_lo, exec_lo, s2
	s_and_saveexec_b32 s2, s25
	s_cbranch_execz .LBB199_5
; %bb.28:                               ;   in Loop: Header=BB199_6 Depth=1
	v_mul_f64_e32 v[10:11], s[6:7], v[10:11]
	v_lshlrev_b64_e32 v[12:13], 3, v[2:3]
	s_and_not1_b32 vcc_lo, exec_lo, s8
	s_wait_alu 0xfffe
	s_cbranch_vccnz .LBB199_33
; %bb.29:                               ;   in Loop: Header=BB199_6 Depth=1
	s_delay_alu instid0(VALU_DEP_1)
	v_add_co_u32 v15, vcc_lo, v0, v12
	s_wait_alu 0xfffd
	v_add_co_ci_u32_e64 v16, null, v14, v13, vcc_lo
	global_load_b64 v[17:18], v[15:16], off
	s_wait_loadcnt 0x0
	v_fma_f64 v[17:18], s[20:21], v[17:18], v[10:11]
	global_store_b64 v[15:16], v[17:18], off
	s_cbranch_execnz .LBB199_5
	s_branch .LBB199_34
.LBB199_30:                             ;   in Loop: Header=BB199_6 Depth=1
	s_branch .LBB199_18
.LBB199_31:                             ;   in Loop: Header=BB199_6 Depth=1
	s_branch .LBB199_22
.LBB199_32:                             ;   in Loop: Header=BB199_6 Depth=1
	s_branch .LBB199_26
.LBB199_33:                             ;   in Loop: Header=BB199_6 Depth=1
.LBB199_34:                             ;   in Loop: Header=BB199_6 Depth=1
	s_delay_alu instid0(VALU_DEP_1)
	v_add_co_u32 v12, vcc_lo, v0, v12
	s_wait_alu 0xfffd
	v_add_co_ci_u32_e64 v13, null, v14, v13, vcc_lo
	global_store_b64 v[12:13], v[10:11], off
	s_branch .LBB199_5
.LBB199_35:
	s_endpgm
	.section	.rodata,"a",@progbits
	.p2align	6, 0x0
	.amdhsa_kernel _ZL29rocblas_internal_gemmt_kernelIlLi16ELi32ELi8ELc78ELc84ELc85ELb0ELb0EddPKdPdEviT_T9_T10_S3_lS5_S3_lS4_T11_S3_li
		.amdhsa_group_segment_fixed_size 4096
		.amdhsa_private_segment_fixed_size 0
		.amdhsa_kernarg_size 108
		.amdhsa_user_sgpr_count 2
		.amdhsa_user_sgpr_dispatch_ptr 0
		.amdhsa_user_sgpr_queue_ptr 0
		.amdhsa_user_sgpr_kernarg_segment_ptr 1
		.amdhsa_user_sgpr_dispatch_id 0
		.amdhsa_user_sgpr_private_segment_size 0
		.amdhsa_wavefront_size32 1
		.amdhsa_uses_dynamic_stack 0
		.amdhsa_enable_private_segment 0
		.amdhsa_system_sgpr_workgroup_id_x 1
		.amdhsa_system_sgpr_workgroup_id_y 1
		.amdhsa_system_sgpr_workgroup_id_z 1
		.amdhsa_system_sgpr_workgroup_info 0
		.amdhsa_system_vgpr_workitem_id 1
		.amdhsa_next_free_vgpr 52
		.amdhsa_next_free_sgpr 36
		.amdhsa_reserve_vcc 1
		.amdhsa_float_round_mode_32 0
		.amdhsa_float_round_mode_16_64 0
		.amdhsa_float_denorm_mode_32 3
		.amdhsa_float_denorm_mode_16_64 3
		.amdhsa_fp16_overflow 0
		.amdhsa_workgroup_processor_mode 1
		.amdhsa_memory_ordered 1
		.amdhsa_forward_progress 1
		.amdhsa_inst_pref_size 16
		.amdhsa_round_robin_scheduling 0
		.amdhsa_exception_fp_ieee_invalid_op 0
		.amdhsa_exception_fp_denorm_src 0
		.amdhsa_exception_fp_ieee_div_zero 0
		.amdhsa_exception_fp_ieee_overflow 0
		.amdhsa_exception_fp_ieee_underflow 0
		.amdhsa_exception_fp_ieee_inexact 0
		.amdhsa_exception_int_div_zero 0
	.end_amdhsa_kernel
	.section	.text._ZL29rocblas_internal_gemmt_kernelIlLi16ELi32ELi8ELc78ELc84ELc85ELb0ELb0EddPKdPdEviT_T9_T10_S3_lS5_S3_lS4_T11_S3_li,"axG",@progbits,_ZL29rocblas_internal_gemmt_kernelIlLi16ELi32ELi8ELc78ELc84ELc85ELb0ELb0EddPKdPdEviT_T9_T10_S3_lS5_S3_lS4_T11_S3_li,comdat
.Lfunc_end199:
	.size	_ZL29rocblas_internal_gemmt_kernelIlLi16ELi32ELi8ELc78ELc84ELc85ELb0ELb0EddPKdPdEviT_T9_T10_S3_lS5_S3_lS4_T11_S3_li, .Lfunc_end199-_ZL29rocblas_internal_gemmt_kernelIlLi16ELi32ELi8ELc78ELc84ELc85ELb0ELb0EddPKdPdEviT_T9_T10_S3_lS5_S3_lS4_T11_S3_li
                                        ; -- End function
	.set _ZL29rocblas_internal_gemmt_kernelIlLi16ELi32ELi8ELc78ELc84ELc85ELb0ELb0EddPKdPdEviT_T9_T10_S3_lS5_S3_lS4_T11_S3_li.num_vgpr, 52
	.set _ZL29rocblas_internal_gemmt_kernelIlLi16ELi32ELi8ELc78ELc84ELc85ELb0ELb0EddPKdPdEviT_T9_T10_S3_lS5_S3_lS4_T11_S3_li.num_agpr, 0
	.set _ZL29rocblas_internal_gemmt_kernelIlLi16ELi32ELi8ELc78ELc84ELc85ELb0ELb0EddPKdPdEviT_T9_T10_S3_lS5_S3_lS4_T11_S3_li.numbered_sgpr, 36
	.set _ZL29rocblas_internal_gemmt_kernelIlLi16ELi32ELi8ELc78ELc84ELc85ELb0ELb0EddPKdPdEviT_T9_T10_S3_lS5_S3_lS4_T11_S3_li.num_named_barrier, 0
	.set _ZL29rocblas_internal_gemmt_kernelIlLi16ELi32ELi8ELc78ELc84ELc85ELb0ELb0EddPKdPdEviT_T9_T10_S3_lS5_S3_lS4_T11_S3_li.private_seg_size, 0
	.set _ZL29rocblas_internal_gemmt_kernelIlLi16ELi32ELi8ELc78ELc84ELc85ELb0ELb0EddPKdPdEviT_T9_T10_S3_lS5_S3_lS4_T11_S3_li.uses_vcc, 1
	.set _ZL29rocblas_internal_gemmt_kernelIlLi16ELi32ELi8ELc78ELc84ELc85ELb0ELb0EddPKdPdEviT_T9_T10_S3_lS5_S3_lS4_T11_S3_li.uses_flat_scratch, 0
	.set _ZL29rocblas_internal_gemmt_kernelIlLi16ELi32ELi8ELc78ELc84ELc85ELb0ELb0EddPKdPdEviT_T9_T10_S3_lS5_S3_lS4_T11_S3_li.has_dyn_sized_stack, 0
	.set _ZL29rocblas_internal_gemmt_kernelIlLi16ELi32ELi8ELc78ELc84ELc85ELb0ELb0EddPKdPdEviT_T9_T10_S3_lS5_S3_lS4_T11_S3_li.has_recursion, 0
	.set _ZL29rocblas_internal_gemmt_kernelIlLi16ELi32ELi8ELc78ELc84ELc85ELb0ELb0EddPKdPdEviT_T9_T10_S3_lS5_S3_lS4_T11_S3_li.has_indirect_call, 0
	.section	.AMDGPU.csdata,"",@progbits
; Kernel info:
; codeLenInByte = 2020
; TotalNumSgprs: 38
; NumVgprs: 52
; ScratchSize: 0
; MemoryBound: 0
; FloatMode: 240
; IeeeMode: 1
; LDSByteSize: 4096 bytes/workgroup (compile time only)
; SGPRBlocks: 0
; VGPRBlocks: 6
; NumSGPRsForWavesPerEU: 38
; NumVGPRsForWavesPerEU: 52
; Occupancy: 16
; WaveLimiterHint : 0
; COMPUTE_PGM_RSRC2:SCRATCH_EN: 0
; COMPUTE_PGM_RSRC2:USER_SGPR: 2
; COMPUTE_PGM_RSRC2:TRAP_HANDLER: 0
; COMPUTE_PGM_RSRC2:TGID_X_EN: 1
; COMPUTE_PGM_RSRC2:TGID_Y_EN: 1
; COMPUTE_PGM_RSRC2:TGID_Z_EN: 1
; COMPUTE_PGM_RSRC2:TIDIG_COMP_CNT: 1
	.section	.text._ZL29rocblas_internal_gemmt_kernelIlLi16ELi32ELi8ELc78ELc67ELc85ELb0ELb0EddPKdPdEviT_T9_T10_S3_lS5_S3_lS4_T11_S3_li,"axG",@progbits,_ZL29rocblas_internal_gemmt_kernelIlLi16ELi32ELi8ELc78ELc67ELc85ELb0ELb0EddPKdPdEviT_T9_T10_S3_lS5_S3_lS4_T11_S3_li,comdat
	.globl	_ZL29rocblas_internal_gemmt_kernelIlLi16ELi32ELi8ELc78ELc67ELc85ELb0ELb0EddPKdPdEviT_T9_T10_S3_lS5_S3_lS4_T11_S3_li ; -- Begin function _ZL29rocblas_internal_gemmt_kernelIlLi16ELi32ELi8ELc78ELc67ELc85ELb0ELb0EddPKdPdEviT_T9_T10_S3_lS5_S3_lS4_T11_S3_li
	.p2align	8
	.type	_ZL29rocblas_internal_gemmt_kernelIlLi16ELi32ELi8ELc78ELc67ELc85ELb0ELb0EddPKdPdEviT_T9_T10_S3_lS5_S3_lS4_T11_S3_li,@function
_ZL29rocblas_internal_gemmt_kernelIlLi16ELi32ELi8ELc78ELc67ELc85ELb0ELb0EddPKdPdEviT_T9_T10_S3_lS5_S3_lS4_T11_S3_li: ; @_ZL29rocblas_internal_gemmt_kernelIlLi16ELi32ELi8ELc78ELc67ELc85ELb0ELb0EddPKdPdEviT_T9_T10_S3_lS5_S3_lS4_T11_S3_li
; %bb.0:
	s_clause 0x1
	s_load_b256 s[20:27], s[0:1], 0x48
	s_load_b512 s[4:19], s[0:1], 0x8
	s_wait_kmcnt 0x0
	v_cmp_neq_f64_e64 s2, s[20:21], 1.0
	s_and_b32 vcc_lo, exec_lo, s2
	s_cbranch_vccnz .LBB200_2
; %bb.1:
	v_cmp_neq_f64_e64 s2, s[6:7], 0
	s_cmp_lg_u64 s[4:5], 0
	s_cselect_b32 s3, -1, 0
	s_delay_alu instid0(SALU_CYCLE_1)
	s_and_b32 s2, s3, s2
.LBB200_2:
	s_delay_alu instid0(SALU_CYCLE_1)
	s_and_not1_b32 vcc_lo, exec_lo, s2
	s_cbranch_vccnz .LBB200_35
; %bb.3:
	s_load_b32 s30, s[0:1], 0x68
	s_lshr_b32 s28, ttmp7, 16
	s_wait_kmcnt 0x0
	s_cmp_ge_u32 s28, s30
	s_cbranch_scc1 .LBB200_35
; %bb.4:
	v_and_b32_e32 v2, 0x3ff, v0
	v_bfe_u32 v3, v0, 10, 10
	s_load_b32 s29, s[0:1], 0x0
	s_lshl_b32 s2, ttmp9, 5
	v_and_b32_e32 v22, 7, v0
	s_lshl_b32 s0, ttmp7, 5
	v_lshl_add_u32 v1, v3, 4, v2
	s_and_b32 s0, s0, 0x1fffe0
	v_cmp_neq_f64_e64 s31, s[6:7], 0
	v_add_nc_u32_e32 v12, s0, v3
	v_cmp_gt_i64_e64 s33, s[4:5], 0
	v_and_b32_e32 v6, 31, v1
	v_lshrrev_b32_e32 v23, 5, v1
	v_lshrrev_b32_e32 v8, 3, v1
	v_mad_co_u64_u32 v[4:5], null, s24, v12, 0
	s_delay_alu instid0(VALU_DEP_4) | instskip(SKIP_1) | instid1(VALU_DEP_4)
	v_or_b32_e32 v0, s2, v6
	v_lshlrev_b32_e32 v7, 3, v22
	v_add_nc_u32_e32 v9, s0, v8
	v_lshlrev_b32_e32 v6, 3, v6
	v_add_nc_u32_e32 v13, 16, v12
	v_ashrrev_i32_e32 v1, 31, v0
	s_wait_kmcnt 0x0
	v_cmp_gt_i32_e64 s0, s29, v0
	v_cmp_gt_i32_e64 s1, s29, v9
	v_lshl_or_b32 v24, v23, 8, v6
	v_lshl_add_u32 v31, v3, 6, 0x800
	v_lshlrev_b64_e32 v[0:1], 3, v[0:1]
	s_delay_alu instid0(VALU_DEP_1)
	v_add_co_u32 v26, vcc_lo, s8, v0
	v_cmp_neq_f64_e64 s8, s[20:21], 0
	v_mov_b32_e32 v0, v5
	v_lshl_or_b32 v7, v8, 6, v7
	v_add_co_ci_u32_e64 v27, null, s9, v1, vcc_lo
	v_dual_mov_b32 v1, 0 :: v_dual_lshlrev_b32 v8, 3, v9
	s_delay_alu instid0(VALU_DEP_3) | instskip(SKIP_1) | instid1(VALU_DEP_3)
	v_add_nc_u32_e32 v25, 0x800, v7
	v_mad_co_u64_u32 v[6:7], null, s24, v13, 0
	v_mad_co_u64_u32 v[9:10], null, s25, v12, v[0:1]
	s_delay_alu instid0(VALU_DEP_4)
	v_add_co_u32 v28, s3, s14, v8
	v_add_nc_u32_e32 v8, s2, v2
	v_lshlrev_b32_e32 v30, 3, v2
	v_mov_b32_e32 v0, v7
	s_wait_alu 0xf1ff
	v_add_co_ci_u32_e64 v29, null, s15, 0, s3
	v_add_nc_u32_e32 v2, 16, v8
	v_cmp_gt_i32_e32 vcc_lo, s29, v12
	v_mad_co_u64_u32 v[10:11], null, s25, v13, v[0:1]
	v_cmp_le_i32_e64 s2, v8, v12
	s_delay_alu instid0(VALU_DEP_4)
	v_cmp_le_i32_e64 s3, v2, v12
	v_mov_b32_e32 v5, v9
	v_ashrrev_i32_e32 v9, 31, v8
	v_ashrrev_i32_e32 v3, 31, v2
	s_and_b32 s9, vcc_lo, s2
	v_mov_b32_e32 v7, v10
	s_and_b32 s14, vcc_lo, s3
	v_cmp_gt_i32_e32 vcc_lo, s29, v13
	v_cmp_le_i32_e64 s2, v8, v13
	v_cmp_le_i32_e64 s3, v2, v13
	v_lshlrev_b64_e32 v[4:5], 3, v[4:5]
	v_lshlrev_b64_e32 v[6:7], 3, v[6:7]
	;; [unrolled: 1-line block ×3, first 2 shown]
	s_and_b32 s15, s31, s33
	s_and_b32 s24, vcc_lo, s2
	s_and_b32 s25, vcc_lo, s3
	s_mov_b32 s29, 0
	s_branch .LBB200_6
.LBB200_5:                              ;   in Loop: Header=BB200_6 Depth=1
	s_wait_alu 0xfffe
	s_or_b32 exec_lo, exec_lo, s2
	s_add_co_i32 s28, s28, 0x10000
	s_wait_alu 0xfffe
	s_cmp_lt_u32 s28, s30
	s_cbranch_scc0 .LBB200_35
.LBB200_6:                              ; =>This Loop Header: Depth=1
                                        ;     Child Loop BB200_9 Depth 2
	v_mov_b32_e32 v16, 0
	v_dual_mov_b32 v12, 0 :: v_dual_mov_b32 v17, 0
	v_dual_mov_b32 v14, 0 :: v_dual_mov_b32 v13, 0
	;; [unrolled: 1-line block ×3, first 2 shown]
	v_mov_b32_e32 v11, 0
	s_wait_alu 0xfffe
	s_and_not1_b32 vcc_lo, exec_lo, s15
	s_wait_alu 0xfffe
	s_cbranch_vccnz .LBB200_15
; %bb.7:                                ;   in Loop: Header=BB200_6 Depth=1
	s_mul_u64 s[2:3], s[12:13], s[28:29]
	s_mul_u64 s[34:35], s[18:19], s[28:29]
	s_wait_alu 0xfffe
	s_lshl_b64 s[2:3], s[2:3], 3
	v_mov_b32_e32 v10, 0
	s_wait_alu 0xfffe
	v_add_co_u32 v32, vcc_lo, v26, s2
	s_wait_alu 0xfffd
	v_add_co_ci_u32_e64 v33, null, s3, v27, vcc_lo
	s_lshl_b64 s[2:3], s[34:35], 3
	v_mov_b32_e32 v14, 0
	s_wait_alu 0xfffe
	v_add_co_u32 v34, vcc_lo, v28, s2
	v_dual_mov_b32 v11, 0 :: v_dual_mov_b32 v12, 0
	v_dual_mov_b32 v15, 0 :: v_dual_mov_b32 v16, 0
	v_mov_b32_e32 v13, 0
	v_mov_b32_e32 v17, 0
	s_wait_alu 0xfffd
	v_add_co_ci_u32_e64 v35, null, s3, v29, vcc_lo
	s_mov_b64 s[2:3], 0
	s_branch .LBB200_9
.LBB200_8:                              ;   in Loop: Header=BB200_9 Depth=2
	s_or_b32 exec_lo, exec_lo, s31
	s_wait_loadcnt 0x0
	ds_store_b64 v25, v[20:21]
	s_wait_dscnt 0x0
	s_barrier_signal -1
	s_barrier_wait -1
	global_inv scope:SCOPE_SE
	ds_load_b128 v[18:21], v31
	ds_load_2addr_b64 v[36:39], v30 offset1:16
	ds_load_b128 v[40:43], v31 offset:1024
	ds_load_b128 v[44:47], v31 offset:16
	;; [unrolled: 1-line block ×3, first 2 shown]
	s_add_nc_u64 s[2:3], s[2:3], 8
	s_wait_alu 0xfffe
	v_cmp_gt_i64_e64 s31, s[4:5], s[2:3]
	s_and_b32 vcc_lo, exec_lo, s31
	s_wait_dscnt 0x3
	v_fma_f64 v[16:17], v[36:37], v[18:19], v[16:17]
	v_fma_f64 v[14:15], v[38:39], v[18:19], v[14:15]
	s_wait_dscnt 0x2
	v_fma_f64 v[18:19], v[36:37], v[40:41], v[12:13]
	v_fma_f64 v[36:37], v[38:39], v[40:41], v[10:11]
	ds_load_2addr_b64 v[10:13], v30 offset0:32 offset1:48
	s_wait_dscnt 0x0
	v_fma_f64 v[16:17], v[10:11], v[20:21], v[16:17]
	v_fma_f64 v[14:15], v[12:13], v[20:21], v[14:15]
	v_fma_f64 v[18:19], v[10:11], v[42:43], v[18:19]
	v_fma_f64 v[20:21], v[12:13], v[42:43], v[36:37]
	ds_load_2addr_b64 v[10:13], v30 offset0:64 offset1:80
	s_wait_dscnt 0x0
	v_fma_f64 v[16:17], v[10:11], v[44:45], v[16:17]
	v_fma_f64 v[14:15], v[12:13], v[44:45], v[14:15]
	;; [unrolled: 6-line block ×3, first 2 shown]
	v_fma_f64 v[48:49], v[10:11], v[50:51], v[18:19]
	v_fma_f64 v[50:51], v[12:13], v[50:51], v[20:21]
	ds_load_b128 v[10:13], v31 offset:32
	ds_load_2addr_b64 v[14:17], v30 offset0:128 offset1:144
	ds_load_b128 v[18:21], v31 offset:1056
	ds_load_b128 v[36:39], v31 offset:48
	;; [unrolled: 1-line block ×3, first 2 shown]
	s_wait_dscnt 0x3
	v_fma_f64 v[44:45], v[14:15], v[10:11], v[44:45]
	v_fma_f64 v[10:11], v[16:17], v[10:11], v[46:47]
	s_wait_dscnt 0x2
	v_fma_f64 v[46:47], v[14:15], v[18:19], v[48:49]
	v_fma_f64 v[18:19], v[16:17], v[18:19], v[50:51]
	ds_load_2addr_b64 v[14:17], v30 offset0:160 offset1:176
	s_wait_dscnt 0x0
	v_fma_f64 v[44:45], v[14:15], v[12:13], v[44:45]
	v_fma_f64 v[48:49], v[16:17], v[12:13], v[10:11]
	;; [unrolled: 1-line block ×4, first 2 shown]
	ds_load_2addr_b64 v[10:13], v30 offset0:192 offset1:208
	ds_load_2addr_b64 v[18:21], v30 offset0:224 offset1:240
	s_wait_loadcnt_dscnt 0x0
	s_barrier_signal -1
	s_barrier_wait -1
	global_inv scope:SCOPE_SE
	v_fma_f64 v[44:45], v[10:11], v[36:37], v[44:45]
	v_fma_f64 v[36:37], v[12:13], v[36:37], v[48:49]
	v_fma_f64 v[10:11], v[10:11], v[40:41], v[14:15]
	v_fma_f64 v[40:41], v[12:13], v[40:41], v[16:17]
	s_delay_alu instid0(VALU_DEP_4) | instskip(NEXT) | instid1(VALU_DEP_4)
	v_fma_f64 v[16:17], v[18:19], v[38:39], v[44:45]
	v_fma_f64 v[14:15], v[20:21], v[38:39], v[36:37]
	s_delay_alu instid0(VALU_DEP_4) | instskip(NEXT) | instid1(VALU_DEP_4)
	v_fma_f64 v[12:13], v[18:19], v[42:43], v[10:11]
	v_fma_f64 v[10:11], v[20:21], v[42:43], v[40:41]
	s_wait_alu 0xfffe
	s_cbranch_vccz .LBB200_15
.LBB200_9:                              ;   Parent Loop BB200_6 Depth=1
                                        ; =>  This Inner Loop Header: Depth=2
	v_mov_b32_e32 v18, 0
	v_mov_b32_e32 v19, 0
	s_and_saveexec_b32 s31, s0
	s_cbranch_execz .LBB200_13
; %bb.10:                               ;   in Loop: Header=BB200_9 Depth=2
	v_mov_b32_e32 v18, 0
	s_wait_alu 0xfffe
	v_dual_mov_b32 v19, 0 :: v_dual_add_nc_u32 v0, s2, v23
	s_mov_b32 s33, exec_lo
	s_delay_alu instid0(VALU_DEP_1)
	v_cmpx_gt_u64_e64 s[4:5], v[0:1]
	s_cbranch_execz .LBB200_12
; %bb.11:                               ;   in Loop: Header=BB200_9 Depth=2
	v_mad_co_u64_u32 v[18:19], null, s10, v0, 0
	s_delay_alu instid0(VALU_DEP_1) | instskip(NEXT) | instid1(VALU_DEP_1)
	v_mad_co_u64_u32 v[19:20], null, s11, v0, v[19:20]
	v_lshlrev_b64_e32 v[18:19], 3, v[18:19]
	s_delay_alu instid0(VALU_DEP_1) | instskip(SKIP_1) | instid1(VALU_DEP_2)
	v_add_co_u32 v18, vcc_lo, v32, v18
	s_wait_alu 0xfffd
	v_add_co_ci_u32_e64 v19, null, v33, v19, vcc_lo
	global_load_b64 v[18:19], v[18:19], off
.LBB200_12:                             ;   in Loop: Header=BB200_9 Depth=2
	s_or_b32 exec_lo, exec_lo, s33
.LBB200_13:                             ;   in Loop: Header=BB200_9 Depth=2
	s_delay_alu instid0(SALU_CYCLE_1)
	s_or_b32 exec_lo, exec_lo, s31
	s_wait_alu 0xfffe
	v_add_nc_u32_e32 v0, s2, v22
	v_mov_b32_e32 v20, 0
	v_mov_b32_e32 v21, 0
	s_wait_loadcnt 0x0
	ds_store_b64 v24, v[18:19]
	v_cmp_gt_u64_e32 vcc_lo, s[4:5], v[0:1]
	s_and_b32 s33, vcc_lo, s1
	s_delay_alu instid0(SALU_CYCLE_1)
	s_and_saveexec_b32 s31, s33
	s_cbranch_execz .LBB200_8
; %bb.14:                               ;   in Loop: Header=BB200_9 Depth=2
	v_mad_co_u64_u32 v[18:19], null, s16, v0, 0
	s_delay_alu instid0(VALU_DEP_1) | instskip(NEXT) | instid1(VALU_DEP_1)
	v_mad_co_u64_u32 v[19:20], null, s17, v0, v[19:20]
	v_lshlrev_b64_e32 v[18:19], 3, v[18:19]
	s_delay_alu instid0(VALU_DEP_1) | instskip(SKIP_1) | instid1(VALU_DEP_2)
	v_add_co_u32 v18, vcc_lo, v34, v18
	s_wait_alu 0xfffd
	v_add_co_ci_u32_e64 v19, null, v35, v19, vcc_lo
	global_load_b64 v[20:21], v[18:19], off
	s_branch .LBB200_8
.LBB200_15:                             ;   in Loop: Header=BB200_6 Depth=1
	s_mul_u64 s[2:3], s[26:27], s[28:29]
	s_wait_alu 0xfffe
	s_lshl_b64 s[2:3], s[2:3], 3
	s_wait_alu 0xfffe
	s_add_nc_u64 s[2:3], s[22:23], s[2:3]
	s_wait_alu 0xfffe
	v_add_co_u32 v0, vcc_lo, s2, v4
	s_wait_alu 0xfffd
	v_add_co_ci_u32_e64 v18, null, s3, v5, vcc_lo
	s_and_saveexec_b32 s31, s9
	s_cbranch_execz .LBB200_19
; %bb.16:                               ;   in Loop: Header=BB200_6 Depth=1
	v_mul_f64_e32 v[16:17], s[6:7], v[16:17]
	s_and_b32 vcc_lo, exec_lo, s8
	s_wait_alu 0xfffe
	s_cbranch_vccz .LBB200_30
; %bb.17:                               ;   in Loop: Header=BB200_6 Depth=1
	v_add_co_u32 v19, vcc_lo, v0, v8
	s_wait_alu 0xfffd
	v_add_co_ci_u32_e64 v20, null, v18, v9, vcc_lo
	global_load_b64 v[32:33], v[19:20], off
	s_wait_loadcnt 0x0
	v_fma_f64 v[32:33], s[20:21], v[32:33], v[16:17]
	global_store_b64 v[19:20], v[32:33], off
	s_cbranch_execnz .LBB200_19
.LBB200_18:                             ;   in Loop: Header=BB200_6 Depth=1
	v_add_co_u32 v19, vcc_lo, v0, v8
	s_wait_alu 0xfffd
	v_add_co_ci_u32_e64 v20, null, v18, v9, vcc_lo
	global_store_b64 v[19:20], v[16:17], off
.LBB200_19:                             ;   in Loop: Header=BB200_6 Depth=1
	s_or_b32 exec_lo, exec_lo, s31
	s_and_saveexec_b32 s31, s14
	s_cbranch_execz .LBB200_23
; %bb.20:                               ;   in Loop: Header=BB200_6 Depth=1
	v_mul_f64_e32 v[14:15], s[6:7], v[14:15]
	s_and_not1_b32 vcc_lo, exec_lo, s8
	s_wait_alu 0xfffe
	s_cbranch_vccnz .LBB200_31
; %bb.21:                               ;   in Loop: Header=BB200_6 Depth=1
	v_lshlrev_b64_e32 v[16:17], 3, v[2:3]
	s_delay_alu instid0(VALU_DEP_1) | instskip(SKIP_1) | instid1(VALU_DEP_2)
	v_add_co_u32 v16, vcc_lo, v0, v16
	s_wait_alu 0xfffd
	v_add_co_ci_u32_e64 v17, null, v18, v17, vcc_lo
	global_load_b64 v[19:20], v[16:17], off
	s_wait_loadcnt 0x0
	v_fma_f64 v[19:20], s[20:21], v[19:20], v[14:15]
	global_store_b64 v[16:17], v[19:20], off
	s_cbranch_execnz .LBB200_23
.LBB200_22:                             ;   in Loop: Header=BB200_6 Depth=1
	v_lshlrev_b64_e32 v[16:17], 3, v[2:3]
	s_delay_alu instid0(VALU_DEP_1) | instskip(SKIP_1) | instid1(VALU_DEP_2)
	v_add_co_u32 v16, vcc_lo, v0, v16
	s_wait_alu 0xfffd
	v_add_co_ci_u32_e64 v17, null, v18, v17, vcc_lo
	global_store_b64 v[16:17], v[14:15], off
.LBB200_23:                             ;   in Loop: Header=BB200_6 Depth=1
	s_or_b32 exec_lo, exec_lo, s31
	v_add_co_u32 v0, vcc_lo, s2, v6
	s_wait_alu 0xfffd
	v_add_co_ci_u32_e64 v14, null, s3, v7, vcc_lo
	s_and_saveexec_b32 s2, s24
	s_cbranch_execz .LBB200_27
; %bb.24:                               ;   in Loop: Header=BB200_6 Depth=1
	v_mul_f64_e32 v[12:13], s[6:7], v[12:13]
	s_and_not1_b32 vcc_lo, exec_lo, s8
	s_wait_alu 0xfffe
	s_cbranch_vccnz .LBB200_32
; %bb.25:                               ;   in Loop: Header=BB200_6 Depth=1
	v_add_co_u32 v15, vcc_lo, v0, v8
	s_wait_alu 0xfffd
	v_add_co_ci_u32_e64 v16, null, v14, v9, vcc_lo
	global_load_b64 v[17:18], v[15:16], off
	s_wait_loadcnt 0x0
	v_fma_f64 v[17:18], s[20:21], v[17:18], v[12:13]
	global_store_b64 v[15:16], v[17:18], off
	s_cbranch_execnz .LBB200_27
.LBB200_26:                             ;   in Loop: Header=BB200_6 Depth=1
	v_add_co_u32 v15, vcc_lo, v0, v8
	s_wait_alu 0xfffd
	v_add_co_ci_u32_e64 v16, null, v14, v9, vcc_lo
	global_store_b64 v[15:16], v[12:13], off
.LBB200_27:                             ;   in Loop: Header=BB200_6 Depth=1
	s_wait_alu 0xfffe
	s_or_b32 exec_lo, exec_lo, s2
	s_and_saveexec_b32 s2, s25
	s_cbranch_execz .LBB200_5
; %bb.28:                               ;   in Loop: Header=BB200_6 Depth=1
	v_mul_f64_e32 v[10:11], s[6:7], v[10:11]
	v_lshlrev_b64_e32 v[12:13], 3, v[2:3]
	s_and_not1_b32 vcc_lo, exec_lo, s8
	s_wait_alu 0xfffe
	s_cbranch_vccnz .LBB200_33
; %bb.29:                               ;   in Loop: Header=BB200_6 Depth=1
	s_delay_alu instid0(VALU_DEP_1)
	v_add_co_u32 v15, vcc_lo, v0, v12
	s_wait_alu 0xfffd
	v_add_co_ci_u32_e64 v16, null, v14, v13, vcc_lo
	global_load_b64 v[17:18], v[15:16], off
	s_wait_loadcnt 0x0
	v_fma_f64 v[17:18], s[20:21], v[17:18], v[10:11]
	global_store_b64 v[15:16], v[17:18], off
	s_cbranch_execnz .LBB200_5
	s_branch .LBB200_34
.LBB200_30:                             ;   in Loop: Header=BB200_6 Depth=1
	s_branch .LBB200_18
.LBB200_31:                             ;   in Loop: Header=BB200_6 Depth=1
	s_branch .LBB200_22
.LBB200_32:                             ;   in Loop: Header=BB200_6 Depth=1
	s_branch .LBB200_26
.LBB200_33:                             ;   in Loop: Header=BB200_6 Depth=1
.LBB200_34:                             ;   in Loop: Header=BB200_6 Depth=1
	s_delay_alu instid0(VALU_DEP_1)
	v_add_co_u32 v12, vcc_lo, v0, v12
	s_wait_alu 0xfffd
	v_add_co_ci_u32_e64 v13, null, v14, v13, vcc_lo
	global_store_b64 v[12:13], v[10:11], off
	s_branch .LBB200_5
.LBB200_35:
	s_endpgm
	.section	.rodata,"a",@progbits
	.p2align	6, 0x0
	.amdhsa_kernel _ZL29rocblas_internal_gemmt_kernelIlLi16ELi32ELi8ELc78ELc67ELc85ELb0ELb0EddPKdPdEviT_T9_T10_S3_lS5_S3_lS4_T11_S3_li
		.amdhsa_group_segment_fixed_size 4096
		.amdhsa_private_segment_fixed_size 0
		.amdhsa_kernarg_size 108
		.amdhsa_user_sgpr_count 2
		.amdhsa_user_sgpr_dispatch_ptr 0
		.amdhsa_user_sgpr_queue_ptr 0
		.amdhsa_user_sgpr_kernarg_segment_ptr 1
		.amdhsa_user_sgpr_dispatch_id 0
		.amdhsa_user_sgpr_private_segment_size 0
		.amdhsa_wavefront_size32 1
		.amdhsa_uses_dynamic_stack 0
		.amdhsa_enable_private_segment 0
		.amdhsa_system_sgpr_workgroup_id_x 1
		.amdhsa_system_sgpr_workgroup_id_y 1
		.amdhsa_system_sgpr_workgroup_id_z 1
		.amdhsa_system_sgpr_workgroup_info 0
		.amdhsa_system_vgpr_workitem_id 1
		.amdhsa_next_free_vgpr 52
		.amdhsa_next_free_sgpr 36
		.amdhsa_reserve_vcc 1
		.amdhsa_float_round_mode_32 0
		.amdhsa_float_round_mode_16_64 0
		.amdhsa_float_denorm_mode_32 3
		.amdhsa_float_denorm_mode_16_64 3
		.amdhsa_fp16_overflow 0
		.amdhsa_workgroup_processor_mode 1
		.amdhsa_memory_ordered 1
		.amdhsa_forward_progress 1
		.amdhsa_inst_pref_size 16
		.amdhsa_round_robin_scheduling 0
		.amdhsa_exception_fp_ieee_invalid_op 0
		.amdhsa_exception_fp_denorm_src 0
		.amdhsa_exception_fp_ieee_div_zero 0
		.amdhsa_exception_fp_ieee_overflow 0
		.amdhsa_exception_fp_ieee_underflow 0
		.amdhsa_exception_fp_ieee_inexact 0
		.amdhsa_exception_int_div_zero 0
	.end_amdhsa_kernel
	.section	.text._ZL29rocblas_internal_gemmt_kernelIlLi16ELi32ELi8ELc78ELc67ELc85ELb0ELb0EddPKdPdEviT_T9_T10_S3_lS5_S3_lS4_T11_S3_li,"axG",@progbits,_ZL29rocblas_internal_gemmt_kernelIlLi16ELi32ELi8ELc78ELc67ELc85ELb0ELb0EddPKdPdEviT_T9_T10_S3_lS5_S3_lS4_T11_S3_li,comdat
.Lfunc_end200:
	.size	_ZL29rocblas_internal_gemmt_kernelIlLi16ELi32ELi8ELc78ELc67ELc85ELb0ELb0EddPKdPdEviT_T9_T10_S3_lS5_S3_lS4_T11_S3_li, .Lfunc_end200-_ZL29rocblas_internal_gemmt_kernelIlLi16ELi32ELi8ELc78ELc67ELc85ELb0ELb0EddPKdPdEviT_T9_T10_S3_lS5_S3_lS4_T11_S3_li
                                        ; -- End function
	.set _ZL29rocblas_internal_gemmt_kernelIlLi16ELi32ELi8ELc78ELc67ELc85ELb0ELb0EddPKdPdEviT_T9_T10_S3_lS5_S3_lS4_T11_S3_li.num_vgpr, 52
	.set _ZL29rocblas_internal_gemmt_kernelIlLi16ELi32ELi8ELc78ELc67ELc85ELb0ELb0EddPKdPdEviT_T9_T10_S3_lS5_S3_lS4_T11_S3_li.num_agpr, 0
	.set _ZL29rocblas_internal_gemmt_kernelIlLi16ELi32ELi8ELc78ELc67ELc85ELb0ELb0EddPKdPdEviT_T9_T10_S3_lS5_S3_lS4_T11_S3_li.numbered_sgpr, 36
	.set _ZL29rocblas_internal_gemmt_kernelIlLi16ELi32ELi8ELc78ELc67ELc85ELb0ELb0EddPKdPdEviT_T9_T10_S3_lS5_S3_lS4_T11_S3_li.num_named_barrier, 0
	.set _ZL29rocblas_internal_gemmt_kernelIlLi16ELi32ELi8ELc78ELc67ELc85ELb0ELb0EddPKdPdEviT_T9_T10_S3_lS5_S3_lS4_T11_S3_li.private_seg_size, 0
	.set _ZL29rocblas_internal_gemmt_kernelIlLi16ELi32ELi8ELc78ELc67ELc85ELb0ELb0EddPKdPdEviT_T9_T10_S3_lS5_S3_lS4_T11_S3_li.uses_vcc, 1
	.set _ZL29rocblas_internal_gemmt_kernelIlLi16ELi32ELi8ELc78ELc67ELc85ELb0ELb0EddPKdPdEviT_T9_T10_S3_lS5_S3_lS4_T11_S3_li.uses_flat_scratch, 0
	.set _ZL29rocblas_internal_gemmt_kernelIlLi16ELi32ELi8ELc78ELc67ELc85ELb0ELb0EddPKdPdEviT_T9_T10_S3_lS5_S3_lS4_T11_S3_li.has_dyn_sized_stack, 0
	.set _ZL29rocblas_internal_gemmt_kernelIlLi16ELi32ELi8ELc78ELc67ELc85ELb0ELb0EddPKdPdEviT_T9_T10_S3_lS5_S3_lS4_T11_S3_li.has_recursion, 0
	.set _ZL29rocblas_internal_gemmt_kernelIlLi16ELi32ELi8ELc78ELc67ELc85ELb0ELb0EddPKdPdEviT_T9_T10_S3_lS5_S3_lS4_T11_S3_li.has_indirect_call, 0
	.section	.AMDGPU.csdata,"",@progbits
; Kernel info:
; codeLenInByte = 2020
; TotalNumSgprs: 38
; NumVgprs: 52
; ScratchSize: 0
; MemoryBound: 0
; FloatMode: 240
; IeeeMode: 1
; LDSByteSize: 4096 bytes/workgroup (compile time only)
; SGPRBlocks: 0
; VGPRBlocks: 6
; NumSGPRsForWavesPerEU: 38
; NumVGPRsForWavesPerEU: 52
; Occupancy: 16
; WaveLimiterHint : 0
; COMPUTE_PGM_RSRC2:SCRATCH_EN: 0
; COMPUTE_PGM_RSRC2:USER_SGPR: 2
; COMPUTE_PGM_RSRC2:TRAP_HANDLER: 0
; COMPUTE_PGM_RSRC2:TGID_X_EN: 1
; COMPUTE_PGM_RSRC2:TGID_Y_EN: 1
; COMPUTE_PGM_RSRC2:TGID_Z_EN: 1
; COMPUTE_PGM_RSRC2:TIDIG_COMP_CNT: 1
	.section	.text._ZL29rocblas_internal_gemmt_kernelIlLi16ELi32ELi8ELc84ELc78ELc85ELb0ELb0EddPKdPdEviT_T9_T10_S3_lS5_S3_lS4_T11_S3_li,"axG",@progbits,_ZL29rocblas_internal_gemmt_kernelIlLi16ELi32ELi8ELc84ELc78ELc85ELb0ELb0EddPKdPdEviT_T9_T10_S3_lS5_S3_lS4_T11_S3_li,comdat
	.globl	_ZL29rocblas_internal_gemmt_kernelIlLi16ELi32ELi8ELc84ELc78ELc85ELb0ELb0EddPKdPdEviT_T9_T10_S3_lS5_S3_lS4_T11_S3_li ; -- Begin function _ZL29rocblas_internal_gemmt_kernelIlLi16ELi32ELi8ELc84ELc78ELc85ELb0ELb0EddPKdPdEviT_T9_T10_S3_lS5_S3_lS4_T11_S3_li
	.p2align	8
	.type	_ZL29rocblas_internal_gemmt_kernelIlLi16ELi32ELi8ELc84ELc78ELc85ELb0ELb0EddPKdPdEviT_T9_T10_S3_lS5_S3_lS4_T11_S3_li,@function
_ZL29rocblas_internal_gemmt_kernelIlLi16ELi32ELi8ELc84ELc78ELc85ELb0ELb0EddPKdPdEviT_T9_T10_S3_lS5_S3_lS4_T11_S3_li: ; @_ZL29rocblas_internal_gemmt_kernelIlLi16ELi32ELi8ELc84ELc78ELc85ELb0ELb0EddPKdPdEviT_T9_T10_S3_lS5_S3_lS4_T11_S3_li
; %bb.0:
	s_clause 0x1
	s_load_b256 s[20:27], s[0:1], 0x48
	s_load_b512 s[4:19], s[0:1], 0x8
	s_wait_kmcnt 0x0
	v_cmp_neq_f64_e64 s2, s[20:21], 1.0
	s_and_b32 vcc_lo, exec_lo, s2
	s_cbranch_vccnz .LBB201_2
; %bb.1:
	v_cmp_neq_f64_e64 s2, s[6:7], 0
	s_cmp_lg_u64 s[4:5], 0
	s_cselect_b32 s3, -1, 0
	s_delay_alu instid0(SALU_CYCLE_1)
	s_and_b32 s2, s3, s2
.LBB201_2:
	s_delay_alu instid0(SALU_CYCLE_1)
	s_and_not1_b32 vcc_lo, exec_lo, s2
	s_cbranch_vccnz .LBB201_35
; %bb.3:
	s_load_b32 s30, s[0:1], 0x68
	s_lshr_b32 s28, ttmp7, 16
	s_wait_kmcnt 0x0
	s_cmp_ge_u32 s28, s30
	s_cbranch_scc1 .LBB201_35
; %bb.4:
	v_and_b32_e32 v9, 0x3ff, v0
	v_bfe_u32 v12, v0, 10, 10
	s_load_b32 s29, s[0:1], 0x0
	s_lshl_b32 s1, ttmp7, 5
	s_lshl_b32 s0, ttmp9, 5
	s_and_b32 s1, s1, 0x1fffe0
	v_lshl_add_u32 v2, v12, 4, v9
	v_and_b32_e32 v22, 7, v0
	s_ashr_i32 s2, s0, 31
	v_add_nc_u32_e32 v16, s1, v12
	s_mul_i32 s2, s10, s2
	v_lshrrev_b32_e32 v10, 3, v2
	v_and_b32_e32 v11, 31, v2
	v_lshrrev_b32_e32 v23, 5, v2
	v_cmp_neq_f64_e64 s33, s[6:7], 0
	v_cmp_neq_f64_e64 s31, s[20:21], 0
	v_add_nc_u32_e32 v13, s1, v10
	v_or_b32_e32 v14, s0, v11
	v_add_nc_u32_e32 v18, 16, v16
	v_mad_co_u64_u32 v[4:5], null, s24, v16, 0
	s_delay_alu instid0(VALU_DEP_4) | instskip(NEXT) | instid1(VALU_DEP_4)
	v_mad_co_u64_u32 v[0:1], null, s16, v13, 0
	v_mad_co_u64_u32 v[2:3], null, s10, v14, 0
	v_mul_lo_u32 v17, s11, v14
	v_cmp_gt_i64_e64 s34, s[4:5], 0
	s_wait_kmcnt 0x0
	v_cmp_gt_i32_e64 s1, s29, v13
	v_lshl_add_u32 v31, v12, 6, 0x800
	v_mad_co_u64_u32 v[6:7], null, s17, v13, v[1:2]
	v_add3_u32 v3, v3, s2, v17
	v_lshlrev_b32_e32 v7, 3, v11
	s_delay_alu instid0(VALU_DEP_2) | instskip(NEXT) | instid1(VALU_DEP_4)
	v_lshlrev_b64_e32 v[2:3], 3, v[2:3]
	v_mov_b32_e32 v1, v6
	v_lshlrev_b32_e32 v15, 3, v22
	s_delay_alu instid0(VALU_DEP_4) | instskip(NEXT) | instid1(VALU_DEP_3)
	v_lshl_or_b32 v24, v23, 8, v7
	v_lshlrev_b64_e32 v[0:1], 3, v[0:1]
	s_delay_alu instid0(VALU_DEP_3) | instskip(SKIP_2) | instid1(VALU_DEP_1)
	v_lshl_or_b32 v15, v10, 6, v15
	v_mad_co_u64_u32 v[10:11], null, s24, v18, 0
	v_add_co_u32 v26, vcc_lo, s8, v2
	v_add_co_ci_u32_e64 v27, null, s9, v3, vcc_lo
	v_add_co_u32 v28, vcc_lo, s14, v0
	s_wait_alu 0xfffd
	v_add_co_ci_u32_e64 v29, null, s15, v1, vcc_lo
	v_mad_co_u64_u32 v[1:2], null, s25, v16, v[5:6]
	v_mov_b32_e32 v2, v11
	v_add_nc_u32_e32 v8, s0, v9
	v_lshlrev_b32_e32 v30, 3, v9
	v_cmp_gt_i32_e64 s0, s29, v14
	v_add_nc_u32_e32 v25, 0x800, v15
	v_mad_co_u64_u32 v[2:3], null, s25, v18, v[2:3]
	v_dual_mov_b32 v5, v1 :: v_dual_add_nc_u32 v0, 16, v8
	v_ashrrev_i32_e32 v9, 31, v8
	v_mov_b32_e32 v3, 0
	s_and_b32 s10, s33, s34
	s_delay_alu instid0(VALU_DEP_3)
	v_lshlrev_b64_e32 v[4:5], 3, v[4:5]
	v_mov_b32_e32 v11, v2
	v_cmp_gt_i32_e32 vcc_lo, s29, v16
	v_cmp_le_i32_e64 s2, v8, v16
	v_cmp_le_i32_e64 s3, v0, v16
	v_ashrrev_i32_e32 v1, 31, v0
	v_lshlrev_b64_e32 v[6:7], 3, v[10:11]
	s_and_b32 s8, vcc_lo, s2
	s_and_b32 s9, vcc_lo, s3
	v_cmp_gt_i32_e32 vcc_lo, s29, v18
	v_cmp_le_i32_e64 s2, v8, v18
	v_cmp_le_i32_e64 s3, v0, v18
	v_lshlrev_b64_e32 v[8:9], 3, v[8:9]
	s_mov_b32 s29, 0
	s_and_b32 s11, vcc_lo, s2
	s_and_b32 s14, vcc_lo, s3
	s_branch .LBB201_6
.LBB201_5:                              ;   in Loop: Header=BB201_6 Depth=1
	s_wait_alu 0xfffe
	s_or_b32 exec_lo, exec_lo, s2
	s_add_co_i32 s28, s28, 0x10000
	s_wait_alu 0xfffe
	s_cmp_lt_u32 s28, s30
	s_cbranch_scc0 .LBB201_35
.LBB201_6:                              ; =>This Loop Header: Depth=1
                                        ;     Child Loop BB201_9 Depth 2
	v_mov_b32_e32 v16, 0
	v_dual_mov_b32 v12, 0 :: v_dual_mov_b32 v17, 0
	v_dual_mov_b32 v14, 0 :: v_dual_mov_b32 v13, 0
	;; [unrolled: 1-line block ×3, first 2 shown]
	v_mov_b32_e32 v11, 0
	s_wait_alu 0xfffe
	s_and_not1_b32 vcc_lo, exec_lo, s10
	s_wait_alu 0xfffe
	s_cbranch_vccnz .LBB201_15
; %bb.7:                                ;   in Loop: Header=BB201_6 Depth=1
	s_mul_u64 s[2:3], s[12:13], s[28:29]
	s_mul_u64 s[16:17], s[18:19], s[28:29]
	s_wait_alu 0xfffe
	s_lshl_b64 s[2:3], s[2:3], 3
	v_mov_b32_e32 v10, 0
	s_wait_alu 0xfffe
	v_add_co_u32 v32, vcc_lo, v26, s2
	s_wait_alu 0xfffd
	v_add_co_ci_u32_e64 v33, null, s3, v27, vcc_lo
	s_lshl_b64 s[2:3], s[16:17], 3
	v_mov_b32_e32 v14, 0
	s_wait_alu 0xfffe
	v_add_co_u32 v34, vcc_lo, v28, s2
	v_dual_mov_b32 v11, 0 :: v_dual_mov_b32 v12, 0
	v_dual_mov_b32 v15, 0 :: v_dual_mov_b32 v16, 0
	v_mov_b32_e32 v13, 0
	v_mov_b32_e32 v17, 0
	s_wait_alu 0xfffd
	v_add_co_ci_u32_e64 v35, null, s3, v29, vcc_lo
	s_mov_b64 s[2:3], 0
	s_branch .LBB201_9
.LBB201_8:                              ;   in Loop: Header=BB201_9 Depth=2
	s_wait_alu 0xfffe
	s_or_b32 exec_lo, exec_lo, s15
	s_wait_loadcnt 0x0
	ds_store_b64 v25, v[20:21]
	s_wait_dscnt 0x0
	s_barrier_signal -1
	s_barrier_wait -1
	global_inv scope:SCOPE_SE
	ds_load_b128 v[18:21], v31
	ds_load_2addr_b64 v[36:39], v30 offset1:16
	ds_load_b128 v[40:43], v31 offset:1024
	ds_load_b128 v[44:47], v31 offset:16
	;; [unrolled: 1-line block ×3, first 2 shown]
	s_add_nc_u64 s[2:3], s[2:3], 8
	s_wait_alu 0xfffe
	v_cmp_gt_i64_e64 s15, s[4:5], s[2:3]
	s_and_b32 vcc_lo, exec_lo, s15
	s_wait_dscnt 0x3
	v_fma_f64 v[16:17], v[36:37], v[18:19], v[16:17]
	v_fma_f64 v[14:15], v[38:39], v[18:19], v[14:15]
	s_wait_dscnt 0x2
	v_fma_f64 v[18:19], v[36:37], v[40:41], v[12:13]
	v_fma_f64 v[36:37], v[38:39], v[40:41], v[10:11]
	ds_load_2addr_b64 v[10:13], v30 offset0:32 offset1:48
	s_wait_dscnt 0x0
	v_fma_f64 v[16:17], v[10:11], v[20:21], v[16:17]
	v_fma_f64 v[14:15], v[12:13], v[20:21], v[14:15]
	v_fma_f64 v[18:19], v[10:11], v[42:43], v[18:19]
	v_fma_f64 v[20:21], v[12:13], v[42:43], v[36:37]
	ds_load_2addr_b64 v[10:13], v30 offset0:64 offset1:80
	s_wait_dscnt 0x0
	v_fma_f64 v[16:17], v[10:11], v[44:45], v[16:17]
	v_fma_f64 v[14:15], v[12:13], v[44:45], v[14:15]
	;; [unrolled: 6-line block ×3, first 2 shown]
	v_fma_f64 v[48:49], v[10:11], v[50:51], v[18:19]
	v_fma_f64 v[50:51], v[12:13], v[50:51], v[20:21]
	ds_load_b128 v[10:13], v31 offset:32
	ds_load_2addr_b64 v[14:17], v30 offset0:128 offset1:144
	ds_load_b128 v[18:21], v31 offset:1056
	ds_load_b128 v[36:39], v31 offset:48
	;; [unrolled: 1-line block ×3, first 2 shown]
	s_wait_dscnt 0x3
	v_fma_f64 v[44:45], v[14:15], v[10:11], v[44:45]
	v_fma_f64 v[10:11], v[16:17], v[10:11], v[46:47]
	s_wait_dscnt 0x2
	v_fma_f64 v[46:47], v[14:15], v[18:19], v[48:49]
	v_fma_f64 v[18:19], v[16:17], v[18:19], v[50:51]
	ds_load_2addr_b64 v[14:17], v30 offset0:160 offset1:176
	s_wait_dscnt 0x0
	v_fma_f64 v[44:45], v[14:15], v[12:13], v[44:45]
	v_fma_f64 v[48:49], v[16:17], v[12:13], v[10:11]
	;; [unrolled: 1-line block ×4, first 2 shown]
	ds_load_2addr_b64 v[10:13], v30 offset0:192 offset1:208
	ds_load_2addr_b64 v[18:21], v30 offset0:224 offset1:240
	s_wait_loadcnt_dscnt 0x0
	s_barrier_signal -1
	s_barrier_wait -1
	global_inv scope:SCOPE_SE
	v_fma_f64 v[44:45], v[10:11], v[36:37], v[44:45]
	v_fma_f64 v[36:37], v[12:13], v[36:37], v[48:49]
	;; [unrolled: 1-line block ×4, first 2 shown]
	s_delay_alu instid0(VALU_DEP_4) | instskip(NEXT) | instid1(VALU_DEP_4)
	v_fma_f64 v[16:17], v[18:19], v[38:39], v[44:45]
	v_fma_f64 v[14:15], v[20:21], v[38:39], v[36:37]
	s_delay_alu instid0(VALU_DEP_4) | instskip(NEXT) | instid1(VALU_DEP_4)
	v_fma_f64 v[12:13], v[18:19], v[42:43], v[10:11]
	v_fma_f64 v[10:11], v[20:21], v[42:43], v[40:41]
	s_wait_alu 0xfffe
	s_cbranch_vccz .LBB201_15
.LBB201_9:                              ;   Parent Loop BB201_6 Depth=1
                                        ; =>  This Inner Loop Header: Depth=2
	v_mov_b32_e32 v18, 0
	v_mov_b32_e32 v19, 0
	s_and_saveexec_b32 s15, s0
	s_cbranch_execz .LBB201_13
; %bb.10:                               ;   in Loop: Header=BB201_9 Depth=2
	v_mov_b32_e32 v18, 0
	s_wait_alu 0xfffe
	v_dual_mov_b32 v19, 0 :: v_dual_add_nc_u32 v2, s2, v23
	s_mov_b32 s16, exec_lo
	s_delay_alu instid0(VALU_DEP_1)
	v_cmpx_gt_u64_e64 s[4:5], v[2:3]
	s_cbranch_execz .LBB201_12
; %bb.11:                               ;   in Loop: Header=BB201_9 Depth=2
	v_lshlrev_b64_e32 v[18:19], 3, v[2:3]
	s_delay_alu instid0(VALU_DEP_1) | instskip(SKIP_1) | instid1(VALU_DEP_2)
	v_add_co_u32 v18, vcc_lo, v32, v18
	s_wait_alu 0xfffd
	v_add_co_ci_u32_e64 v19, null, v33, v19, vcc_lo
	global_load_b64 v[18:19], v[18:19], off
.LBB201_12:                             ;   in Loop: Header=BB201_9 Depth=2
	s_wait_alu 0xfffe
	s_or_b32 exec_lo, exec_lo, s16
.LBB201_13:                             ;   in Loop: Header=BB201_9 Depth=2
	s_wait_alu 0xfffe
	s_or_b32 exec_lo, exec_lo, s15
	v_add_nc_u32_e32 v2, s2, v22
	v_mov_b32_e32 v20, 0
	v_mov_b32_e32 v21, 0
	s_wait_loadcnt 0x0
	ds_store_b64 v24, v[18:19]
	v_cmp_gt_u64_e32 vcc_lo, s[4:5], v[2:3]
	s_and_b32 s16, vcc_lo, s1
	s_wait_alu 0xfffe
	s_and_saveexec_b32 s15, s16
	s_cbranch_execz .LBB201_8
; %bb.14:                               ;   in Loop: Header=BB201_9 Depth=2
	v_lshlrev_b64_e32 v[18:19], 3, v[2:3]
	s_delay_alu instid0(VALU_DEP_1) | instskip(SKIP_1) | instid1(VALU_DEP_2)
	v_add_co_u32 v18, vcc_lo, v34, v18
	s_wait_alu 0xfffd
	v_add_co_ci_u32_e64 v19, null, v35, v19, vcc_lo
	global_load_b64 v[20:21], v[18:19], off
	s_branch .LBB201_8
.LBB201_15:                             ;   in Loop: Header=BB201_6 Depth=1
	s_mul_u64 s[2:3], s[26:27], s[28:29]
	s_wait_alu 0xfffe
	s_lshl_b64 s[2:3], s[2:3], 3
	s_wait_alu 0xfffe
	s_add_nc_u64 s[2:3], s[22:23], s[2:3]
	s_wait_alu 0xfffe
	v_add_co_u32 v2, vcc_lo, s2, v4
	s_wait_alu 0xfffd
	v_add_co_ci_u32_e64 v18, null, s3, v5, vcc_lo
	s_and_saveexec_b32 s15, s8
	s_cbranch_execz .LBB201_19
; %bb.16:                               ;   in Loop: Header=BB201_6 Depth=1
	v_mul_f64_e32 v[16:17], s[6:7], v[16:17]
	s_and_b32 vcc_lo, exec_lo, s31
	s_wait_alu 0xfffe
	s_cbranch_vccz .LBB201_30
; %bb.17:                               ;   in Loop: Header=BB201_6 Depth=1
	v_add_co_u32 v19, vcc_lo, v2, v8
	s_wait_alu 0xfffd
	v_add_co_ci_u32_e64 v20, null, v18, v9, vcc_lo
	global_load_b64 v[32:33], v[19:20], off
	s_wait_loadcnt 0x0
	v_fma_f64 v[32:33], s[20:21], v[32:33], v[16:17]
	global_store_b64 v[19:20], v[32:33], off
	s_cbranch_execnz .LBB201_19
.LBB201_18:                             ;   in Loop: Header=BB201_6 Depth=1
	v_add_co_u32 v19, vcc_lo, v2, v8
	s_wait_alu 0xfffd
	v_add_co_ci_u32_e64 v20, null, v18, v9, vcc_lo
	global_store_b64 v[19:20], v[16:17], off
.LBB201_19:                             ;   in Loop: Header=BB201_6 Depth=1
	s_wait_alu 0xfffe
	s_or_b32 exec_lo, exec_lo, s15
	s_and_saveexec_b32 s15, s9
	s_cbranch_execz .LBB201_23
; %bb.20:                               ;   in Loop: Header=BB201_6 Depth=1
	v_mul_f64_e32 v[14:15], s[6:7], v[14:15]
	s_and_not1_b32 vcc_lo, exec_lo, s31
	s_wait_alu 0xfffe
	s_cbranch_vccnz .LBB201_31
; %bb.21:                               ;   in Loop: Header=BB201_6 Depth=1
	v_lshlrev_b64_e32 v[16:17], 3, v[0:1]
	s_delay_alu instid0(VALU_DEP_1) | instskip(SKIP_1) | instid1(VALU_DEP_2)
	v_add_co_u32 v16, vcc_lo, v2, v16
	s_wait_alu 0xfffd
	v_add_co_ci_u32_e64 v17, null, v18, v17, vcc_lo
	global_load_b64 v[19:20], v[16:17], off
	s_wait_loadcnt 0x0
	v_fma_f64 v[19:20], s[20:21], v[19:20], v[14:15]
	global_store_b64 v[16:17], v[19:20], off
	s_cbranch_execnz .LBB201_23
.LBB201_22:                             ;   in Loop: Header=BB201_6 Depth=1
	v_lshlrev_b64_e32 v[16:17], 3, v[0:1]
	s_delay_alu instid0(VALU_DEP_1) | instskip(SKIP_1) | instid1(VALU_DEP_2)
	v_add_co_u32 v16, vcc_lo, v2, v16
	s_wait_alu 0xfffd
	v_add_co_ci_u32_e64 v17, null, v18, v17, vcc_lo
	global_store_b64 v[16:17], v[14:15], off
.LBB201_23:                             ;   in Loop: Header=BB201_6 Depth=1
	s_wait_alu 0xfffe
	s_or_b32 exec_lo, exec_lo, s15
	v_add_co_u32 v2, vcc_lo, s2, v6
	s_wait_alu 0xfffd
	v_add_co_ci_u32_e64 v14, null, s3, v7, vcc_lo
	s_and_saveexec_b32 s2, s11
	s_cbranch_execz .LBB201_27
; %bb.24:                               ;   in Loop: Header=BB201_6 Depth=1
	v_mul_f64_e32 v[12:13], s[6:7], v[12:13]
	s_and_not1_b32 vcc_lo, exec_lo, s31
	s_wait_alu 0xfffe
	s_cbranch_vccnz .LBB201_32
; %bb.25:                               ;   in Loop: Header=BB201_6 Depth=1
	v_add_co_u32 v15, vcc_lo, v2, v8
	s_wait_alu 0xfffd
	v_add_co_ci_u32_e64 v16, null, v14, v9, vcc_lo
	global_load_b64 v[17:18], v[15:16], off
	s_wait_loadcnt 0x0
	v_fma_f64 v[17:18], s[20:21], v[17:18], v[12:13]
	global_store_b64 v[15:16], v[17:18], off
	s_cbranch_execnz .LBB201_27
.LBB201_26:                             ;   in Loop: Header=BB201_6 Depth=1
	v_add_co_u32 v15, vcc_lo, v2, v8
	s_wait_alu 0xfffd
	v_add_co_ci_u32_e64 v16, null, v14, v9, vcc_lo
	global_store_b64 v[15:16], v[12:13], off
.LBB201_27:                             ;   in Loop: Header=BB201_6 Depth=1
	s_wait_alu 0xfffe
	s_or_b32 exec_lo, exec_lo, s2
	s_and_saveexec_b32 s2, s14
	s_cbranch_execz .LBB201_5
; %bb.28:                               ;   in Loop: Header=BB201_6 Depth=1
	v_mul_f64_e32 v[10:11], s[6:7], v[10:11]
	v_lshlrev_b64_e32 v[12:13], 3, v[0:1]
	s_and_not1_b32 vcc_lo, exec_lo, s31
	s_wait_alu 0xfffe
	s_cbranch_vccnz .LBB201_33
; %bb.29:                               ;   in Loop: Header=BB201_6 Depth=1
	s_delay_alu instid0(VALU_DEP_1)
	v_add_co_u32 v15, vcc_lo, v2, v12
	s_wait_alu 0xfffd
	v_add_co_ci_u32_e64 v16, null, v14, v13, vcc_lo
	global_load_b64 v[17:18], v[15:16], off
	s_wait_loadcnt 0x0
	v_fma_f64 v[17:18], s[20:21], v[17:18], v[10:11]
	global_store_b64 v[15:16], v[17:18], off
	s_cbranch_execnz .LBB201_5
	s_branch .LBB201_34
.LBB201_30:                             ;   in Loop: Header=BB201_6 Depth=1
	s_branch .LBB201_18
.LBB201_31:                             ;   in Loop: Header=BB201_6 Depth=1
	s_branch .LBB201_22
.LBB201_32:                             ;   in Loop: Header=BB201_6 Depth=1
	s_branch .LBB201_26
.LBB201_33:                             ;   in Loop: Header=BB201_6 Depth=1
.LBB201_34:                             ;   in Loop: Header=BB201_6 Depth=1
	s_delay_alu instid0(VALU_DEP_1)
	v_add_co_u32 v12, vcc_lo, v2, v12
	s_wait_alu 0xfffd
	v_add_co_ci_u32_e64 v13, null, v14, v13, vcc_lo
	global_store_b64 v[12:13], v[10:11], off
	s_branch .LBB201_5
.LBB201_35:
	s_endpgm
	.section	.rodata,"a",@progbits
	.p2align	6, 0x0
	.amdhsa_kernel _ZL29rocblas_internal_gemmt_kernelIlLi16ELi32ELi8ELc84ELc78ELc85ELb0ELb0EddPKdPdEviT_T9_T10_S3_lS5_S3_lS4_T11_S3_li
		.amdhsa_group_segment_fixed_size 4096
		.amdhsa_private_segment_fixed_size 0
		.amdhsa_kernarg_size 108
		.amdhsa_user_sgpr_count 2
		.amdhsa_user_sgpr_dispatch_ptr 0
		.amdhsa_user_sgpr_queue_ptr 0
		.amdhsa_user_sgpr_kernarg_segment_ptr 1
		.amdhsa_user_sgpr_dispatch_id 0
		.amdhsa_user_sgpr_private_segment_size 0
		.amdhsa_wavefront_size32 1
		.amdhsa_uses_dynamic_stack 0
		.amdhsa_enable_private_segment 0
		.amdhsa_system_sgpr_workgroup_id_x 1
		.amdhsa_system_sgpr_workgroup_id_y 1
		.amdhsa_system_sgpr_workgroup_id_z 1
		.amdhsa_system_sgpr_workgroup_info 0
		.amdhsa_system_vgpr_workitem_id 1
		.amdhsa_next_free_vgpr 52
		.amdhsa_next_free_sgpr 35
		.amdhsa_reserve_vcc 1
		.amdhsa_float_round_mode_32 0
		.amdhsa_float_round_mode_16_64 0
		.amdhsa_float_denorm_mode_32 3
		.amdhsa_float_denorm_mode_16_64 3
		.amdhsa_fp16_overflow 0
		.amdhsa_workgroup_processor_mode 1
		.amdhsa_memory_ordered 1
		.amdhsa_forward_progress 1
		.amdhsa_inst_pref_size 16
		.amdhsa_round_robin_scheduling 0
		.amdhsa_exception_fp_ieee_invalid_op 0
		.amdhsa_exception_fp_denorm_src 0
		.amdhsa_exception_fp_ieee_div_zero 0
		.amdhsa_exception_fp_ieee_overflow 0
		.amdhsa_exception_fp_ieee_underflow 0
		.amdhsa_exception_fp_ieee_inexact 0
		.amdhsa_exception_int_div_zero 0
	.end_amdhsa_kernel
	.section	.text._ZL29rocblas_internal_gemmt_kernelIlLi16ELi32ELi8ELc84ELc78ELc85ELb0ELb0EddPKdPdEviT_T9_T10_S3_lS5_S3_lS4_T11_S3_li,"axG",@progbits,_ZL29rocblas_internal_gemmt_kernelIlLi16ELi32ELi8ELc84ELc78ELc85ELb0ELb0EddPKdPdEviT_T9_T10_S3_lS5_S3_lS4_T11_S3_li,comdat
.Lfunc_end201:
	.size	_ZL29rocblas_internal_gemmt_kernelIlLi16ELi32ELi8ELc84ELc78ELc85ELb0ELb0EddPKdPdEviT_T9_T10_S3_lS5_S3_lS4_T11_S3_li, .Lfunc_end201-_ZL29rocblas_internal_gemmt_kernelIlLi16ELi32ELi8ELc84ELc78ELc85ELb0ELb0EddPKdPdEviT_T9_T10_S3_lS5_S3_lS4_T11_S3_li
                                        ; -- End function
	.set _ZL29rocblas_internal_gemmt_kernelIlLi16ELi32ELi8ELc84ELc78ELc85ELb0ELb0EddPKdPdEviT_T9_T10_S3_lS5_S3_lS4_T11_S3_li.num_vgpr, 52
	.set _ZL29rocblas_internal_gemmt_kernelIlLi16ELi32ELi8ELc84ELc78ELc85ELb0ELb0EddPKdPdEviT_T9_T10_S3_lS5_S3_lS4_T11_S3_li.num_agpr, 0
	.set _ZL29rocblas_internal_gemmt_kernelIlLi16ELi32ELi8ELc84ELc78ELc85ELb0ELb0EddPKdPdEviT_T9_T10_S3_lS5_S3_lS4_T11_S3_li.numbered_sgpr, 35
	.set _ZL29rocblas_internal_gemmt_kernelIlLi16ELi32ELi8ELc84ELc78ELc85ELb0ELb0EddPKdPdEviT_T9_T10_S3_lS5_S3_lS4_T11_S3_li.num_named_barrier, 0
	.set _ZL29rocblas_internal_gemmt_kernelIlLi16ELi32ELi8ELc84ELc78ELc85ELb0ELb0EddPKdPdEviT_T9_T10_S3_lS5_S3_lS4_T11_S3_li.private_seg_size, 0
	.set _ZL29rocblas_internal_gemmt_kernelIlLi16ELi32ELi8ELc84ELc78ELc85ELb0ELb0EddPKdPdEviT_T9_T10_S3_lS5_S3_lS4_T11_S3_li.uses_vcc, 1
	.set _ZL29rocblas_internal_gemmt_kernelIlLi16ELi32ELi8ELc84ELc78ELc85ELb0ELb0EddPKdPdEviT_T9_T10_S3_lS5_S3_lS4_T11_S3_li.uses_flat_scratch, 0
	.set _ZL29rocblas_internal_gemmt_kernelIlLi16ELi32ELi8ELc84ELc78ELc85ELb0ELb0EddPKdPdEviT_T9_T10_S3_lS5_S3_lS4_T11_S3_li.has_dyn_sized_stack, 0
	.set _ZL29rocblas_internal_gemmt_kernelIlLi16ELi32ELi8ELc84ELc78ELc85ELb0ELb0EddPKdPdEviT_T9_T10_S3_lS5_S3_lS4_T11_S3_li.has_recursion, 0
	.set _ZL29rocblas_internal_gemmt_kernelIlLi16ELi32ELi8ELc84ELc78ELc85ELb0ELb0EddPKdPdEviT_T9_T10_S3_lS5_S3_lS4_T11_S3_li.has_indirect_call, 0
	.section	.AMDGPU.csdata,"",@progbits
; Kernel info:
; codeLenInByte = 2036
; TotalNumSgprs: 37
; NumVgprs: 52
; ScratchSize: 0
; MemoryBound: 0
; FloatMode: 240
; IeeeMode: 1
; LDSByteSize: 4096 bytes/workgroup (compile time only)
; SGPRBlocks: 0
; VGPRBlocks: 6
; NumSGPRsForWavesPerEU: 37
; NumVGPRsForWavesPerEU: 52
; Occupancy: 16
; WaveLimiterHint : 0
; COMPUTE_PGM_RSRC2:SCRATCH_EN: 0
; COMPUTE_PGM_RSRC2:USER_SGPR: 2
; COMPUTE_PGM_RSRC2:TRAP_HANDLER: 0
; COMPUTE_PGM_RSRC2:TGID_X_EN: 1
; COMPUTE_PGM_RSRC2:TGID_Y_EN: 1
; COMPUTE_PGM_RSRC2:TGID_Z_EN: 1
; COMPUTE_PGM_RSRC2:TIDIG_COMP_CNT: 1
	.section	.text._ZL29rocblas_internal_gemmt_kernelIlLi16ELi32ELi8ELc84ELc84ELc85ELb0ELb0EddPKdPdEviT_T9_T10_S3_lS5_S3_lS4_T11_S3_li,"axG",@progbits,_ZL29rocblas_internal_gemmt_kernelIlLi16ELi32ELi8ELc84ELc84ELc85ELb0ELb0EddPKdPdEviT_T9_T10_S3_lS5_S3_lS4_T11_S3_li,comdat
	.globl	_ZL29rocblas_internal_gemmt_kernelIlLi16ELi32ELi8ELc84ELc84ELc85ELb0ELb0EddPKdPdEviT_T9_T10_S3_lS5_S3_lS4_T11_S3_li ; -- Begin function _ZL29rocblas_internal_gemmt_kernelIlLi16ELi32ELi8ELc84ELc84ELc85ELb0ELb0EddPKdPdEviT_T9_T10_S3_lS5_S3_lS4_T11_S3_li
	.p2align	8
	.type	_ZL29rocblas_internal_gemmt_kernelIlLi16ELi32ELi8ELc84ELc84ELc85ELb0ELb0EddPKdPdEviT_T9_T10_S3_lS5_S3_lS4_T11_S3_li,@function
_ZL29rocblas_internal_gemmt_kernelIlLi16ELi32ELi8ELc84ELc84ELc85ELb0ELb0EddPKdPdEviT_T9_T10_S3_lS5_S3_lS4_T11_S3_li: ; @_ZL29rocblas_internal_gemmt_kernelIlLi16ELi32ELi8ELc84ELc84ELc85ELb0ELb0EddPKdPdEviT_T9_T10_S3_lS5_S3_lS4_T11_S3_li
; %bb.0:
	s_clause 0x1
	s_load_b256 s[20:27], s[0:1], 0x48
	s_load_b512 s[4:19], s[0:1], 0x8
	s_wait_kmcnt 0x0
	v_cmp_neq_f64_e64 s2, s[20:21], 1.0
	s_and_b32 vcc_lo, exec_lo, s2
	s_cbranch_vccnz .LBB202_2
; %bb.1:
	v_cmp_neq_f64_e64 s2, s[6:7], 0
	s_cmp_lg_u64 s[4:5], 0
	s_cselect_b32 s3, -1, 0
	s_delay_alu instid0(SALU_CYCLE_1)
	s_and_b32 s2, s3, s2
.LBB202_2:
	s_delay_alu instid0(SALU_CYCLE_1)
	s_and_not1_b32 vcc_lo, exec_lo, s2
	s_cbranch_vccnz .LBB202_35
; %bb.3:
	s_load_b32 s30, s[0:1], 0x68
	s_lshr_b32 s28, ttmp7, 16
	s_wait_kmcnt 0x0
	s_cmp_ge_u32 s28, s30
	s_cbranch_scc1 .LBB202_35
; %bb.4:
	v_and_b32_e32 v9, 0x3ff, v0
	v_bfe_u32 v12, v0, 10, 10
	v_dual_mov_b32 v1, 0 :: v_dual_and_b32 v22, 7, v0
	s_load_b32 s29, s[0:1], 0x0
	s_lshl_b32 s2, ttmp9, 5
	s_delay_alu instid0(VALU_DEP_2)
	v_lshl_add_u32 v4, v12, 4, v9
	s_lshl_b32 s0, ttmp7, 5
	v_lshlrev_b32_e32 v8, 3, v22
	s_and_b32 s0, s0, 0x1fffe0
	s_ashr_i32 s1, s2, 31
	v_and_b32_e32 v0, 31, v4
	v_add_nc_u32_e32 v13, s0, v12
	v_lshrrev_b32_e32 v10, 3, v4
	v_cmp_neq_f64_e64 s33, s[6:7], 0
	s_mul_i32 s1, s10, s1
	v_or_b32_e32 v6, s2, v0
	v_cmp_neq_f64_e64 s31, s[20:21], 0
	v_lshrrev_b32_e32 v23, 5, v4
	v_mad_co_u64_u32 v[4:5], null, s24, v13, 0
	s_delay_alu instid0(VALU_DEP_4)
	v_mul_lo_u32 v7, s11, v6
	v_mad_co_u64_u32 v[2:3], null, s10, v6, 0
	v_add_nc_u32_e32 v14, 16, v13
	v_lshl_or_b32 v8, v10, 6, v8
	v_lshlrev_b32_e32 v0, 3, v0
	v_cmp_gt_i64_e64 s34, s[4:5], 0
	v_lshl_add_u32 v31, v12, 6, 0x800
	s_wait_alu 0xfffe
	v_add3_u32 v3, v3, s1, v7
	v_add_nc_u32_e32 v7, s0, v10
	s_wait_kmcnt 0x0
	v_cmp_gt_i32_e64 s0, s29, v6
	v_add_nc_u32_e32 v25, 0x800, v8
	v_lshl_or_b32 v24, v23, 8, v0
	v_mov_b32_e32 v0, v5
	v_cmp_gt_i32_e64 s1, s29, v7
	v_lshlrev_b32_e32 v8, 3, v7
	v_mad_co_u64_u32 v[6:7], null, s24, v14, 0
	v_lshlrev_b32_e32 v30, 3, v9
	v_lshlrev_b64_e32 v[2:3], 3, v[2:3]
	s_delay_alu instid0(VALU_DEP_4) | instskip(SKIP_4) | instid1(VALU_DEP_4)
	v_add_co_u32 v28, s3, s14, v8
	v_add_nc_u32_e32 v8, s2, v9
	v_mad_co_u64_u32 v[9:10], null, s25, v13, v[0:1]
	v_mov_b32_e32 v0, v7
	v_add_co_u32 v26, vcc_lo, s8, v2
	v_add_nc_u32_e32 v2, 16, v8
	v_add_co_ci_u32_e64 v27, null, s9, v3, vcc_lo
	s_delay_alu instid0(VALU_DEP_4)
	v_mad_co_u64_u32 v[10:11], null, s25, v14, v[0:1]
	s_wait_alu 0xf1ff
	v_add_co_ci_u32_e64 v29, null, s15, 0, s3
	v_cmp_gt_i32_e32 vcc_lo, s29, v13
	v_cmp_le_i32_e64 s2, v8, v13
	v_cmp_le_i32_e64 s3, v2, v13
	v_mov_b32_e32 v5, v9
	v_ashrrev_i32_e32 v9, 31, v8
	v_mov_b32_e32 v7, v10
	s_and_b32 s8, vcc_lo, s2
	s_and_b32 s9, vcc_lo, s3
	v_cmp_gt_i32_e32 vcc_lo, s29, v14
	v_cmp_le_i32_e64 s2, v8, v14
	v_cmp_le_i32_e64 s3, v2, v14
	v_lshlrev_b64_e32 v[4:5], 3, v[4:5]
	v_lshlrev_b64_e32 v[6:7], 3, v[6:7]
	;; [unrolled: 1-line block ×3, first 2 shown]
	v_ashrrev_i32_e32 v3, 31, v2
	s_and_b32 s10, s33, s34
	s_and_b32 s11, vcc_lo, s2
	s_and_b32 s14, vcc_lo, s3
	s_mov_b32 s29, 0
	s_branch .LBB202_6
.LBB202_5:                              ;   in Loop: Header=BB202_6 Depth=1
	s_wait_alu 0xfffe
	s_or_b32 exec_lo, exec_lo, s2
	s_add_co_i32 s28, s28, 0x10000
	s_wait_alu 0xfffe
	s_cmp_lt_u32 s28, s30
	s_cbranch_scc0 .LBB202_35
.LBB202_6:                              ; =>This Loop Header: Depth=1
                                        ;     Child Loop BB202_9 Depth 2
	v_mov_b32_e32 v16, 0
	v_dual_mov_b32 v12, 0 :: v_dual_mov_b32 v17, 0
	v_dual_mov_b32 v14, 0 :: v_dual_mov_b32 v13, 0
	v_dual_mov_b32 v10, 0 :: v_dual_mov_b32 v15, 0
	v_mov_b32_e32 v11, 0
	s_wait_alu 0xfffe
	s_and_not1_b32 vcc_lo, exec_lo, s10
	s_wait_alu 0xfffe
	s_cbranch_vccnz .LBB202_15
; %bb.7:                                ;   in Loop: Header=BB202_6 Depth=1
	s_mul_u64 s[2:3], s[12:13], s[28:29]
	s_mul_u64 s[24:25], s[18:19], s[28:29]
	s_wait_alu 0xfffe
	s_lshl_b64 s[2:3], s[2:3], 3
	v_mov_b32_e32 v10, 0
	s_wait_alu 0xfffe
	v_add_co_u32 v32, vcc_lo, v26, s2
	s_wait_alu 0xfffd
	v_add_co_ci_u32_e64 v33, null, s3, v27, vcc_lo
	s_lshl_b64 s[2:3], s[24:25], 3
	v_mov_b32_e32 v14, 0
	s_wait_alu 0xfffe
	v_add_co_u32 v34, vcc_lo, v28, s2
	v_dual_mov_b32 v11, 0 :: v_dual_mov_b32 v12, 0
	v_dual_mov_b32 v15, 0 :: v_dual_mov_b32 v16, 0
	v_mov_b32_e32 v13, 0
	v_mov_b32_e32 v17, 0
	s_wait_alu 0xfffd
	v_add_co_ci_u32_e64 v35, null, s3, v29, vcc_lo
	s_mov_b64 s[2:3], 0
	s_branch .LBB202_9
.LBB202_8:                              ;   in Loop: Header=BB202_9 Depth=2
	s_wait_alu 0xfffe
	s_or_b32 exec_lo, exec_lo, s15
	s_wait_loadcnt 0x0
	ds_store_b64 v25, v[20:21]
	s_wait_dscnt 0x0
	s_barrier_signal -1
	s_barrier_wait -1
	global_inv scope:SCOPE_SE
	ds_load_b128 v[18:21], v31
	ds_load_2addr_b64 v[36:39], v30 offset1:16
	ds_load_b128 v[40:43], v31 offset:1024
	ds_load_b128 v[44:47], v31 offset:16
	;; [unrolled: 1-line block ×3, first 2 shown]
	s_add_nc_u64 s[2:3], s[2:3], 8
	s_wait_alu 0xfffe
	v_cmp_gt_i64_e64 s15, s[4:5], s[2:3]
	s_and_b32 vcc_lo, exec_lo, s15
	s_wait_dscnt 0x3
	v_fma_f64 v[16:17], v[36:37], v[18:19], v[16:17]
	v_fma_f64 v[14:15], v[38:39], v[18:19], v[14:15]
	s_wait_dscnt 0x2
	v_fma_f64 v[18:19], v[36:37], v[40:41], v[12:13]
	v_fma_f64 v[36:37], v[38:39], v[40:41], v[10:11]
	ds_load_2addr_b64 v[10:13], v30 offset0:32 offset1:48
	s_wait_dscnt 0x0
	v_fma_f64 v[16:17], v[10:11], v[20:21], v[16:17]
	v_fma_f64 v[14:15], v[12:13], v[20:21], v[14:15]
	v_fma_f64 v[18:19], v[10:11], v[42:43], v[18:19]
	v_fma_f64 v[20:21], v[12:13], v[42:43], v[36:37]
	ds_load_2addr_b64 v[10:13], v30 offset0:64 offset1:80
	s_wait_dscnt 0x0
	v_fma_f64 v[16:17], v[10:11], v[44:45], v[16:17]
	v_fma_f64 v[14:15], v[12:13], v[44:45], v[14:15]
	;; [unrolled: 6-line block ×3, first 2 shown]
	v_fma_f64 v[48:49], v[10:11], v[50:51], v[18:19]
	v_fma_f64 v[50:51], v[12:13], v[50:51], v[20:21]
	ds_load_b128 v[10:13], v31 offset:32
	ds_load_2addr_b64 v[14:17], v30 offset0:128 offset1:144
	ds_load_b128 v[18:21], v31 offset:1056
	ds_load_b128 v[36:39], v31 offset:48
	ds_load_b128 v[40:43], v31 offset:1072
	s_wait_dscnt 0x3
	v_fma_f64 v[44:45], v[14:15], v[10:11], v[44:45]
	v_fma_f64 v[10:11], v[16:17], v[10:11], v[46:47]
	s_wait_dscnt 0x2
	v_fma_f64 v[46:47], v[14:15], v[18:19], v[48:49]
	v_fma_f64 v[18:19], v[16:17], v[18:19], v[50:51]
	ds_load_2addr_b64 v[14:17], v30 offset0:160 offset1:176
	s_wait_dscnt 0x0
	v_fma_f64 v[44:45], v[14:15], v[12:13], v[44:45]
	v_fma_f64 v[48:49], v[16:17], v[12:13], v[10:11]
	;; [unrolled: 1-line block ×4, first 2 shown]
	ds_load_2addr_b64 v[10:13], v30 offset0:192 offset1:208
	ds_load_2addr_b64 v[18:21], v30 offset0:224 offset1:240
	s_wait_loadcnt_dscnt 0x0
	s_barrier_signal -1
	s_barrier_wait -1
	global_inv scope:SCOPE_SE
	v_fma_f64 v[44:45], v[10:11], v[36:37], v[44:45]
	v_fma_f64 v[36:37], v[12:13], v[36:37], v[48:49]
	;; [unrolled: 1-line block ×4, first 2 shown]
	s_delay_alu instid0(VALU_DEP_4) | instskip(NEXT) | instid1(VALU_DEP_4)
	v_fma_f64 v[16:17], v[18:19], v[38:39], v[44:45]
	v_fma_f64 v[14:15], v[20:21], v[38:39], v[36:37]
	s_delay_alu instid0(VALU_DEP_4) | instskip(NEXT) | instid1(VALU_DEP_4)
	v_fma_f64 v[12:13], v[18:19], v[42:43], v[10:11]
	v_fma_f64 v[10:11], v[20:21], v[42:43], v[40:41]
	s_wait_alu 0xfffe
	s_cbranch_vccz .LBB202_15
.LBB202_9:                              ;   Parent Loop BB202_6 Depth=1
                                        ; =>  This Inner Loop Header: Depth=2
	v_mov_b32_e32 v18, 0
	v_mov_b32_e32 v19, 0
	s_and_saveexec_b32 s15, s0
	s_cbranch_execz .LBB202_13
; %bb.10:                               ;   in Loop: Header=BB202_9 Depth=2
	v_mov_b32_e32 v18, 0
	s_wait_alu 0xfffe
	v_dual_mov_b32 v19, 0 :: v_dual_add_nc_u32 v0, s2, v23
	s_mov_b32 s24, exec_lo
	s_delay_alu instid0(VALU_DEP_1)
	v_cmpx_gt_u64_e64 s[4:5], v[0:1]
	s_cbranch_execz .LBB202_12
; %bb.11:                               ;   in Loop: Header=BB202_9 Depth=2
	v_lshlrev_b64_e32 v[18:19], 3, v[0:1]
	s_delay_alu instid0(VALU_DEP_1) | instskip(SKIP_1) | instid1(VALU_DEP_2)
	v_add_co_u32 v18, vcc_lo, v32, v18
	s_wait_alu 0xfffd
	v_add_co_ci_u32_e64 v19, null, v33, v19, vcc_lo
	global_load_b64 v[18:19], v[18:19], off
.LBB202_12:                             ;   in Loop: Header=BB202_9 Depth=2
	s_wait_alu 0xfffe
	s_or_b32 exec_lo, exec_lo, s24
.LBB202_13:                             ;   in Loop: Header=BB202_9 Depth=2
	s_wait_alu 0xfffe
	s_or_b32 exec_lo, exec_lo, s15
	v_add_nc_u32_e32 v0, s2, v22
	v_mov_b32_e32 v20, 0
	v_mov_b32_e32 v21, 0
	s_wait_loadcnt 0x0
	ds_store_b64 v24, v[18:19]
	v_cmp_gt_u64_e32 vcc_lo, s[4:5], v[0:1]
	s_and_b32 s24, vcc_lo, s1
	s_wait_alu 0xfffe
	s_and_saveexec_b32 s15, s24
	s_cbranch_execz .LBB202_8
; %bb.14:                               ;   in Loop: Header=BB202_9 Depth=2
	v_mad_co_u64_u32 v[18:19], null, s16, v0, 0
	s_delay_alu instid0(VALU_DEP_1) | instskip(NEXT) | instid1(VALU_DEP_1)
	v_mad_co_u64_u32 v[19:20], null, s17, v0, v[19:20]
	v_lshlrev_b64_e32 v[18:19], 3, v[18:19]
	s_delay_alu instid0(VALU_DEP_1) | instskip(SKIP_1) | instid1(VALU_DEP_2)
	v_add_co_u32 v18, vcc_lo, v34, v18
	s_wait_alu 0xfffd
	v_add_co_ci_u32_e64 v19, null, v35, v19, vcc_lo
	global_load_b64 v[20:21], v[18:19], off
	s_branch .LBB202_8
.LBB202_15:                             ;   in Loop: Header=BB202_6 Depth=1
	s_mul_u64 s[2:3], s[26:27], s[28:29]
	s_wait_alu 0xfffe
	s_lshl_b64 s[2:3], s[2:3], 3
	s_wait_alu 0xfffe
	s_add_nc_u64 s[2:3], s[22:23], s[2:3]
	s_wait_alu 0xfffe
	v_add_co_u32 v0, vcc_lo, s2, v4
	s_wait_alu 0xfffd
	v_add_co_ci_u32_e64 v18, null, s3, v5, vcc_lo
	s_and_saveexec_b32 s15, s8
	s_cbranch_execz .LBB202_19
; %bb.16:                               ;   in Loop: Header=BB202_6 Depth=1
	v_mul_f64_e32 v[16:17], s[6:7], v[16:17]
	s_and_b32 vcc_lo, exec_lo, s31
	s_wait_alu 0xfffe
	s_cbranch_vccz .LBB202_30
; %bb.17:                               ;   in Loop: Header=BB202_6 Depth=1
	v_add_co_u32 v19, vcc_lo, v0, v8
	s_wait_alu 0xfffd
	v_add_co_ci_u32_e64 v20, null, v18, v9, vcc_lo
	global_load_b64 v[32:33], v[19:20], off
	s_wait_loadcnt 0x0
	v_fma_f64 v[32:33], s[20:21], v[32:33], v[16:17]
	global_store_b64 v[19:20], v[32:33], off
	s_cbranch_execnz .LBB202_19
.LBB202_18:                             ;   in Loop: Header=BB202_6 Depth=1
	v_add_co_u32 v19, vcc_lo, v0, v8
	s_wait_alu 0xfffd
	v_add_co_ci_u32_e64 v20, null, v18, v9, vcc_lo
	global_store_b64 v[19:20], v[16:17], off
.LBB202_19:                             ;   in Loop: Header=BB202_6 Depth=1
	s_wait_alu 0xfffe
	s_or_b32 exec_lo, exec_lo, s15
	s_and_saveexec_b32 s15, s9
	s_cbranch_execz .LBB202_23
; %bb.20:                               ;   in Loop: Header=BB202_6 Depth=1
	v_mul_f64_e32 v[14:15], s[6:7], v[14:15]
	s_and_not1_b32 vcc_lo, exec_lo, s31
	s_wait_alu 0xfffe
	s_cbranch_vccnz .LBB202_31
; %bb.21:                               ;   in Loop: Header=BB202_6 Depth=1
	v_lshlrev_b64_e32 v[16:17], 3, v[2:3]
	s_delay_alu instid0(VALU_DEP_1) | instskip(SKIP_1) | instid1(VALU_DEP_2)
	v_add_co_u32 v16, vcc_lo, v0, v16
	s_wait_alu 0xfffd
	v_add_co_ci_u32_e64 v17, null, v18, v17, vcc_lo
	global_load_b64 v[19:20], v[16:17], off
	s_wait_loadcnt 0x0
	v_fma_f64 v[19:20], s[20:21], v[19:20], v[14:15]
	global_store_b64 v[16:17], v[19:20], off
	s_cbranch_execnz .LBB202_23
.LBB202_22:                             ;   in Loop: Header=BB202_6 Depth=1
	v_lshlrev_b64_e32 v[16:17], 3, v[2:3]
	s_delay_alu instid0(VALU_DEP_1) | instskip(SKIP_1) | instid1(VALU_DEP_2)
	v_add_co_u32 v16, vcc_lo, v0, v16
	s_wait_alu 0xfffd
	v_add_co_ci_u32_e64 v17, null, v18, v17, vcc_lo
	global_store_b64 v[16:17], v[14:15], off
.LBB202_23:                             ;   in Loop: Header=BB202_6 Depth=1
	s_wait_alu 0xfffe
	s_or_b32 exec_lo, exec_lo, s15
	v_add_co_u32 v0, vcc_lo, s2, v6
	s_wait_alu 0xfffd
	v_add_co_ci_u32_e64 v14, null, s3, v7, vcc_lo
	s_and_saveexec_b32 s2, s11
	s_cbranch_execz .LBB202_27
; %bb.24:                               ;   in Loop: Header=BB202_6 Depth=1
	v_mul_f64_e32 v[12:13], s[6:7], v[12:13]
	s_and_not1_b32 vcc_lo, exec_lo, s31
	s_wait_alu 0xfffe
	s_cbranch_vccnz .LBB202_32
; %bb.25:                               ;   in Loop: Header=BB202_6 Depth=1
	v_add_co_u32 v15, vcc_lo, v0, v8
	s_wait_alu 0xfffd
	v_add_co_ci_u32_e64 v16, null, v14, v9, vcc_lo
	global_load_b64 v[17:18], v[15:16], off
	s_wait_loadcnt 0x0
	v_fma_f64 v[17:18], s[20:21], v[17:18], v[12:13]
	global_store_b64 v[15:16], v[17:18], off
	s_cbranch_execnz .LBB202_27
.LBB202_26:                             ;   in Loop: Header=BB202_6 Depth=1
	v_add_co_u32 v15, vcc_lo, v0, v8
	s_wait_alu 0xfffd
	v_add_co_ci_u32_e64 v16, null, v14, v9, vcc_lo
	global_store_b64 v[15:16], v[12:13], off
.LBB202_27:                             ;   in Loop: Header=BB202_6 Depth=1
	s_wait_alu 0xfffe
	s_or_b32 exec_lo, exec_lo, s2
	s_and_saveexec_b32 s2, s14
	s_cbranch_execz .LBB202_5
; %bb.28:                               ;   in Loop: Header=BB202_6 Depth=1
	v_mul_f64_e32 v[10:11], s[6:7], v[10:11]
	v_lshlrev_b64_e32 v[12:13], 3, v[2:3]
	s_and_not1_b32 vcc_lo, exec_lo, s31
	s_wait_alu 0xfffe
	s_cbranch_vccnz .LBB202_33
; %bb.29:                               ;   in Loop: Header=BB202_6 Depth=1
	s_delay_alu instid0(VALU_DEP_1)
	v_add_co_u32 v15, vcc_lo, v0, v12
	s_wait_alu 0xfffd
	v_add_co_ci_u32_e64 v16, null, v14, v13, vcc_lo
	global_load_b64 v[17:18], v[15:16], off
	s_wait_loadcnt 0x0
	v_fma_f64 v[17:18], s[20:21], v[17:18], v[10:11]
	global_store_b64 v[15:16], v[17:18], off
	s_cbranch_execnz .LBB202_5
	s_branch .LBB202_34
.LBB202_30:                             ;   in Loop: Header=BB202_6 Depth=1
	s_branch .LBB202_18
.LBB202_31:                             ;   in Loop: Header=BB202_6 Depth=1
	s_branch .LBB202_22
.LBB202_32:                             ;   in Loop: Header=BB202_6 Depth=1
	s_branch .LBB202_26
.LBB202_33:                             ;   in Loop: Header=BB202_6 Depth=1
.LBB202_34:                             ;   in Loop: Header=BB202_6 Depth=1
	s_delay_alu instid0(VALU_DEP_1)
	v_add_co_u32 v12, vcc_lo, v0, v12
	s_wait_alu 0xfffd
	v_add_co_ci_u32_e64 v13, null, v14, v13, vcc_lo
	global_store_b64 v[12:13], v[10:11], off
	s_branch .LBB202_5
.LBB202_35:
	s_endpgm
	.section	.rodata,"a",@progbits
	.p2align	6, 0x0
	.amdhsa_kernel _ZL29rocblas_internal_gemmt_kernelIlLi16ELi32ELi8ELc84ELc84ELc85ELb0ELb0EddPKdPdEviT_T9_T10_S3_lS5_S3_lS4_T11_S3_li
		.amdhsa_group_segment_fixed_size 4096
		.amdhsa_private_segment_fixed_size 0
		.amdhsa_kernarg_size 108
		.amdhsa_user_sgpr_count 2
		.amdhsa_user_sgpr_dispatch_ptr 0
		.amdhsa_user_sgpr_queue_ptr 0
		.amdhsa_user_sgpr_kernarg_segment_ptr 1
		.amdhsa_user_sgpr_dispatch_id 0
		.amdhsa_user_sgpr_private_segment_size 0
		.amdhsa_wavefront_size32 1
		.amdhsa_uses_dynamic_stack 0
		.amdhsa_enable_private_segment 0
		.amdhsa_system_sgpr_workgroup_id_x 1
		.amdhsa_system_sgpr_workgroup_id_y 1
		.amdhsa_system_sgpr_workgroup_id_z 1
		.amdhsa_system_sgpr_workgroup_info 0
		.amdhsa_system_vgpr_workitem_id 1
		.amdhsa_next_free_vgpr 52
		.amdhsa_next_free_sgpr 35
		.amdhsa_reserve_vcc 1
		.amdhsa_float_round_mode_32 0
		.amdhsa_float_round_mode_16_64 0
		.amdhsa_float_denorm_mode_32 3
		.amdhsa_float_denorm_mode_16_64 3
		.amdhsa_fp16_overflow 0
		.amdhsa_workgroup_processor_mode 1
		.amdhsa_memory_ordered 1
		.amdhsa_forward_progress 1
		.amdhsa_inst_pref_size 16
		.amdhsa_round_robin_scheduling 0
		.amdhsa_exception_fp_ieee_invalid_op 0
		.amdhsa_exception_fp_denorm_src 0
		.amdhsa_exception_fp_ieee_div_zero 0
		.amdhsa_exception_fp_ieee_overflow 0
		.amdhsa_exception_fp_ieee_underflow 0
		.amdhsa_exception_fp_ieee_inexact 0
		.amdhsa_exception_int_div_zero 0
	.end_amdhsa_kernel
	.section	.text._ZL29rocblas_internal_gemmt_kernelIlLi16ELi32ELi8ELc84ELc84ELc85ELb0ELb0EddPKdPdEviT_T9_T10_S3_lS5_S3_lS4_T11_S3_li,"axG",@progbits,_ZL29rocblas_internal_gemmt_kernelIlLi16ELi32ELi8ELc84ELc84ELc85ELb0ELb0EddPKdPdEviT_T9_T10_S3_lS5_S3_lS4_T11_S3_li,comdat
.Lfunc_end202:
	.size	_ZL29rocblas_internal_gemmt_kernelIlLi16ELi32ELi8ELc84ELc84ELc85ELb0ELb0EddPKdPdEviT_T9_T10_S3_lS5_S3_lS4_T11_S3_li, .Lfunc_end202-_ZL29rocblas_internal_gemmt_kernelIlLi16ELi32ELi8ELc84ELc84ELc85ELb0ELb0EddPKdPdEviT_T9_T10_S3_lS5_S3_lS4_T11_S3_li
                                        ; -- End function
	.set _ZL29rocblas_internal_gemmt_kernelIlLi16ELi32ELi8ELc84ELc84ELc85ELb0ELb0EddPKdPdEviT_T9_T10_S3_lS5_S3_lS4_T11_S3_li.num_vgpr, 52
	.set _ZL29rocblas_internal_gemmt_kernelIlLi16ELi32ELi8ELc84ELc84ELc85ELb0ELb0EddPKdPdEviT_T9_T10_S3_lS5_S3_lS4_T11_S3_li.num_agpr, 0
	.set _ZL29rocblas_internal_gemmt_kernelIlLi16ELi32ELi8ELc84ELc84ELc85ELb0ELb0EddPKdPdEviT_T9_T10_S3_lS5_S3_lS4_T11_S3_li.numbered_sgpr, 35
	.set _ZL29rocblas_internal_gemmt_kernelIlLi16ELi32ELi8ELc84ELc84ELc85ELb0ELb0EddPKdPdEviT_T9_T10_S3_lS5_S3_lS4_T11_S3_li.num_named_barrier, 0
	.set _ZL29rocblas_internal_gemmt_kernelIlLi16ELi32ELi8ELc84ELc84ELc85ELb0ELb0EddPKdPdEviT_T9_T10_S3_lS5_S3_lS4_T11_S3_li.private_seg_size, 0
	.set _ZL29rocblas_internal_gemmt_kernelIlLi16ELi32ELi8ELc84ELc84ELc85ELb0ELb0EddPKdPdEviT_T9_T10_S3_lS5_S3_lS4_T11_S3_li.uses_vcc, 1
	.set _ZL29rocblas_internal_gemmt_kernelIlLi16ELi32ELi8ELc84ELc84ELc85ELb0ELb0EddPKdPdEviT_T9_T10_S3_lS5_S3_lS4_T11_S3_li.uses_flat_scratch, 0
	.set _ZL29rocblas_internal_gemmt_kernelIlLi16ELi32ELi8ELc84ELc84ELc85ELb0ELb0EddPKdPdEviT_T9_T10_S3_lS5_S3_lS4_T11_S3_li.has_dyn_sized_stack, 0
	.set _ZL29rocblas_internal_gemmt_kernelIlLi16ELi32ELi8ELc84ELc84ELc85ELb0ELb0EddPKdPdEviT_T9_T10_S3_lS5_S3_lS4_T11_S3_li.has_recursion, 0
	.set _ZL29rocblas_internal_gemmt_kernelIlLi16ELi32ELi8ELc84ELc84ELc85ELb0ELb0EddPKdPdEviT_T9_T10_S3_lS5_S3_lS4_T11_S3_li.has_indirect_call, 0
	.section	.AMDGPU.csdata,"",@progbits
; Kernel info:
; codeLenInByte = 2040
; TotalNumSgprs: 37
; NumVgprs: 52
; ScratchSize: 0
; MemoryBound: 0
; FloatMode: 240
; IeeeMode: 1
; LDSByteSize: 4096 bytes/workgroup (compile time only)
; SGPRBlocks: 0
; VGPRBlocks: 6
; NumSGPRsForWavesPerEU: 37
; NumVGPRsForWavesPerEU: 52
; Occupancy: 16
; WaveLimiterHint : 0
; COMPUTE_PGM_RSRC2:SCRATCH_EN: 0
; COMPUTE_PGM_RSRC2:USER_SGPR: 2
; COMPUTE_PGM_RSRC2:TRAP_HANDLER: 0
; COMPUTE_PGM_RSRC2:TGID_X_EN: 1
; COMPUTE_PGM_RSRC2:TGID_Y_EN: 1
; COMPUTE_PGM_RSRC2:TGID_Z_EN: 1
; COMPUTE_PGM_RSRC2:TIDIG_COMP_CNT: 1
	.section	.text._ZL29rocblas_internal_gemmt_kernelIlLi16ELi32ELi8ELc84ELc67ELc85ELb0ELb0EddPKdPdEviT_T9_T10_S3_lS5_S3_lS4_T11_S3_li,"axG",@progbits,_ZL29rocblas_internal_gemmt_kernelIlLi16ELi32ELi8ELc84ELc67ELc85ELb0ELb0EddPKdPdEviT_T9_T10_S3_lS5_S3_lS4_T11_S3_li,comdat
	.globl	_ZL29rocblas_internal_gemmt_kernelIlLi16ELi32ELi8ELc84ELc67ELc85ELb0ELb0EddPKdPdEviT_T9_T10_S3_lS5_S3_lS4_T11_S3_li ; -- Begin function _ZL29rocblas_internal_gemmt_kernelIlLi16ELi32ELi8ELc84ELc67ELc85ELb0ELb0EddPKdPdEviT_T9_T10_S3_lS5_S3_lS4_T11_S3_li
	.p2align	8
	.type	_ZL29rocblas_internal_gemmt_kernelIlLi16ELi32ELi8ELc84ELc67ELc85ELb0ELb0EddPKdPdEviT_T9_T10_S3_lS5_S3_lS4_T11_S3_li,@function
_ZL29rocblas_internal_gemmt_kernelIlLi16ELi32ELi8ELc84ELc67ELc85ELb0ELb0EddPKdPdEviT_T9_T10_S3_lS5_S3_lS4_T11_S3_li: ; @_ZL29rocblas_internal_gemmt_kernelIlLi16ELi32ELi8ELc84ELc67ELc85ELb0ELb0EddPKdPdEviT_T9_T10_S3_lS5_S3_lS4_T11_S3_li
; %bb.0:
	s_clause 0x1
	s_load_b256 s[20:27], s[0:1], 0x48
	s_load_b512 s[4:19], s[0:1], 0x8
	s_wait_kmcnt 0x0
	v_cmp_neq_f64_e64 s2, s[20:21], 1.0
	s_and_b32 vcc_lo, exec_lo, s2
	s_cbranch_vccnz .LBB203_2
; %bb.1:
	v_cmp_neq_f64_e64 s2, s[6:7], 0
	s_cmp_lg_u64 s[4:5], 0
	s_cselect_b32 s3, -1, 0
	s_delay_alu instid0(SALU_CYCLE_1)
	s_and_b32 s2, s3, s2
.LBB203_2:
	s_delay_alu instid0(SALU_CYCLE_1)
	s_and_not1_b32 vcc_lo, exec_lo, s2
	s_cbranch_vccnz .LBB203_35
; %bb.3:
	s_load_b32 s30, s[0:1], 0x68
	s_lshr_b32 s28, ttmp7, 16
	s_wait_kmcnt 0x0
	s_cmp_ge_u32 s28, s30
	s_cbranch_scc1 .LBB203_35
; %bb.4:
	v_and_b32_e32 v9, 0x3ff, v0
	v_bfe_u32 v12, v0, 10, 10
	v_dual_mov_b32 v1, 0 :: v_dual_and_b32 v22, 7, v0
	s_load_b32 s29, s[0:1], 0x0
	s_lshl_b32 s2, ttmp9, 5
	s_delay_alu instid0(VALU_DEP_2)
	v_lshl_add_u32 v4, v12, 4, v9
	s_lshl_b32 s0, ttmp7, 5
	v_lshlrev_b32_e32 v8, 3, v22
	s_and_b32 s0, s0, 0x1fffe0
	s_ashr_i32 s1, s2, 31
	v_and_b32_e32 v0, 31, v4
	v_add_nc_u32_e32 v13, s0, v12
	v_lshrrev_b32_e32 v10, 3, v4
	v_cmp_neq_f64_e64 s33, s[6:7], 0
	s_mul_i32 s1, s10, s1
	v_or_b32_e32 v6, s2, v0
	v_cmp_neq_f64_e64 s31, s[20:21], 0
	v_lshrrev_b32_e32 v23, 5, v4
	v_mad_co_u64_u32 v[4:5], null, s24, v13, 0
	s_delay_alu instid0(VALU_DEP_4)
	v_mul_lo_u32 v7, s11, v6
	v_mad_co_u64_u32 v[2:3], null, s10, v6, 0
	v_add_nc_u32_e32 v14, 16, v13
	v_lshl_or_b32 v8, v10, 6, v8
	v_lshlrev_b32_e32 v0, 3, v0
	v_cmp_gt_i64_e64 s34, s[4:5], 0
	v_lshl_add_u32 v31, v12, 6, 0x800
	s_wait_alu 0xfffe
	v_add3_u32 v3, v3, s1, v7
	v_add_nc_u32_e32 v7, s0, v10
	s_wait_kmcnt 0x0
	v_cmp_gt_i32_e64 s0, s29, v6
	v_add_nc_u32_e32 v25, 0x800, v8
	v_lshl_or_b32 v24, v23, 8, v0
	v_mov_b32_e32 v0, v5
	v_cmp_gt_i32_e64 s1, s29, v7
	v_lshlrev_b32_e32 v8, 3, v7
	v_mad_co_u64_u32 v[6:7], null, s24, v14, 0
	v_lshlrev_b32_e32 v30, 3, v9
	v_lshlrev_b64_e32 v[2:3], 3, v[2:3]
	s_delay_alu instid0(VALU_DEP_4) | instskip(SKIP_4) | instid1(VALU_DEP_4)
	v_add_co_u32 v28, s3, s14, v8
	v_add_nc_u32_e32 v8, s2, v9
	v_mad_co_u64_u32 v[9:10], null, s25, v13, v[0:1]
	v_mov_b32_e32 v0, v7
	v_add_co_u32 v26, vcc_lo, s8, v2
	v_add_nc_u32_e32 v2, 16, v8
	v_add_co_ci_u32_e64 v27, null, s9, v3, vcc_lo
	s_delay_alu instid0(VALU_DEP_4)
	v_mad_co_u64_u32 v[10:11], null, s25, v14, v[0:1]
	s_wait_alu 0xf1ff
	v_add_co_ci_u32_e64 v29, null, s15, 0, s3
	v_cmp_gt_i32_e32 vcc_lo, s29, v13
	v_cmp_le_i32_e64 s2, v8, v13
	v_cmp_le_i32_e64 s3, v2, v13
	v_mov_b32_e32 v5, v9
	v_ashrrev_i32_e32 v9, 31, v8
	v_mov_b32_e32 v7, v10
	s_and_b32 s8, vcc_lo, s2
	s_and_b32 s9, vcc_lo, s3
	v_cmp_gt_i32_e32 vcc_lo, s29, v14
	v_cmp_le_i32_e64 s2, v8, v14
	v_cmp_le_i32_e64 s3, v2, v14
	v_lshlrev_b64_e32 v[4:5], 3, v[4:5]
	v_lshlrev_b64_e32 v[6:7], 3, v[6:7]
	;; [unrolled: 1-line block ×3, first 2 shown]
	v_ashrrev_i32_e32 v3, 31, v2
	s_and_b32 s10, s33, s34
	s_and_b32 s11, vcc_lo, s2
	s_and_b32 s14, vcc_lo, s3
	s_mov_b32 s29, 0
	s_branch .LBB203_6
.LBB203_5:                              ;   in Loop: Header=BB203_6 Depth=1
	s_wait_alu 0xfffe
	s_or_b32 exec_lo, exec_lo, s2
	s_add_co_i32 s28, s28, 0x10000
	s_wait_alu 0xfffe
	s_cmp_lt_u32 s28, s30
	s_cbranch_scc0 .LBB203_35
.LBB203_6:                              ; =>This Loop Header: Depth=1
                                        ;     Child Loop BB203_9 Depth 2
	v_mov_b32_e32 v16, 0
	v_dual_mov_b32 v12, 0 :: v_dual_mov_b32 v17, 0
	v_dual_mov_b32 v14, 0 :: v_dual_mov_b32 v13, 0
	;; [unrolled: 1-line block ×3, first 2 shown]
	v_mov_b32_e32 v11, 0
	s_wait_alu 0xfffe
	s_and_not1_b32 vcc_lo, exec_lo, s10
	s_wait_alu 0xfffe
	s_cbranch_vccnz .LBB203_15
; %bb.7:                                ;   in Loop: Header=BB203_6 Depth=1
	s_mul_u64 s[2:3], s[12:13], s[28:29]
	s_mul_u64 s[24:25], s[18:19], s[28:29]
	s_wait_alu 0xfffe
	s_lshl_b64 s[2:3], s[2:3], 3
	v_mov_b32_e32 v10, 0
	s_wait_alu 0xfffe
	v_add_co_u32 v32, vcc_lo, v26, s2
	s_wait_alu 0xfffd
	v_add_co_ci_u32_e64 v33, null, s3, v27, vcc_lo
	s_lshl_b64 s[2:3], s[24:25], 3
	v_mov_b32_e32 v14, 0
	s_wait_alu 0xfffe
	v_add_co_u32 v34, vcc_lo, v28, s2
	v_dual_mov_b32 v11, 0 :: v_dual_mov_b32 v12, 0
	v_dual_mov_b32 v15, 0 :: v_dual_mov_b32 v16, 0
	v_mov_b32_e32 v13, 0
	v_mov_b32_e32 v17, 0
	s_wait_alu 0xfffd
	v_add_co_ci_u32_e64 v35, null, s3, v29, vcc_lo
	s_mov_b64 s[2:3], 0
	s_branch .LBB203_9
.LBB203_8:                              ;   in Loop: Header=BB203_9 Depth=2
	s_wait_alu 0xfffe
	s_or_b32 exec_lo, exec_lo, s15
	s_wait_loadcnt 0x0
	ds_store_b64 v25, v[20:21]
	s_wait_dscnt 0x0
	s_barrier_signal -1
	s_barrier_wait -1
	global_inv scope:SCOPE_SE
	ds_load_b128 v[18:21], v31
	ds_load_2addr_b64 v[36:39], v30 offset1:16
	ds_load_b128 v[40:43], v31 offset:1024
	ds_load_b128 v[44:47], v31 offset:16
	;; [unrolled: 1-line block ×3, first 2 shown]
	s_add_nc_u64 s[2:3], s[2:3], 8
	s_wait_alu 0xfffe
	v_cmp_gt_i64_e64 s15, s[4:5], s[2:3]
	s_and_b32 vcc_lo, exec_lo, s15
	s_wait_dscnt 0x3
	v_fma_f64 v[16:17], v[36:37], v[18:19], v[16:17]
	v_fma_f64 v[14:15], v[38:39], v[18:19], v[14:15]
	s_wait_dscnt 0x2
	v_fma_f64 v[18:19], v[36:37], v[40:41], v[12:13]
	v_fma_f64 v[36:37], v[38:39], v[40:41], v[10:11]
	ds_load_2addr_b64 v[10:13], v30 offset0:32 offset1:48
	s_wait_dscnt 0x0
	v_fma_f64 v[16:17], v[10:11], v[20:21], v[16:17]
	v_fma_f64 v[14:15], v[12:13], v[20:21], v[14:15]
	v_fma_f64 v[18:19], v[10:11], v[42:43], v[18:19]
	v_fma_f64 v[20:21], v[12:13], v[42:43], v[36:37]
	ds_load_2addr_b64 v[10:13], v30 offset0:64 offset1:80
	s_wait_dscnt 0x0
	v_fma_f64 v[16:17], v[10:11], v[44:45], v[16:17]
	v_fma_f64 v[14:15], v[12:13], v[44:45], v[14:15]
	;; [unrolled: 6-line block ×3, first 2 shown]
	v_fma_f64 v[48:49], v[10:11], v[50:51], v[18:19]
	v_fma_f64 v[50:51], v[12:13], v[50:51], v[20:21]
	ds_load_b128 v[10:13], v31 offset:32
	ds_load_2addr_b64 v[14:17], v30 offset0:128 offset1:144
	ds_load_b128 v[18:21], v31 offset:1056
	ds_load_b128 v[36:39], v31 offset:48
	;; [unrolled: 1-line block ×3, first 2 shown]
	s_wait_dscnt 0x3
	v_fma_f64 v[44:45], v[14:15], v[10:11], v[44:45]
	v_fma_f64 v[10:11], v[16:17], v[10:11], v[46:47]
	s_wait_dscnt 0x2
	v_fma_f64 v[46:47], v[14:15], v[18:19], v[48:49]
	v_fma_f64 v[18:19], v[16:17], v[18:19], v[50:51]
	ds_load_2addr_b64 v[14:17], v30 offset0:160 offset1:176
	s_wait_dscnt 0x0
	v_fma_f64 v[44:45], v[14:15], v[12:13], v[44:45]
	v_fma_f64 v[48:49], v[16:17], v[12:13], v[10:11]
	;; [unrolled: 1-line block ×4, first 2 shown]
	ds_load_2addr_b64 v[10:13], v30 offset0:192 offset1:208
	ds_load_2addr_b64 v[18:21], v30 offset0:224 offset1:240
	s_wait_loadcnt_dscnt 0x0
	s_barrier_signal -1
	s_barrier_wait -1
	global_inv scope:SCOPE_SE
	v_fma_f64 v[44:45], v[10:11], v[36:37], v[44:45]
	v_fma_f64 v[36:37], v[12:13], v[36:37], v[48:49]
	;; [unrolled: 1-line block ×4, first 2 shown]
	s_delay_alu instid0(VALU_DEP_4) | instskip(NEXT) | instid1(VALU_DEP_4)
	v_fma_f64 v[16:17], v[18:19], v[38:39], v[44:45]
	v_fma_f64 v[14:15], v[20:21], v[38:39], v[36:37]
	s_delay_alu instid0(VALU_DEP_4) | instskip(NEXT) | instid1(VALU_DEP_4)
	v_fma_f64 v[12:13], v[18:19], v[42:43], v[10:11]
	v_fma_f64 v[10:11], v[20:21], v[42:43], v[40:41]
	s_wait_alu 0xfffe
	s_cbranch_vccz .LBB203_15
.LBB203_9:                              ;   Parent Loop BB203_6 Depth=1
                                        ; =>  This Inner Loop Header: Depth=2
	v_mov_b32_e32 v18, 0
	v_mov_b32_e32 v19, 0
	s_and_saveexec_b32 s15, s0
	s_cbranch_execz .LBB203_13
; %bb.10:                               ;   in Loop: Header=BB203_9 Depth=2
	v_mov_b32_e32 v18, 0
	s_wait_alu 0xfffe
	v_dual_mov_b32 v19, 0 :: v_dual_add_nc_u32 v0, s2, v23
	s_mov_b32 s24, exec_lo
	s_delay_alu instid0(VALU_DEP_1)
	v_cmpx_gt_u64_e64 s[4:5], v[0:1]
	s_cbranch_execz .LBB203_12
; %bb.11:                               ;   in Loop: Header=BB203_9 Depth=2
	v_lshlrev_b64_e32 v[18:19], 3, v[0:1]
	s_delay_alu instid0(VALU_DEP_1) | instskip(SKIP_1) | instid1(VALU_DEP_2)
	v_add_co_u32 v18, vcc_lo, v32, v18
	s_wait_alu 0xfffd
	v_add_co_ci_u32_e64 v19, null, v33, v19, vcc_lo
	global_load_b64 v[18:19], v[18:19], off
.LBB203_12:                             ;   in Loop: Header=BB203_9 Depth=2
	s_wait_alu 0xfffe
	s_or_b32 exec_lo, exec_lo, s24
.LBB203_13:                             ;   in Loop: Header=BB203_9 Depth=2
	s_wait_alu 0xfffe
	s_or_b32 exec_lo, exec_lo, s15
	v_add_nc_u32_e32 v0, s2, v22
	v_mov_b32_e32 v20, 0
	v_mov_b32_e32 v21, 0
	s_wait_loadcnt 0x0
	ds_store_b64 v24, v[18:19]
	v_cmp_gt_u64_e32 vcc_lo, s[4:5], v[0:1]
	s_and_b32 s24, vcc_lo, s1
	s_wait_alu 0xfffe
	s_and_saveexec_b32 s15, s24
	s_cbranch_execz .LBB203_8
; %bb.14:                               ;   in Loop: Header=BB203_9 Depth=2
	v_mad_co_u64_u32 v[18:19], null, s16, v0, 0
	s_delay_alu instid0(VALU_DEP_1) | instskip(NEXT) | instid1(VALU_DEP_1)
	v_mad_co_u64_u32 v[19:20], null, s17, v0, v[19:20]
	v_lshlrev_b64_e32 v[18:19], 3, v[18:19]
	s_delay_alu instid0(VALU_DEP_1) | instskip(SKIP_1) | instid1(VALU_DEP_2)
	v_add_co_u32 v18, vcc_lo, v34, v18
	s_wait_alu 0xfffd
	v_add_co_ci_u32_e64 v19, null, v35, v19, vcc_lo
	global_load_b64 v[20:21], v[18:19], off
	s_branch .LBB203_8
.LBB203_15:                             ;   in Loop: Header=BB203_6 Depth=1
	s_mul_u64 s[2:3], s[26:27], s[28:29]
	s_wait_alu 0xfffe
	s_lshl_b64 s[2:3], s[2:3], 3
	s_wait_alu 0xfffe
	s_add_nc_u64 s[2:3], s[22:23], s[2:3]
	s_wait_alu 0xfffe
	v_add_co_u32 v0, vcc_lo, s2, v4
	s_wait_alu 0xfffd
	v_add_co_ci_u32_e64 v18, null, s3, v5, vcc_lo
	s_and_saveexec_b32 s15, s8
	s_cbranch_execz .LBB203_19
; %bb.16:                               ;   in Loop: Header=BB203_6 Depth=1
	v_mul_f64_e32 v[16:17], s[6:7], v[16:17]
	s_and_b32 vcc_lo, exec_lo, s31
	s_wait_alu 0xfffe
	s_cbranch_vccz .LBB203_30
; %bb.17:                               ;   in Loop: Header=BB203_6 Depth=1
	v_add_co_u32 v19, vcc_lo, v0, v8
	s_wait_alu 0xfffd
	v_add_co_ci_u32_e64 v20, null, v18, v9, vcc_lo
	global_load_b64 v[32:33], v[19:20], off
	s_wait_loadcnt 0x0
	v_fma_f64 v[32:33], s[20:21], v[32:33], v[16:17]
	global_store_b64 v[19:20], v[32:33], off
	s_cbranch_execnz .LBB203_19
.LBB203_18:                             ;   in Loop: Header=BB203_6 Depth=1
	v_add_co_u32 v19, vcc_lo, v0, v8
	s_wait_alu 0xfffd
	v_add_co_ci_u32_e64 v20, null, v18, v9, vcc_lo
	global_store_b64 v[19:20], v[16:17], off
.LBB203_19:                             ;   in Loop: Header=BB203_6 Depth=1
	s_wait_alu 0xfffe
	s_or_b32 exec_lo, exec_lo, s15
	s_and_saveexec_b32 s15, s9
	s_cbranch_execz .LBB203_23
; %bb.20:                               ;   in Loop: Header=BB203_6 Depth=1
	v_mul_f64_e32 v[14:15], s[6:7], v[14:15]
	s_and_not1_b32 vcc_lo, exec_lo, s31
	s_wait_alu 0xfffe
	s_cbranch_vccnz .LBB203_31
; %bb.21:                               ;   in Loop: Header=BB203_6 Depth=1
	v_lshlrev_b64_e32 v[16:17], 3, v[2:3]
	s_delay_alu instid0(VALU_DEP_1) | instskip(SKIP_1) | instid1(VALU_DEP_2)
	v_add_co_u32 v16, vcc_lo, v0, v16
	s_wait_alu 0xfffd
	v_add_co_ci_u32_e64 v17, null, v18, v17, vcc_lo
	global_load_b64 v[19:20], v[16:17], off
	s_wait_loadcnt 0x0
	v_fma_f64 v[19:20], s[20:21], v[19:20], v[14:15]
	global_store_b64 v[16:17], v[19:20], off
	s_cbranch_execnz .LBB203_23
.LBB203_22:                             ;   in Loop: Header=BB203_6 Depth=1
	v_lshlrev_b64_e32 v[16:17], 3, v[2:3]
	s_delay_alu instid0(VALU_DEP_1) | instskip(SKIP_1) | instid1(VALU_DEP_2)
	v_add_co_u32 v16, vcc_lo, v0, v16
	s_wait_alu 0xfffd
	v_add_co_ci_u32_e64 v17, null, v18, v17, vcc_lo
	global_store_b64 v[16:17], v[14:15], off
.LBB203_23:                             ;   in Loop: Header=BB203_6 Depth=1
	s_wait_alu 0xfffe
	s_or_b32 exec_lo, exec_lo, s15
	v_add_co_u32 v0, vcc_lo, s2, v6
	s_wait_alu 0xfffd
	v_add_co_ci_u32_e64 v14, null, s3, v7, vcc_lo
	s_and_saveexec_b32 s2, s11
	s_cbranch_execz .LBB203_27
; %bb.24:                               ;   in Loop: Header=BB203_6 Depth=1
	v_mul_f64_e32 v[12:13], s[6:7], v[12:13]
	s_and_not1_b32 vcc_lo, exec_lo, s31
	s_wait_alu 0xfffe
	s_cbranch_vccnz .LBB203_32
; %bb.25:                               ;   in Loop: Header=BB203_6 Depth=1
	v_add_co_u32 v15, vcc_lo, v0, v8
	s_wait_alu 0xfffd
	v_add_co_ci_u32_e64 v16, null, v14, v9, vcc_lo
	global_load_b64 v[17:18], v[15:16], off
	s_wait_loadcnt 0x0
	v_fma_f64 v[17:18], s[20:21], v[17:18], v[12:13]
	global_store_b64 v[15:16], v[17:18], off
	s_cbranch_execnz .LBB203_27
.LBB203_26:                             ;   in Loop: Header=BB203_6 Depth=1
	v_add_co_u32 v15, vcc_lo, v0, v8
	s_wait_alu 0xfffd
	v_add_co_ci_u32_e64 v16, null, v14, v9, vcc_lo
	global_store_b64 v[15:16], v[12:13], off
.LBB203_27:                             ;   in Loop: Header=BB203_6 Depth=1
	s_wait_alu 0xfffe
	s_or_b32 exec_lo, exec_lo, s2
	s_and_saveexec_b32 s2, s14
	s_cbranch_execz .LBB203_5
; %bb.28:                               ;   in Loop: Header=BB203_6 Depth=1
	v_mul_f64_e32 v[10:11], s[6:7], v[10:11]
	v_lshlrev_b64_e32 v[12:13], 3, v[2:3]
	s_and_not1_b32 vcc_lo, exec_lo, s31
	s_wait_alu 0xfffe
	s_cbranch_vccnz .LBB203_33
; %bb.29:                               ;   in Loop: Header=BB203_6 Depth=1
	s_delay_alu instid0(VALU_DEP_1)
	v_add_co_u32 v15, vcc_lo, v0, v12
	s_wait_alu 0xfffd
	v_add_co_ci_u32_e64 v16, null, v14, v13, vcc_lo
	global_load_b64 v[17:18], v[15:16], off
	s_wait_loadcnt 0x0
	v_fma_f64 v[17:18], s[20:21], v[17:18], v[10:11]
	global_store_b64 v[15:16], v[17:18], off
	s_cbranch_execnz .LBB203_5
	s_branch .LBB203_34
.LBB203_30:                             ;   in Loop: Header=BB203_6 Depth=1
	s_branch .LBB203_18
.LBB203_31:                             ;   in Loop: Header=BB203_6 Depth=1
	s_branch .LBB203_22
.LBB203_32:                             ;   in Loop: Header=BB203_6 Depth=1
	s_branch .LBB203_26
.LBB203_33:                             ;   in Loop: Header=BB203_6 Depth=1
.LBB203_34:                             ;   in Loop: Header=BB203_6 Depth=1
	s_delay_alu instid0(VALU_DEP_1)
	v_add_co_u32 v12, vcc_lo, v0, v12
	s_wait_alu 0xfffd
	v_add_co_ci_u32_e64 v13, null, v14, v13, vcc_lo
	global_store_b64 v[12:13], v[10:11], off
	s_branch .LBB203_5
.LBB203_35:
	s_endpgm
	.section	.rodata,"a",@progbits
	.p2align	6, 0x0
	.amdhsa_kernel _ZL29rocblas_internal_gemmt_kernelIlLi16ELi32ELi8ELc84ELc67ELc85ELb0ELb0EddPKdPdEviT_T9_T10_S3_lS5_S3_lS4_T11_S3_li
		.amdhsa_group_segment_fixed_size 4096
		.amdhsa_private_segment_fixed_size 0
		.amdhsa_kernarg_size 108
		.amdhsa_user_sgpr_count 2
		.amdhsa_user_sgpr_dispatch_ptr 0
		.amdhsa_user_sgpr_queue_ptr 0
		.amdhsa_user_sgpr_kernarg_segment_ptr 1
		.amdhsa_user_sgpr_dispatch_id 0
		.amdhsa_user_sgpr_private_segment_size 0
		.amdhsa_wavefront_size32 1
		.amdhsa_uses_dynamic_stack 0
		.amdhsa_enable_private_segment 0
		.amdhsa_system_sgpr_workgroup_id_x 1
		.amdhsa_system_sgpr_workgroup_id_y 1
		.amdhsa_system_sgpr_workgroup_id_z 1
		.amdhsa_system_sgpr_workgroup_info 0
		.amdhsa_system_vgpr_workitem_id 1
		.amdhsa_next_free_vgpr 52
		.amdhsa_next_free_sgpr 35
		.amdhsa_reserve_vcc 1
		.amdhsa_float_round_mode_32 0
		.amdhsa_float_round_mode_16_64 0
		.amdhsa_float_denorm_mode_32 3
		.amdhsa_float_denorm_mode_16_64 3
		.amdhsa_fp16_overflow 0
		.amdhsa_workgroup_processor_mode 1
		.amdhsa_memory_ordered 1
		.amdhsa_forward_progress 1
		.amdhsa_inst_pref_size 16
		.amdhsa_round_robin_scheduling 0
		.amdhsa_exception_fp_ieee_invalid_op 0
		.amdhsa_exception_fp_denorm_src 0
		.amdhsa_exception_fp_ieee_div_zero 0
		.amdhsa_exception_fp_ieee_overflow 0
		.amdhsa_exception_fp_ieee_underflow 0
		.amdhsa_exception_fp_ieee_inexact 0
		.amdhsa_exception_int_div_zero 0
	.end_amdhsa_kernel
	.section	.text._ZL29rocblas_internal_gemmt_kernelIlLi16ELi32ELi8ELc84ELc67ELc85ELb0ELb0EddPKdPdEviT_T9_T10_S3_lS5_S3_lS4_T11_S3_li,"axG",@progbits,_ZL29rocblas_internal_gemmt_kernelIlLi16ELi32ELi8ELc84ELc67ELc85ELb0ELb0EddPKdPdEviT_T9_T10_S3_lS5_S3_lS4_T11_S3_li,comdat
.Lfunc_end203:
	.size	_ZL29rocblas_internal_gemmt_kernelIlLi16ELi32ELi8ELc84ELc67ELc85ELb0ELb0EddPKdPdEviT_T9_T10_S3_lS5_S3_lS4_T11_S3_li, .Lfunc_end203-_ZL29rocblas_internal_gemmt_kernelIlLi16ELi32ELi8ELc84ELc67ELc85ELb0ELb0EddPKdPdEviT_T9_T10_S3_lS5_S3_lS4_T11_S3_li
                                        ; -- End function
	.set _ZL29rocblas_internal_gemmt_kernelIlLi16ELi32ELi8ELc84ELc67ELc85ELb0ELb0EddPKdPdEviT_T9_T10_S3_lS5_S3_lS4_T11_S3_li.num_vgpr, 52
	.set _ZL29rocblas_internal_gemmt_kernelIlLi16ELi32ELi8ELc84ELc67ELc85ELb0ELb0EddPKdPdEviT_T9_T10_S3_lS5_S3_lS4_T11_S3_li.num_agpr, 0
	.set _ZL29rocblas_internal_gemmt_kernelIlLi16ELi32ELi8ELc84ELc67ELc85ELb0ELb0EddPKdPdEviT_T9_T10_S3_lS5_S3_lS4_T11_S3_li.numbered_sgpr, 35
	.set _ZL29rocblas_internal_gemmt_kernelIlLi16ELi32ELi8ELc84ELc67ELc85ELb0ELb0EddPKdPdEviT_T9_T10_S3_lS5_S3_lS4_T11_S3_li.num_named_barrier, 0
	.set _ZL29rocblas_internal_gemmt_kernelIlLi16ELi32ELi8ELc84ELc67ELc85ELb0ELb0EddPKdPdEviT_T9_T10_S3_lS5_S3_lS4_T11_S3_li.private_seg_size, 0
	.set _ZL29rocblas_internal_gemmt_kernelIlLi16ELi32ELi8ELc84ELc67ELc85ELb0ELb0EddPKdPdEviT_T9_T10_S3_lS5_S3_lS4_T11_S3_li.uses_vcc, 1
	.set _ZL29rocblas_internal_gemmt_kernelIlLi16ELi32ELi8ELc84ELc67ELc85ELb0ELb0EddPKdPdEviT_T9_T10_S3_lS5_S3_lS4_T11_S3_li.uses_flat_scratch, 0
	.set _ZL29rocblas_internal_gemmt_kernelIlLi16ELi32ELi8ELc84ELc67ELc85ELb0ELb0EddPKdPdEviT_T9_T10_S3_lS5_S3_lS4_T11_S3_li.has_dyn_sized_stack, 0
	.set _ZL29rocblas_internal_gemmt_kernelIlLi16ELi32ELi8ELc84ELc67ELc85ELb0ELb0EddPKdPdEviT_T9_T10_S3_lS5_S3_lS4_T11_S3_li.has_recursion, 0
	.set _ZL29rocblas_internal_gemmt_kernelIlLi16ELi32ELi8ELc84ELc67ELc85ELb0ELb0EddPKdPdEviT_T9_T10_S3_lS5_S3_lS4_T11_S3_li.has_indirect_call, 0
	.section	.AMDGPU.csdata,"",@progbits
; Kernel info:
; codeLenInByte = 2040
; TotalNumSgprs: 37
; NumVgprs: 52
; ScratchSize: 0
; MemoryBound: 0
; FloatMode: 240
; IeeeMode: 1
; LDSByteSize: 4096 bytes/workgroup (compile time only)
; SGPRBlocks: 0
; VGPRBlocks: 6
; NumSGPRsForWavesPerEU: 37
; NumVGPRsForWavesPerEU: 52
; Occupancy: 16
; WaveLimiterHint : 0
; COMPUTE_PGM_RSRC2:SCRATCH_EN: 0
; COMPUTE_PGM_RSRC2:USER_SGPR: 2
; COMPUTE_PGM_RSRC2:TRAP_HANDLER: 0
; COMPUTE_PGM_RSRC2:TGID_X_EN: 1
; COMPUTE_PGM_RSRC2:TGID_Y_EN: 1
; COMPUTE_PGM_RSRC2:TGID_Z_EN: 1
; COMPUTE_PGM_RSRC2:TIDIG_COMP_CNT: 1
	.section	.text._ZL29rocblas_internal_gemmt_kernelIlLi16ELi32ELi8ELc67ELc78ELc85ELb0ELb0EddPKdPdEviT_T9_T10_S3_lS5_S3_lS4_T11_S3_li,"axG",@progbits,_ZL29rocblas_internal_gemmt_kernelIlLi16ELi32ELi8ELc67ELc78ELc85ELb0ELb0EddPKdPdEviT_T9_T10_S3_lS5_S3_lS4_T11_S3_li,comdat
	.globl	_ZL29rocblas_internal_gemmt_kernelIlLi16ELi32ELi8ELc67ELc78ELc85ELb0ELb0EddPKdPdEviT_T9_T10_S3_lS5_S3_lS4_T11_S3_li ; -- Begin function _ZL29rocblas_internal_gemmt_kernelIlLi16ELi32ELi8ELc67ELc78ELc85ELb0ELb0EddPKdPdEviT_T9_T10_S3_lS5_S3_lS4_T11_S3_li
	.p2align	8
	.type	_ZL29rocblas_internal_gemmt_kernelIlLi16ELi32ELi8ELc67ELc78ELc85ELb0ELb0EddPKdPdEviT_T9_T10_S3_lS5_S3_lS4_T11_S3_li,@function
_ZL29rocblas_internal_gemmt_kernelIlLi16ELi32ELi8ELc67ELc78ELc85ELb0ELb0EddPKdPdEviT_T9_T10_S3_lS5_S3_lS4_T11_S3_li: ; @_ZL29rocblas_internal_gemmt_kernelIlLi16ELi32ELi8ELc67ELc78ELc85ELb0ELb0EddPKdPdEviT_T9_T10_S3_lS5_S3_lS4_T11_S3_li
; %bb.0:
	s_clause 0x1
	s_load_b256 s[20:27], s[0:1], 0x48
	s_load_b512 s[4:19], s[0:1], 0x8
	s_wait_kmcnt 0x0
	v_cmp_neq_f64_e64 s2, s[20:21], 1.0
	s_and_b32 vcc_lo, exec_lo, s2
	s_cbranch_vccnz .LBB204_2
; %bb.1:
	v_cmp_neq_f64_e64 s2, s[6:7], 0
	s_cmp_lg_u64 s[4:5], 0
	s_cselect_b32 s3, -1, 0
	s_delay_alu instid0(SALU_CYCLE_1)
	s_and_b32 s2, s3, s2
.LBB204_2:
	s_delay_alu instid0(SALU_CYCLE_1)
	s_and_not1_b32 vcc_lo, exec_lo, s2
	s_cbranch_vccnz .LBB204_35
; %bb.3:
	s_load_b32 s30, s[0:1], 0x68
	s_lshr_b32 s28, ttmp7, 16
	s_wait_kmcnt 0x0
	s_cmp_ge_u32 s28, s30
	s_cbranch_scc1 .LBB204_35
; %bb.4:
	v_and_b32_e32 v9, 0x3ff, v0
	v_bfe_u32 v12, v0, 10, 10
	s_load_b32 s29, s[0:1], 0x0
	s_lshl_b32 s1, ttmp7, 5
	s_lshl_b32 s0, ttmp9, 5
	s_and_b32 s1, s1, 0x1fffe0
	v_lshl_add_u32 v2, v12, 4, v9
	v_and_b32_e32 v22, 7, v0
	s_ashr_i32 s2, s0, 31
	v_add_nc_u32_e32 v16, s1, v12
	s_mul_i32 s2, s10, s2
	v_lshrrev_b32_e32 v10, 3, v2
	v_and_b32_e32 v11, 31, v2
	v_lshrrev_b32_e32 v23, 5, v2
	v_cmp_neq_f64_e64 s33, s[6:7], 0
	v_cmp_neq_f64_e64 s31, s[20:21], 0
	v_add_nc_u32_e32 v13, s1, v10
	v_or_b32_e32 v14, s0, v11
	v_add_nc_u32_e32 v18, 16, v16
	v_mad_co_u64_u32 v[4:5], null, s24, v16, 0
	s_delay_alu instid0(VALU_DEP_4) | instskip(NEXT) | instid1(VALU_DEP_4)
	v_mad_co_u64_u32 v[0:1], null, s16, v13, 0
	v_mad_co_u64_u32 v[2:3], null, s10, v14, 0
	v_mul_lo_u32 v17, s11, v14
	v_cmp_gt_i64_e64 s34, s[4:5], 0
	s_wait_kmcnt 0x0
	v_cmp_gt_i32_e64 s1, s29, v13
	v_lshl_add_u32 v31, v12, 6, 0x800
	v_mad_co_u64_u32 v[6:7], null, s17, v13, v[1:2]
	v_add3_u32 v3, v3, s2, v17
	v_lshlrev_b32_e32 v7, 3, v11
	s_delay_alu instid0(VALU_DEP_2) | instskip(NEXT) | instid1(VALU_DEP_4)
	v_lshlrev_b64_e32 v[2:3], 3, v[2:3]
	v_mov_b32_e32 v1, v6
	v_lshlrev_b32_e32 v15, 3, v22
	s_delay_alu instid0(VALU_DEP_4) | instskip(NEXT) | instid1(VALU_DEP_3)
	v_lshl_or_b32 v24, v23, 8, v7
	v_lshlrev_b64_e32 v[0:1], 3, v[0:1]
	s_delay_alu instid0(VALU_DEP_3) | instskip(SKIP_2) | instid1(VALU_DEP_1)
	v_lshl_or_b32 v15, v10, 6, v15
	v_mad_co_u64_u32 v[10:11], null, s24, v18, 0
	v_add_co_u32 v26, vcc_lo, s8, v2
	v_add_co_ci_u32_e64 v27, null, s9, v3, vcc_lo
	v_add_co_u32 v28, vcc_lo, s14, v0
	s_wait_alu 0xfffd
	v_add_co_ci_u32_e64 v29, null, s15, v1, vcc_lo
	v_mad_co_u64_u32 v[1:2], null, s25, v16, v[5:6]
	v_mov_b32_e32 v2, v11
	v_add_nc_u32_e32 v8, s0, v9
	v_lshlrev_b32_e32 v30, 3, v9
	v_cmp_gt_i32_e64 s0, s29, v14
	v_add_nc_u32_e32 v25, 0x800, v15
	v_mad_co_u64_u32 v[2:3], null, s25, v18, v[2:3]
	v_dual_mov_b32 v5, v1 :: v_dual_add_nc_u32 v0, 16, v8
	v_ashrrev_i32_e32 v9, 31, v8
	v_mov_b32_e32 v3, 0
	s_and_b32 s10, s33, s34
	s_delay_alu instid0(VALU_DEP_3)
	v_lshlrev_b64_e32 v[4:5], 3, v[4:5]
	v_mov_b32_e32 v11, v2
	v_cmp_gt_i32_e32 vcc_lo, s29, v16
	v_cmp_le_i32_e64 s2, v8, v16
	v_cmp_le_i32_e64 s3, v0, v16
	v_ashrrev_i32_e32 v1, 31, v0
	v_lshlrev_b64_e32 v[6:7], 3, v[10:11]
	s_and_b32 s8, vcc_lo, s2
	s_and_b32 s9, vcc_lo, s3
	v_cmp_gt_i32_e32 vcc_lo, s29, v18
	v_cmp_le_i32_e64 s2, v8, v18
	v_cmp_le_i32_e64 s3, v0, v18
	v_lshlrev_b64_e32 v[8:9], 3, v[8:9]
	s_mov_b32 s29, 0
	s_and_b32 s11, vcc_lo, s2
	s_and_b32 s14, vcc_lo, s3
	s_branch .LBB204_6
.LBB204_5:                              ;   in Loop: Header=BB204_6 Depth=1
	s_wait_alu 0xfffe
	s_or_b32 exec_lo, exec_lo, s2
	s_add_co_i32 s28, s28, 0x10000
	s_wait_alu 0xfffe
	s_cmp_lt_u32 s28, s30
	s_cbranch_scc0 .LBB204_35
.LBB204_6:                              ; =>This Loop Header: Depth=1
                                        ;     Child Loop BB204_9 Depth 2
	v_mov_b32_e32 v16, 0
	v_dual_mov_b32 v12, 0 :: v_dual_mov_b32 v17, 0
	v_dual_mov_b32 v14, 0 :: v_dual_mov_b32 v13, 0
	;; [unrolled: 1-line block ×3, first 2 shown]
	v_mov_b32_e32 v11, 0
	s_wait_alu 0xfffe
	s_and_not1_b32 vcc_lo, exec_lo, s10
	s_wait_alu 0xfffe
	s_cbranch_vccnz .LBB204_15
; %bb.7:                                ;   in Loop: Header=BB204_6 Depth=1
	s_mul_u64 s[2:3], s[12:13], s[28:29]
	s_mul_u64 s[16:17], s[18:19], s[28:29]
	s_wait_alu 0xfffe
	s_lshl_b64 s[2:3], s[2:3], 3
	v_mov_b32_e32 v10, 0
	s_wait_alu 0xfffe
	v_add_co_u32 v32, vcc_lo, v26, s2
	s_wait_alu 0xfffd
	v_add_co_ci_u32_e64 v33, null, s3, v27, vcc_lo
	s_lshl_b64 s[2:3], s[16:17], 3
	v_mov_b32_e32 v14, 0
	s_wait_alu 0xfffe
	v_add_co_u32 v34, vcc_lo, v28, s2
	v_dual_mov_b32 v11, 0 :: v_dual_mov_b32 v12, 0
	v_dual_mov_b32 v15, 0 :: v_dual_mov_b32 v16, 0
	v_mov_b32_e32 v13, 0
	v_mov_b32_e32 v17, 0
	s_wait_alu 0xfffd
	v_add_co_ci_u32_e64 v35, null, s3, v29, vcc_lo
	s_mov_b64 s[2:3], 0
	s_branch .LBB204_9
.LBB204_8:                              ;   in Loop: Header=BB204_9 Depth=2
	s_wait_alu 0xfffe
	s_or_b32 exec_lo, exec_lo, s15
	s_wait_loadcnt 0x0
	ds_store_b64 v25, v[20:21]
	s_wait_dscnt 0x0
	s_barrier_signal -1
	s_barrier_wait -1
	global_inv scope:SCOPE_SE
	ds_load_b128 v[18:21], v31
	ds_load_2addr_b64 v[36:39], v30 offset1:16
	ds_load_b128 v[40:43], v31 offset:1024
	ds_load_b128 v[44:47], v31 offset:16
	;; [unrolled: 1-line block ×3, first 2 shown]
	s_add_nc_u64 s[2:3], s[2:3], 8
	s_wait_alu 0xfffe
	v_cmp_gt_i64_e64 s15, s[4:5], s[2:3]
	s_and_b32 vcc_lo, exec_lo, s15
	s_wait_dscnt 0x3
	v_fma_f64 v[16:17], v[36:37], v[18:19], v[16:17]
	v_fma_f64 v[14:15], v[38:39], v[18:19], v[14:15]
	s_wait_dscnt 0x2
	v_fma_f64 v[18:19], v[36:37], v[40:41], v[12:13]
	v_fma_f64 v[36:37], v[38:39], v[40:41], v[10:11]
	ds_load_2addr_b64 v[10:13], v30 offset0:32 offset1:48
	s_wait_dscnt 0x0
	v_fma_f64 v[16:17], v[10:11], v[20:21], v[16:17]
	v_fma_f64 v[14:15], v[12:13], v[20:21], v[14:15]
	v_fma_f64 v[18:19], v[10:11], v[42:43], v[18:19]
	v_fma_f64 v[20:21], v[12:13], v[42:43], v[36:37]
	ds_load_2addr_b64 v[10:13], v30 offset0:64 offset1:80
	s_wait_dscnt 0x0
	v_fma_f64 v[16:17], v[10:11], v[44:45], v[16:17]
	v_fma_f64 v[14:15], v[12:13], v[44:45], v[14:15]
	;; [unrolled: 6-line block ×3, first 2 shown]
	v_fma_f64 v[48:49], v[10:11], v[50:51], v[18:19]
	v_fma_f64 v[50:51], v[12:13], v[50:51], v[20:21]
	ds_load_b128 v[10:13], v31 offset:32
	ds_load_2addr_b64 v[14:17], v30 offset0:128 offset1:144
	ds_load_b128 v[18:21], v31 offset:1056
	ds_load_b128 v[36:39], v31 offset:48
	;; [unrolled: 1-line block ×3, first 2 shown]
	s_wait_dscnt 0x3
	v_fma_f64 v[44:45], v[14:15], v[10:11], v[44:45]
	v_fma_f64 v[10:11], v[16:17], v[10:11], v[46:47]
	s_wait_dscnt 0x2
	v_fma_f64 v[46:47], v[14:15], v[18:19], v[48:49]
	v_fma_f64 v[18:19], v[16:17], v[18:19], v[50:51]
	ds_load_2addr_b64 v[14:17], v30 offset0:160 offset1:176
	s_wait_dscnt 0x0
	v_fma_f64 v[44:45], v[14:15], v[12:13], v[44:45]
	v_fma_f64 v[48:49], v[16:17], v[12:13], v[10:11]
	;; [unrolled: 1-line block ×4, first 2 shown]
	ds_load_2addr_b64 v[10:13], v30 offset0:192 offset1:208
	ds_load_2addr_b64 v[18:21], v30 offset0:224 offset1:240
	s_wait_loadcnt_dscnt 0x0
	s_barrier_signal -1
	s_barrier_wait -1
	global_inv scope:SCOPE_SE
	v_fma_f64 v[44:45], v[10:11], v[36:37], v[44:45]
	v_fma_f64 v[36:37], v[12:13], v[36:37], v[48:49]
	v_fma_f64 v[10:11], v[10:11], v[40:41], v[14:15]
	v_fma_f64 v[40:41], v[12:13], v[40:41], v[16:17]
	s_delay_alu instid0(VALU_DEP_4) | instskip(NEXT) | instid1(VALU_DEP_4)
	v_fma_f64 v[16:17], v[18:19], v[38:39], v[44:45]
	v_fma_f64 v[14:15], v[20:21], v[38:39], v[36:37]
	s_delay_alu instid0(VALU_DEP_4) | instskip(NEXT) | instid1(VALU_DEP_4)
	v_fma_f64 v[12:13], v[18:19], v[42:43], v[10:11]
	v_fma_f64 v[10:11], v[20:21], v[42:43], v[40:41]
	s_wait_alu 0xfffe
	s_cbranch_vccz .LBB204_15
.LBB204_9:                              ;   Parent Loop BB204_6 Depth=1
                                        ; =>  This Inner Loop Header: Depth=2
	v_mov_b32_e32 v18, 0
	v_mov_b32_e32 v19, 0
	s_and_saveexec_b32 s15, s0
	s_cbranch_execz .LBB204_13
; %bb.10:                               ;   in Loop: Header=BB204_9 Depth=2
	v_mov_b32_e32 v18, 0
	s_wait_alu 0xfffe
	v_dual_mov_b32 v19, 0 :: v_dual_add_nc_u32 v2, s2, v23
	s_mov_b32 s16, exec_lo
	s_delay_alu instid0(VALU_DEP_1)
	v_cmpx_gt_u64_e64 s[4:5], v[2:3]
	s_cbranch_execz .LBB204_12
; %bb.11:                               ;   in Loop: Header=BB204_9 Depth=2
	v_lshlrev_b64_e32 v[18:19], 3, v[2:3]
	s_delay_alu instid0(VALU_DEP_1) | instskip(SKIP_1) | instid1(VALU_DEP_2)
	v_add_co_u32 v18, vcc_lo, v32, v18
	s_wait_alu 0xfffd
	v_add_co_ci_u32_e64 v19, null, v33, v19, vcc_lo
	global_load_b64 v[18:19], v[18:19], off
.LBB204_12:                             ;   in Loop: Header=BB204_9 Depth=2
	s_wait_alu 0xfffe
	s_or_b32 exec_lo, exec_lo, s16
.LBB204_13:                             ;   in Loop: Header=BB204_9 Depth=2
	s_wait_alu 0xfffe
	s_or_b32 exec_lo, exec_lo, s15
	v_add_nc_u32_e32 v2, s2, v22
	v_mov_b32_e32 v20, 0
	v_mov_b32_e32 v21, 0
	s_wait_loadcnt 0x0
	ds_store_b64 v24, v[18:19]
	v_cmp_gt_u64_e32 vcc_lo, s[4:5], v[2:3]
	s_and_b32 s16, vcc_lo, s1
	s_wait_alu 0xfffe
	s_and_saveexec_b32 s15, s16
	s_cbranch_execz .LBB204_8
; %bb.14:                               ;   in Loop: Header=BB204_9 Depth=2
	v_lshlrev_b64_e32 v[18:19], 3, v[2:3]
	s_delay_alu instid0(VALU_DEP_1) | instskip(SKIP_1) | instid1(VALU_DEP_2)
	v_add_co_u32 v18, vcc_lo, v34, v18
	s_wait_alu 0xfffd
	v_add_co_ci_u32_e64 v19, null, v35, v19, vcc_lo
	global_load_b64 v[20:21], v[18:19], off
	s_branch .LBB204_8
.LBB204_15:                             ;   in Loop: Header=BB204_6 Depth=1
	s_mul_u64 s[2:3], s[26:27], s[28:29]
	s_wait_alu 0xfffe
	s_lshl_b64 s[2:3], s[2:3], 3
	s_wait_alu 0xfffe
	s_add_nc_u64 s[2:3], s[22:23], s[2:3]
	s_wait_alu 0xfffe
	v_add_co_u32 v2, vcc_lo, s2, v4
	s_wait_alu 0xfffd
	v_add_co_ci_u32_e64 v18, null, s3, v5, vcc_lo
	s_and_saveexec_b32 s15, s8
	s_cbranch_execz .LBB204_19
; %bb.16:                               ;   in Loop: Header=BB204_6 Depth=1
	v_mul_f64_e32 v[16:17], s[6:7], v[16:17]
	s_and_b32 vcc_lo, exec_lo, s31
	s_wait_alu 0xfffe
	s_cbranch_vccz .LBB204_30
; %bb.17:                               ;   in Loop: Header=BB204_6 Depth=1
	v_add_co_u32 v19, vcc_lo, v2, v8
	s_wait_alu 0xfffd
	v_add_co_ci_u32_e64 v20, null, v18, v9, vcc_lo
	global_load_b64 v[32:33], v[19:20], off
	s_wait_loadcnt 0x0
	v_fma_f64 v[32:33], s[20:21], v[32:33], v[16:17]
	global_store_b64 v[19:20], v[32:33], off
	s_cbranch_execnz .LBB204_19
.LBB204_18:                             ;   in Loop: Header=BB204_6 Depth=1
	v_add_co_u32 v19, vcc_lo, v2, v8
	s_wait_alu 0xfffd
	v_add_co_ci_u32_e64 v20, null, v18, v9, vcc_lo
	global_store_b64 v[19:20], v[16:17], off
.LBB204_19:                             ;   in Loop: Header=BB204_6 Depth=1
	s_wait_alu 0xfffe
	s_or_b32 exec_lo, exec_lo, s15
	s_and_saveexec_b32 s15, s9
	s_cbranch_execz .LBB204_23
; %bb.20:                               ;   in Loop: Header=BB204_6 Depth=1
	v_mul_f64_e32 v[14:15], s[6:7], v[14:15]
	s_and_not1_b32 vcc_lo, exec_lo, s31
	s_wait_alu 0xfffe
	s_cbranch_vccnz .LBB204_31
; %bb.21:                               ;   in Loop: Header=BB204_6 Depth=1
	v_lshlrev_b64_e32 v[16:17], 3, v[0:1]
	s_delay_alu instid0(VALU_DEP_1) | instskip(SKIP_1) | instid1(VALU_DEP_2)
	v_add_co_u32 v16, vcc_lo, v2, v16
	s_wait_alu 0xfffd
	v_add_co_ci_u32_e64 v17, null, v18, v17, vcc_lo
	global_load_b64 v[19:20], v[16:17], off
	s_wait_loadcnt 0x0
	v_fma_f64 v[19:20], s[20:21], v[19:20], v[14:15]
	global_store_b64 v[16:17], v[19:20], off
	s_cbranch_execnz .LBB204_23
.LBB204_22:                             ;   in Loop: Header=BB204_6 Depth=1
	v_lshlrev_b64_e32 v[16:17], 3, v[0:1]
	s_delay_alu instid0(VALU_DEP_1) | instskip(SKIP_1) | instid1(VALU_DEP_2)
	v_add_co_u32 v16, vcc_lo, v2, v16
	s_wait_alu 0xfffd
	v_add_co_ci_u32_e64 v17, null, v18, v17, vcc_lo
	global_store_b64 v[16:17], v[14:15], off
.LBB204_23:                             ;   in Loop: Header=BB204_6 Depth=1
	s_wait_alu 0xfffe
	s_or_b32 exec_lo, exec_lo, s15
	v_add_co_u32 v2, vcc_lo, s2, v6
	s_wait_alu 0xfffd
	v_add_co_ci_u32_e64 v14, null, s3, v7, vcc_lo
	s_and_saveexec_b32 s2, s11
	s_cbranch_execz .LBB204_27
; %bb.24:                               ;   in Loop: Header=BB204_6 Depth=1
	v_mul_f64_e32 v[12:13], s[6:7], v[12:13]
	s_and_not1_b32 vcc_lo, exec_lo, s31
	s_wait_alu 0xfffe
	s_cbranch_vccnz .LBB204_32
; %bb.25:                               ;   in Loop: Header=BB204_6 Depth=1
	v_add_co_u32 v15, vcc_lo, v2, v8
	s_wait_alu 0xfffd
	v_add_co_ci_u32_e64 v16, null, v14, v9, vcc_lo
	global_load_b64 v[17:18], v[15:16], off
	s_wait_loadcnt 0x0
	v_fma_f64 v[17:18], s[20:21], v[17:18], v[12:13]
	global_store_b64 v[15:16], v[17:18], off
	s_cbranch_execnz .LBB204_27
.LBB204_26:                             ;   in Loop: Header=BB204_6 Depth=1
	v_add_co_u32 v15, vcc_lo, v2, v8
	s_wait_alu 0xfffd
	v_add_co_ci_u32_e64 v16, null, v14, v9, vcc_lo
	global_store_b64 v[15:16], v[12:13], off
.LBB204_27:                             ;   in Loop: Header=BB204_6 Depth=1
	s_wait_alu 0xfffe
	s_or_b32 exec_lo, exec_lo, s2
	s_and_saveexec_b32 s2, s14
	s_cbranch_execz .LBB204_5
; %bb.28:                               ;   in Loop: Header=BB204_6 Depth=1
	v_mul_f64_e32 v[10:11], s[6:7], v[10:11]
	v_lshlrev_b64_e32 v[12:13], 3, v[0:1]
	s_and_not1_b32 vcc_lo, exec_lo, s31
	s_wait_alu 0xfffe
	s_cbranch_vccnz .LBB204_33
; %bb.29:                               ;   in Loop: Header=BB204_6 Depth=1
	s_delay_alu instid0(VALU_DEP_1)
	v_add_co_u32 v15, vcc_lo, v2, v12
	s_wait_alu 0xfffd
	v_add_co_ci_u32_e64 v16, null, v14, v13, vcc_lo
	global_load_b64 v[17:18], v[15:16], off
	s_wait_loadcnt 0x0
	v_fma_f64 v[17:18], s[20:21], v[17:18], v[10:11]
	global_store_b64 v[15:16], v[17:18], off
	s_cbranch_execnz .LBB204_5
	s_branch .LBB204_34
.LBB204_30:                             ;   in Loop: Header=BB204_6 Depth=1
	s_branch .LBB204_18
.LBB204_31:                             ;   in Loop: Header=BB204_6 Depth=1
	s_branch .LBB204_22
.LBB204_32:                             ;   in Loop: Header=BB204_6 Depth=1
	s_branch .LBB204_26
.LBB204_33:                             ;   in Loop: Header=BB204_6 Depth=1
.LBB204_34:                             ;   in Loop: Header=BB204_6 Depth=1
	s_delay_alu instid0(VALU_DEP_1)
	v_add_co_u32 v12, vcc_lo, v2, v12
	s_wait_alu 0xfffd
	v_add_co_ci_u32_e64 v13, null, v14, v13, vcc_lo
	global_store_b64 v[12:13], v[10:11], off
	s_branch .LBB204_5
.LBB204_35:
	s_endpgm
	.section	.rodata,"a",@progbits
	.p2align	6, 0x0
	.amdhsa_kernel _ZL29rocblas_internal_gemmt_kernelIlLi16ELi32ELi8ELc67ELc78ELc85ELb0ELb0EddPKdPdEviT_T9_T10_S3_lS5_S3_lS4_T11_S3_li
		.amdhsa_group_segment_fixed_size 4096
		.amdhsa_private_segment_fixed_size 0
		.amdhsa_kernarg_size 108
		.amdhsa_user_sgpr_count 2
		.amdhsa_user_sgpr_dispatch_ptr 0
		.amdhsa_user_sgpr_queue_ptr 0
		.amdhsa_user_sgpr_kernarg_segment_ptr 1
		.amdhsa_user_sgpr_dispatch_id 0
		.amdhsa_user_sgpr_private_segment_size 0
		.amdhsa_wavefront_size32 1
		.amdhsa_uses_dynamic_stack 0
		.amdhsa_enable_private_segment 0
		.amdhsa_system_sgpr_workgroup_id_x 1
		.amdhsa_system_sgpr_workgroup_id_y 1
		.amdhsa_system_sgpr_workgroup_id_z 1
		.amdhsa_system_sgpr_workgroup_info 0
		.amdhsa_system_vgpr_workitem_id 1
		.amdhsa_next_free_vgpr 52
		.amdhsa_next_free_sgpr 35
		.amdhsa_reserve_vcc 1
		.amdhsa_float_round_mode_32 0
		.amdhsa_float_round_mode_16_64 0
		.amdhsa_float_denorm_mode_32 3
		.amdhsa_float_denorm_mode_16_64 3
		.amdhsa_fp16_overflow 0
		.amdhsa_workgroup_processor_mode 1
		.amdhsa_memory_ordered 1
		.amdhsa_forward_progress 1
		.amdhsa_inst_pref_size 16
		.amdhsa_round_robin_scheduling 0
		.amdhsa_exception_fp_ieee_invalid_op 0
		.amdhsa_exception_fp_denorm_src 0
		.amdhsa_exception_fp_ieee_div_zero 0
		.amdhsa_exception_fp_ieee_overflow 0
		.amdhsa_exception_fp_ieee_underflow 0
		.amdhsa_exception_fp_ieee_inexact 0
		.amdhsa_exception_int_div_zero 0
	.end_amdhsa_kernel
	.section	.text._ZL29rocblas_internal_gemmt_kernelIlLi16ELi32ELi8ELc67ELc78ELc85ELb0ELb0EddPKdPdEviT_T9_T10_S3_lS5_S3_lS4_T11_S3_li,"axG",@progbits,_ZL29rocblas_internal_gemmt_kernelIlLi16ELi32ELi8ELc67ELc78ELc85ELb0ELb0EddPKdPdEviT_T9_T10_S3_lS5_S3_lS4_T11_S3_li,comdat
.Lfunc_end204:
	.size	_ZL29rocblas_internal_gemmt_kernelIlLi16ELi32ELi8ELc67ELc78ELc85ELb0ELb0EddPKdPdEviT_T9_T10_S3_lS5_S3_lS4_T11_S3_li, .Lfunc_end204-_ZL29rocblas_internal_gemmt_kernelIlLi16ELi32ELi8ELc67ELc78ELc85ELb0ELb0EddPKdPdEviT_T9_T10_S3_lS5_S3_lS4_T11_S3_li
                                        ; -- End function
	.set _ZL29rocblas_internal_gemmt_kernelIlLi16ELi32ELi8ELc67ELc78ELc85ELb0ELb0EddPKdPdEviT_T9_T10_S3_lS5_S3_lS4_T11_S3_li.num_vgpr, 52
	.set _ZL29rocblas_internal_gemmt_kernelIlLi16ELi32ELi8ELc67ELc78ELc85ELb0ELb0EddPKdPdEviT_T9_T10_S3_lS5_S3_lS4_T11_S3_li.num_agpr, 0
	.set _ZL29rocblas_internal_gemmt_kernelIlLi16ELi32ELi8ELc67ELc78ELc85ELb0ELb0EddPKdPdEviT_T9_T10_S3_lS5_S3_lS4_T11_S3_li.numbered_sgpr, 35
	.set _ZL29rocblas_internal_gemmt_kernelIlLi16ELi32ELi8ELc67ELc78ELc85ELb0ELb0EddPKdPdEviT_T9_T10_S3_lS5_S3_lS4_T11_S3_li.num_named_barrier, 0
	.set _ZL29rocblas_internal_gemmt_kernelIlLi16ELi32ELi8ELc67ELc78ELc85ELb0ELb0EddPKdPdEviT_T9_T10_S3_lS5_S3_lS4_T11_S3_li.private_seg_size, 0
	.set _ZL29rocblas_internal_gemmt_kernelIlLi16ELi32ELi8ELc67ELc78ELc85ELb0ELb0EddPKdPdEviT_T9_T10_S3_lS5_S3_lS4_T11_S3_li.uses_vcc, 1
	.set _ZL29rocblas_internal_gemmt_kernelIlLi16ELi32ELi8ELc67ELc78ELc85ELb0ELb0EddPKdPdEviT_T9_T10_S3_lS5_S3_lS4_T11_S3_li.uses_flat_scratch, 0
	.set _ZL29rocblas_internal_gemmt_kernelIlLi16ELi32ELi8ELc67ELc78ELc85ELb0ELb0EddPKdPdEviT_T9_T10_S3_lS5_S3_lS4_T11_S3_li.has_dyn_sized_stack, 0
	.set _ZL29rocblas_internal_gemmt_kernelIlLi16ELi32ELi8ELc67ELc78ELc85ELb0ELb0EddPKdPdEviT_T9_T10_S3_lS5_S3_lS4_T11_S3_li.has_recursion, 0
	.set _ZL29rocblas_internal_gemmt_kernelIlLi16ELi32ELi8ELc67ELc78ELc85ELb0ELb0EddPKdPdEviT_T9_T10_S3_lS5_S3_lS4_T11_S3_li.has_indirect_call, 0
	.section	.AMDGPU.csdata,"",@progbits
; Kernel info:
; codeLenInByte = 2036
; TotalNumSgprs: 37
; NumVgprs: 52
; ScratchSize: 0
; MemoryBound: 0
; FloatMode: 240
; IeeeMode: 1
; LDSByteSize: 4096 bytes/workgroup (compile time only)
; SGPRBlocks: 0
; VGPRBlocks: 6
; NumSGPRsForWavesPerEU: 37
; NumVGPRsForWavesPerEU: 52
; Occupancy: 16
; WaveLimiterHint : 0
; COMPUTE_PGM_RSRC2:SCRATCH_EN: 0
; COMPUTE_PGM_RSRC2:USER_SGPR: 2
; COMPUTE_PGM_RSRC2:TRAP_HANDLER: 0
; COMPUTE_PGM_RSRC2:TGID_X_EN: 1
; COMPUTE_PGM_RSRC2:TGID_Y_EN: 1
; COMPUTE_PGM_RSRC2:TGID_Z_EN: 1
; COMPUTE_PGM_RSRC2:TIDIG_COMP_CNT: 1
	.section	.text._ZL29rocblas_internal_gemmt_kernelIlLi16ELi32ELi8ELc67ELc84ELc85ELb0ELb0EddPKdPdEviT_T9_T10_S3_lS5_S3_lS4_T11_S3_li,"axG",@progbits,_ZL29rocblas_internal_gemmt_kernelIlLi16ELi32ELi8ELc67ELc84ELc85ELb0ELb0EddPKdPdEviT_T9_T10_S3_lS5_S3_lS4_T11_S3_li,comdat
	.globl	_ZL29rocblas_internal_gemmt_kernelIlLi16ELi32ELi8ELc67ELc84ELc85ELb0ELb0EddPKdPdEviT_T9_T10_S3_lS5_S3_lS4_T11_S3_li ; -- Begin function _ZL29rocblas_internal_gemmt_kernelIlLi16ELi32ELi8ELc67ELc84ELc85ELb0ELb0EddPKdPdEviT_T9_T10_S3_lS5_S3_lS4_T11_S3_li
	.p2align	8
	.type	_ZL29rocblas_internal_gemmt_kernelIlLi16ELi32ELi8ELc67ELc84ELc85ELb0ELb0EddPKdPdEviT_T9_T10_S3_lS5_S3_lS4_T11_S3_li,@function
_ZL29rocblas_internal_gemmt_kernelIlLi16ELi32ELi8ELc67ELc84ELc85ELb0ELb0EddPKdPdEviT_T9_T10_S3_lS5_S3_lS4_T11_S3_li: ; @_ZL29rocblas_internal_gemmt_kernelIlLi16ELi32ELi8ELc67ELc84ELc85ELb0ELb0EddPKdPdEviT_T9_T10_S3_lS5_S3_lS4_T11_S3_li
; %bb.0:
	s_clause 0x1
	s_load_b256 s[20:27], s[0:1], 0x48
	s_load_b512 s[4:19], s[0:1], 0x8
	s_wait_kmcnt 0x0
	v_cmp_neq_f64_e64 s2, s[20:21], 1.0
	s_and_b32 vcc_lo, exec_lo, s2
	s_cbranch_vccnz .LBB205_2
; %bb.1:
	v_cmp_neq_f64_e64 s2, s[6:7], 0
	s_cmp_lg_u64 s[4:5], 0
	s_cselect_b32 s3, -1, 0
	s_delay_alu instid0(SALU_CYCLE_1)
	s_and_b32 s2, s3, s2
.LBB205_2:
	s_delay_alu instid0(SALU_CYCLE_1)
	s_and_not1_b32 vcc_lo, exec_lo, s2
	s_cbranch_vccnz .LBB205_35
; %bb.3:
	s_load_b32 s30, s[0:1], 0x68
	s_lshr_b32 s28, ttmp7, 16
	s_wait_kmcnt 0x0
	s_cmp_ge_u32 s28, s30
	s_cbranch_scc1 .LBB205_35
; %bb.4:
	v_and_b32_e32 v9, 0x3ff, v0
	v_bfe_u32 v12, v0, 10, 10
	v_dual_mov_b32 v1, 0 :: v_dual_and_b32 v22, 7, v0
	s_load_b32 s29, s[0:1], 0x0
	s_lshl_b32 s2, ttmp9, 5
	s_delay_alu instid0(VALU_DEP_2)
	v_lshl_add_u32 v4, v12, 4, v9
	s_lshl_b32 s0, ttmp7, 5
	v_lshlrev_b32_e32 v8, 3, v22
	s_and_b32 s0, s0, 0x1fffe0
	s_ashr_i32 s1, s2, 31
	v_and_b32_e32 v0, 31, v4
	v_add_nc_u32_e32 v13, s0, v12
	v_lshrrev_b32_e32 v10, 3, v4
	v_cmp_neq_f64_e64 s33, s[6:7], 0
	s_mul_i32 s1, s10, s1
	v_or_b32_e32 v6, s2, v0
	v_cmp_neq_f64_e64 s31, s[20:21], 0
	v_lshrrev_b32_e32 v23, 5, v4
	v_mad_co_u64_u32 v[4:5], null, s24, v13, 0
	s_delay_alu instid0(VALU_DEP_4)
	v_mul_lo_u32 v7, s11, v6
	v_mad_co_u64_u32 v[2:3], null, s10, v6, 0
	v_add_nc_u32_e32 v14, 16, v13
	v_lshl_or_b32 v8, v10, 6, v8
	v_lshlrev_b32_e32 v0, 3, v0
	v_cmp_gt_i64_e64 s34, s[4:5], 0
	v_lshl_add_u32 v31, v12, 6, 0x800
	s_wait_alu 0xfffe
	v_add3_u32 v3, v3, s1, v7
	v_add_nc_u32_e32 v7, s0, v10
	s_wait_kmcnt 0x0
	v_cmp_gt_i32_e64 s0, s29, v6
	v_add_nc_u32_e32 v25, 0x800, v8
	v_lshl_or_b32 v24, v23, 8, v0
	v_mov_b32_e32 v0, v5
	v_cmp_gt_i32_e64 s1, s29, v7
	v_lshlrev_b32_e32 v8, 3, v7
	v_mad_co_u64_u32 v[6:7], null, s24, v14, 0
	v_lshlrev_b32_e32 v30, 3, v9
	v_lshlrev_b64_e32 v[2:3], 3, v[2:3]
	s_delay_alu instid0(VALU_DEP_4) | instskip(SKIP_4) | instid1(VALU_DEP_4)
	v_add_co_u32 v28, s3, s14, v8
	v_add_nc_u32_e32 v8, s2, v9
	v_mad_co_u64_u32 v[9:10], null, s25, v13, v[0:1]
	v_mov_b32_e32 v0, v7
	v_add_co_u32 v26, vcc_lo, s8, v2
	v_add_nc_u32_e32 v2, 16, v8
	v_add_co_ci_u32_e64 v27, null, s9, v3, vcc_lo
	s_delay_alu instid0(VALU_DEP_4)
	v_mad_co_u64_u32 v[10:11], null, s25, v14, v[0:1]
	s_wait_alu 0xf1ff
	v_add_co_ci_u32_e64 v29, null, s15, 0, s3
	v_cmp_gt_i32_e32 vcc_lo, s29, v13
	v_cmp_le_i32_e64 s2, v8, v13
	v_cmp_le_i32_e64 s3, v2, v13
	v_mov_b32_e32 v5, v9
	v_ashrrev_i32_e32 v9, 31, v8
	v_mov_b32_e32 v7, v10
	s_and_b32 s8, vcc_lo, s2
	s_and_b32 s9, vcc_lo, s3
	v_cmp_gt_i32_e32 vcc_lo, s29, v14
	v_cmp_le_i32_e64 s2, v8, v14
	v_cmp_le_i32_e64 s3, v2, v14
	v_lshlrev_b64_e32 v[4:5], 3, v[4:5]
	v_lshlrev_b64_e32 v[6:7], 3, v[6:7]
	;; [unrolled: 1-line block ×3, first 2 shown]
	v_ashrrev_i32_e32 v3, 31, v2
	s_and_b32 s10, s33, s34
	s_and_b32 s11, vcc_lo, s2
	s_and_b32 s14, vcc_lo, s3
	s_mov_b32 s29, 0
	s_branch .LBB205_6
.LBB205_5:                              ;   in Loop: Header=BB205_6 Depth=1
	s_wait_alu 0xfffe
	s_or_b32 exec_lo, exec_lo, s2
	s_add_co_i32 s28, s28, 0x10000
	s_wait_alu 0xfffe
	s_cmp_lt_u32 s28, s30
	s_cbranch_scc0 .LBB205_35
.LBB205_6:                              ; =>This Loop Header: Depth=1
                                        ;     Child Loop BB205_9 Depth 2
	v_mov_b32_e32 v16, 0
	v_dual_mov_b32 v12, 0 :: v_dual_mov_b32 v17, 0
	v_dual_mov_b32 v14, 0 :: v_dual_mov_b32 v13, 0
	;; [unrolled: 1-line block ×3, first 2 shown]
	v_mov_b32_e32 v11, 0
	s_wait_alu 0xfffe
	s_and_not1_b32 vcc_lo, exec_lo, s10
	s_wait_alu 0xfffe
	s_cbranch_vccnz .LBB205_15
; %bb.7:                                ;   in Loop: Header=BB205_6 Depth=1
	s_mul_u64 s[2:3], s[12:13], s[28:29]
	s_mul_u64 s[24:25], s[18:19], s[28:29]
	s_wait_alu 0xfffe
	s_lshl_b64 s[2:3], s[2:3], 3
	v_mov_b32_e32 v10, 0
	s_wait_alu 0xfffe
	v_add_co_u32 v32, vcc_lo, v26, s2
	s_wait_alu 0xfffd
	v_add_co_ci_u32_e64 v33, null, s3, v27, vcc_lo
	s_lshl_b64 s[2:3], s[24:25], 3
	v_mov_b32_e32 v14, 0
	s_wait_alu 0xfffe
	v_add_co_u32 v34, vcc_lo, v28, s2
	v_dual_mov_b32 v11, 0 :: v_dual_mov_b32 v12, 0
	v_dual_mov_b32 v15, 0 :: v_dual_mov_b32 v16, 0
	v_mov_b32_e32 v13, 0
	v_mov_b32_e32 v17, 0
	s_wait_alu 0xfffd
	v_add_co_ci_u32_e64 v35, null, s3, v29, vcc_lo
	s_mov_b64 s[2:3], 0
	s_branch .LBB205_9
.LBB205_8:                              ;   in Loop: Header=BB205_9 Depth=2
	s_wait_alu 0xfffe
	s_or_b32 exec_lo, exec_lo, s15
	s_wait_loadcnt 0x0
	ds_store_b64 v25, v[20:21]
	s_wait_dscnt 0x0
	s_barrier_signal -1
	s_barrier_wait -1
	global_inv scope:SCOPE_SE
	ds_load_b128 v[18:21], v31
	ds_load_2addr_b64 v[36:39], v30 offset1:16
	ds_load_b128 v[40:43], v31 offset:1024
	ds_load_b128 v[44:47], v31 offset:16
	;; [unrolled: 1-line block ×3, first 2 shown]
	s_add_nc_u64 s[2:3], s[2:3], 8
	s_wait_alu 0xfffe
	v_cmp_gt_i64_e64 s15, s[4:5], s[2:3]
	s_and_b32 vcc_lo, exec_lo, s15
	s_wait_dscnt 0x3
	v_fma_f64 v[16:17], v[36:37], v[18:19], v[16:17]
	v_fma_f64 v[14:15], v[38:39], v[18:19], v[14:15]
	s_wait_dscnt 0x2
	v_fma_f64 v[18:19], v[36:37], v[40:41], v[12:13]
	v_fma_f64 v[36:37], v[38:39], v[40:41], v[10:11]
	ds_load_2addr_b64 v[10:13], v30 offset0:32 offset1:48
	s_wait_dscnt 0x0
	v_fma_f64 v[16:17], v[10:11], v[20:21], v[16:17]
	v_fma_f64 v[14:15], v[12:13], v[20:21], v[14:15]
	v_fma_f64 v[18:19], v[10:11], v[42:43], v[18:19]
	v_fma_f64 v[20:21], v[12:13], v[42:43], v[36:37]
	ds_load_2addr_b64 v[10:13], v30 offset0:64 offset1:80
	s_wait_dscnt 0x0
	v_fma_f64 v[16:17], v[10:11], v[44:45], v[16:17]
	v_fma_f64 v[14:15], v[12:13], v[44:45], v[14:15]
	;; [unrolled: 6-line block ×3, first 2 shown]
	v_fma_f64 v[48:49], v[10:11], v[50:51], v[18:19]
	v_fma_f64 v[50:51], v[12:13], v[50:51], v[20:21]
	ds_load_b128 v[10:13], v31 offset:32
	ds_load_2addr_b64 v[14:17], v30 offset0:128 offset1:144
	ds_load_b128 v[18:21], v31 offset:1056
	ds_load_b128 v[36:39], v31 offset:48
	;; [unrolled: 1-line block ×3, first 2 shown]
	s_wait_dscnt 0x3
	v_fma_f64 v[44:45], v[14:15], v[10:11], v[44:45]
	v_fma_f64 v[10:11], v[16:17], v[10:11], v[46:47]
	s_wait_dscnt 0x2
	v_fma_f64 v[46:47], v[14:15], v[18:19], v[48:49]
	v_fma_f64 v[18:19], v[16:17], v[18:19], v[50:51]
	ds_load_2addr_b64 v[14:17], v30 offset0:160 offset1:176
	s_wait_dscnt 0x0
	v_fma_f64 v[44:45], v[14:15], v[12:13], v[44:45]
	v_fma_f64 v[48:49], v[16:17], v[12:13], v[10:11]
	;; [unrolled: 1-line block ×4, first 2 shown]
	ds_load_2addr_b64 v[10:13], v30 offset0:192 offset1:208
	ds_load_2addr_b64 v[18:21], v30 offset0:224 offset1:240
	s_wait_loadcnt_dscnt 0x0
	s_barrier_signal -1
	s_barrier_wait -1
	global_inv scope:SCOPE_SE
	v_fma_f64 v[44:45], v[10:11], v[36:37], v[44:45]
	v_fma_f64 v[36:37], v[12:13], v[36:37], v[48:49]
	;; [unrolled: 1-line block ×4, first 2 shown]
	s_delay_alu instid0(VALU_DEP_4) | instskip(NEXT) | instid1(VALU_DEP_4)
	v_fma_f64 v[16:17], v[18:19], v[38:39], v[44:45]
	v_fma_f64 v[14:15], v[20:21], v[38:39], v[36:37]
	s_delay_alu instid0(VALU_DEP_4) | instskip(NEXT) | instid1(VALU_DEP_4)
	v_fma_f64 v[12:13], v[18:19], v[42:43], v[10:11]
	v_fma_f64 v[10:11], v[20:21], v[42:43], v[40:41]
	s_wait_alu 0xfffe
	s_cbranch_vccz .LBB205_15
.LBB205_9:                              ;   Parent Loop BB205_6 Depth=1
                                        ; =>  This Inner Loop Header: Depth=2
	v_mov_b32_e32 v18, 0
	v_mov_b32_e32 v19, 0
	s_and_saveexec_b32 s15, s0
	s_cbranch_execz .LBB205_13
; %bb.10:                               ;   in Loop: Header=BB205_9 Depth=2
	v_mov_b32_e32 v18, 0
	s_wait_alu 0xfffe
	v_dual_mov_b32 v19, 0 :: v_dual_add_nc_u32 v0, s2, v23
	s_mov_b32 s24, exec_lo
	s_delay_alu instid0(VALU_DEP_1)
	v_cmpx_gt_u64_e64 s[4:5], v[0:1]
	s_cbranch_execz .LBB205_12
; %bb.11:                               ;   in Loop: Header=BB205_9 Depth=2
	v_lshlrev_b64_e32 v[18:19], 3, v[0:1]
	s_delay_alu instid0(VALU_DEP_1) | instskip(SKIP_1) | instid1(VALU_DEP_2)
	v_add_co_u32 v18, vcc_lo, v32, v18
	s_wait_alu 0xfffd
	v_add_co_ci_u32_e64 v19, null, v33, v19, vcc_lo
	global_load_b64 v[18:19], v[18:19], off
.LBB205_12:                             ;   in Loop: Header=BB205_9 Depth=2
	s_wait_alu 0xfffe
	s_or_b32 exec_lo, exec_lo, s24
.LBB205_13:                             ;   in Loop: Header=BB205_9 Depth=2
	s_wait_alu 0xfffe
	s_or_b32 exec_lo, exec_lo, s15
	v_add_nc_u32_e32 v0, s2, v22
	v_mov_b32_e32 v20, 0
	v_mov_b32_e32 v21, 0
	s_wait_loadcnt 0x0
	ds_store_b64 v24, v[18:19]
	v_cmp_gt_u64_e32 vcc_lo, s[4:5], v[0:1]
	s_and_b32 s24, vcc_lo, s1
	s_wait_alu 0xfffe
	s_and_saveexec_b32 s15, s24
	s_cbranch_execz .LBB205_8
; %bb.14:                               ;   in Loop: Header=BB205_9 Depth=2
	v_mad_co_u64_u32 v[18:19], null, s16, v0, 0
	s_delay_alu instid0(VALU_DEP_1) | instskip(NEXT) | instid1(VALU_DEP_1)
	v_mad_co_u64_u32 v[19:20], null, s17, v0, v[19:20]
	v_lshlrev_b64_e32 v[18:19], 3, v[18:19]
	s_delay_alu instid0(VALU_DEP_1) | instskip(SKIP_1) | instid1(VALU_DEP_2)
	v_add_co_u32 v18, vcc_lo, v34, v18
	s_wait_alu 0xfffd
	v_add_co_ci_u32_e64 v19, null, v35, v19, vcc_lo
	global_load_b64 v[20:21], v[18:19], off
	s_branch .LBB205_8
.LBB205_15:                             ;   in Loop: Header=BB205_6 Depth=1
	s_mul_u64 s[2:3], s[26:27], s[28:29]
	s_wait_alu 0xfffe
	s_lshl_b64 s[2:3], s[2:3], 3
	s_wait_alu 0xfffe
	s_add_nc_u64 s[2:3], s[22:23], s[2:3]
	s_wait_alu 0xfffe
	v_add_co_u32 v0, vcc_lo, s2, v4
	s_wait_alu 0xfffd
	v_add_co_ci_u32_e64 v18, null, s3, v5, vcc_lo
	s_and_saveexec_b32 s15, s8
	s_cbranch_execz .LBB205_19
; %bb.16:                               ;   in Loop: Header=BB205_6 Depth=1
	v_mul_f64_e32 v[16:17], s[6:7], v[16:17]
	s_and_b32 vcc_lo, exec_lo, s31
	s_wait_alu 0xfffe
	s_cbranch_vccz .LBB205_30
; %bb.17:                               ;   in Loop: Header=BB205_6 Depth=1
	v_add_co_u32 v19, vcc_lo, v0, v8
	s_wait_alu 0xfffd
	v_add_co_ci_u32_e64 v20, null, v18, v9, vcc_lo
	global_load_b64 v[32:33], v[19:20], off
	s_wait_loadcnt 0x0
	v_fma_f64 v[32:33], s[20:21], v[32:33], v[16:17]
	global_store_b64 v[19:20], v[32:33], off
	s_cbranch_execnz .LBB205_19
.LBB205_18:                             ;   in Loop: Header=BB205_6 Depth=1
	v_add_co_u32 v19, vcc_lo, v0, v8
	s_wait_alu 0xfffd
	v_add_co_ci_u32_e64 v20, null, v18, v9, vcc_lo
	global_store_b64 v[19:20], v[16:17], off
.LBB205_19:                             ;   in Loop: Header=BB205_6 Depth=1
	s_wait_alu 0xfffe
	s_or_b32 exec_lo, exec_lo, s15
	s_and_saveexec_b32 s15, s9
	s_cbranch_execz .LBB205_23
; %bb.20:                               ;   in Loop: Header=BB205_6 Depth=1
	v_mul_f64_e32 v[14:15], s[6:7], v[14:15]
	s_and_not1_b32 vcc_lo, exec_lo, s31
	s_wait_alu 0xfffe
	s_cbranch_vccnz .LBB205_31
; %bb.21:                               ;   in Loop: Header=BB205_6 Depth=1
	v_lshlrev_b64_e32 v[16:17], 3, v[2:3]
	s_delay_alu instid0(VALU_DEP_1) | instskip(SKIP_1) | instid1(VALU_DEP_2)
	v_add_co_u32 v16, vcc_lo, v0, v16
	s_wait_alu 0xfffd
	v_add_co_ci_u32_e64 v17, null, v18, v17, vcc_lo
	global_load_b64 v[19:20], v[16:17], off
	s_wait_loadcnt 0x0
	v_fma_f64 v[19:20], s[20:21], v[19:20], v[14:15]
	global_store_b64 v[16:17], v[19:20], off
	s_cbranch_execnz .LBB205_23
.LBB205_22:                             ;   in Loop: Header=BB205_6 Depth=1
	v_lshlrev_b64_e32 v[16:17], 3, v[2:3]
	s_delay_alu instid0(VALU_DEP_1) | instskip(SKIP_1) | instid1(VALU_DEP_2)
	v_add_co_u32 v16, vcc_lo, v0, v16
	s_wait_alu 0xfffd
	v_add_co_ci_u32_e64 v17, null, v18, v17, vcc_lo
	global_store_b64 v[16:17], v[14:15], off
.LBB205_23:                             ;   in Loop: Header=BB205_6 Depth=1
	s_wait_alu 0xfffe
	s_or_b32 exec_lo, exec_lo, s15
	v_add_co_u32 v0, vcc_lo, s2, v6
	s_wait_alu 0xfffd
	v_add_co_ci_u32_e64 v14, null, s3, v7, vcc_lo
	s_and_saveexec_b32 s2, s11
	s_cbranch_execz .LBB205_27
; %bb.24:                               ;   in Loop: Header=BB205_6 Depth=1
	v_mul_f64_e32 v[12:13], s[6:7], v[12:13]
	s_and_not1_b32 vcc_lo, exec_lo, s31
	s_wait_alu 0xfffe
	s_cbranch_vccnz .LBB205_32
; %bb.25:                               ;   in Loop: Header=BB205_6 Depth=1
	v_add_co_u32 v15, vcc_lo, v0, v8
	s_wait_alu 0xfffd
	v_add_co_ci_u32_e64 v16, null, v14, v9, vcc_lo
	global_load_b64 v[17:18], v[15:16], off
	s_wait_loadcnt 0x0
	v_fma_f64 v[17:18], s[20:21], v[17:18], v[12:13]
	global_store_b64 v[15:16], v[17:18], off
	s_cbranch_execnz .LBB205_27
.LBB205_26:                             ;   in Loop: Header=BB205_6 Depth=1
	v_add_co_u32 v15, vcc_lo, v0, v8
	s_wait_alu 0xfffd
	v_add_co_ci_u32_e64 v16, null, v14, v9, vcc_lo
	global_store_b64 v[15:16], v[12:13], off
.LBB205_27:                             ;   in Loop: Header=BB205_6 Depth=1
	s_wait_alu 0xfffe
	s_or_b32 exec_lo, exec_lo, s2
	s_and_saveexec_b32 s2, s14
	s_cbranch_execz .LBB205_5
; %bb.28:                               ;   in Loop: Header=BB205_6 Depth=1
	v_mul_f64_e32 v[10:11], s[6:7], v[10:11]
	v_lshlrev_b64_e32 v[12:13], 3, v[2:3]
	s_and_not1_b32 vcc_lo, exec_lo, s31
	s_wait_alu 0xfffe
	s_cbranch_vccnz .LBB205_33
; %bb.29:                               ;   in Loop: Header=BB205_6 Depth=1
	s_delay_alu instid0(VALU_DEP_1)
	v_add_co_u32 v15, vcc_lo, v0, v12
	s_wait_alu 0xfffd
	v_add_co_ci_u32_e64 v16, null, v14, v13, vcc_lo
	global_load_b64 v[17:18], v[15:16], off
	s_wait_loadcnt 0x0
	v_fma_f64 v[17:18], s[20:21], v[17:18], v[10:11]
	global_store_b64 v[15:16], v[17:18], off
	s_cbranch_execnz .LBB205_5
	s_branch .LBB205_34
.LBB205_30:                             ;   in Loop: Header=BB205_6 Depth=1
	s_branch .LBB205_18
.LBB205_31:                             ;   in Loop: Header=BB205_6 Depth=1
	s_branch .LBB205_22
.LBB205_32:                             ;   in Loop: Header=BB205_6 Depth=1
	s_branch .LBB205_26
.LBB205_33:                             ;   in Loop: Header=BB205_6 Depth=1
.LBB205_34:                             ;   in Loop: Header=BB205_6 Depth=1
	s_delay_alu instid0(VALU_DEP_1)
	v_add_co_u32 v12, vcc_lo, v0, v12
	s_wait_alu 0xfffd
	v_add_co_ci_u32_e64 v13, null, v14, v13, vcc_lo
	global_store_b64 v[12:13], v[10:11], off
	s_branch .LBB205_5
.LBB205_35:
	s_endpgm
	.section	.rodata,"a",@progbits
	.p2align	6, 0x0
	.amdhsa_kernel _ZL29rocblas_internal_gemmt_kernelIlLi16ELi32ELi8ELc67ELc84ELc85ELb0ELb0EddPKdPdEviT_T9_T10_S3_lS5_S3_lS4_T11_S3_li
		.amdhsa_group_segment_fixed_size 4096
		.amdhsa_private_segment_fixed_size 0
		.amdhsa_kernarg_size 108
		.amdhsa_user_sgpr_count 2
		.amdhsa_user_sgpr_dispatch_ptr 0
		.amdhsa_user_sgpr_queue_ptr 0
		.amdhsa_user_sgpr_kernarg_segment_ptr 1
		.amdhsa_user_sgpr_dispatch_id 0
		.amdhsa_user_sgpr_private_segment_size 0
		.amdhsa_wavefront_size32 1
		.amdhsa_uses_dynamic_stack 0
		.amdhsa_enable_private_segment 0
		.amdhsa_system_sgpr_workgroup_id_x 1
		.amdhsa_system_sgpr_workgroup_id_y 1
		.amdhsa_system_sgpr_workgroup_id_z 1
		.amdhsa_system_sgpr_workgroup_info 0
		.amdhsa_system_vgpr_workitem_id 1
		.amdhsa_next_free_vgpr 52
		.amdhsa_next_free_sgpr 35
		.amdhsa_reserve_vcc 1
		.amdhsa_float_round_mode_32 0
		.amdhsa_float_round_mode_16_64 0
		.amdhsa_float_denorm_mode_32 3
		.amdhsa_float_denorm_mode_16_64 3
		.amdhsa_fp16_overflow 0
		.amdhsa_workgroup_processor_mode 1
		.amdhsa_memory_ordered 1
		.amdhsa_forward_progress 1
		.amdhsa_inst_pref_size 16
		.amdhsa_round_robin_scheduling 0
		.amdhsa_exception_fp_ieee_invalid_op 0
		.amdhsa_exception_fp_denorm_src 0
		.amdhsa_exception_fp_ieee_div_zero 0
		.amdhsa_exception_fp_ieee_overflow 0
		.amdhsa_exception_fp_ieee_underflow 0
		.amdhsa_exception_fp_ieee_inexact 0
		.amdhsa_exception_int_div_zero 0
	.end_amdhsa_kernel
	.section	.text._ZL29rocblas_internal_gemmt_kernelIlLi16ELi32ELi8ELc67ELc84ELc85ELb0ELb0EddPKdPdEviT_T9_T10_S3_lS5_S3_lS4_T11_S3_li,"axG",@progbits,_ZL29rocblas_internal_gemmt_kernelIlLi16ELi32ELi8ELc67ELc84ELc85ELb0ELb0EddPKdPdEviT_T9_T10_S3_lS5_S3_lS4_T11_S3_li,comdat
.Lfunc_end205:
	.size	_ZL29rocblas_internal_gemmt_kernelIlLi16ELi32ELi8ELc67ELc84ELc85ELb0ELb0EddPKdPdEviT_T9_T10_S3_lS5_S3_lS4_T11_S3_li, .Lfunc_end205-_ZL29rocblas_internal_gemmt_kernelIlLi16ELi32ELi8ELc67ELc84ELc85ELb0ELb0EddPKdPdEviT_T9_T10_S3_lS5_S3_lS4_T11_S3_li
                                        ; -- End function
	.set _ZL29rocblas_internal_gemmt_kernelIlLi16ELi32ELi8ELc67ELc84ELc85ELb0ELb0EddPKdPdEviT_T9_T10_S3_lS5_S3_lS4_T11_S3_li.num_vgpr, 52
	.set _ZL29rocblas_internal_gemmt_kernelIlLi16ELi32ELi8ELc67ELc84ELc85ELb0ELb0EddPKdPdEviT_T9_T10_S3_lS5_S3_lS4_T11_S3_li.num_agpr, 0
	.set _ZL29rocblas_internal_gemmt_kernelIlLi16ELi32ELi8ELc67ELc84ELc85ELb0ELb0EddPKdPdEviT_T9_T10_S3_lS5_S3_lS4_T11_S3_li.numbered_sgpr, 35
	.set _ZL29rocblas_internal_gemmt_kernelIlLi16ELi32ELi8ELc67ELc84ELc85ELb0ELb0EddPKdPdEviT_T9_T10_S3_lS5_S3_lS4_T11_S3_li.num_named_barrier, 0
	.set _ZL29rocblas_internal_gemmt_kernelIlLi16ELi32ELi8ELc67ELc84ELc85ELb0ELb0EddPKdPdEviT_T9_T10_S3_lS5_S3_lS4_T11_S3_li.private_seg_size, 0
	.set _ZL29rocblas_internal_gemmt_kernelIlLi16ELi32ELi8ELc67ELc84ELc85ELb0ELb0EddPKdPdEviT_T9_T10_S3_lS5_S3_lS4_T11_S3_li.uses_vcc, 1
	.set _ZL29rocblas_internal_gemmt_kernelIlLi16ELi32ELi8ELc67ELc84ELc85ELb0ELb0EddPKdPdEviT_T9_T10_S3_lS5_S3_lS4_T11_S3_li.uses_flat_scratch, 0
	.set _ZL29rocblas_internal_gemmt_kernelIlLi16ELi32ELi8ELc67ELc84ELc85ELb0ELb0EddPKdPdEviT_T9_T10_S3_lS5_S3_lS4_T11_S3_li.has_dyn_sized_stack, 0
	.set _ZL29rocblas_internal_gemmt_kernelIlLi16ELi32ELi8ELc67ELc84ELc85ELb0ELb0EddPKdPdEviT_T9_T10_S3_lS5_S3_lS4_T11_S3_li.has_recursion, 0
	.set _ZL29rocblas_internal_gemmt_kernelIlLi16ELi32ELi8ELc67ELc84ELc85ELb0ELb0EddPKdPdEviT_T9_T10_S3_lS5_S3_lS4_T11_S3_li.has_indirect_call, 0
	.section	.AMDGPU.csdata,"",@progbits
; Kernel info:
; codeLenInByte = 2040
; TotalNumSgprs: 37
; NumVgprs: 52
; ScratchSize: 0
; MemoryBound: 0
; FloatMode: 240
; IeeeMode: 1
; LDSByteSize: 4096 bytes/workgroup (compile time only)
; SGPRBlocks: 0
; VGPRBlocks: 6
; NumSGPRsForWavesPerEU: 37
; NumVGPRsForWavesPerEU: 52
; Occupancy: 16
; WaveLimiterHint : 0
; COMPUTE_PGM_RSRC2:SCRATCH_EN: 0
; COMPUTE_PGM_RSRC2:USER_SGPR: 2
; COMPUTE_PGM_RSRC2:TRAP_HANDLER: 0
; COMPUTE_PGM_RSRC2:TGID_X_EN: 1
; COMPUTE_PGM_RSRC2:TGID_Y_EN: 1
; COMPUTE_PGM_RSRC2:TGID_Z_EN: 1
; COMPUTE_PGM_RSRC2:TIDIG_COMP_CNT: 1
	.section	.text._ZL29rocblas_internal_gemmt_kernelIlLi16ELi32ELi8ELc67ELc67ELc85ELb0ELb0EddPKdPdEviT_T9_T10_S3_lS5_S3_lS4_T11_S3_li,"axG",@progbits,_ZL29rocblas_internal_gemmt_kernelIlLi16ELi32ELi8ELc67ELc67ELc85ELb0ELb0EddPKdPdEviT_T9_T10_S3_lS5_S3_lS4_T11_S3_li,comdat
	.globl	_ZL29rocblas_internal_gemmt_kernelIlLi16ELi32ELi8ELc67ELc67ELc85ELb0ELb0EddPKdPdEviT_T9_T10_S3_lS5_S3_lS4_T11_S3_li ; -- Begin function _ZL29rocblas_internal_gemmt_kernelIlLi16ELi32ELi8ELc67ELc67ELc85ELb0ELb0EddPKdPdEviT_T9_T10_S3_lS5_S3_lS4_T11_S3_li
	.p2align	8
	.type	_ZL29rocblas_internal_gemmt_kernelIlLi16ELi32ELi8ELc67ELc67ELc85ELb0ELb0EddPKdPdEviT_T9_T10_S3_lS5_S3_lS4_T11_S3_li,@function
_ZL29rocblas_internal_gemmt_kernelIlLi16ELi32ELi8ELc67ELc67ELc85ELb0ELb0EddPKdPdEviT_T9_T10_S3_lS5_S3_lS4_T11_S3_li: ; @_ZL29rocblas_internal_gemmt_kernelIlLi16ELi32ELi8ELc67ELc67ELc85ELb0ELb0EddPKdPdEviT_T9_T10_S3_lS5_S3_lS4_T11_S3_li
; %bb.0:
	s_clause 0x1
	s_load_b256 s[20:27], s[0:1], 0x48
	s_load_b512 s[4:19], s[0:1], 0x8
	s_wait_kmcnt 0x0
	v_cmp_neq_f64_e64 s2, s[20:21], 1.0
	s_and_b32 vcc_lo, exec_lo, s2
	s_cbranch_vccnz .LBB206_2
; %bb.1:
	v_cmp_neq_f64_e64 s2, s[6:7], 0
	s_cmp_lg_u64 s[4:5], 0
	s_cselect_b32 s3, -1, 0
	s_delay_alu instid0(SALU_CYCLE_1)
	s_and_b32 s2, s3, s2
.LBB206_2:
	s_delay_alu instid0(SALU_CYCLE_1)
	s_and_not1_b32 vcc_lo, exec_lo, s2
	s_cbranch_vccnz .LBB206_35
; %bb.3:
	s_load_b32 s30, s[0:1], 0x68
	s_lshr_b32 s28, ttmp7, 16
	s_wait_kmcnt 0x0
	s_cmp_ge_u32 s28, s30
	s_cbranch_scc1 .LBB206_35
; %bb.4:
	v_and_b32_e32 v9, 0x3ff, v0
	v_bfe_u32 v12, v0, 10, 10
	v_dual_mov_b32 v1, 0 :: v_dual_and_b32 v22, 7, v0
	s_load_b32 s29, s[0:1], 0x0
	s_lshl_b32 s2, ttmp9, 5
	s_delay_alu instid0(VALU_DEP_2)
	v_lshl_add_u32 v4, v12, 4, v9
	s_lshl_b32 s0, ttmp7, 5
	v_lshlrev_b32_e32 v8, 3, v22
	s_and_b32 s0, s0, 0x1fffe0
	s_ashr_i32 s1, s2, 31
	v_and_b32_e32 v0, 31, v4
	v_add_nc_u32_e32 v13, s0, v12
	v_lshrrev_b32_e32 v10, 3, v4
	v_cmp_neq_f64_e64 s33, s[6:7], 0
	s_mul_i32 s1, s10, s1
	v_or_b32_e32 v6, s2, v0
	v_cmp_neq_f64_e64 s31, s[20:21], 0
	v_lshrrev_b32_e32 v23, 5, v4
	v_mad_co_u64_u32 v[4:5], null, s24, v13, 0
	s_delay_alu instid0(VALU_DEP_4)
	v_mul_lo_u32 v7, s11, v6
	v_mad_co_u64_u32 v[2:3], null, s10, v6, 0
	v_add_nc_u32_e32 v14, 16, v13
	v_lshl_or_b32 v8, v10, 6, v8
	v_lshlrev_b32_e32 v0, 3, v0
	v_cmp_gt_i64_e64 s34, s[4:5], 0
	v_lshl_add_u32 v31, v12, 6, 0x800
	s_wait_alu 0xfffe
	v_add3_u32 v3, v3, s1, v7
	v_add_nc_u32_e32 v7, s0, v10
	s_wait_kmcnt 0x0
	v_cmp_gt_i32_e64 s0, s29, v6
	v_add_nc_u32_e32 v25, 0x800, v8
	v_lshl_or_b32 v24, v23, 8, v0
	v_mov_b32_e32 v0, v5
	v_cmp_gt_i32_e64 s1, s29, v7
	v_lshlrev_b32_e32 v8, 3, v7
	v_mad_co_u64_u32 v[6:7], null, s24, v14, 0
	v_lshlrev_b32_e32 v30, 3, v9
	v_lshlrev_b64_e32 v[2:3], 3, v[2:3]
	s_delay_alu instid0(VALU_DEP_4) | instskip(SKIP_4) | instid1(VALU_DEP_4)
	v_add_co_u32 v28, s3, s14, v8
	v_add_nc_u32_e32 v8, s2, v9
	v_mad_co_u64_u32 v[9:10], null, s25, v13, v[0:1]
	v_mov_b32_e32 v0, v7
	v_add_co_u32 v26, vcc_lo, s8, v2
	v_add_nc_u32_e32 v2, 16, v8
	v_add_co_ci_u32_e64 v27, null, s9, v3, vcc_lo
	s_delay_alu instid0(VALU_DEP_4)
	v_mad_co_u64_u32 v[10:11], null, s25, v14, v[0:1]
	s_wait_alu 0xf1ff
	v_add_co_ci_u32_e64 v29, null, s15, 0, s3
	v_cmp_gt_i32_e32 vcc_lo, s29, v13
	v_cmp_le_i32_e64 s2, v8, v13
	v_cmp_le_i32_e64 s3, v2, v13
	v_mov_b32_e32 v5, v9
	v_ashrrev_i32_e32 v9, 31, v8
	v_mov_b32_e32 v7, v10
	s_and_b32 s8, vcc_lo, s2
	s_and_b32 s9, vcc_lo, s3
	v_cmp_gt_i32_e32 vcc_lo, s29, v14
	v_cmp_le_i32_e64 s2, v8, v14
	v_cmp_le_i32_e64 s3, v2, v14
	v_lshlrev_b64_e32 v[4:5], 3, v[4:5]
	v_lshlrev_b64_e32 v[6:7], 3, v[6:7]
	;; [unrolled: 1-line block ×3, first 2 shown]
	v_ashrrev_i32_e32 v3, 31, v2
	s_and_b32 s10, s33, s34
	s_and_b32 s11, vcc_lo, s2
	s_and_b32 s14, vcc_lo, s3
	s_mov_b32 s29, 0
	s_branch .LBB206_6
.LBB206_5:                              ;   in Loop: Header=BB206_6 Depth=1
	s_wait_alu 0xfffe
	s_or_b32 exec_lo, exec_lo, s2
	s_add_co_i32 s28, s28, 0x10000
	s_wait_alu 0xfffe
	s_cmp_lt_u32 s28, s30
	s_cbranch_scc0 .LBB206_35
.LBB206_6:                              ; =>This Loop Header: Depth=1
                                        ;     Child Loop BB206_9 Depth 2
	v_mov_b32_e32 v16, 0
	v_dual_mov_b32 v12, 0 :: v_dual_mov_b32 v17, 0
	v_dual_mov_b32 v14, 0 :: v_dual_mov_b32 v13, 0
	;; [unrolled: 1-line block ×3, first 2 shown]
	v_mov_b32_e32 v11, 0
	s_wait_alu 0xfffe
	s_and_not1_b32 vcc_lo, exec_lo, s10
	s_wait_alu 0xfffe
	s_cbranch_vccnz .LBB206_15
; %bb.7:                                ;   in Loop: Header=BB206_6 Depth=1
	s_mul_u64 s[2:3], s[12:13], s[28:29]
	s_mul_u64 s[24:25], s[18:19], s[28:29]
	s_wait_alu 0xfffe
	s_lshl_b64 s[2:3], s[2:3], 3
	v_mov_b32_e32 v10, 0
	s_wait_alu 0xfffe
	v_add_co_u32 v32, vcc_lo, v26, s2
	s_wait_alu 0xfffd
	v_add_co_ci_u32_e64 v33, null, s3, v27, vcc_lo
	s_lshl_b64 s[2:3], s[24:25], 3
	v_mov_b32_e32 v14, 0
	s_wait_alu 0xfffe
	v_add_co_u32 v34, vcc_lo, v28, s2
	v_dual_mov_b32 v11, 0 :: v_dual_mov_b32 v12, 0
	v_dual_mov_b32 v15, 0 :: v_dual_mov_b32 v16, 0
	v_mov_b32_e32 v13, 0
	v_mov_b32_e32 v17, 0
	s_wait_alu 0xfffd
	v_add_co_ci_u32_e64 v35, null, s3, v29, vcc_lo
	s_mov_b64 s[2:3], 0
	s_branch .LBB206_9
.LBB206_8:                              ;   in Loop: Header=BB206_9 Depth=2
	s_wait_alu 0xfffe
	s_or_b32 exec_lo, exec_lo, s15
	s_wait_loadcnt 0x0
	ds_store_b64 v25, v[20:21]
	s_wait_dscnt 0x0
	s_barrier_signal -1
	s_barrier_wait -1
	global_inv scope:SCOPE_SE
	ds_load_b128 v[18:21], v31
	ds_load_2addr_b64 v[36:39], v30 offset1:16
	ds_load_b128 v[40:43], v31 offset:1024
	ds_load_b128 v[44:47], v31 offset:16
	;; [unrolled: 1-line block ×3, first 2 shown]
	s_add_nc_u64 s[2:3], s[2:3], 8
	s_wait_alu 0xfffe
	v_cmp_gt_i64_e64 s15, s[4:5], s[2:3]
	s_and_b32 vcc_lo, exec_lo, s15
	s_wait_dscnt 0x3
	v_fma_f64 v[16:17], v[36:37], v[18:19], v[16:17]
	v_fma_f64 v[14:15], v[38:39], v[18:19], v[14:15]
	s_wait_dscnt 0x2
	v_fma_f64 v[18:19], v[36:37], v[40:41], v[12:13]
	v_fma_f64 v[36:37], v[38:39], v[40:41], v[10:11]
	ds_load_2addr_b64 v[10:13], v30 offset0:32 offset1:48
	s_wait_dscnt 0x0
	v_fma_f64 v[16:17], v[10:11], v[20:21], v[16:17]
	v_fma_f64 v[14:15], v[12:13], v[20:21], v[14:15]
	v_fma_f64 v[18:19], v[10:11], v[42:43], v[18:19]
	v_fma_f64 v[20:21], v[12:13], v[42:43], v[36:37]
	ds_load_2addr_b64 v[10:13], v30 offset0:64 offset1:80
	s_wait_dscnt 0x0
	v_fma_f64 v[16:17], v[10:11], v[44:45], v[16:17]
	v_fma_f64 v[14:15], v[12:13], v[44:45], v[14:15]
	;; [unrolled: 6-line block ×3, first 2 shown]
	v_fma_f64 v[48:49], v[10:11], v[50:51], v[18:19]
	v_fma_f64 v[50:51], v[12:13], v[50:51], v[20:21]
	ds_load_b128 v[10:13], v31 offset:32
	ds_load_2addr_b64 v[14:17], v30 offset0:128 offset1:144
	ds_load_b128 v[18:21], v31 offset:1056
	ds_load_b128 v[36:39], v31 offset:48
	ds_load_b128 v[40:43], v31 offset:1072
	s_wait_dscnt 0x3
	v_fma_f64 v[44:45], v[14:15], v[10:11], v[44:45]
	v_fma_f64 v[10:11], v[16:17], v[10:11], v[46:47]
	s_wait_dscnt 0x2
	v_fma_f64 v[46:47], v[14:15], v[18:19], v[48:49]
	v_fma_f64 v[18:19], v[16:17], v[18:19], v[50:51]
	ds_load_2addr_b64 v[14:17], v30 offset0:160 offset1:176
	s_wait_dscnt 0x0
	v_fma_f64 v[44:45], v[14:15], v[12:13], v[44:45]
	v_fma_f64 v[48:49], v[16:17], v[12:13], v[10:11]
	;; [unrolled: 1-line block ×4, first 2 shown]
	ds_load_2addr_b64 v[10:13], v30 offset0:192 offset1:208
	ds_load_2addr_b64 v[18:21], v30 offset0:224 offset1:240
	s_wait_loadcnt_dscnt 0x0
	s_barrier_signal -1
	s_barrier_wait -1
	global_inv scope:SCOPE_SE
	v_fma_f64 v[44:45], v[10:11], v[36:37], v[44:45]
	v_fma_f64 v[36:37], v[12:13], v[36:37], v[48:49]
	;; [unrolled: 1-line block ×4, first 2 shown]
	s_delay_alu instid0(VALU_DEP_4) | instskip(NEXT) | instid1(VALU_DEP_4)
	v_fma_f64 v[16:17], v[18:19], v[38:39], v[44:45]
	v_fma_f64 v[14:15], v[20:21], v[38:39], v[36:37]
	s_delay_alu instid0(VALU_DEP_4) | instskip(NEXT) | instid1(VALU_DEP_4)
	v_fma_f64 v[12:13], v[18:19], v[42:43], v[10:11]
	v_fma_f64 v[10:11], v[20:21], v[42:43], v[40:41]
	s_wait_alu 0xfffe
	s_cbranch_vccz .LBB206_15
.LBB206_9:                              ;   Parent Loop BB206_6 Depth=1
                                        ; =>  This Inner Loop Header: Depth=2
	v_mov_b32_e32 v18, 0
	v_mov_b32_e32 v19, 0
	s_and_saveexec_b32 s15, s0
	s_cbranch_execz .LBB206_13
; %bb.10:                               ;   in Loop: Header=BB206_9 Depth=2
	v_mov_b32_e32 v18, 0
	s_wait_alu 0xfffe
	v_dual_mov_b32 v19, 0 :: v_dual_add_nc_u32 v0, s2, v23
	s_mov_b32 s24, exec_lo
	s_delay_alu instid0(VALU_DEP_1)
	v_cmpx_gt_u64_e64 s[4:5], v[0:1]
	s_cbranch_execz .LBB206_12
; %bb.11:                               ;   in Loop: Header=BB206_9 Depth=2
	v_lshlrev_b64_e32 v[18:19], 3, v[0:1]
	s_delay_alu instid0(VALU_DEP_1) | instskip(SKIP_1) | instid1(VALU_DEP_2)
	v_add_co_u32 v18, vcc_lo, v32, v18
	s_wait_alu 0xfffd
	v_add_co_ci_u32_e64 v19, null, v33, v19, vcc_lo
	global_load_b64 v[18:19], v[18:19], off
.LBB206_12:                             ;   in Loop: Header=BB206_9 Depth=2
	s_wait_alu 0xfffe
	s_or_b32 exec_lo, exec_lo, s24
.LBB206_13:                             ;   in Loop: Header=BB206_9 Depth=2
	s_wait_alu 0xfffe
	s_or_b32 exec_lo, exec_lo, s15
	v_add_nc_u32_e32 v0, s2, v22
	v_mov_b32_e32 v20, 0
	v_mov_b32_e32 v21, 0
	s_wait_loadcnt 0x0
	ds_store_b64 v24, v[18:19]
	v_cmp_gt_u64_e32 vcc_lo, s[4:5], v[0:1]
	s_and_b32 s24, vcc_lo, s1
	s_wait_alu 0xfffe
	s_and_saveexec_b32 s15, s24
	s_cbranch_execz .LBB206_8
; %bb.14:                               ;   in Loop: Header=BB206_9 Depth=2
	v_mad_co_u64_u32 v[18:19], null, s16, v0, 0
	s_delay_alu instid0(VALU_DEP_1) | instskip(NEXT) | instid1(VALU_DEP_1)
	v_mad_co_u64_u32 v[19:20], null, s17, v0, v[19:20]
	v_lshlrev_b64_e32 v[18:19], 3, v[18:19]
	s_delay_alu instid0(VALU_DEP_1) | instskip(SKIP_1) | instid1(VALU_DEP_2)
	v_add_co_u32 v18, vcc_lo, v34, v18
	s_wait_alu 0xfffd
	v_add_co_ci_u32_e64 v19, null, v35, v19, vcc_lo
	global_load_b64 v[20:21], v[18:19], off
	s_branch .LBB206_8
.LBB206_15:                             ;   in Loop: Header=BB206_6 Depth=1
	s_mul_u64 s[2:3], s[26:27], s[28:29]
	s_wait_alu 0xfffe
	s_lshl_b64 s[2:3], s[2:3], 3
	s_wait_alu 0xfffe
	s_add_nc_u64 s[2:3], s[22:23], s[2:3]
	s_wait_alu 0xfffe
	v_add_co_u32 v0, vcc_lo, s2, v4
	s_wait_alu 0xfffd
	v_add_co_ci_u32_e64 v18, null, s3, v5, vcc_lo
	s_and_saveexec_b32 s15, s8
	s_cbranch_execz .LBB206_19
; %bb.16:                               ;   in Loop: Header=BB206_6 Depth=1
	v_mul_f64_e32 v[16:17], s[6:7], v[16:17]
	s_and_b32 vcc_lo, exec_lo, s31
	s_wait_alu 0xfffe
	s_cbranch_vccz .LBB206_30
; %bb.17:                               ;   in Loop: Header=BB206_6 Depth=1
	v_add_co_u32 v19, vcc_lo, v0, v8
	s_wait_alu 0xfffd
	v_add_co_ci_u32_e64 v20, null, v18, v9, vcc_lo
	global_load_b64 v[32:33], v[19:20], off
	s_wait_loadcnt 0x0
	v_fma_f64 v[32:33], s[20:21], v[32:33], v[16:17]
	global_store_b64 v[19:20], v[32:33], off
	s_cbranch_execnz .LBB206_19
.LBB206_18:                             ;   in Loop: Header=BB206_6 Depth=1
	v_add_co_u32 v19, vcc_lo, v0, v8
	s_wait_alu 0xfffd
	v_add_co_ci_u32_e64 v20, null, v18, v9, vcc_lo
	global_store_b64 v[19:20], v[16:17], off
.LBB206_19:                             ;   in Loop: Header=BB206_6 Depth=1
	s_wait_alu 0xfffe
	s_or_b32 exec_lo, exec_lo, s15
	s_and_saveexec_b32 s15, s9
	s_cbranch_execz .LBB206_23
; %bb.20:                               ;   in Loop: Header=BB206_6 Depth=1
	v_mul_f64_e32 v[14:15], s[6:7], v[14:15]
	s_and_not1_b32 vcc_lo, exec_lo, s31
	s_wait_alu 0xfffe
	s_cbranch_vccnz .LBB206_31
; %bb.21:                               ;   in Loop: Header=BB206_6 Depth=1
	v_lshlrev_b64_e32 v[16:17], 3, v[2:3]
	s_delay_alu instid0(VALU_DEP_1) | instskip(SKIP_1) | instid1(VALU_DEP_2)
	v_add_co_u32 v16, vcc_lo, v0, v16
	s_wait_alu 0xfffd
	v_add_co_ci_u32_e64 v17, null, v18, v17, vcc_lo
	global_load_b64 v[19:20], v[16:17], off
	s_wait_loadcnt 0x0
	v_fma_f64 v[19:20], s[20:21], v[19:20], v[14:15]
	global_store_b64 v[16:17], v[19:20], off
	s_cbranch_execnz .LBB206_23
.LBB206_22:                             ;   in Loop: Header=BB206_6 Depth=1
	v_lshlrev_b64_e32 v[16:17], 3, v[2:3]
	s_delay_alu instid0(VALU_DEP_1) | instskip(SKIP_1) | instid1(VALU_DEP_2)
	v_add_co_u32 v16, vcc_lo, v0, v16
	s_wait_alu 0xfffd
	v_add_co_ci_u32_e64 v17, null, v18, v17, vcc_lo
	global_store_b64 v[16:17], v[14:15], off
.LBB206_23:                             ;   in Loop: Header=BB206_6 Depth=1
	s_wait_alu 0xfffe
	s_or_b32 exec_lo, exec_lo, s15
	v_add_co_u32 v0, vcc_lo, s2, v6
	s_wait_alu 0xfffd
	v_add_co_ci_u32_e64 v14, null, s3, v7, vcc_lo
	s_and_saveexec_b32 s2, s11
	s_cbranch_execz .LBB206_27
; %bb.24:                               ;   in Loop: Header=BB206_6 Depth=1
	v_mul_f64_e32 v[12:13], s[6:7], v[12:13]
	s_and_not1_b32 vcc_lo, exec_lo, s31
	s_wait_alu 0xfffe
	s_cbranch_vccnz .LBB206_32
; %bb.25:                               ;   in Loop: Header=BB206_6 Depth=1
	v_add_co_u32 v15, vcc_lo, v0, v8
	s_wait_alu 0xfffd
	v_add_co_ci_u32_e64 v16, null, v14, v9, vcc_lo
	global_load_b64 v[17:18], v[15:16], off
	s_wait_loadcnt 0x0
	v_fma_f64 v[17:18], s[20:21], v[17:18], v[12:13]
	global_store_b64 v[15:16], v[17:18], off
	s_cbranch_execnz .LBB206_27
.LBB206_26:                             ;   in Loop: Header=BB206_6 Depth=1
	v_add_co_u32 v15, vcc_lo, v0, v8
	s_wait_alu 0xfffd
	v_add_co_ci_u32_e64 v16, null, v14, v9, vcc_lo
	global_store_b64 v[15:16], v[12:13], off
.LBB206_27:                             ;   in Loop: Header=BB206_6 Depth=1
	s_wait_alu 0xfffe
	s_or_b32 exec_lo, exec_lo, s2
	s_and_saveexec_b32 s2, s14
	s_cbranch_execz .LBB206_5
; %bb.28:                               ;   in Loop: Header=BB206_6 Depth=1
	v_mul_f64_e32 v[10:11], s[6:7], v[10:11]
	v_lshlrev_b64_e32 v[12:13], 3, v[2:3]
	s_and_not1_b32 vcc_lo, exec_lo, s31
	s_wait_alu 0xfffe
	s_cbranch_vccnz .LBB206_33
; %bb.29:                               ;   in Loop: Header=BB206_6 Depth=1
	s_delay_alu instid0(VALU_DEP_1)
	v_add_co_u32 v15, vcc_lo, v0, v12
	s_wait_alu 0xfffd
	v_add_co_ci_u32_e64 v16, null, v14, v13, vcc_lo
	global_load_b64 v[17:18], v[15:16], off
	s_wait_loadcnt 0x0
	v_fma_f64 v[17:18], s[20:21], v[17:18], v[10:11]
	global_store_b64 v[15:16], v[17:18], off
	s_cbranch_execnz .LBB206_5
	s_branch .LBB206_34
.LBB206_30:                             ;   in Loop: Header=BB206_6 Depth=1
	s_branch .LBB206_18
.LBB206_31:                             ;   in Loop: Header=BB206_6 Depth=1
	s_branch .LBB206_22
.LBB206_32:                             ;   in Loop: Header=BB206_6 Depth=1
	s_branch .LBB206_26
.LBB206_33:                             ;   in Loop: Header=BB206_6 Depth=1
.LBB206_34:                             ;   in Loop: Header=BB206_6 Depth=1
	s_delay_alu instid0(VALU_DEP_1)
	v_add_co_u32 v12, vcc_lo, v0, v12
	s_wait_alu 0xfffd
	v_add_co_ci_u32_e64 v13, null, v14, v13, vcc_lo
	global_store_b64 v[12:13], v[10:11], off
	s_branch .LBB206_5
.LBB206_35:
	s_endpgm
	.section	.rodata,"a",@progbits
	.p2align	6, 0x0
	.amdhsa_kernel _ZL29rocblas_internal_gemmt_kernelIlLi16ELi32ELi8ELc67ELc67ELc85ELb0ELb0EddPKdPdEviT_T9_T10_S3_lS5_S3_lS4_T11_S3_li
		.amdhsa_group_segment_fixed_size 4096
		.amdhsa_private_segment_fixed_size 0
		.amdhsa_kernarg_size 108
		.amdhsa_user_sgpr_count 2
		.amdhsa_user_sgpr_dispatch_ptr 0
		.amdhsa_user_sgpr_queue_ptr 0
		.amdhsa_user_sgpr_kernarg_segment_ptr 1
		.amdhsa_user_sgpr_dispatch_id 0
		.amdhsa_user_sgpr_private_segment_size 0
		.amdhsa_wavefront_size32 1
		.amdhsa_uses_dynamic_stack 0
		.amdhsa_enable_private_segment 0
		.amdhsa_system_sgpr_workgroup_id_x 1
		.amdhsa_system_sgpr_workgroup_id_y 1
		.amdhsa_system_sgpr_workgroup_id_z 1
		.amdhsa_system_sgpr_workgroup_info 0
		.amdhsa_system_vgpr_workitem_id 1
		.amdhsa_next_free_vgpr 52
		.amdhsa_next_free_sgpr 35
		.amdhsa_reserve_vcc 1
		.amdhsa_float_round_mode_32 0
		.amdhsa_float_round_mode_16_64 0
		.amdhsa_float_denorm_mode_32 3
		.amdhsa_float_denorm_mode_16_64 3
		.amdhsa_fp16_overflow 0
		.amdhsa_workgroup_processor_mode 1
		.amdhsa_memory_ordered 1
		.amdhsa_forward_progress 1
		.amdhsa_inst_pref_size 16
		.amdhsa_round_robin_scheduling 0
		.amdhsa_exception_fp_ieee_invalid_op 0
		.amdhsa_exception_fp_denorm_src 0
		.amdhsa_exception_fp_ieee_div_zero 0
		.amdhsa_exception_fp_ieee_overflow 0
		.amdhsa_exception_fp_ieee_underflow 0
		.amdhsa_exception_fp_ieee_inexact 0
		.amdhsa_exception_int_div_zero 0
	.end_amdhsa_kernel
	.section	.text._ZL29rocblas_internal_gemmt_kernelIlLi16ELi32ELi8ELc67ELc67ELc85ELb0ELb0EddPKdPdEviT_T9_T10_S3_lS5_S3_lS4_T11_S3_li,"axG",@progbits,_ZL29rocblas_internal_gemmt_kernelIlLi16ELi32ELi8ELc67ELc67ELc85ELb0ELb0EddPKdPdEviT_T9_T10_S3_lS5_S3_lS4_T11_S3_li,comdat
.Lfunc_end206:
	.size	_ZL29rocblas_internal_gemmt_kernelIlLi16ELi32ELi8ELc67ELc67ELc85ELb0ELb0EddPKdPdEviT_T9_T10_S3_lS5_S3_lS4_T11_S3_li, .Lfunc_end206-_ZL29rocblas_internal_gemmt_kernelIlLi16ELi32ELi8ELc67ELc67ELc85ELb0ELb0EddPKdPdEviT_T9_T10_S3_lS5_S3_lS4_T11_S3_li
                                        ; -- End function
	.set _ZL29rocblas_internal_gemmt_kernelIlLi16ELi32ELi8ELc67ELc67ELc85ELb0ELb0EddPKdPdEviT_T9_T10_S3_lS5_S3_lS4_T11_S3_li.num_vgpr, 52
	.set _ZL29rocblas_internal_gemmt_kernelIlLi16ELi32ELi8ELc67ELc67ELc85ELb0ELb0EddPKdPdEviT_T9_T10_S3_lS5_S3_lS4_T11_S3_li.num_agpr, 0
	.set _ZL29rocblas_internal_gemmt_kernelIlLi16ELi32ELi8ELc67ELc67ELc85ELb0ELb0EddPKdPdEviT_T9_T10_S3_lS5_S3_lS4_T11_S3_li.numbered_sgpr, 35
	.set _ZL29rocblas_internal_gemmt_kernelIlLi16ELi32ELi8ELc67ELc67ELc85ELb0ELb0EddPKdPdEviT_T9_T10_S3_lS5_S3_lS4_T11_S3_li.num_named_barrier, 0
	.set _ZL29rocblas_internal_gemmt_kernelIlLi16ELi32ELi8ELc67ELc67ELc85ELb0ELb0EddPKdPdEviT_T9_T10_S3_lS5_S3_lS4_T11_S3_li.private_seg_size, 0
	.set _ZL29rocblas_internal_gemmt_kernelIlLi16ELi32ELi8ELc67ELc67ELc85ELb0ELb0EddPKdPdEviT_T9_T10_S3_lS5_S3_lS4_T11_S3_li.uses_vcc, 1
	.set _ZL29rocblas_internal_gemmt_kernelIlLi16ELi32ELi8ELc67ELc67ELc85ELb0ELb0EddPKdPdEviT_T9_T10_S3_lS5_S3_lS4_T11_S3_li.uses_flat_scratch, 0
	.set _ZL29rocblas_internal_gemmt_kernelIlLi16ELi32ELi8ELc67ELc67ELc85ELb0ELb0EddPKdPdEviT_T9_T10_S3_lS5_S3_lS4_T11_S3_li.has_dyn_sized_stack, 0
	.set _ZL29rocblas_internal_gemmt_kernelIlLi16ELi32ELi8ELc67ELc67ELc85ELb0ELb0EddPKdPdEviT_T9_T10_S3_lS5_S3_lS4_T11_S3_li.has_recursion, 0
	.set _ZL29rocblas_internal_gemmt_kernelIlLi16ELi32ELi8ELc67ELc67ELc85ELb0ELb0EddPKdPdEviT_T9_T10_S3_lS5_S3_lS4_T11_S3_li.has_indirect_call, 0
	.section	.AMDGPU.csdata,"",@progbits
; Kernel info:
; codeLenInByte = 2040
; TotalNumSgprs: 37
; NumVgprs: 52
; ScratchSize: 0
; MemoryBound: 0
; FloatMode: 240
; IeeeMode: 1
; LDSByteSize: 4096 bytes/workgroup (compile time only)
; SGPRBlocks: 0
; VGPRBlocks: 6
; NumSGPRsForWavesPerEU: 37
; NumVGPRsForWavesPerEU: 52
; Occupancy: 16
; WaveLimiterHint : 0
; COMPUTE_PGM_RSRC2:SCRATCH_EN: 0
; COMPUTE_PGM_RSRC2:USER_SGPR: 2
; COMPUTE_PGM_RSRC2:TRAP_HANDLER: 0
; COMPUTE_PGM_RSRC2:TGID_X_EN: 1
; COMPUTE_PGM_RSRC2:TGID_Y_EN: 1
; COMPUTE_PGM_RSRC2:TGID_Z_EN: 1
; COMPUTE_PGM_RSRC2:TIDIG_COMP_CNT: 1
	.section	.text._ZL29rocblas_internal_gemmt_kernelIlLi16ELi32ELi8ELc78ELc78ELc76ELb0ELb0EddPKdPdEviT_T9_T10_S3_lS5_S3_lS4_T11_S3_li,"axG",@progbits,_ZL29rocblas_internal_gemmt_kernelIlLi16ELi32ELi8ELc78ELc78ELc76ELb0ELb0EddPKdPdEviT_T9_T10_S3_lS5_S3_lS4_T11_S3_li,comdat
	.globl	_ZL29rocblas_internal_gemmt_kernelIlLi16ELi32ELi8ELc78ELc78ELc76ELb0ELb0EddPKdPdEviT_T9_T10_S3_lS5_S3_lS4_T11_S3_li ; -- Begin function _ZL29rocblas_internal_gemmt_kernelIlLi16ELi32ELi8ELc78ELc78ELc76ELb0ELb0EddPKdPdEviT_T9_T10_S3_lS5_S3_lS4_T11_S3_li
	.p2align	8
	.type	_ZL29rocblas_internal_gemmt_kernelIlLi16ELi32ELi8ELc78ELc78ELc76ELb0ELb0EddPKdPdEviT_T9_T10_S3_lS5_S3_lS4_T11_S3_li,@function
_ZL29rocblas_internal_gemmt_kernelIlLi16ELi32ELi8ELc78ELc78ELc76ELb0ELb0EddPKdPdEviT_T9_T10_S3_lS5_S3_lS4_T11_S3_li: ; @_ZL29rocblas_internal_gemmt_kernelIlLi16ELi32ELi8ELc78ELc78ELc76ELb0ELb0EddPKdPdEviT_T9_T10_S3_lS5_S3_lS4_T11_S3_li
; %bb.0:
	s_clause 0x1
	s_load_b256 s[24:31], s[0:1], 0x48
	s_load_b512 s[8:23], s[0:1], 0x8
	s_wait_kmcnt 0x0
	v_cmp_neq_f64_e64 s2, s[24:25], 1.0
	s_and_b32 vcc_lo, exec_lo, s2
	s_cbranch_vccnz .LBB207_2
; %bb.1:
	v_cmp_neq_f64_e64 s2, s[10:11], 0
	s_cmp_lg_u64 s[8:9], 0
	s_cselect_b32 s3, -1, 0
	s_delay_alu instid0(SALU_CYCLE_1)
	s_and_b32 s2, s3, s2
.LBB207_2:
	s_delay_alu instid0(SALU_CYCLE_1)
	s_and_not1_b32 vcc_lo, exec_lo, s2
	s_cbranch_vccnz .LBB207_35
; %bb.3:
	s_load_b32 s5, s[0:1], 0x68
	s_lshr_b32 s6, ttmp7, 16
	s_wait_kmcnt 0x0
	s_cmp_ge_u32 s6, s5
	s_cbranch_scc1 .LBB207_35
; %bb.4:
	v_and_b32_e32 v1, 0x3ff, v0
	v_bfe_u32 v14, v0, 10, 10
	s_load_b32 s4, s[0:1], 0x0
	s_lshl_b32 s1, ttmp7, 5
	s_lshl_b32 s0, ttmp9, 5
	s_and_b32 s1, s1, 0x1fffe0
	v_lshl_add_u32 v2, v14, 4, v1
	v_add_nc_u32_e32 v15, s1, v14
	v_lshlrev_b32_e32 v23, 3, v1
	v_cmp_neq_f64_e64 s7, s[10:11], 0
	v_cmp_neq_f64_e64 s33, s[24:25], 0
	v_lshrrev_b32_e32 v5, 3, v2
	v_mad_co_u64_u32 v[6:7], null, s28, v15, 0
	v_and_b32_e32 v10, 31, v2
	v_add_nc_u32_e32 v16, 16, v15
	s_delay_alu instid0(VALU_DEP_4)
	v_add_nc_u32_e32 v12, s1, v5
	v_lshrrev_b32_e32 v24, 5, v2
	v_cmp_gt_i64_e64 s34, s[8:9], 0
	v_or_b32_e32 v8, s0, v10
	v_lshlrev_b32_e32 v13, 3, v10
	v_mad_co_u64_u32 v[3:4], null, s20, v12, 0
	v_and_b32_e32 v22, 7, v0
	v_mad_co_u64_u32 v[10:11], null, s28, v16, 0
	v_add_nc_u32_e32 v0, s0, v1
	s_wait_kmcnt 0x0
	v_cmp_gt_i32_e64 s0, s4, v8
	v_lshl_or_b32 v25, v24, 8, v13
	v_mov_b32_e32 v1, v4
	v_lshlrev_b32_e32 v9, 3, v22
	v_add_nc_u32_e32 v2, 16, v0
	v_lshl_add_u32 v31, v14, 6, 0x800
	s_delay_alu instid0(VALU_DEP_3) | instskip(NEXT) | instid1(VALU_DEP_3)
	v_lshl_or_b32 v17, v5, 6, v9
	v_mad_co_u64_u32 v[4:5], null, s21, v12, v[1:2]
	v_ashrrev_i32_e32 v9, 31, v8
	v_mov_b32_e32 v1, v7
	v_cmp_gt_i32_e64 s1, s4, v12
	v_add_nc_u32_e32 v26, 0x800, v17
	s_delay_alu instid0(VALU_DEP_4)
	v_lshlrev_b64_e32 v[7:8], 3, v[8:9]
	v_lshlrev_b64_e32 v[3:4], 3, v[3:4]
	v_mad_co_u64_u32 v[12:13], null, s29, v15, v[1:2]
	v_mov_b32_e32 v1, v11
	v_cmp_gt_i32_e64 s2, s4, v0
	v_add_co_u32 v27, vcc_lo, s12, v7
	s_delay_alu instid0(VALU_DEP_1)
	v_add_co_ci_u32_e64 v28, null, s13, v8, vcc_lo
	v_add_co_u32 v29, vcc_lo, s18, v3
	s_wait_alu 0xfffd
	v_add_co_ci_u32_e64 v30, null, s19, v4, vcc_lo
	v_mad_co_u64_u32 v[4:5], null, s29, v16, v[1:2]
	v_cmp_le_i32_e32 vcc_lo, v15, v0
	v_mov_b32_e32 v7, v12
	v_mov_b32_e32 v5, 0
	v_ashrrev_i32_e32 v1, 31, v0
	s_and_b32 s18, s7, s34
	s_and_b32 s12, vcc_lo, s2
	v_mov_b32_e32 v11, v4
	v_cmp_le_i32_e64 s3, v15, v2
	v_cmp_gt_i32_e64 s4, s4, v2
	v_cmp_le_i32_e32 vcc_lo, v16, v0
	v_lshlrev_b64_e32 v[6:7], 3, v[6:7]
	v_lshlrev_b64_e32 v[8:9], 3, v[10:11]
	v_ashrrev_i32_e32 v3, 31, v2
	s_and_b32 s13, s3, s4
	v_cmp_le_i32_e64 s3, v16, v2
	s_and_b32 s19, vcc_lo, s2
	s_mov_b32 s7, 0
	s_and_b32 s4, s3, s4
	s_branch .LBB207_6
.LBB207_5:                              ;   in Loop: Header=BB207_6 Depth=1
	s_wait_alu 0xfffe
	s_or_b32 exec_lo, exec_lo, s2
	s_add_co_i32 s6, s6, 0x10000
	s_delay_alu instid0(SALU_CYCLE_1)
	s_cmp_lt_u32 s6, s5
	s_cbranch_scc0 .LBB207_35
.LBB207_6:                              ; =>This Loop Header: Depth=1
                                        ;     Child Loop BB207_9 Depth 2
	v_mov_b32_e32 v16, 0
	v_dual_mov_b32 v12, 0 :: v_dual_mov_b32 v17, 0
	v_dual_mov_b32 v14, 0 :: v_dual_mov_b32 v13, 0
	;; [unrolled: 1-line block ×3, first 2 shown]
	v_mov_b32_e32 v11, 0
	s_wait_alu 0xfffe
	s_and_not1_b32 vcc_lo, exec_lo, s18
	s_wait_alu 0xfffe
	s_cbranch_vccnz .LBB207_15
; %bb.7:                                ;   in Loop: Header=BB207_6 Depth=1
	s_mul_u64 s[2:3], s[16:17], s[6:7]
	s_mul_u64 s[20:21], s[22:23], s[6:7]
	s_wait_alu 0xfffe
	s_lshl_b64 s[2:3], s[2:3], 3
	v_mov_b32_e32 v10, 0
	s_wait_alu 0xfffe
	v_add_co_u32 v32, vcc_lo, v27, s2
	s_wait_alu 0xfffd
	v_add_co_ci_u32_e64 v33, null, s3, v28, vcc_lo
	s_lshl_b64 s[2:3], s[20:21], 3
	v_mov_b32_e32 v14, 0
	s_wait_alu 0xfffe
	v_add_co_u32 v34, vcc_lo, v29, s2
	v_dual_mov_b32 v11, 0 :: v_dual_mov_b32 v12, 0
	v_dual_mov_b32 v15, 0 :: v_dual_mov_b32 v16, 0
	v_mov_b32_e32 v13, 0
	v_mov_b32_e32 v17, 0
	s_wait_alu 0xfffd
	v_add_co_ci_u32_e64 v35, null, s3, v30, vcc_lo
	s_mov_b64 s[2:3], 0
	s_branch .LBB207_9
.LBB207_8:                              ;   in Loop: Header=BB207_9 Depth=2
	s_wait_alu 0xfffe
	s_or_b32 exec_lo, exec_lo, s20
	s_wait_loadcnt 0x0
	ds_store_b64 v26, v[20:21]
	s_wait_dscnt 0x0
	s_barrier_signal -1
	s_barrier_wait -1
	global_inv scope:SCOPE_SE
	ds_load_b128 v[18:21], v31
	ds_load_2addr_b64 v[36:39], v23 offset1:16
	ds_load_b128 v[40:43], v31 offset:1024
	ds_load_b128 v[44:47], v31 offset:16
	;; [unrolled: 1-line block ×3, first 2 shown]
	s_add_nc_u64 s[2:3], s[2:3], 8
	s_wait_alu 0xfffe
	v_cmp_gt_i64_e64 s20, s[8:9], s[2:3]
	s_and_b32 vcc_lo, exec_lo, s20
	s_wait_dscnt 0x3
	v_fma_f64 v[16:17], v[36:37], v[18:19], v[16:17]
	v_fma_f64 v[14:15], v[38:39], v[18:19], v[14:15]
	s_wait_dscnt 0x2
	v_fma_f64 v[18:19], v[36:37], v[40:41], v[12:13]
	v_fma_f64 v[36:37], v[38:39], v[40:41], v[10:11]
	ds_load_2addr_b64 v[10:13], v23 offset0:32 offset1:48
	s_wait_dscnt 0x0
	v_fma_f64 v[16:17], v[10:11], v[20:21], v[16:17]
	v_fma_f64 v[14:15], v[12:13], v[20:21], v[14:15]
	v_fma_f64 v[18:19], v[10:11], v[42:43], v[18:19]
	v_fma_f64 v[20:21], v[12:13], v[42:43], v[36:37]
	ds_load_2addr_b64 v[10:13], v23 offset0:64 offset1:80
	s_wait_dscnt 0x0
	v_fma_f64 v[16:17], v[10:11], v[44:45], v[16:17]
	v_fma_f64 v[14:15], v[12:13], v[44:45], v[14:15]
	;; [unrolled: 6-line block ×3, first 2 shown]
	v_fma_f64 v[48:49], v[10:11], v[50:51], v[18:19]
	v_fma_f64 v[50:51], v[12:13], v[50:51], v[20:21]
	ds_load_b128 v[10:13], v31 offset:32
	ds_load_2addr_b64 v[14:17], v23 offset0:128 offset1:144
	ds_load_b128 v[18:21], v31 offset:1056
	ds_load_b128 v[36:39], v31 offset:48
	;; [unrolled: 1-line block ×3, first 2 shown]
	s_wait_dscnt 0x3
	v_fma_f64 v[44:45], v[14:15], v[10:11], v[44:45]
	v_fma_f64 v[10:11], v[16:17], v[10:11], v[46:47]
	s_wait_dscnt 0x2
	v_fma_f64 v[46:47], v[14:15], v[18:19], v[48:49]
	v_fma_f64 v[18:19], v[16:17], v[18:19], v[50:51]
	ds_load_2addr_b64 v[14:17], v23 offset0:160 offset1:176
	s_wait_dscnt 0x0
	v_fma_f64 v[44:45], v[14:15], v[12:13], v[44:45]
	v_fma_f64 v[48:49], v[16:17], v[12:13], v[10:11]
	;; [unrolled: 1-line block ×4, first 2 shown]
	ds_load_2addr_b64 v[10:13], v23 offset0:192 offset1:208
	ds_load_2addr_b64 v[18:21], v23 offset0:224 offset1:240
	s_wait_loadcnt_dscnt 0x0
	s_barrier_signal -1
	s_barrier_wait -1
	global_inv scope:SCOPE_SE
	v_fma_f64 v[44:45], v[10:11], v[36:37], v[44:45]
	v_fma_f64 v[36:37], v[12:13], v[36:37], v[48:49]
	;; [unrolled: 1-line block ×4, first 2 shown]
	s_delay_alu instid0(VALU_DEP_4) | instskip(NEXT) | instid1(VALU_DEP_4)
	v_fma_f64 v[16:17], v[18:19], v[38:39], v[44:45]
	v_fma_f64 v[14:15], v[20:21], v[38:39], v[36:37]
	s_delay_alu instid0(VALU_DEP_4) | instskip(NEXT) | instid1(VALU_DEP_4)
	v_fma_f64 v[12:13], v[18:19], v[42:43], v[10:11]
	v_fma_f64 v[10:11], v[20:21], v[42:43], v[40:41]
	s_wait_alu 0xfffe
	s_cbranch_vccz .LBB207_15
.LBB207_9:                              ;   Parent Loop BB207_6 Depth=1
                                        ; =>  This Inner Loop Header: Depth=2
	v_mov_b32_e32 v18, 0
	v_mov_b32_e32 v19, 0
	s_and_saveexec_b32 s20, s0
	s_cbranch_execz .LBB207_13
; %bb.10:                               ;   in Loop: Header=BB207_9 Depth=2
	v_mov_b32_e32 v18, 0
	s_wait_alu 0xfffe
	v_dual_mov_b32 v19, 0 :: v_dual_add_nc_u32 v4, s2, v24
	s_mov_b32 s21, exec_lo
	s_delay_alu instid0(VALU_DEP_1)
	v_cmpx_gt_u64_e64 s[8:9], v[4:5]
	s_cbranch_execz .LBB207_12
; %bb.11:                               ;   in Loop: Header=BB207_9 Depth=2
	v_mad_co_u64_u32 v[18:19], null, s14, v4, 0
	s_delay_alu instid0(VALU_DEP_1) | instskip(NEXT) | instid1(VALU_DEP_1)
	v_mad_co_u64_u32 v[19:20], null, s15, v4, v[19:20]
	v_lshlrev_b64_e32 v[18:19], 3, v[18:19]
	s_delay_alu instid0(VALU_DEP_1) | instskip(SKIP_1) | instid1(VALU_DEP_2)
	v_add_co_u32 v18, vcc_lo, v32, v18
	s_wait_alu 0xfffd
	v_add_co_ci_u32_e64 v19, null, v33, v19, vcc_lo
	global_load_b64 v[18:19], v[18:19], off
.LBB207_12:                             ;   in Loop: Header=BB207_9 Depth=2
	s_wait_alu 0xfffe
	s_or_b32 exec_lo, exec_lo, s21
.LBB207_13:                             ;   in Loop: Header=BB207_9 Depth=2
	s_wait_alu 0xfffe
	s_or_b32 exec_lo, exec_lo, s20
	v_add_nc_u32_e32 v4, s2, v22
	v_mov_b32_e32 v20, 0
	v_mov_b32_e32 v21, 0
	s_wait_loadcnt 0x0
	ds_store_b64 v25, v[18:19]
	v_cmp_gt_u64_e32 vcc_lo, s[8:9], v[4:5]
	s_and_b32 s21, vcc_lo, s1
	s_wait_alu 0xfffe
	s_and_saveexec_b32 s20, s21
	s_cbranch_execz .LBB207_8
; %bb.14:                               ;   in Loop: Header=BB207_9 Depth=2
	v_lshlrev_b64_e32 v[18:19], 3, v[4:5]
	s_delay_alu instid0(VALU_DEP_1) | instskip(SKIP_1) | instid1(VALU_DEP_2)
	v_add_co_u32 v18, vcc_lo, v34, v18
	s_wait_alu 0xfffd
	v_add_co_ci_u32_e64 v19, null, v35, v19, vcc_lo
	global_load_b64 v[20:21], v[18:19], off
	s_branch .LBB207_8
.LBB207_15:                             ;   in Loop: Header=BB207_6 Depth=1
	s_mul_u64 s[2:3], s[30:31], s[6:7]
	s_wait_alu 0xfffe
	s_lshl_b64 s[2:3], s[2:3], 3
	s_wait_alu 0xfffe
	s_add_nc_u64 s[2:3], s[26:27], s[2:3]
	s_wait_alu 0xfffe
	v_add_co_u32 v4, vcc_lo, s2, v6
	s_wait_alu 0xfffd
	v_add_co_ci_u32_e64 v18, null, s3, v7, vcc_lo
	s_and_saveexec_b32 s20, s12
	s_cbranch_execz .LBB207_19
; %bb.16:                               ;   in Loop: Header=BB207_6 Depth=1
	v_mul_f64_e32 v[16:17], s[10:11], v[16:17]
	s_and_b32 vcc_lo, exec_lo, s33
	s_wait_alu 0xfffe
	s_cbranch_vccz .LBB207_30
; %bb.17:                               ;   in Loop: Header=BB207_6 Depth=1
	v_lshlrev_b64_e32 v[19:20], 3, v[0:1]
	s_delay_alu instid0(VALU_DEP_1) | instskip(SKIP_1) | instid1(VALU_DEP_2)
	v_add_co_u32 v19, vcc_lo, v4, v19
	s_wait_alu 0xfffd
	v_add_co_ci_u32_e64 v20, null, v18, v20, vcc_lo
	global_load_b64 v[32:33], v[19:20], off
	s_wait_loadcnt 0x0
	v_fma_f64 v[32:33], s[24:25], v[32:33], v[16:17]
	global_store_b64 v[19:20], v[32:33], off
	s_cbranch_execnz .LBB207_19
.LBB207_18:                             ;   in Loop: Header=BB207_6 Depth=1
	v_lshlrev_b64_e32 v[19:20], 3, v[0:1]
	s_delay_alu instid0(VALU_DEP_1) | instskip(SKIP_1) | instid1(VALU_DEP_2)
	v_add_co_u32 v19, vcc_lo, v4, v19
	s_wait_alu 0xfffd
	v_add_co_ci_u32_e64 v20, null, v18, v20, vcc_lo
	global_store_b64 v[19:20], v[16:17], off
.LBB207_19:                             ;   in Loop: Header=BB207_6 Depth=1
	s_wait_alu 0xfffe
	s_or_b32 exec_lo, exec_lo, s20
	s_and_saveexec_b32 s20, s13
	s_cbranch_execz .LBB207_23
; %bb.20:                               ;   in Loop: Header=BB207_6 Depth=1
	v_mul_f64_e32 v[14:15], s[10:11], v[14:15]
	s_and_not1_b32 vcc_lo, exec_lo, s33
	s_wait_alu 0xfffe
	s_cbranch_vccnz .LBB207_31
; %bb.21:                               ;   in Loop: Header=BB207_6 Depth=1
	v_lshlrev_b64_e32 v[16:17], 3, v[2:3]
	s_delay_alu instid0(VALU_DEP_1) | instskip(SKIP_1) | instid1(VALU_DEP_2)
	v_add_co_u32 v16, vcc_lo, v4, v16
	s_wait_alu 0xfffd
	v_add_co_ci_u32_e64 v17, null, v18, v17, vcc_lo
	global_load_b64 v[19:20], v[16:17], off
	s_wait_loadcnt 0x0
	v_fma_f64 v[19:20], s[24:25], v[19:20], v[14:15]
	global_store_b64 v[16:17], v[19:20], off
	s_cbranch_execnz .LBB207_23
.LBB207_22:                             ;   in Loop: Header=BB207_6 Depth=1
	v_lshlrev_b64_e32 v[16:17], 3, v[2:3]
	s_delay_alu instid0(VALU_DEP_1) | instskip(SKIP_1) | instid1(VALU_DEP_2)
	v_add_co_u32 v16, vcc_lo, v4, v16
	s_wait_alu 0xfffd
	v_add_co_ci_u32_e64 v17, null, v18, v17, vcc_lo
	global_store_b64 v[16:17], v[14:15], off
.LBB207_23:                             ;   in Loop: Header=BB207_6 Depth=1
	s_wait_alu 0xfffe
	s_or_b32 exec_lo, exec_lo, s20
	v_add_co_u32 v4, vcc_lo, s2, v8
	s_wait_alu 0xfffd
	v_add_co_ci_u32_e64 v16, null, s3, v9, vcc_lo
	s_and_saveexec_b32 s2, s19
	s_cbranch_execz .LBB207_27
; %bb.24:                               ;   in Loop: Header=BB207_6 Depth=1
	v_mul_f64_e32 v[12:13], s[10:11], v[12:13]
	v_lshlrev_b64_e32 v[14:15], 3, v[0:1]
	s_and_not1_b32 vcc_lo, exec_lo, s33
	s_wait_alu 0xfffe
	s_cbranch_vccnz .LBB207_32
; %bb.25:                               ;   in Loop: Header=BB207_6 Depth=1
	s_delay_alu instid0(VALU_DEP_1)
	v_add_co_u32 v17, vcc_lo, v4, v14
	s_wait_alu 0xfffd
	v_add_co_ci_u32_e64 v18, null, v16, v15, vcc_lo
	global_load_b64 v[19:20], v[17:18], off
	s_wait_loadcnt 0x0
	v_fma_f64 v[19:20], s[24:25], v[19:20], v[12:13]
	global_store_b64 v[17:18], v[19:20], off
	s_cbranch_execnz .LBB207_27
.LBB207_26:                             ;   in Loop: Header=BB207_6 Depth=1
	s_delay_alu instid0(VALU_DEP_1)
	v_add_co_u32 v14, vcc_lo, v4, v14
	s_wait_alu 0xfffd
	v_add_co_ci_u32_e64 v15, null, v16, v15, vcc_lo
	global_store_b64 v[14:15], v[12:13], off
.LBB207_27:                             ;   in Loop: Header=BB207_6 Depth=1
	s_wait_alu 0xfffe
	s_or_b32 exec_lo, exec_lo, s2
	s_and_saveexec_b32 s2, s4
	s_cbranch_execz .LBB207_5
; %bb.28:                               ;   in Loop: Header=BB207_6 Depth=1
	v_mul_f64_e32 v[10:11], s[10:11], v[10:11]
	v_lshlrev_b64_e32 v[12:13], 3, v[2:3]
	s_and_not1_b32 vcc_lo, exec_lo, s33
	s_wait_alu 0xfffe
	s_cbranch_vccnz .LBB207_33
; %bb.29:                               ;   in Loop: Header=BB207_6 Depth=1
	s_delay_alu instid0(VALU_DEP_1)
	v_add_co_u32 v14, vcc_lo, v4, v12
	s_wait_alu 0xfffd
	v_add_co_ci_u32_e64 v15, null, v16, v13, vcc_lo
	global_load_b64 v[17:18], v[14:15], off
	s_wait_loadcnt 0x0
	v_fma_f64 v[17:18], s[24:25], v[17:18], v[10:11]
	global_store_b64 v[14:15], v[17:18], off
	s_cbranch_execnz .LBB207_5
	s_branch .LBB207_34
.LBB207_30:                             ;   in Loop: Header=BB207_6 Depth=1
	s_branch .LBB207_18
.LBB207_31:                             ;   in Loop: Header=BB207_6 Depth=1
	s_branch .LBB207_22
.LBB207_32:                             ;   in Loop: Header=BB207_6 Depth=1
	s_branch .LBB207_26
.LBB207_33:                             ;   in Loop: Header=BB207_6 Depth=1
.LBB207_34:                             ;   in Loop: Header=BB207_6 Depth=1
	s_delay_alu instid0(VALU_DEP_1)
	v_add_co_u32 v12, vcc_lo, v4, v12
	s_wait_alu 0xfffd
	v_add_co_ci_u32_e64 v13, null, v16, v13, vcc_lo
	global_store_b64 v[12:13], v[10:11], off
	s_branch .LBB207_5
.LBB207_35:
	s_endpgm
	.section	.rodata,"a",@progbits
	.p2align	6, 0x0
	.amdhsa_kernel _ZL29rocblas_internal_gemmt_kernelIlLi16ELi32ELi8ELc78ELc78ELc76ELb0ELb0EddPKdPdEviT_T9_T10_S3_lS5_S3_lS4_T11_S3_li
		.amdhsa_group_segment_fixed_size 4096
		.amdhsa_private_segment_fixed_size 0
		.amdhsa_kernarg_size 108
		.amdhsa_user_sgpr_count 2
		.amdhsa_user_sgpr_dispatch_ptr 0
		.amdhsa_user_sgpr_queue_ptr 0
		.amdhsa_user_sgpr_kernarg_segment_ptr 1
		.amdhsa_user_sgpr_dispatch_id 0
		.amdhsa_user_sgpr_private_segment_size 0
		.amdhsa_wavefront_size32 1
		.amdhsa_uses_dynamic_stack 0
		.amdhsa_enable_private_segment 0
		.amdhsa_system_sgpr_workgroup_id_x 1
		.amdhsa_system_sgpr_workgroup_id_y 1
		.amdhsa_system_sgpr_workgroup_id_z 1
		.amdhsa_system_sgpr_workgroup_info 0
		.amdhsa_system_vgpr_workitem_id 1
		.amdhsa_next_free_vgpr 52
		.amdhsa_next_free_sgpr 35
		.amdhsa_reserve_vcc 1
		.amdhsa_float_round_mode_32 0
		.amdhsa_float_round_mode_16_64 0
		.amdhsa_float_denorm_mode_32 3
		.amdhsa_float_denorm_mode_16_64 3
		.amdhsa_fp16_overflow 0
		.amdhsa_workgroup_processor_mode 1
		.amdhsa_memory_ordered 1
		.amdhsa_forward_progress 1
		.amdhsa_inst_pref_size 17
		.amdhsa_round_robin_scheduling 0
		.amdhsa_exception_fp_ieee_invalid_op 0
		.amdhsa_exception_fp_denorm_src 0
		.amdhsa_exception_fp_ieee_div_zero 0
		.amdhsa_exception_fp_ieee_overflow 0
		.amdhsa_exception_fp_ieee_underflow 0
		.amdhsa_exception_fp_ieee_inexact 0
		.amdhsa_exception_int_div_zero 0
	.end_amdhsa_kernel
	.section	.text._ZL29rocblas_internal_gemmt_kernelIlLi16ELi32ELi8ELc78ELc78ELc76ELb0ELb0EddPKdPdEviT_T9_T10_S3_lS5_S3_lS4_T11_S3_li,"axG",@progbits,_ZL29rocblas_internal_gemmt_kernelIlLi16ELi32ELi8ELc78ELc78ELc76ELb0ELb0EddPKdPdEviT_T9_T10_S3_lS5_S3_lS4_T11_S3_li,comdat
.Lfunc_end207:
	.size	_ZL29rocblas_internal_gemmt_kernelIlLi16ELi32ELi8ELc78ELc78ELc76ELb0ELb0EddPKdPdEviT_T9_T10_S3_lS5_S3_lS4_T11_S3_li, .Lfunc_end207-_ZL29rocblas_internal_gemmt_kernelIlLi16ELi32ELi8ELc78ELc78ELc76ELb0ELb0EddPKdPdEviT_T9_T10_S3_lS5_S3_lS4_T11_S3_li
                                        ; -- End function
	.set _ZL29rocblas_internal_gemmt_kernelIlLi16ELi32ELi8ELc78ELc78ELc76ELb0ELb0EddPKdPdEviT_T9_T10_S3_lS5_S3_lS4_T11_S3_li.num_vgpr, 52
	.set _ZL29rocblas_internal_gemmt_kernelIlLi16ELi32ELi8ELc78ELc78ELc76ELb0ELb0EddPKdPdEviT_T9_T10_S3_lS5_S3_lS4_T11_S3_li.num_agpr, 0
	.set _ZL29rocblas_internal_gemmt_kernelIlLi16ELi32ELi8ELc78ELc78ELc76ELb0ELb0EddPKdPdEviT_T9_T10_S3_lS5_S3_lS4_T11_S3_li.numbered_sgpr, 35
	.set _ZL29rocblas_internal_gemmt_kernelIlLi16ELi32ELi8ELc78ELc78ELc76ELb0ELb0EddPKdPdEviT_T9_T10_S3_lS5_S3_lS4_T11_S3_li.num_named_barrier, 0
	.set _ZL29rocblas_internal_gemmt_kernelIlLi16ELi32ELi8ELc78ELc78ELc76ELb0ELb0EddPKdPdEviT_T9_T10_S3_lS5_S3_lS4_T11_S3_li.private_seg_size, 0
	.set _ZL29rocblas_internal_gemmt_kernelIlLi16ELi32ELi8ELc78ELc78ELc76ELb0ELb0EddPKdPdEviT_T9_T10_S3_lS5_S3_lS4_T11_S3_li.uses_vcc, 1
	.set _ZL29rocblas_internal_gemmt_kernelIlLi16ELi32ELi8ELc78ELc78ELc76ELb0ELb0EddPKdPdEviT_T9_T10_S3_lS5_S3_lS4_T11_S3_li.uses_flat_scratch, 0
	.set _ZL29rocblas_internal_gemmt_kernelIlLi16ELi32ELi8ELc78ELc78ELc76ELb0ELb0EddPKdPdEviT_T9_T10_S3_lS5_S3_lS4_T11_S3_li.has_dyn_sized_stack, 0
	.set _ZL29rocblas_internal_gemmt_kernelIlLi16ELi32ELi8ELc78ELc78ELc76ELb0ELb0EddPKdPdEviT_T9_T10_S3_lS5_S3_lS4_T11_S3_li.has_recursion, 0
	.set _ZL29rocblas_internal_gemmt_kernelIlLi16ELi32ELi8ELc78ELc78ELc76ELb0ELb0EddPKdPdEviT_T9_T10_S3_lS5_S3_lS4_T11_S3_li.has_indirect_call, 0
	.section	.AMDGPU.csdata,"",@progbits
; Kernel info:
; codeLenInByte = 2052
; TotalNumSgprs: 37
; NumVgprs: 52
; ScratchSize: 0
; MemoryBound: 0
; FloatMode: 240
; IeeeMode: 1
; LDSByteSize: 4096 bytes/workgroup (compile time only)
; SGPRBlocks: 0
; VGPRBlocks: 6
; NumSGPRsForWavesPerEU: 37
; NumVGPRsForWavesPerEU: 52
; Occupancy: 16
; WaveLimiterHint : 0
; COMPUTE_PGM_RSRC2:SCRATCH_EN: 0
; COMPUTE_PGM_RSRC2:USER_SGPR: 2
; COMPUTE_PGM_RSRC2:TRAP_HANDLER: 0
; COMPUTE_PGM_RSRC2:TGID_X_EN: 1
; COMPUTE_PGM_RSRC2:TGID_Y_EN: 1
; COMPUTE_PGM_RSRC2:TGID_Z_EN: 1
; COMPUTE_PGM_RSRC2:TIDIG_COMP_CNT: 1
	.section	.text._ZL29rocblas_internal_gemmt_kernelIlLi16ELi32ELi8ELc78ELc84ELc76ELb0ELb0EddPKdPdEviT_T9_T10_S3_lS5_S3_lS4_T11_S3_li,"axG",@progbits,_ZL29rocblas_internal_gemmt_kernelIlLi16ELi32ELi8ELc78ELc84ELc76ELb0ELb0EddPKdPdEviT_T9_T10_S3_lS5_S3_lS4_T11_S3_li,comdat
	.globl	_ZL29rocblas_internal_gemmt_kernelIlLi16ELi32ELi8ELc78ELc84ELc76ELb0ELb0EddPKdPdEviT_T9_T10_S3_lS5_S3_lS4_T11_S3_li ; -- Begin function _ZL29rocblas_internal_gemmt_kernelIlLi16ELi32ELi8ELc78ELc84ELc76ELb0ELb0EddPKdPdEviT_T9_T10_S3_lS5_S3_lS4_T11_S3_li
	.p2align	8
	.type	_ZL29rocblas_internal_gemmt_kernelIlLi16ELi32ELi8ELc78ELc84ELc76ELb0ELb0EddPKdPdEviT_T9_T10_S3_lS5_S3_lS4_T11_S3_li,@function
_ZL29rocblas_internal_gemmt_kernelIlLi16ELi32ELi8ELc78ELc84ELc76ELb0ELb0EddPKdPdEviT_T9_T10_S3_lS5_S3_lS4_T11_S3_li: ; @_ZL29rocblas_internal_gemmt_kernelIlLi16ELi32ELi8ELc78ELc84ELc76ELb0ELb0EddPKdPdEviT_T9_T10_S3_lS5_S3_lS4_T11_S3_li
; %bb.0:
	s_clause 0x1
	s_load_b256 s[24:31], s[0:1], 0x48
	s_load_b512 s[8:23], s[0:1], 0x8
	s_wait_kmcnt 0x0
	v_cmp_neq_f64_e64 s2, s[24:25], 1.0
	s_and_b32 vcc_lo, exec_lo, s2
	s_cbranch_vccnz .LBB208_2
; %bb.1:
	v_cmp_neq_f64_e64 s2, s[10:11], 0
	s_cmp_lg_u64 s[8:9], 0
	s_cselect_b32 s3, -1, 0
	s_delay_alu instid0(SALU_CYCLE_1)
	s_and_b32 s2, s3, s2
.LBB208_2:
	s_delay_alu instid0(SALU_CYCLE_1)
	s_and_not1_b32 vcc_lo, exec_lo, s2
	s_cbranch_vccnz .LBB208_35
; %bb.3:
	s_load_b32 s5, s[0:1], 0x68
	s_lshr_b32 s6, ttmp7, 16
	s_wait_kmcnt 0x0
	s_cmp_ge_u32 s6, s5
	s_cbranch_scc1 .LBB208_35
; %bb.4:
	v_and_b32_e32 v2, 0x3ff, v0
	v_bfe_u32 v3, v0, 10, 10
	s_load_b32 s4, s[0:1], 0x0
	s_lshl_b32 s2, ttmp9, 5
	v_and_b32_e32 v22, 7, v0
	s_lshl_b32 s0, ttmp7, 5
	v_lshl_add_u32 v1, v3, 4, v2
	s_and_b32 s0, s0, 0x1fffe0
	v_cmp_neq_f64_e64 s7, s[10:11], 0
	v_add_nc_u32_e32 v12, s0, v3
	v_cmp_gt_i64_e64 s33, s[8:9], 0
	v_and_b32_e32 v6, 31, v1
	v_lshrrev_b32_e32 v23, 5, v1
	v_lshrrev_b32_e32 v8, 3, v1
	v_mad_co_u64_u32 v[4:5], null, s28, v12, 0
	s_delay_alu instid0(VALU_DEP_4) | instskip(SKIP_1) | instid1(VALU_DEP_4)
	v_or_b32_e32 v0, s2, v6
	v_lshlrev_b32_e32 v7, 3, v22
	v_add_nc_u32_e32 v9, s0, v8
	v_lshlrev_b32_e32 v6, 3, v6
	v_add_nc_u32_e32 v13, 16, v12
	v_ashrrev_i32_e32 v1, 31, v0
	s_wait_kmcnt 0x0
	v_cmp_gt_i32_e64 s0, s4, v0
	v_cmp_gt_i32_e64 s1, s4, v9
	v_lshl_or_b32 v24, v23, 8, v6
	v_lshl_add_u32 v31, v3, 6, 0x800
	v_lshlrev_b64_e32 v[0:1], 3, v[0:1]
	s_delay_alu instid0(VALU_DEP_1)
	v_add_co_u32 v26, vcc_lo, s12, v0
	v_cmp_neq_f64_e64 s12, s[24:25], 0
	v_mov_b32_e32 v0, v5
	v_lshl_or_b32 v7, v8, 6, v7
	v_add_co_ci_u32_e64 v27, null, s13, v1, vcc_lo
	v_dual_mov_b32 v1, 0 :: v_dual_lshlrev_b32 v8, 3, v9
	s_delay_alu instid0(VALU_DEP_3) | instskip(SKIP_1) | instid1(VALU_DEP_3)
	v_add_nc_u32_e32 v25, 0x800, v7
	v_mad_co_u64_u32 v[6:7], null, s28, v13, 0
	v_mad_co_u64_u32 v[9:10], null, s29, v12, v[0:1]
	s_delay_alu instid0(VALU_DEP_4)
	v_add_co_u32 v28, s3, s18, v8
	v_add_nc_u32_e32 v8, s2, v2
	v_lshlrev_b32_e32 v30, 3, v2
	v_mov_b32_e32 v0, v7
	s_wait_alu 0xf1ff
	v_add_co_ci_u32_e64 v29, null, s19, 0, s3
	v_add_nc_u32_e32 v2, 16, v8
	v_cmp_le_i32_e32 vcc_lo, v12, v8
	v_mad_co_u64_u32 v[10:11], null, s29, v13, v[0:1]
	v_cmp_gt_i32_e64 s2, s4, v8
	s_delay_alu instid0(VALU_DEP_4)
	v_cmp_le_i32_e64 s3, v12, v2
	v_cmp_gt_i32_e64 s4, s4, v2
	v_mov_b32_e32 v5, v9
	v_ashrrev_i32_e32 v9, 31, v8
	s_and_b32 s13, vcc_lo, s2
	v_mov_b32_e32 v7, v10
	s_and_b32 s18, s3, s4
	v_cmp_le_i32_e32 vcc_lo, v13, v8
	v_cmp_le_i32_e64 s3, v13, v2
	v_lshlrev_b64_e32 v[4:5], 3, v[4:5]
	v_lshlrev_b64_e32 v[6:7], 3, v[6:7]
	v_lshlrev_b64_e32 v[8:9], 3, v[8:9]
	v_ashrrev_i32_e32 v3, 31, v2
	s_and_b32 s19, s7, s33
	s_and_b32 s28, vcc_lo, s2
	s_and_b32 s4, s3, s4
	s_mov_b32 s7, 0
	s_branch .LBB208_6
.LBB208_5:                              ;   in Loop: Header=BB208_6 Depth=1
	s_wait_alu 0xfffe
	s_or_b32 exec_lo, exec_lo, s2
	s_add_co_i32 s6, s6, 0x10000
	s_delay_alu instid0(SALU_CYCLE_1)
	s_cmp_lt_u32 s6, s5
	s_cbranch_scc0 .LBB208_35
.LBB208_6:                              ; =>This Loop Header: Depth=1
                                        ;     Child Loop BB208_9 Depth 2
	v_mov_b32_e32 v16, 0
	v_dual_mov_b32 v12, 0 :: v_dual_mov_b32 v17, 0
	v_dual_mov_b32 v14, 0 :: v_dual_mov_b32 v13, 0
	;; [unrolled: 1-line block ×3, first 2 shown]
	v_mov_b32_e32 v11, 0
	s_wait_alu 0xfffe
	s_and_not1_b32 vcc_lo, exec_lo, s19
	s_wait_alu 0xfffe
	s_cbranch_vccnz .LBB208_15
; %bb.7:                                ;   in Loop: Header=BB208_6 Depth=1
	s_mul_u64 s[2:3], s[16:17], s[6:7]
	s_mul_u64 s[34:35], s[22:23], s[6:7]
	s_wait_alu 0xfffe
	s_lshl_b64 s[2:3], s[2:3], 3
	v_mov_b32_e32 v10, 0
	s_wait_alu 0xfffe
	v_add_co_u32 v32, vcc_lo, v26, s2
	s_wait_alu 0xfffd
	v_add_co_ci_u32_e64 v33, null, s3, v27, vcc_lo
	s_lshl_b64 s[2:3], s[34:35], 3
	v_mov_b32_e32 v14, 0
	s_wait_alu 0xfffe
	v_add_co_u32 v34, vcc_lo, v28, s2
	v_dual_mov_b32 v11, 0 :: v_dual_mov_b32 v12, 0
	v_dual_mov_b32 v15, 0 :: v_dual_mov_b32 v16, 0
	v_mov_b32_e32 v13, 0
	v_mov_b32_e32 v17, 0
	s_wait_alu 0xfffd
	v_add_co_ci_u32_e64 v35, null, s3, v29, vcc_lo
	s_mov_b64 s[2:3], 0
	s_branch .LBB208_9
.LBB208_8:                              ;   in Loop: Header=BB208_9 Depth=2
	s_wait_alu 0xfffe
	s_or_b32 exec_lo, exec_lo, s29
	s_wait_loadcnt 0x0
	ds_store_b64 v25, v[20:21]
	s_wait_dscnt 0x0
	s_barrier_signal -1
	s_barrier_wait -1
	global_inv scope:SCOPE_SE
	ds_load_b128 v[18:21], v31
	ds_load_2addr_b64 v[36:39], v30 offset1:16
	ds_load_b128 v[40:43], v31 offset:1024
	ds_load_b128 v[44:47], v31 offset:16
	;; [unrolled: 1-line block ×3, first 2 shown]
	s_add_nc_u64 s[2:3], s[2:3], 8
	s_wait_alu 0xfffe
	v_cmp_gt_i64_e64 s29, s[8:9], s[2:3]
	s_and_b32 vcc_lo, exec_lo, s29
	s_wait_dscnt 0x3
	v_fma_f64 v[16:17], v[36:37], v[18:19], v[16:17]
	v_fma_f64 v[14:15], v[38:39], v[18:19], v[14:15]
	s_wait_dscnt 0x2
	v_fma_f64 v[18:19], v[36:37], v[40:41], v[12:13]
	v_fma_f64 v[36:37], v[38:39], v[40:41], v[10:11]
	ds_load_2addr_b64 v[10:13], v30 offset0:32 offset1:48
	s_wait_dscnt 0x0
	v_fma_f64 v[16:17], v[10:11], v[20:21], v[16:17]
	v_fma_f64 v[14:15], v[12:13], v[20:21], v[14:15]
	v_fma_f64 v[18:19], v[10:11], v[42:43], v[18:19]
	v_fma_f64 v[20:21], v[12:13], v[42:43], v[36:37]
	ds_load_2addr_b64 v[10:13], v30 offset0:64 offset1:80
	s_wait_dscnt 0x0
	v_fma_f64 v[16:17], v[10:11], v[44:45], v[16:17]
	v_fma_f64 v[14:15], v[12:13], v[44:45], v[14:15]
	;; [unrolled: 6-line block ×3, first 2 shown]
	v_fma_f64 v[48:49], v[10:11], v[50:51], v[18:19]
	v_fma_f64 v[50:51], v[12:13], v[50:51], v[20:21]
	ds_load_b128 v[10:13], v31 offset:32
	ds_load_2addr_b64 v[14:17], v30 offset0:128 offset1:144
	ds_load_b128 v[18:21], v31 offset:1056
	ds_load_b128 v[36:39], v31 offset:48
	;; [unrolled: 1-line block ×3, first 2 shown]
	s_wait_dscnt 0x3
	v_fma_f64 v[44:45], v[14:15], v[10:11], v[44:45]
	v_fma_f64 v[10:11], v[16:17], v[10:11], v[46:47]
	s_wait_dscnt 0x2
	v_fma_f64 v[46:47], v[14:15], v[18:19], v[48:49]
	v_fma_f64 v[18:19], v[16:17], v[18:19], v[50:51]
	ds_load_2addr_b64 v[14:17], v30 offset0:160 offset1:176
	s_wait_dscnt 0x0
	v_fma_f64 v[44:45], v[14:15], v[12:13], v[44:45]
	v_fma_f64 v[48:49], v[16:17], v[12:13], v[10:11]
	;; [unrolled: 1-line block ×4, first 2 shown]
	ds_load_2addr_b64 v[10:13], v30 offset0:192 offset1:208
	ds_load_2addr_b64 v[18:21], v30 offset0:224 offset1:240
	s_wait_loadcnt_dscnt 0x0
	s_barrier_signal -1
	s_barrier_wait -1
	global_inv scope:SCOPE_SE
	v_fma_f64 v[44:45], v[10:11], v[36:37], v[44:45]
	v_fma_f64 v[36:37], v[12:13], v[36:37], v[48:49]
	;; [unrolled: 1-line block ×4, first 2 shown]
	s_delay_alu instid0(VALU_DEP_4) | instskip(NEXT) | instid1(VALU_DEP_4)
	v_fma_f64 v[16:17], v[18:19], v[38:39], v[44:45]
	v_fma_f64 v[14:15], v[20:21], v[38:39], v[36:37]
	s_delay_alu instid0(VALU_DEP_4) | instskip(NEXT) | instid1(VALU_DEP_4)
	v_fma_f64 v[12:13], v[18:19], v[42:43], v[10:11]
	v_fma_f64 v[10:11], v[20:21], v[42:43], v[40:41]
	s_wait_alu 0xfffe
	s_cbranch_vccz .LBB208_15
.LBB208_9:                              ;   Parent Loop BB208_6 Depth=1
                                        ; =>  This Inner Loop Header: Depth=2
	v_mov_b32_e32 v18, 0
	v_mov_b32_e32 v19, 0
	s_and_saveexec_b32 s29, s0
	s_cbranch_execz .LBB208_13
; %bb.10:                               ;   in Loop: Header=BB208_9 Depth=2
	v_mov_b32_e32 v18, 0
	s_wait_alu 0xfffe
	v_dual_mov_b32 v19, 0 :: v_dual_add_nc_u32 v0, s2, v23
	s_mov_b32 s33, exec_lo
	s_delay_alu instid0(VALU_DEP_1)
	v_cmpx_gt_u64_e64 s[8:9], v[0:1]
	s_cbranch_execz .LBB208_12
; %bb.11:                               ;   in Loop: Header=BB208_9 Depth=2
	v_mad_co_u64_u32 v[18:19], null, s14, v0, 0
	s_delay_alu instid0(VALU_DEP_1) | instskip(NEXT) | instid1(VALU_DEP_1)
	v_mad_co_u64_u32 v[19:20], null, s15, v0, v[19:20]
	v_lshlrev_b64_e32 v[18:19], 3, v[18:19]
	s_delay_alu instid0(VALU_DEP_1) | instskip(SKIP_1) | instid1(VALU_DEP_2)
	v_add_co_u32 v18, vcc_lo, v32, v18
	s_wait_alu 0xfffd
	v_add_co_ci_u32_e64 v19, null, v33, v19, vcc_lo
	global_load_b64 v[18:19], v[18:19], off
.LBB208_12:                             ;   in Loop: Header=BB208_9 Depth=2
	s_or_b32 exec_lo, exec_lo, s33
.LBB208_13:                             ;   in Loop: Header=BB208_9 Depth=2
	s_wait_alu 0xfffe
	s_or_b32 exec_lo, exec_lo, s29
	v_add_nc_u32_e32 v0, s2, v22
	v_mov_b32_e32 v20, 0
	v_mov_b32_e32 v21, 0
	s_wait_loadcnt 0x0
	ds_store_b64 v24, v[18:19]
	v_cmp_gt_u64_e32 vcc_lo, s[8:9], v[0:1]
	s_and_b32 s33, vcc_lo, s1
	s_delay_alu instid0(SALU_CYCLE_1)
	s_and_saveexec_b32 s29, s33
	s_cbranch_execz .LBB208_8
; %bb.14:                               ;   in Loop: Header=BB208_9 Depth=2
	v_mad_co_u64_u32 v[18:19], null, s20, v0, 0
	s_delay_alu instid0(VALU_DEP_1) | instskip(NEXT) | instid1(VALU_DEP_1)
	v_mad_co_u64_u32 v[19:20], null, s21, v0, v[19:20]
	v_lshlrev_b64_e32 v[18:19], 3, v[18:19]
	s_delay_alu instid0(VALU_DEP_1) | instskip(SKIP_1) | instid1(VALU_DEP_2)
	v_add_co_u32 v18, vcc_lo, v34, v18
	s_wait_alu 0xfffd
	v_add_co_ci_u32_e64 v19, null, v35, v19, vcc_lo
	global_load_b64 v[20:21], v[18:19], off
	s_branch .LBB208_8
.LBB208_15:                             ;   in Loop: Header=BB208_6 Depth=1
	s_mul_u64 s[2:3], s[30:31], s[6:7]
	s_wait_alu 0xfffe
	s_lshl_b64 s[2:3], s[2:3], 3
	s_wait_alu 0xfffe
	s_add_nc_u64 s[2:3], s[26:27], s[2:3]
	s_wait_alu 0xfffe
	v_add_co_u32 v0, vcc_lo, s2, v4
	s_wait_alu 0xfffd
	v_add_co_ci_u32_e64 v18, null, s3, v5, vcc_lo
	s_and_saveexec_b32 s29, s13
	s_cbranch_execz .LBB208_19
; %bb.16:                               ;   in Loop: Header=BB208_6 Depth=1
	v_mul_f64_e32 v[16:17], s[10:11], v[16:17]
	s_and_b32 vcc_lo, exec_lo, s12
	s_wait_alu 0xfffe
	s_cbranch_vccz .LBB208_30
; %bb.17:                               ;   in Loop: Header=BB208_6 Depth=1
	v_add_co_u32 v19, vcc_lo, v0, v8
	s_wait_alu 0xfffd
	v_add_co_ci_u32_e64 v20, null, v18, v9, vcc_lo
	global_load_b64 v[32:33], v[19:20], off
	s_wait_loadcnt 0x0
	v_fma_f64 v[32:33], s[24:25], v[32:33], v[16:17]
	global_store_b64 v[19:20], v[32:33], off
	s_cbranch_execnz .LBB208_19
.LBB208_18:                             ;   in Loop: Header=BB208_6 Depth=1
	v_add_co_u32 v19, vcc_lo, v0, v8
	s_wait_alu 0xfffd
	v_add_co_ci_u32_e64 v20, null, v18, v9, vcc_lo
	global_store_b64 v[19:20], v[16:17], off
.LBB208_19:                             ;   in Loop: Header=BB208_6 Depth=1
	s_wait_alu 0xfffe
	s_or_b32 exec_lo, exec_lo, s29
	s_and_saveexec_b32 s29, s18
	s_cbranch_execz .LBB208_23
; %bb.20:                               ;   in Loop: Header=BB208_6 Depth=1
	v_mul_f64_e32 v[14:15], s[10:11], v[14:15]
	s_and_not1_b32 vcc_lo, exec_lo, s12
	s_wait_alu 0xfffe
	s_cbranch_vccnz .LBB208_31
; %bb.21:                               ;   in Loop: Header=BB208_6 Depth=1
	v_lshlrev_b64_e32 v[16:17], 3, v[2:3]
	s_delay_alu instid0(VALU_DEP_1) | instskip(SKIP_1) | instid1(VALU_DEP_2)
	v_add_co_u32 v16, vcc_lo, v0, v16
	s_wait_alu 0xfffd
	v_add_co_ci_u32_e64 v17, null, v18, v17, vcc_lo
	global_load_b64 v[19:20], v[16:17], off
	s_wait_loadcnt 0x0
	v_fma_f64 v[19:20], s[24:25], v[19:20], v[14:15]
	global_store_b64 v[16:17], v[19:20], off
	s_cbranch_execnz .LBB208_23
.LBB208_22:                             ;   in Loop: Header=BB208_6 Depth=1
	v_lshlrev_b64_e32 v[16:17], 3, v[2:3]
	s_delay_alu instid0(VALU_DEP_1) | instskip(SKIP_1) | instid1(VALU_DEP_2)
	v_add_co_u32 v16, vcc_lo, v0, v16
	s_wait_alu 0xfffd
	v_add_co_ci_u32_e64 v17, null, v18, v17, vcc_lo
	global_store_b64 v[16:17], v[14:15], off
.LBB208_23:                             ;   in Loop: Header=BB208_6 Depth=1
	s_wait_alu 0xfffe
	s_or_b32 exec_lo, exec_lo, s29
	v_add_co_u32 v0, vcc_lo, s2, v6
	s_wait_alu 0xfffd
	v_add_co_ci_u32_e64 v14, null, s3, v7, vcc_lo
	s_and_saveexec_b32 s2, s28
	s_cbranch_execz .LBB208_27
; %bb.24:                               ;   in Loop: Header=BB208_6 Depth=1
	v_mul_f64_e32 v[12:13], s[10:11], v[12:13]
	s_and_not1_b32 vcc_lo, exec_lo, s12
	s_wait_alu 0xfffe
	s_cbranch_vccnz .LBB208_32
; %bb.25:                               ;   in Loop: Header=BB208_6 Depth=1
	v_add_co_u32 v15, vcc_lo, v0, v8
	s_wait_alu 0xfffd
	v_add_co_ci_u32_e64 v16, null, v14, v9, vcc_lo
	global_load_b64 v[17:18], v[15:16], off
	s_wait_loadcnt 0x0
	v_fma_f64 v[17:18], s[24:25], v[17:18], v[12:13]
	global_store_b64 v[15:16], v[17:18], off
	s_cbranch_execnz .LBB208_27
.LBB208_26:                             ;   in Loop: Header=BB208_6 Depth=1
	v_add_co_u32 v15, vcc_lo, v0, v8
	s_wait_alu 0xfffd
	v_add_co_ci_u32_e64 v16, null, v14, v9, vcc_lo
	global_store_b64 v[15:16], v[12:13], off
.LBB208_27:                             ;   in Loop: Header=BB208_6 Depth=1
	s_wait_alu 0xfffe
	s_or_b32 exec_lo, exec_lo, s2
	s_and_saveexec_b32 s2, s4
	s_cbranch_execz .LBB208_5
; %bb.28:                               ;   in Loop: Header=BB208_6 Depth=1
	v_mul_f64_e32 v[10:11], s[10:11], v[10:11]
	v_lshlrev_b64_e32 v[12:13], 3, v[2:3]
	s_and_not1_b32 vcc_lo, exec_lo, s12
	s_wait_alu 0xfffe
	s_cbranch_vccnz .LBB208_33
; %bb.29:                               ;   in Loop: Header=BB208_6 Depth=1
	s_delay_alu instid0(VALU_DEP_1)
	v_add_co_u32 v15, vcc_lo, v0, v12
	s_wait_alu 0xfffd
	v_add_co_ci_u32_e64 v16, null, v14, v13, vcc_lo
	global_load_b64 v[17:18], v[15:16], off
	s_wait_loadcnt 0x0
	v_fma_f64 v[17:18], s[24:25], v[17:18], v[10:11]
	global_store_b64 v[15:16], v[17:18], off
	s_cbranch_execnz .LBB208_5
	s_branch .LBB208_34
.LBB208_30:                             ;   in Loop: Header=BB208_6 Depth=1
	s_branch .LBB208_18
.LBB208_31:                             ;   in Loop: Header=BB208_6 Depth=1
	s_branch .LBB208_22
.LBB208_32:                             ;   in Loop: Header=BB208_6 Depth=1
	s_branch .LBB208_26
.LBB208_33:                             ;   in Loop: Header=BB208_6 Depth=1
.LBB208_34:                             ;   in Loop: Header=BB208_6 Depth=1
	s_delay_alu instid0(VALU_DEP_1)
	v_add_co_u32 v12, vcc_lo, v0, v12
	s_wait_alu 0xfffd
	v_add_co_ci_u32_e64 v13, null, v14, v13, vcc_lo
	global_store_b64 v[12:13], v[10:11], off
	s_branch .LBB208_5
.LBB208_35:
	s_endpgm
	.section	.rodata,"a",@progbits
	.p2align	6, 0x0
	.amdhsa_kernel _ZL29rocblas_internal_gemmt_kernelIlLi16ELi32ELi8ELc78ELc84ELc76ELb0ELb0EddPKdPdEviT_T9_T10_S3_lS5_S3_lS4_T11_S3_li
		.amdhsa_group_segment_fixed_size 4096
		.amdhsa_private_segment_fixed_size 0
		.amdhsa_kernarg_size 108
		.amdhsa_user_sgpr_count 2
		.amdhsa_user_sgpr_dispatch_ptr 0
		.amdhsa_user_sgpr_queue_ptr 0
		.amdhsa_user_sgpr_kernarg_segment_ptr 1
		.amdhsa_user_sgpr_dispatch_id 0
		.amdhsa_user_sgpr_private_segment_size 0
		.amdhsa_wavefront_size32 1
		.amdhsa_uses_dynamic_stack 0
		.amdhsa_enable_private_segment 0
		.amdhsa_system_sgpr_workgroup_id_x 1
		.amdhsa_system_sgpr_workgroup_id_y 1
		.amdhsa_system_sgpr_workgroup_id_z 1
		.amdhsa_system_sgpr_workgroup_info 0
		.amdhsa_system_vgpr_workitem_id 1
		.amdhsa_next_free_vgpr 52
		.amdhsa_next_free_sgpr 36
		.amdhsa_reserve_vcc 1
		.amdhsa_float_round_mode_32 0
		.amdhsa_float_round_mode_16_64 0
		.amdhsa_float_denorm_mode_32 3
		.amdhsa_float_denorm_mode_16_64 3
		.amdhsa_fp16_overflow 0
		.amdhsa_workgroup_processor_mode 1
		.amdhsa_memory_ordered 1
		.amdhsa_forward_progress 1
		.amdhsa_inst_pref_size 16
		.amdhsa_round_robin_scheduling 0
		.amdhsa_exception_fp_ieee_invalid_op 0
		.amdhsa_exception_fp_denorm_src 0
		.amdhsa_exception_fp_ieee_div_zero 0
		.amdhsa_exception_fp_ieee_overflow 0
		.amdhsa_exception_fp_ieee_underflow 0
		.amdhsa_exception_fp_ieee_inexact 0
		.amdhsa_exception_int_div_zero 0
	.end_amdhsa_kernel
	.section	.text._ZL29rocblas_internal_gemmt_kernelIlLi16ELi32ELi8ELc78ELc84ELc76ELb0ELb0EddPKdPdEviT_T9_T10_S3_lS5_S3_lS4_T11_S3_li,"axG",@progbits,_ZL29rocblas_internal_gemmt_kernelIlLi16ELi32ELi8ELc78ELc84ELc76ELb0ELb0EddPKdPdEviT_T9_T10_S3_lS5_S3_lS4_T11_S3_li,comdat
.Lfunc_end208:
	.size	_ZL29rocblas_internal_gemmt_kernelIlLi16ELi32ELi8ELc78ELc84ELc76ELb0ELb0EddPKdPdEviT_T9_T10_S3_lS5_S3_lS4_T11_S3_li, .Lfunc_end208-_ZL29rocblas_internal_gemmt_kernelIlLi16ELi32ELi8ELc78ELc84ELc76ELb0ELb0EddPKdPdEviT_T9_T10_S3_lS5_S3_lS4_T11_S3_li
                                        ; -- End function
	.set _ZL29rocblas_internal_gemmt_kernelIlLi16ELi32ELi8ELc78ELc84ELc76ELb0ELb0EddPKdPdEviT_T9_T10_S3_lS5_S3_lS4_T11_S3_li.num_vgpr, 52
	.set _ZL29rocblas_internal_gemmt_kernelIlLi16ELi32ELi8ELc78ELc84ELc76ELb0ELb0EddPKdPdEviT_T9_T10_S3_lS5_S3_lS4_T11_S3_li.num_agpr, 0
	.set _ZL29rocblas_internal_gemmt_kernelIlLi16ELi32ELi8ELc78ELc84ELc76ELb0ELb0EddPKdPdEviT_T9_T10_S3_lS5_S3_lS4_T11_S3_li.numbered_sgpr, 36
	.set _ZL29rocblas_internal_gemmt_kernelIlLi16ELi32ELi8ELc78ELc84ELc76ELb0ELb0EddPKdPdEviT_T9_T10_S3_lS5_S3_lS4_T11_S3_li.num_named_barrier, 0
	.set _ZL29rocblas_internal_gemmt_kernelIlLi16ELi32ELi8ELc78ELc84ELc76ELb0ELb0EddPKdPdEviT_T9_T10_S3_lS5_S3_lS4_T11_S3_li.private_seg_size, 0
	.set _ZL29rocblas_internal_gemmt_kernelIlLi16ELi32ELi8ELc78ELc84ELc76ELb0ELb0EddPKdPdEviT_T9_T10_S3_lS5_S3_lS4_T11_S3_li.uses_vcc, 1
	.set _ZL29rocblas_internal_gemmt_kernelIlLi16ELi32ELi8ELc78ELc84ELc76ELb0ELb0EddPKdPdEviT_T9_T10_S3_lS5_S3_lS4_T11_S3_li.uses_flat_scratch, 0
	.set _ZL29rocblas_internal_gemmt_kernelIlLi16ELi32ELi8ELc78ELc84ELc76ELb0ELb0EddPKdPdEviT_T9_T10_S3_lS5_S3_lS4_T11_S3_li.has_dyn_sized_stack, 0
	.set _ZL29rocblas_internal_gemmt_kernelIlLi16ELi32ELi8ELc78ELc84ELc76ELb0ELb0EddPKdPdEviT_T9_T10_S3_lS5_S3_lS4_T11_S3_li.has_recursion, 0
	.set _ZL29rocblas_internal_gemmt_kernelIlLi16ELi32ELi8ELc78ELc84ELc76ELb0ELb0EddPKdPdEviT_T9_T10_S3_lS5_S3_lS4_T11_S3_li.has_indirect_call, 0
	.section	.AMDGPU.csdata,"",@progbits
; Kernel info:
; codeLenInByte = 2028
; TotalNumSgprs: 38
; NumVgprs: 52
; ScratchSize: 0
; MemoryBound: 0
; FloatMode: 240
; IeeeMode: 1
; LDSByteSize: 4096 bytes/workgroup (compile time only)
; SGPRBlocks: 0
; VGPRBlocks: 6
; NumSGPRsForWavesPerEU: 38
; NumVGPRsForWavesPerEU: 52
; Occupancy: 16
; WaveLimiterHint : 0
; COMPUTE_PGM_RSRC2:SCRATCH_EN: 0
; COMPUTE_PGM_RSRC2:USER_SGPR: 2
; COMPUTE_PGM_RSRC2:TRAP_HANDLER: 0
; COMPUTE_PGM_RSRC2:TGID_X_EN: 1
; COMPUTE_PGM_RSRC2:TGID_Y_EN: 1
; COMPUTE_PGM_RSRC2:TGID_Z_EN: 1
; COMPUTE_PGM_RSRC2:TIDIG_COMP_CNT: 1
	.section	.text._ZL29rocblas_internal_gemmt_kernelIlLi16ELi32ELi8ELc78ELc67ELc76ELb0ELb0EddPKdPdEviT_T9_T10_S3_lS5_S3_lS4_T11_S3_li,"axG",@progbits,_ZL29rocblas_internal_gemmt_kernelIlLi16ELi32ELi8ELc78ELc67ELc76ELb0ELb0EddPKdPdEviT_T9_T10_S3_lS5_S3_lS4_T11_S3_li,comdat
	.globl	_ZL29rocblas_internal_gemmt_kernelIlLi16ELi32ELi8ELc78ELc67ELc76ELb0ELb0EddPKdPdEviT_T9_T10_S3_lS5_S3_lS4_T11_S3_li ; -- Begin function _ZL29rocblas_internal_gemmt_kernelIlLi16ELi32ELi8ELc78ELc67ELc76ELb0ELb0EddPKdPdEviT_T9_T10_S3_lS5_S3_lS4_T11_S3_li
	.p2align	8
	.type	_ZL29rocblas_internal_gemmt_kernelIlLi16ELi32ELi8ELc78ELc67ELc76ELb0ELb0EddPKdPdEviT_T9_T10_S3_lS5_S3_lS4_T11_S3_li,@function
_ZL29rocblas_internal_gemmt_kernelIlLi16ELi32ELi8ELc78ELc67ELc76ELb0ELb0EddPKdPdEviT_T9_T10_S3_lS5_S3_lS4_T11_S3_li: ; @_ZL29rocblas_internal_gemmt_kernelIlLi16ELi32ELi8ELc78ELc67ELc76ELb0ELb0EddPKdPdEviT_T9_T10_S3_lS5_S3_lS4_T11_S3_li
; %bb.0:
	s_clause 0x1
	s_load_b256 s[24:31], s[0:1], 0x48
	s_load_b512 s[8:23], s[0:1], 0x8
	s_wait_kmcnt 0x0
	v_cmp_neq_f64_e64 s2, s[24:25], 1.0
	s_and_b32 vcc_lo, exec_lo, s2
	s_cbranch_vccnz .LBB209_2
; %bb.1:
	v_cmp_neq_f64_e64 s2, s[10:11], 0
	s_cmp_lg_u64 s[8:9], 0
	s_cselect_b32 s3, -1, 0
	s_delay_alu instid0(SALU_CYCLE_1)
	s_and_b32 s2, s3, s2
.LBB209_2:
	s_delay_alu instid0(SALU_CYCLE_1)
	s_and_not1_b32 vcc_lo, exec_lo, s2
	s_cbranch_vccnz .LBB209_35
; %bb.3:
	s_load_b32 s5, s[0:1], 0x68
	s_lshr_b32 s6, ttmp7, 16
	s_wait_kmcnt 0x0
	s_cmp_ge_u32 s6, s5
	s_cbranch_scc1 .LBB209_35
; %bb.4:
	v_and_b32_e32 v2, 0x3ff, v0
	v_bfe_u32 v3, v0, 10, 10
	s_load_b32 s4, s[0:1], 0x0
	s_lshl_b32 s2, ttmp9, 5
	v_and_b32_e32 v22, 7, v0
	s_lshl_b32 s0, ttmp7, 5
	v_lshl_add_u32 v1, v3, 4, v2
	s_and_b32 s0, s0, 0x1fffe0
	v_cmp_neq_f64_e64 s7, s[10:11], 0
	v_add_nc_u32_e32 v12, s0, v3
	v_cmp_gt_i64_e64 s33, s[8:9], 0
	v_and_b32_e32 v6, 31, v1
	v_lshrrev_b32_e32 v23, 5, v1
	v_lshrrev_b32_e32 v8, 3, v1
	v_mad_co_u64_u32 v[4:5], null, s28, v12, 0
	s_delay_alu instid0(VALU_DEP_4) | instskip(SKIP_1) | instid1(VALU_DEP_4)
	v_or_b32_e32 v0, s2, v6
	v_lshlrev_b32_e32 v7, 3, v22
	v_add_nc_u32_e32 v9, s0, v8
	v_lshlrev_b32_e32 v6, 3, v6
	v_add_nc_u32_e32 v13, 16, v12
	v_ashrrev_i32_e32 v1, 31, v0
	s_wait_kmcnt 0x0
	v_cmp_gt_i32_e64 s0, s4, v0
	v_cmp_gt_i32_e64 s1, s4, v9
	v_lshl_or_b32 v24, v23, 8, v6
	v_lshl_add_u32 v31, v3, 6, 0x800
	v_lshlrev_b64_e32 v[0:1], 3, v[0:1]
	s_delay_alu instid0(VALU_DEP_1)
	v_add_co_u32 v26, vcc_lo, s12, v0
	v_cmp_neq_f64_e64 s12, s[24:25], 0
	v_mov_b32_e32 v0, v5
	v_lshl_or_b32 v7, v8, 6, v7
	v_add_co_ci_u32_e64 v27, null, s13, v1, vcc_lo
	v_dual_mov_b32 v1, 0 :: v_dual_lshlrev_b32 v8, 3, v9
	s_delay_alu instid0(VALU_DEP_3) | instskip(SKIP_1) | instid1(VALU_DEP_3)
	v_add_nc_u32_e32 v25, 0x800, v7
	v_mad_co_u64_u32 v[6:7], null, s28, v13, 0
	v_mad_co_u64_u32 v[9:10], null, s29, v12, v[0:1]
	s_delay_alu instid0(VALU_DEP_4)
	v_add_co_u32 v28, s3, s18, v8
	v_add_nc_u32_e32 v8, s2, v2
	v_lshlrev_b32_e32 v30, 3, v2
	v_mov_b32_e32 v0, v7
	s_wait_alu 0xf1ff
	v_add_co_ci_u32_e64 v29, null, s19, 0, s3
	v_add_nc_u32_e32 v2, 16, v8
	v_cmp_le_i32_e32 vcc_lo, v12, v8
	v_mad_co_u64_u32 v[10:11], null, s29, v13, v[0:1]
	v_cmp_gt_i32_e64 s2, s4, v8
	s_delay_alu instid0(VALU_DEP_4)
	v_cmp_le_i32_e64 s3, v12, v2
	v_cmp_gt_i32_e64 s4, s4, v2
	v_mov_b32_e32 v5, v9
	v_ashrrev_i32_e32 v9, 31, v8
	s_and_b32 s13, vcc_lo, s2
	v_mov_b32_e32 v7, v10
	s_and_b32 s18, s3, s4
	v_cmp_le_i32_e32 vcc_lo, v13, v8
	v_cmp_le_i32_e64 s3, v13, v2
	v_lshlrev_b64_e32 v[4:5], 3, v[4:5]
	v_lshlrev_b64_e32 v[6:7], 3, v[6:7]
	;; [unrolled: 1-line block ×3, first 2 shown]
	v_ashrrev_i32_e32 v3, 31, v2
	s_and_b32 s19, s7, s33
	s_and_b32 s28, vcc_lo, s2
	s_and_b32 s4, s3, s4
	s_mov_b32 s7, 0
	s_branch .LBB209_6
.LBB209_5:                              ;   in Loop: Header=BB209_6 Depth=1
	s_wait_alu 0xfffe
	s_or_b32 exec_lo, exec_lo, s2
	s_add_co_i32 s6, s6, 0x10000
	s_delay_alu instid0(SALU_CYCLE_1)
	s_cmp_lt_u32 s6, s5
	s_cbranch_scc0 .LBB209_35
.LBB209_6:                              ; =>This Loop Header: Depth=1
                                        ;     Child Loop BB209_9 Depth 2
	v_mov_b32_e32 v16, 0
	v_dual_mov_b32 v12, 0 :: v_dual_mov_b32 v17, 0
	v_dual_mov_b32 v14, 0 :: v_dual_mov_b32 v13, 0
	;; [unrolled: 1-line block ×3, first 2 shown]
	v_mov_b32_e32 v11, 0
	s_wait_alu 0xfffe
	s_and_not1_b32 vcc_lo, exec_lo, s19
	s_wait_alu 0xfffe
	s_cbranch_vccnz .LBB209_15
; %bb.7:                                ;   in Loop: Header=BB209_6 Depth=1
	s_mul_u64 s[2:3], s[16:17], s[6:7]
	s_mul_u64 s[34:35], s[22:23], s[6:7]
	s_wait_alu 0xfffe
	s_lshl_b64 s[2:3], s[2:3], 3
	v_mov_b32_e32 v10, 0
	s_wait_alu 0xfffe
	v_add_co_u32 v32, vcc_lo, v26, s2
	s_wait_alu 0xfffd
	v_add_co_ci_u32_e64 v33, null, s3, v27, vcc_lo
	s_lshl_b64 s[2:3], s[34:35], 3
	v_mov_b32_e32 v14, 0
	s_wait_alu 0xfffe
	v_add_co_u32 v34, vcc_lo, v28, s2
	v_dual_mov_b32 v11, 0 :: v_dual_mov_b32 v12, 0
	v_dual_mov_b32 v15, 0 :: v_dual_mov_b32 v16, 0
	v_mov_b32_e32 v13, 0
	v_mov_b32_e32 v17, 0
	s_wait_alu 0xfffd
	v_add_co_ci_u32_e64 v35, null, s3, v29, vcc_lo
	s_mov_b64 s[2:3], 0
	s_branch .LBB209_9
.LBB209_8:                              ;   in Loop: Header=BB209_9 Depth=2
	s_wait_alu 0xfffe
	s_or_b32 exec_lo, exec_lo, s29
	s_wait_loadcnt 0x0
	ds_store_b64 v25, v[20:21]
	s_wait_dscnt 0x0
	s_barrier_signal -1
	s_barrier_wait -1
	global_inv scope:SCOPE_SE
	ds_load_b128 v[18:21], v31
	ds_load_2addr_b64 v[36:39], v30 offset1:16
	ds_load_b128 v[40:43], v31 offset:1024
	ds_load_b128 v[44:47], v31 offset:16
	;; [unrolled: 1-line block ×3, first 2 shown]
	s_add_nc_u64 s[2:3], s[2:3], 8
	s_wait_alu 0xfffe
	v_cmp_gt_i64_e64 s29, s[8:9], s[2:3]
	s_and_b32 vcc_lo, exec_lo, s29
	s_wait_dscnt 0x3
	v_fma_f64 v[16:17], v[36:37], v[18:19], v[16:17]
	v_fma_f64 v[14:15], v[38:39], v[18:19], v[14:15]
	s_wait_dscnt 0x2
	v_fma_f64 v[18:19], v[36:37], v[40:41], v[12:13]
	v_fma_f64 v[36:37], v[38:39], v[40:41], v[10:11]
	ds_load_2addr_b64 v[10:13], v30 offset0:32 offset1:48
	s_wait_dscnt 0x0
	v_fma_f64 v[16:17], v[10:11], v[20:21], v[16:17]
	v_fma_f64 v[14:15], v[12:13], v[20:21], v[14:15]
	v_fma_f64 v[18:19], v[10:11], v[42:43], v[18:19]
	v_fma_f64 v[20:21], v[12:13], v[42:43], v[36:37]
	ds_load_2addr_b64 v[10:13], v30 offset0:64 offset1:80
	s_wait_dscnt 0x0
	v_fma_f64 v[16:17], v[10:11], v[44:45], v[16:17]
	v_fma_f64 v[14:15], v[12:13], v[44:45], v[14:15]
	v_fma_f64 v[18:19], v[10:11], v[48:49], v[18:19]
	v_fma_f64 v[20:21], v[12:13], v[48:49], v[20:21]
	ds_load_2addr_b64 v[10:13], v30 offset0:96 offset1:112
	s_wait_dscnt 0x0
	v_fma_f64 v[44:45], v[10:11], v[46:47], v[16:17]
	v_fma_f64 v[46:47], v[12:13], v[46:47], v[14:15]
	v_fma_f64 v[48:49], v[10:11], v[50:51], v[18:19]
	v_fma_f64 v[50:51], v[12:13], v[50:51], v[20:21]
	ds_load_b128 v[10:13], v31 offset:32
	ds_load_2addr_b64 v[14:17], v30 offset0:128 offset1:144
	ds_load_b128 v[18:21], v31 offset:1056
	ds_load_b128 v[36:39], v31 offset:48
	;; [unrolled: 1-line block ×3, first 2 shown]
	s_wait_dscnt 0x3
	v_fma_f64 v[44:45], v[14:15], v[10:11], v[44:45]
	v_fma_f64 v[10:11], v[16:17], v[10:11], v[46:47]
	s_wait_dscnt 0x2
	v_fma_f64 v[46:47], v[14:15], v[18:19], v[48:49]
	v_fma_f64 v[18:19], v[16:17], v[18:19], v[50:51]
	ds_load_2addr_b64 v[14:17], v30 offset0:160 offset1:176
	s_wait_dscnt 0x0
	v_fma_f64 v[44:45], v[14:15], v[12:13], v[44:45]
	v_fma_f64 v[48:49], v[16:17], v[12:13], v[10:11]
	;; [unrolled: 1-line block ×4, first 2 shown]
	ds_load_2addr_b64 v[10:13], v30 offset0:192 offset1:208
	ds_load_2addr_b64 v[18:21], v30 offset0:224 offset1:240
	s_wait_loadcnt_dscnt 0x0
	s_barrier_signal -1
	s_barrier_wait -1
	global_inv scope:SCOPE_SE
	v_fma_f64 v[44:45], v[10:11], v[36:37], v[44:45]
	v_fma_f64 v[36:37], v[12:13], v[36:37], v[48:49]
	;; [unrolled: 1-line block ×4, first 2 shown]
	s_delay_alu instid0(VALU_DEP_4) | instskip(NEXT) | instid1(VALU_DEP_4)
	v_fma_f64 v[16:17], v[18:19], v[38:39], v[44:45]
	v_fma_f64 v[14:15], v[20:21], v[38:39], v[36:37]
	s_delay_alu instid0(VALU_DEP_4) | instskip(NEXT) | instid1(VALU_DEP_4)
	v_fma_f64 v[12:13], v[18:19], v[42:43], v[10:11]
	v_fma_f64 v[10:11], v[20:21], v[42:43], v[40:41]
	s_wait_alu 0xfffe
	s_cbranch_vccz .LBB209_15
.LBB209_9:                              ;   Parent Loop BB209_6 Depth=1
                                        ; =>  This Inner Loop Header: Depth=2
	v_mov_b32_e32 v18, 0
	v_mov_b32_e32 v19, 0
	s_and_saveexec_b32 s29, s0
	s_cbranch_execz .LBB209_13
; %bb.10:                               ;   in Loop: Header=BB209_9 Depth=2
	v_mov_b32_e32 v18, 0
	s_wait_alu 0xfffe
	v_dual_mov_b32 v19, 0 :: v_dual_add_nc_u32 v0, s2, v23
	s_mov_b32 s33, exec_lo
	s_delay_alu instid0(VALU_DEP_1)
	v_cmpx_gt_u64_e64 s[8:9], v[0:1]
	s_cbranch_execz .LBB209_12
; %bb.11:                               ;   in Loop: Header=BB209_9 Depth=2
	v_mad_co_u64_u32 v[18:19], null, s14, v0, 0
	s_delay_alu instid0(VALU_DEP_1) | instskip(NEXT) | instid1(VALU_DEP_1)
	v_mad_co_u64_u32 v[19:20], null, s15, v0, v[19:20]
	v_lshlrev_b64_e32 v[18:19], 3, v[18:19]
	s_delay_alu instid0(VALU_DEP_1) | instskip(SKIP_1) | instid1(VALU_DEP_2)
	v_add_co_u32 v18, vcc_lo, v32, v18
	s_wait_alu 0xfffd
	v_add_co_ci_u32_e64 v19, null, v33, v19, vcc_lo
	global_load_b64 v[18:19], v[18:19], off
.LBB209_12:                             ;   in Loop: Header=BB209_9 Depth=2
	s_or_b32 exec_lo, exec_lo, s33
.LBB209_13:                             ;   in Loop: Header=BB209_9 Depth=2
	s_wait_alu 0xfffe
	s_or_b32 exec_lo, exec_lo, s29
	v_add_nc_u32_e32 v0, s2, v22
	v_mov_b32_e32 v20, 0
	v_mov_b32_e32 v21, 0
	s_wait_loadcnt 0x0
	ds_store_b64 v24, v[18:19]
	v_cmp_gt_u64_e32 vcc_lo, s[8:9], v[0:1]
	s_and_b32 s33, vcc_lo, s1
	s_delay_alu instid0(SALU_CYCLE_1)
	s_and_saveexec_b32 s29, s33
	s_cbranch_execz .LBB209_8
; %bb.14:                               ;   in Loop: Header=BB209_9 Depth=2
	v_mad_co_u64_u32 v[18:19], null, s20, v0, 0
	s_delay_alu instid0(VALU_DEP_1) | instskip(NEXT) | instid1(VALU_DEP_1)
	v_mad_co_u64_u32 v[19:20], null, s21, v0, v[19:20]
	v_lshlrev_b64_e32 v[18:19], 3, v[18:19]
	s_delay_alu instid0(VALU_DEP_1) | instskip(SKIP_1) | instid1(VALU_DEP_2)
	v_add_co_u32 v18, vcc_lo, v34, v18
	s_wait_alu 0xfffd
	v_add_co_ci_u32_e64 v19, null, v35, v19, vcc_lo
	global_load_b64 v[20:21], v[18:19], off
	s_branch .LBB209_8
.LBB209_15:                             ;   in Loop: Header=BB209_6 Depth=1
	s_mul_u64 s[2:3], s[30:31], s[6:7]
	s_wait_alu 0xfffe
	s_lshl_b64 s[2:3], s[2:3], 3
	s_wait_alu 0xfffe
	s_add_nc_u64 s[2:3], s[26:27], s[2:3]
	s_wait_alu 0xfffe
	v_add_co_u32 v0, vcc_lo, s2, v4
	s_wait_alu 0xfffd
	v_add_co_ci_u32_e64 v18, null, s3, v5, vcc_lo
	s_and_saveexec_b32 s29, s13
	s_cbranch_execz .LBB209_19
; %bb.16:                               ;   in Loop: Header=BB209_6 Depth=1
	v_mul_f64_e32 v[16:17], s[10:11], v[16:17]
	s_and_b32 vcc_lo, exec_lo, s12
	s_wait_alu 0xfffe
	s_cbranch_vccz .LBB209_30
; %bb.17:                               ;   in Loop: Header=BB209_6 Depth=1
	v_add_co_u32 v19, vcc_lo, v0, v8
	s_wait_alu 0xfffd
	v_add_co_ci_u32_e64 v20, null, v18, v9, vcc_lo
	global_load_b64 v[32:33], v[19:20], off
	s_wait_loadcnt 0x0
	v_fma_f64 v[32:33], s[24:25], v[32:33], v[16:17]
	global_store_b64 v[19:20], v[32:33], off
	s_cbranch_execnz .LBB209_19
.LBB209_18:                             ;   in Loop: Header=BB209_6 Depth=1
	v_add_co_u32 v19, vcc_lo, v0, v8
	s_wait_alu 0xfffd
	v_add_co_ci_u32_e64 v20, null, v18, v9, vcc_lo
	global_store_b64 v[19:20], v[16:17], off
.LBB209_19:                             ;   in Loop: Header=BB209_6 Depth=1
	s_wait_alu 0xfffe
	s_or_b32 exec_lo, exec_lo, s29
	s_and_saveexec_b32 s29, s18
	s_cbranch_execz .LBB209_23
; %bb.20:                               ;   in Loop: Header=BB209_6 Depth=1
	v_mul_f64_e32 v[14:15], s[10:11], v[14:15]
	s_and_not1_b32 vcc_lo, exec_lo, s12
	s_wait_alu 0xfffe
	s_cbranch_vccnz .LBB209_31
; %bb.21:                               ;   in Loop: Header=BB209_6 Depth=1
	v_lshlrev_b64_e32 v[16:17], 3, v[2:3]
	s_delay_alu instid0(VALU_DEP_1) | instskip(SKIP_1) | instid1(VALU_DEP_2)
	v_add_co_u32 v16, vcc_lo, v0, v16
	s_wait_alu 0xfffd
	v_add_co_ci_u32_e64 v17, null, v18, v17, vcc_lo
	global_load_b64 v[19:20], v[16:17], off
	s_wait_loadcnt 0x0
	v_fma_f64 v[19:20], s[24:25], v[19:20], v[14:15]
	global_store_b64 v[16:17], v[19:20], off
	s_cbranch_execnz .LBB209_23
.LBB209_22:                             ;   in Loop: Header=BB209_6 Depth=1
	v_lshlrev_b64_e32 v[16:17], 3, v[2:3]
	s_delay_alu instid0(VALU_DEP_1) | instskip(SKIP_1) | instid1(VALU_DEP_2)
	v_add_co_u32 v16, vcc_lo, v0, v16
	s_wait_alu 0xfffd
	v_add_co_ci_u32_e64 v17, null, v18, v17, vcc_lo
	global_store_b64 v[16:17], v[14:15], off
.LBB209_23:                             ;   in Loop: Header=BB209_6 Depth=1
	s_wait_alu 0xfffe
	s_or_b32 exec_lo, exec_lo, s29
	v_add_co_u32 v0, vcc_lo, s2, v6
	s_wait_alu 0xfffd
	v_add_co_ci_u32_e64 v14, null, s3, v7, vcc_lo
	s_and_saveexec_b32 s2, s28
	s_cbranch_execz .LBB209_27
; %bb.24:                               ;   in Loop: Header=BB209_6 Depth=1
	v_mul_f64_e32 v[12:13], s[10:11], v[12:13]
	s_and_not1_b32 vcc_lo, exec_lo, s12
	s_wait_alu 0xfffe
	s_cbranch_vccnz .LBB209_32
; %bb.25:                               ;   in Loop: Header=BB209_6 Depth=1
	v_add_co_u32 v15, vcc_lo, v0, v8
	s_wait_alu 0xfffd
	v_add_co_ci_u32_e64 v16, null, v14, v9, vcc_lo
	global_load_b64 v[17:18], v[15:16], off
	s_wait_loadcnt 0x0
	v_fma_f64 v[17:18], s[24:25], v[17:18], v[12:13]
	global_store_b64 v[15:16], v[17:18], off
	s_cbranch_execnz .LBB209_27
.LBB209_26:                             ;   in Loop: Header=BB209_6 Depth=1
	v_add_co_u32 v15, vcc_lo, v0, v8
	s_wait_alu 0xfffd
	v_add_co_ci_u32_e64 v16, null, v14, v9, vcc_lo
	global_store_b64 v[15:16], v[12:13], off
.LBB209_27:                             ;   in Loop: Header=BB209_6 Depth=1
	s_wait_alu 0xfffe
	s_or_b32 exec_lo, exec_lo, s2
	s_and_saveexec_b32 s2, s4
	s_cbranch_execz .LBB209_5
; %bb.28:                               ;   in Loop: Header=BB209_6 Depth=1
	v_mul_f64_e32 v[10:11], s[10:11], v[10:11]
	v_lshlrev_b64_e32 v[12:13], 3, v[2:3]
	s_and_not1_b32 vcc_lo, exec_lo, s12
	s_wait_alu 0xfffe
	s_cbranch_vccnz .LBB209_33
; %bb.29:                               ;   in Loop: Header=BB209_6 Depth=1
	s_delay_alu instid0(VALU_DEP_1)
	v_add_co_u32 v15, vcc_lo, v0, v12
	s_wait_alu 0xfffd
	v_add_co_ci_u32_e64 v16, null, v14, v13, vcc_lo
	global_load_b64 v[17:18], v[15:16], off
	s_wait_loadcnt 0x0
	v_fma_f64 v[17:18], s[24:25], v[17:18], v[10:11]
	global_store_b64 v[15:16], v[17:18], off
	s_cbranch_execnz .LBB209_5
	s_branch .LBB209_34
.LBB209_30:                             ;   in Loop: Header=BB209_6 Depth=1
	s_branch .LBB209_18
.LBB209_31:                             ;   in Loop: Header=BB209_6 Depth=1
	s_branch .LBB209_22
.LBB209_32:                             ;   in Loop: Header=BB209_6 Depth=1
	s_branch .LBB209_26
.LBB209_33:                             ;   in Loop: Header=BB209_6 Depth=1
.LBB209_34:                             ;   in Loop: Header=BB209_6 Depth=1
	s_delay_alu instid0(VALU_DEP_1)
	v_add_co_u32 v12, vcc_lo, v0, v12
	s_wait_alu 0xfffd
	v_add_co_ci_u32_e64 v13, null, v14, v13, vcc_lo
	global_store_b64 v[12:13], v[10:11], off
	s_branch .LBB209_5
.LBB209_35:
	s_endpgm
	.section	.rodata,"a",@progbits
	.p2align	6, 0x0
	.amdhsa_kernel _ZL29rocblas_internal_gemmt_kernelIlLi16ELi32ELi8ELc78ELc67ELc76ELb0ELb0EddPKdPdEviT_T9_T10_S3_lS5_S3_lS4_T11_S3_li
		.amdhsa_group_segment_fixed_size 4096
		.amdhsa_private_segment_fixed_size 0
		.amdhsa_kernarg_size 108
		.amdhsa_user_sgpr_count 2
		.amdhsa_user_sgpr_dispatch_ptr 0
		.amdhsa_user_sgpr_queue_ptr 0
		.amdhsa_user_sgpr_kernarg_segment_ptr 1
		.amdhsa_user_sgpr_dispatch_id 0
		.amdhsa_user_sgpr_private_segment_size 0
		.amdhsa_wavefront_size32 1
		.amdhsa_uses_dynamic_stack 0
		.amdhsa_enable_private_segment 0
		.amdhsa_system_sgpr_workgroup_id_x 1
		.amdhsa_system_sgpr_workgroup_id_y 1
		.amdhsa_system_sgpr_workgroup_id_z 1
		.amdhsa_system_sgpr_workgroup_info 0
		.amdhsa_system_vgpr_workitem_id 1
		.amdhsa_next_free_vgpr 52
		.amdhsa_next_free_sgpr 36
		.amdhsa_reserve_vcc 1
		.amdhsa_float_round_mode_32 0
		.amdhsa_float_round_mode_16_64 0
		.amdhsa_float_denorm_mode_32 3
		.amdhsa_float_denorm_mode_16_64 3
		.amdhsa_fp16_overflow 0
		.amdhsa_workgroup_processor_mode 1
		.amdhsa_memory_ordered 1
		.amdhsa_forward_progress 1
		.amdhsa_inst_pref_size 16
		.amdhsa_round_robin_scheduling 0
		.amdhsa_exception_fp_ieee_invalid_op 0
		.amdhsa_exception_fp_denorm_src 0
		.amdhsa_exception_fp_ieee_div_zero 0
		.amdhsa_exception_fp_ieee_overflow 0
		.amdhsa_exception_fp_ieee_underflow 0
		.amdhsa_exception_fp_ieee_inexact 0
		.amdhsa_exception_int_div_zero 0
	.end_amdhsa_kernel
	.section	.text._ZL29rocblas_internal_gemmt_kernelIlLi16ELi32ELi8ELc78ELc67ELc76ELb0ELb0EddPKdPdEviT_T9_T10_S3_lS5_S3_lS4_T11_S3_li,"axG",@progbits,_ZL29rocblas_internal_gemmt_kernelIlLi16ELi32ELi8ELc78ELc67ELc76ELb0ELb0EddPKdPdEviT_T9_T10_S3_lS5_S3_lS4_T11_S3_li,comdat
.Lfunc_end209:
	.size	_ZL29rocblas_internal_gemmt_kernelIlLi16ELi32ELi8ELc78ELc67ELc76ELb0ELb0EddPKdPdEviT_T9_T10_S3_lS5_S3_lS4_T11_S3_li, .Lfunc_end209-_ZL29rocblas_internal_gemmt_kernelIlLi16ELi32ELi8ELc78ELc67ELc76ELb0ELb0EddPKdPdEviT_T9_T10_S3_lS5_S3_lS4_T11_S3_li
                                        ; -- End function
	.set _ZL29rocblas_internal_gemmt_kernelIlLi16ELi32ELi8ELc78ELc67ELc76ELb0ELb0EddPKdPdEviT_T9_T10_S3_lS5_S3_lS4_T11_S3_li.num_vgpr, 52
	.set _ZL29rocblas_internal_gemmt_kernelIlLi16ELi32ELi8ELc78ELc67ELc76ELb0ELb0EddPKdPdEviT_T9_T10_S3_lS5_S3_lS4_T11_S3_li.num_agpr, 0
	.set _ZL29rocblas_internal_gemmt_kernelIlLi16ELi32ELi8ELc78ELc67ELc76ELb0ELb0EddPKdPdEviT_T9_T10_S3_lS5_S3_lS4_T11_S3_li.numbered_sgpr, 36
	.set _ZL29rocblas_internal_gemmt_kernelIlLi16ELi32ELi8ELc78ELc67ELc76ELb0ELb0EddPKdPdEviT_T9_T10_S3_lS5_S3_lS4_T11_S3_li.num_named_barrier, 0
	.set _ZL29rocblas_internal_gemmt_kernelIlLi16ELi32ELi8ELc78ELc67ELc76ELb0ELb0EddPKdPdEviT_T9_T10_S3_lS5_S3_lS4_T11_S3_li.private_seg_size, 0
	.set _ZL29rocblas_internal_gemmt_kernelIlLi16ELi32ELi8ELc78ELc67ELc76ELb0ELb0EddPKdPdEviT_T9_T10_S3_lS5_S3_lS4_T11_S3_li.uses_vcc, 1
	.set _ZL29rocblas_internal_gemmt_kernelIlLi16ELi32ELi8ELc78ELc67ELc76ELb0ELb0EddPKdPdEviT_T9_T10_S3_lS5_S3_lS4_T11_S3_li.uses_flat_scratch, 0
	.set _ZL29rocblas_internal_gemmt_kernelIlLi16ELi32ELi8ELc78ELc67ELc76ELb0ELb0EddPKdPdEviT_T9_T10_S3_lS5_S3_lS4_T11_S3_li.has_dyn_sized_stack, 0
	.set _ZL29rocblas_internal_gemmt_kernelIlLi16ELi32ELi8ELc78ELc67ELc76ELb0ELb0EddPKdPdEviT_T9_T10_S3_lS5_S3_lS4_T11_S3_li.has_recursion, 0
	.set _ZL29rocblas_internal_gemmt_kernelIlLi16ELi32ELi8ELc78ELc67ELc76ELb0ELb0EddPKdPdEviT_T9_T10_S3_lS5_S3_lS4_T11_S3_li.has_indirect_call, 0
	.section	.AMDGPU.csdata,"",@progbits
; Kernel info:
; codeLenInByte = 2028
; TotalNumSgprs: 38
; NumVgprs: 52
; ScratchSize: 0
; MemoryBound: 0
; FloatMode: 240
; IeeeMode: 1
; LDSByteSize: 4096 bytes/workgroup (compile time only)
; SGPRBlocks: 0
; VGPRBlocks: 6
; NumSGPRsForWavesPerEU: 38
; NumVGPRsForWavesPerEU: 52
; Occupancy: 16
; WaveLimiterHint : 0
; COMPUTE_PGM_RSRC2:SCRATCH_EN: 0
; COMPUTE_PGM_RSRC2:USER_SGPR: 2
; COMPUTE_PGM_RSRC2:TRAP_HANDLER: 0
; COMPUTE_PGM_RSRC2:TGID_X_EN: 1
; COMPUTE_PGM_RSRC2:TGID_Y_EN: 1
; COMPUTE_PGM_RSRC2:TGID_Z_EN: 1
; COMPUTE_PGM_RSRC2:TIDIG_COMP_CNT: 1
	.section	.text._ZL29rocblas_internal_gemmt_kernelIlLi16ELi32ELi8ELc84ELc78ELc76ELb0ELb0EddPKdPdEviT_T9_T10_S3_lS5_S3_lS4_T11_S3_li,"axG",@progbits,_ZL29rocblas_internal_gemmt_kernelIlLi16ELi32ELi8ELc84ELc78ELc76ELb0ELb0EddPKdPdEviT_T9_T10_S3_lS5_S3_lS4_T11_S3_li,comdat
	.globl	_ZL29rocblas_internal_gemmt_kernelIlLi16ELi32ELi8ELc84ELc78ELc76ELb0ELb0EddPKdPdEviT_T9_T10_S3_lS5_S3_lS4_T11_S3_li ; -- Begin function _ZL29rocblas_internal_gemmt_kernelIlLi16ELi32ELi8ELc84ELc78ELc76ELb0ELb0EddPKdPdEviT_T9_T10_S3_lS5_S3_lS4_T11_S3_li
	.p2align	8
	.type	_ZL29rocblas_internal_gemmt_kernelIlLi16ELi32ELi8ELc84ELc78ELc76ELb0ELb0EddPKdPdEviT_T9_T10_S3_lS5_S3_lS4_T11_S3_li,@function
_ZL29rocblas_internal_gemmt_kernelIlLi16ELi32ELi8ELc84ELc78ELc76ELb0ELb0EddPKdPdEviT_T9_T10_S3_lS5_S3_lS4_T11_S3_li: ; @_ZL29rocblas_internal_gemmt_kernelIlLi16ELi32ELi8ELc84ELc78ELc76ELb0ELb0EddPKdPdEviT_T9_T10_S3_lS5_S3_lS4_T11_S3_li
; %bb.0:
	s_clause 0x1
	s_load_b256 s[24:31], s[0:1], 0x48
	s_load_b512 s[8:23], s[0:1], 0x8
	s_wait_kmcnt 0x0
	v_cmp_neq_f64_e64 s2, s[24:25], 1.0
	s_and_b32 vcc_lo, exec_lo, s2
	s_cbranch_vccnz .LBB210_2
; %bb.1:
	v_cmp_neq_f64_e64 s2, s[10:11], 0
	s_cmp_lg_u64 s[8:9], 0
	s_cselect_b32 s3, -1, 0
	s_delay_alu instid0(SALU_CYCLE_1)
	s_and_b32 s2, s3, s2
.LBB210_2:
	s_delay_alu instid0(SALU_CYCLE_1)
	s_and_not1_b32 vcc_lo, exec_lo, s2
	s_cbranch_vccnz .LBB210_35
; %bb.3:
	s_load_b32 s5, s[0:1], 0x68
	s_lshr_b32 s6, ttmp7, 16
	s_wait_kmcnt 0x0
	s_cmp_ge_u32 s6, s5
	s_cbranch_scc1 .LBB210_35
; %bb.4:
	v_and_b32_e32 v9, 0x3ff, v0
	v_bfe_u32 v12, v0, 10, 10
	s_load_b32 s4, s[0:1], 0x0
	s_lshl_b32 s1, ttmp7, 5
	s_lshl_b32 s0, ttmp9, 5
	s_and_b32 s1, s1, 0x1fffe0
	v_lshl_add_u32 v2, v12, 4, v9
	v_and_b32_e32 v22, 7, v0
	s_ashr_i32 s2, s0, 31
	v_add_nc_u32_e32 v16, s1, v12
	s_mul_i32 s2, s14, s2
	v_lshrrev_b32_e32 v10, 3, v2
	v_and_b32_e32 v11, 31, v2
	v_lshrrev_b32_e32 v23, 5, v2
	v_cmp_neq_f64_e64 s7, s[10:11], 0
	v_cmp_neq_f64_e64 s33, s[24:25], 0
	v_add_nc_u32_e32 v13, s1, v10
	v_or_b32_e32 v14, s0, v11
	v_add_nc_u32_e32 v18, 16, v16
	v_mad_co_u64_u32 v[4:5], null, s28, v16, 0
	s_delay_alu instid0(VALU_DEP_4) | instskip(NEXT) | instid1(VALU_DEP_4)
	v_mad_co_u64_u32 v[0:1], null, s20, v13, 0
	v_mad_co_u64_u32 v[2:3], null, s14, v14, 0
	v_mul_lo_u32 v17, s15, v14
	s_wait_kmcnt 0x0
	v_cmp_gt_i32_e64 s1, s4, v13
	v_cmp_gt_i64_e64 s34, s[8:9], 0
	v_lshl_add_u32 v31, v12, 6, 0x800
	v_mad_co_u64_u32 v[6:7], null, s21, v13, v[1:2]
	v_add3_u32 v3, v3, s2, v17
	v_lshlrev_b32_e32 v7, 3, v11
	s_delay_alu instid0(VALU_DEP_2) | instskip(NEXT) | instid1(VALU_DEP_4)
	v_lshlrev_b64_e32 v[2:3], 3, v[2:3]
	v_mov_b32_e32 v1, v6
	v_lshlrev_b32_e32 v15, 3, v22
	s_delay_alu instid0(VALU_DEP_4) | instskip(NEXT) | instid1(VALU_DEP_3)
	v_lshl_or_b32 v24, v23, 8, v7
	v_lshlrev_b64_e32 v[0:1], 3, v[0:1]
	s_delay_alu instid0(VALU_DEP_3) | instskip(SKIP_2) | instid1(VALU_DEP_1)
	v_lshl_or_b32 v15, v10, 6, v15
	v_mad_co_u64_u32 v[10:11], null, s28, v18, 0
	v_add_co_u32 v26, vcc_lo, s12, v2
	v_add_co_ci_u32_e64 v27, null, s13, v3, vcc_lo
	v_add_co_u32 v28, vcc_lo, s18, v0
	s_wait_alu 0xfffd
	v_add_co_ci_u32_e64 v29, null, s19, v1, vcc_lo
	v_mad_co_u64_u32 v[1:2], null, s29, v16, v[5:6]
	v_mov_b32_e32 v2, v11
	v_add_nc_u32_e32 v8, s0, v9
	v_cmp_gt_i32_e64 s0, s4, v14
	v_lshlrev_b32_e32 v30, 3, v9
	v_add_nc_u32_e32 v25, 0x800, v15
	v_mad_co_u64_u32 v[2:3], null, s29, v18, v[2:3]
	v_dual_mov_b32 v5, v1 :: v_dual_add_nc_u32 v0, 16, v8
	v_cmp_gt_i32_e64 s2, s4, v8
	v_ashrrev_i32_e32 v9, 31, v8
	v_mov_b32_e32 v3, 0
	s_delay_alu instid0(VALU_DEP_4)
	v_lshlrev_b64_e32 v[4:5], 3, v[4:5]
	v_cmp_gt_i32_e64 s4, s4, v0
	v_mov_b32_e32 v11, v2
	v_cmp_le_i32_e32 vcc_lo, v16, v8
	v_cmp_le_i32_e64 s3, v16, v0
	v_ashrrev_i32_e32 v1, 31, v0
	s_and_b32 s14, s7, s34
	v_lshlrev_b64_e32 v[6:7], 3, v[10:11]
	s_and_b32 s12, vcc_lo, s2
	s_and_b32 s13, s3, s4
	v_cmp_le_i32_e32 vcc_lo, v18, v8
	v_cmp_le_i32_e64 s3, v18, v0
	v_lshlrev_b64_e32 v[8:9], 3, v[8:9]
	s_mov_b32 s7, 0
	s_and_b32 s15, vcc_lo, s2
	s_and_b32 s4, s3, s4
	s_branch .LBB210_6
.LBB210_5:                              ;   in Loop: Header=BB210_6 Depth=1
	s_wait_alu 0xfffe
	s_or_b32 exec_lo, exec_lo, s2
	s_add_co_i32 s6, s6, 0x10000
	s_delay_alu instid0(SALU_CYCLE_1)
	s_cmp_lt_u32 s6, s5
	s_cbranch_scc0 .LBB210_35
.LBB210_6:                              ; =>This Loop Header: Depth=1
                                        ;     Child Loop BB210_9 Depth 2
	v_mov_b32_e32 v16, 0
	v_dual_mov_b32 v12, 0 :: v_dual_mov_b32 v17, 0
	v_dual_mov_b32 v14, 0 :: v_dual_mov_b32 v13, 0
	;; [unrolled: 1-line block ×3, first 2 shown]
	v_mov_b32_e32 v11, 0
	s_wait_alu 0xfffe
	s_and_not1_b32 vcc_lo, exec_lo, s14
	s_wait_alu 0xfffe
	s_cbranch_vccnz .LBB210_15
; %bb.7:                                ;   in Loop: Header=BB210_6 Depth=1
	s_mul_u64 s[2:3], s[16:17], s[6:7]
	s_mul_u64 s[18:19], s[22:23], s[6:7]
	s_wait_alu 0xfffe
	s_lshl_b64 s[2:3], s[2:3], 3
	v_mov_b32_e32 v10, 0
	s_wait_alu 0xfffe
	v_add_co_u32 v32, vcc_lo, v26, s2
	s_wait_alu 0xfffd
	v_add_co_ci_u32_e64 v33, null, s3, v27, vcc_lo
	s_lshl_b64 s[2:3], s[18:19], 3
	v_mov_b32_e32 v14, 0
	s_wait_alu 0xfffe
	v_add_co_u32 v34, vcc_lo, v28, s2
	v_dual_mov_b32 v11, 0 :: v_dual_mov_b32 v12, 0
	v_dual_mov_b32 v15, 0 :: v_dual_mov_b32 v16, 0
	v_mov_b32_e32 v13, 0
	v_mov_b32_e32 v17, 0
	s_wait_alu 0xfffd
	v_add_co_ci_u32_e64 v35, null, s3, v29, vcc_lo
	s_mov_b64 s[2:3], 0
	s_branch .LBB210_9
.LBB210_8:                              ;   in Loop: Header=BB210_9 Depth=2
	s_wait_alu 0xfffe
	s_or_b32 exec_lo, exec_lo, s18
	s_wait_loadcnt 0x0
	ds_store_b64 v25, v[20:21]
	s_wait_dscnt 0x0
	s_barrier_signal -1
	s_barrier_wait -1
	global_inv scope:SCOPE_SE
	ds_load_b128 v[18:21], v31
	ds_load_2addr_b64 v[36:39], v30 offset1:16
	ds_load_b128 v[40:43], v31 offset:1024
	ds_load_b128 v[44:47], v31 offset:16
	ds_load_b128 v[48:51], v31 offset:1040
	s_add_nc_u64 s[2:3], s[2:3], 8
	s_wait_alu 0xfffe
	v_cmp_gt_i64_e64 s18, s[8:9], s[2:3]
	s_and_b32 vcc_lo, exec_lo, s18
	s_wait_dscnt 0x3
	v_fma_f64 v[16:17], v[36:37], v[18:19], v[16:17]
	v_fma_f64 v[14:15], v[38:39], v[18:19], v[14:15]
	s_wait_dscnt 0x2
	v_fma_f64 v[18:19], v[36:37], v[40:41], v[12:13]
	v_fma_f64 v[36:37], v[38:39], v[40:41], v[10:11]
	ds_load_2addr_b64 v[10:13], v30 offset0:32 offset1:48
	s_wait_dscnt 0x0
	v_fma_f64 v[16:17], v[10:11], v[20:21], v[16:17]
	v_fma_f64 v[14:15], v[12:13], v[20:21], v[14:15]
	v_fma_f64 v[18:19], v[10:11], v[42:43], v[18:19]
	v_fma_f64 v[20:21], v[12:13], v[42:43], v[36:37]
	ds_load_2addr_b64 v[10:13], v30 offset0:64 offset1:80
	s_wait_dscnt 0x0
	v_fma_f64 v[16:17], v[10:11], v[44:45], v[16:17]
	v_fma_f64 v[14:15], v[12:13], v[44:45], v[14:15]
	;; [unrolled: 6-line block ×3, first 2 shown]
	v_fma_f64 v[48:49], v[10:11], v[50:51], v[18:19]
	v_fma_f64 v[50:51], v[12:13], v[50:51], v[20:21]
	ds_load_b128 v[10:13], v31 offset:32
	ds_load_2addr_b64 v[14:17], v30 offset0:128 offset1:144
	ds_load_b128 v[18:21], v31 offset:1056
	ds_load_b128 v[36:39], v31 offset:48
	;; [unrolled: 1-line block ×3, first 2 shown]
	s_wait_dscnt 0x3
	v_fma_f64 v[44:45], v[14:15], v[10:11], v[44:45]
	v_fma_f64 v[10:11], v[16:17], v[10:11], v[46:47]
	s_wait_dscnt 0x2
	v_fma_f64 v[46:47], v[14:15], v[18:19], v[48:49]
	v_fma_f64 v[18:19], v[16:17], v[18:19], v[50:51]
	ds_load_2addr_b64 v[14:17], v30 offset0:160 offset1:176
	s_wait_dscnt 0x0
	v_fma_f64 v[44:45], v[14:15], v[12:13], v[44:45]
	v_fma_f64 v[48:49], v[16:17], v[12:13], v[10:11]
	;; [unrolled: 1-line block ×4, first 2 shown]
	ds_load_2addr_b64 v[10:13], v30 offset0:192 offset1:208
	ds_load_2addr_b64 v[18:21], v30 offset0:224 offset1:240
	s_wait_loadcnt_dscnt 0x0
	s_barrier_signal -1
	s_barrier_wait -1
	global_inv scope:SCOPE_SE
	v_fma_f64 v[44:45], v[10:11], v[36:37], v[44:45]
	v_fma_f64 v[36:37], v[12:13], v[36:37], v[48:49]
	;; [unrolled: 1-line block ×4, first 2 shown]
	s_delay_alu instid0(VALU_DEP_4) | instskip(NEXT) | instid1(VALU_DEP_4)
	v_fma_f64 v[16:17], v[18:19], v[38:39], v[44:45]
	v_fma_f64 v[14:15], v[20:21], v[38:39], v[36:37]
	s_delay_alu instid0(VALU_DEP_4) | instskip(NEXT) | instid1(VALU_DEP_4)
	v_fma_f64 v[12:13], v[18:19], v[42:43], v[10:11]
	v_fma_f64 v[10:11], v[20:21], v[42:43], v[40:41]
	s_wait_alu 0xfffe
	s_cbranch_vccz .LBB210_15
.LBB210_9:                              ;   Parent Loop BB210_6 Depth=1
                                        ; =>  This Inner Loop Header: Depth=2
	v_mov_b32_e32 v18, 0
	v_mov_b32_e32 v19, 0
	s_and_saveexec_b32 s18, s0
	s_cbranch_execz .LBB210_13
; %bb.10:                               ;   in Loop: Header=BB210_9 Depth=2
	v_mov_b32_e32 v18, 0
	s_wait_alu 0xfffe
	v_dual_mov_b32 v19, 0 :: v_dual_add_nc_u32 v2, s2, v23
	s_mov_b32 s19, exec_lo
	s_delay_alu instid0(VALU_DEP_1)
	v_cmpx_gt_u64_e64 s[8:9], v[2:3]
	s_cbranch_execz .LBB210_12
; %bb.11:                               ;   in Loop: Header=BB210_9 Depth=2
	v_lshlrev_b64_e32 v[18:19], 3, v[2:3]
	s_delay_alu instid0(VALU_DEP_1) | instskip(SKIP_1) | instid1(VALU_DEP_2)
	v_add_co_u32 v18, vcc_lo, v32, v18
	s_wait_alu 0xfffd
	v_add_co_ci_u32_e64 v19, null, v33, v19, vcc_lo
	global_load_b64 v[18:19], v[18:19], off
.LBB210_12:                             ;   in Loop: Header=BB210_9 Depth=2
	s_wait_alu 0xfffe
	s_or_b32 exec_lo, exec_lo, s19
.LBB210_13:                             ;   in Loop: Header=BB210_9 Depth=2
	s_wait_alu 0xfffe
	s_or_b32 exec_lo, exec_lo, s18
	v_add_nc_u32_e32 v2, s2, v22
	v_mov_b32_e32 v20, 0
	v_mov_b32_e32 v21, 0
	s_wait_loadcnt 0x0
	ds_store_b64 v24, v[18:19]
	v_cmp_gt_u64_e32 vcc_lo, s[8:9], v[2:3]
	s_and_b32 s19, vcc_lo, s1
	s_wait_alu 0xfffe
	s_and_saveexec_b32 s18, s19
	s_cbranch_execz .LBB210_8
; %bb.14:                               ;   in Loop: Header=BB210_9 Depth=2
	v_lshlrev_b64_e32 v[18:19], 3, v[2:3]
	s_delay_alu instid0(VALU_DEP_1) | instskip(SKIP_1) | instid1(VALU_DEP_2)
	v_add_co_u32 v18, vcc_lo, v34, v18
	s_wait_alu 0xfffd
	v_add_co_ci_u32_e64 v19, null, v35, v19, vcc_lo
	global_load_b64 v[20:21], v[18:19], off
	s_branch .LBB210_8
.LBB210_15:                             ;   in Loop: Header=BB210_6 Depth=1
	s_mul_u64 s[2:3], s[30:31], s[6:7]
	s_wait_alu 0xfffe
	s_lshl_b64 s[2:3], s[2:3], 3
	s_wait_alu 0xfffe
	s_add_nc_u64 s[2:3], s[26:27], s[2:3]
	s_wait_alu 0xfffe
	v_add_co_u32 v2, vcc_lo, s2, v4
	s_wait_alu 0xfffd
	v_add_co_ci_u32_e64 v18, null, s3, v5, vcc_lo
	s_and_saveexec_b32 s18, s12
	s_cbranch_execz .LBB210_19
; %bb.16:                               ;   in Loop: Header=BB210_6 Depth=1
	v_mul_f64_e32 v[16:17], s[10:11], v[16:17]
	s_and_b32 vcc_lo, exec_lo, s33
	s_wait_alu 0xfffe
	s_cbranch_vccz .LBB210_30
; %bb.17:                               ;   in Loop: Header=BB210_6 Depth=1
	v_add_co_u32 v19, vcc_lo, v2, v8
	s_wait_alu 0xfffd
	v_add_co_ci_u32_e64 v20, null, v18, v9, vcc_lo
	global_load_b64 v[32:33], v[19:20], off
	s_wait_loadcnt 0x0
	v_fma_f64 v[32:33], s[24:25], v[32:33], v[16:17]
	global_store_b64 v[19:20], v[32:33], off
	s_cbranch_execnz .LBB210_19
.LBB210_18:                             ;   in Loop: Header=BB210_6 Depth=1
	v_add_co_u32 v19, vcc_lo, v2, v8
	s_wait_alu 0xfffd
	v_add_co_ci_u32_e64 v20, null, v18, v9, vcc_lo
	global_store_b64 v[19:20], v[16:17], off
.LBB210_19:                             ;   in Loop: Header=BB210_6 Depth=1
	s_wait_alu 0xfffe
	s_or_b32 exec_lo, exec_lo, s18
	s_and_saveexec_b32 s18, s13
	s_cbranch_execz .LBB210_23
; %bb.20:                               ;   in Loop: Header=BB210_6 Depth=1
	v_mul_f64_e32 v[14:15], s[10:11], v[14:15]
	s_and_not1_b32 vcc_lo, exec_lo, s33
	s_wait_alu 0xfffe
	s_cbranch_vccnz .LBB210_31
; %bb.21:                               ;   in Loop: Header=BB210_6 Depth=1
	v_lshlrev_b64_e32 v[16:17], 3, v[0:1]
	s_delay_alu instid0(VALU_DEP_1) | instskip(SKIP_1) | instid1(VALU_DEP_2)
	v_add_co_u32 v16, vcc_lo, v2, v16
	s_wait_alu 0xfffd
	v_add_co_ci_u32_e64 v17, null, v18, v17, vcc_lo
	global_load_b64 v[19:20], v[16:17], off
	s_wait_loadcnt 0x0
	v_fma_f64 v[19:20], s[24:25], v[19:20], v[14:15]
	global_store_b64 v[16:17], v[19:20], off
	s_cbranch_execnz .LBB210_23
.LBB210_22:                             ;   in Loop: Header=BB210_6 Depth=1
	v_lshlrev_b64_e32 v[16:17], 3, v[0:1]
	s_delay_alu instid0(VALU_DEP_1) | instskip(SKIP_1) | instid1(VALU_DEP_2)
	v_add_co_u32 v16, vcc_lo, v2, v16
	s_wait_alu 0xfffd
	v_add_co_ci_u32_e64 v17, null, v18, v17, vcc_lo
	global_store_b64 v[16:17], v[14:15], off
.LBB210_23:                             ;   in Loop: Header=BB210_6 Depth=1
	s_wait_alu 0xfffe
	s_or_b32 exec_lo, exec_lo, s18
	v_add_co_u32 v2, vcc_lo, s2, v6
	s_wait_alu 0xfffd
	v_add_co_ci_u32_e64 v14, null, s3, v7, vcc_lo
	s_and_saveexec_b32 s2, s15
	s_cbranch_execz .LBB210_27
; %bb.24:                               ;   in Loop: Header=BB210_6 Depth=1
	v_mul_f64_e32 v[12:13], s[10:11], v[12:13]
	s_and_not1_b32 vcc_lo, exec_lo, s33
	s_wait_alu 0xfffe
	s_cbranch_vccnz .LBB210_32
; %bb.25:                               ;   in Loop: Header=BB210_6 Depth=1
	v_add_co_u32 v15, vcc_lo, v2, v8
	s_wait_alu 0xfffd
	v_add_co_ci_u32_e64 v16, null, v14, v9, vcc_lo
	global_load_b64 v[17:18], v[15:16], off
	s_wait_loadcnt 0x0
	v_fma_f64 v[17:18], s[24:25], v[17:18], v[12:13]
	global_store_b64 v[15:16], v[17:18], off
	s_cbranch_execnz .LBB210_27
.LBB210_26:                             ;   in Loop: Header=BB210_6 Depth=1
	v_add_co_u32 v15, vcc_lo, v2, v8
	s_wait_alu 0xfffd
	v_add_co_ci_u32_e64 v16, null, v14, v9, vcc_lo
	global_store_b64 v[15:16], v[12:13], off
.LBB210_27:                             ;   in Loop: Header=BB210_6 Depth=1
	s_wait_alu 0xfffe
	s_or_b32 exec_lo, exec_lo, s2
	s_and_saveexec_b32 s2, s4
	s_cbranch_execz .LBB210_5
; %bb.28:                               ;   in Loop: Header=BB210_6 Depth=1
	v_mul_f64_e32 v[10:11], s[10:11], v[10:11]
	v_lshlrev_b64_e32 v[12:13], 3, v[0:1]
	s_and_not1_b32 vcc_lo, exec_lo, s33
	s_wait_alu 0xfffe
	s_cbranch_vccnz .LBB210_33
; %bb.29:                               ;   in Loop: Header=BB210_6 Depth=1
	s_delay_alu instid0(VALU_DEP_1)
	v_add_co_u32 v15, vcc_lo, v2, v12
	s_wait_alu 0xfffd
	v_add_co_ci_u32_e64 v16, null, v14, v13, vcc_lo
	global_load_b64 v[17:18], v[15:16], off
	s_wait_loadcnt 0x0
	v_fma_f64 v[17:18], s[24:25], v[17:18], v[10:11]
	global_store_b64 v[15:16], v[17:18], off
	s_cbranch_execnz .LBB210_5
	s_branch .LBB210_34
.LBB210_30:                             ;   in Loop: Header=BB210_6 Depth=1
	s_branch .LBB210_18
.LBB210_31:                             ;   in Loop: Header=BB210_6 Depth=1
	s_branch .LBB210_22
.LBB210_32:                             ;   in Loop: Header=BB210_6 Depth=1
	s_branch .LBB210_26
.LBB210_33:                             ;   in Loop: Header=BB210_6 Depth=1
.LBB210_34:                             ;   in Loop: Header=BB210_6 Depth=1
	s_delay_alu instid0(VALU_DEP_1)
	v_add_co_u32 v12, vcc_lo, v2, v12
	s_wait_alu 0xfffd
	v_add_co_ci_u32_e64 v13, null, v14, v13, vcc_lo
	global_store_b64 v[12:13], v[10:11], off
	s_branch .LBB210_5
.LBB210_35:
	s_endpgm
	.section	.rodata,"a",@progbits
	.p2align	6, 0x0
	.amdhsa_kernel _ZL29rocblas_internal_gemmt_kernelIlLi16ELi32ELi8ELc84ELc78ELc76ELb0ELb0EddPKdPdEviT_T9_T10_S3_lS5_S3_lS4_T11_S3_li
		.amdhsa_group_segment_fixed_size 4096
		.amdhsa_private_segment_fixed_size 0
		.amdhsa_kernarg_size 108
		.amdhsa_user_sgpr_count 2
		.amdhsa_user_sgpr_dispatch_ptr 0
		.amdhsa_user_sgpr_queue_ptr 0
		.amdhsa_user_sgpr_kernarg_segment_ptr 1
		.amdhsa_user_sgpr_dispatch_id 0
		.amdhsa_user_sgpr_private_segment_size 0
		.amdhsa_wavefront_size32 1
		.amdhsa_uses_dynamic_stack 0
		.amdhsa_enable_private_segment 0
		.amdhsa_system_sgpr_workgroup_id_x 1
		.amdhsa_system_sgpr_workgroup_id_y 1
		.amdhsa_system_sgpr_workgroup_id_z 1
		.amdhsa_system_sgpr_workgroup_info 0
		.amdhsa_system_vgpr_workitem_id 1
		.amdhsa_next_free_vgpr 52
		.amdhsa_next_free_sgpr 35
		.amdhsa_reserve_vcc 1
		.amdhsa_float_round_mode_32 0
		.amdhsa_float_round_mode_16_64 0
		.amdhsa_float_denorm_mode_32 3
		.amdhsa_float_denorm_mode_16_64 3
		.amdhsa_fp16_overflow 0
		.amdhsa_workgroup_processor_mode 1
		.amdhsa_memory_ordered 1
		.amdhsa_forward_progress 1
		.amdhsa_inst_pref_size 16
		.amdhsa_round_robin_scheduling 0
		.amdhsa_exception_fp_ieee_invalid_op 0
		.amdhsa_exception_fp_denorm_src 0
		.amdhsa_exception_fp_ieee_div_zero 0
		.amdhsa_exception_fp_ieee_overflow 0
		.amdhsa_exception_fp_ieee_underflow 0
		.amdhsa_exception_fp_ieee_inexact 0
		.amdhsa_exception_int_div_zero 0
	.end_amdhsa_kernel
	.section	.text._ZL29rocblas_internal_gemmt_kernelIlLi16ELi32ELi8ELc84ELc78ELc76ELb0ELb0EddPKdPdEviT_T9_T10_S3_lS5_S3_lS4_T11_S3_li,"axG",@progbits,_ZL29rocblas_internal_gemmt_kernelIlLi16ELi32ELi8ELc84ELc78ELc76ELb0ELb0EddPKdPdEviT_T9_T10_S3_lS5_S3_lS4_T11_S3_li,comdat
.Lfunc_end210:
	.size	_ZL29rocblas_internal_gemmt_kernelIlLi16ELi32ELi8ELc84ELc78ELc76ELb0ELb0EddPKdPdEviT_T9_T10_S3_lS5_S3_lS4_T11_S3_li, .Lfunc_end210-_ZL29rocblas_internal_gemmt_kernelIlLi16ELi32ELi8ELc84ELc78ELc76ELb0ELb0EddPKdPdEviT_T9_T10_S3_lS5_S3_lS4_T11_S3_li
                                        ; -- End function
	.set _ZL29rocblas_internal_gemmt_kernelIlLi16ELi32ELi8ELc84ELc78ELc76ELb0ELb0EddPKdPdEviT_T9_T10_S3_lS5_S3_lS4_T11_S3_li.num_vgpr, 52
	.set _ZL29rocblas_internal_gemmt_kernelIlLi16ELi32ELi8ELc84ELc78ELc76ELb0ELb0EddPKdPdEviT_T9_T10_S3_lS5_S3_lS4_T11_S3_li.num_agpr, 0
	.set _ZL29rocblas_internal_gemmt_kernelIlLi16ELi32ELi8ELc84ELc78ELc76ELb0ELb0EddPKdPdEviT_T9_T10_S3_lS5_S3_lS4_T11_S3_li.numbered_sgpr, 35
	.set _ZL29rocblas_internal_gemmt_kernelIlLi16ELi32ELi8ELc84ELc78ELc76ELb0ELb0EddPKdPdEviT_T9_T10_S3_lS5_S3_lS4_T11_S3_li.num_named_barrier, 0
	.set _ZL29rocblas_internal_gemmt_kernelIlLi16ELi32ELi8ELc84ELc78ELc76ELb0ELb0EddPKdPdEviT_T9_T10_S3_lS5_S3_lS4_T11_S3_li.private_seg_size, 0
	.set _ZL29rocblas_internal_gemmt_kernelIlLi16ELi32ELi8ELc84ELc78ELc76ELb0ELb0EddPKdPdEviT_T9_T10_S3_lS5_S3_lS4_T11_S3_li.uses_vcc, 1
	.set _ZL29rocblas_internal_gemmt_kernelIlLi16ELi32ELi8ELc84ELc78ELc76ELb0ELb0EddPKdPdEviT_T9_T10_S3_lS5_S3_lS4_T11_S3_li.uses_flat_scratch, 0
	.set _ZL29rocblas_internal_gemmt_kernelIlLi16ELi32ELi8ELc84ELc78ELc76ELb0ELb0EddPKdPdEviT_T9_T10_S3_lS5_S3_lS4_T11_S3_li.has_dyn_sized_stack, 0
	.set _ZL29rocblas_internal_gemmt_kernelIlLi16ELi32ELi8ELc84ELc78ELc76ELb0ELb0EddPKdPdEviT_T9_T10_S3_lS5_S3_lS4_T11_S3_li.has_recursion, 0
	.set _ZL29rocblas_internal_gemmt_kernelIlLi16ELi32ELi8ELc84ELc78ELc76ELb0ELb0EddPKdPdEviT_T9_T10_S3_lS5_S3_lS4_T11_S3_li.has_indirect_call, 0
	.section	.AMDGPU.csdata,"",@progbits
; Kernel info:
; codeLenInByte = 2036
; TotalNumSgprs: 37
; NumVgprs: 52
; ScratchSize: 0
; MemoryBound: 0
; FloatMode: 240
; IeeeMode: 1
; LDSByteSize: 4096 bytes/workgroup (compile time only)
; SGPRBlocks: 0
; VGPRBlocks: 6
; NumSGPRsForWavesPerEU: 37
; NumVGPRsForWavesPerEU: 52
; Occupancy: 16
; WaveLimiterHint : 0
; COMPUTE_PGM_RSRC2:SCRATCH_EN: 0
; COMPUTE_PGM_RSRC2:USER_SGPR: 2
; COMPUTE_PGM_RSRC2:TRAP_HANDLER: 0
; COMPUTE_PGM_RSRC2:TGID_X_EN: 1
; COMPUTE_PGM_RSRC2:TGID_Y_EN: 1
; COMPUTE_PGM_RSRC2:TGID_Z_EN: 1
; COMPUTE_PGM_RSRC2:TIDIG_COMP_CNT: 1
	.section	.text._ZL29rocblas_internal_gemmt_kernelIlLi16ELi32ELi8ELc84ELc84ELc76ELb0ELb0EddPKdPdEviT_T9_T10_S3_lS5_S3_lS4_T11_S3_li,"axG",@progbits,_ZL29rocblas_internal_gemmt_kernelIlLi16ELi32ELi8ELc84ELc84ELc76ELb0ELb0EddPKdPdEviT_T9_T10_S3_lS5_S3_lS4_T11_S3_li,comdat
	.globl	_ZL29rocblas_internal_gemmt_kernelIlLi16ELi32ELi8ELc84ELc84ELc76ELb0ELb0EddPKdPdEviT_T9_T10_S3_lS5_S3_lS4_T11_S3_li ; -- Begin function _ZL29rocblas_internal_gemmt_kernelIlLi16ELi32ELi8ELc84ELc84ELc76ELb0ELb0EddPKdPdEviT_T9_T10_S3_lS5_S3_lS4_T11_S3_li
	.p2align	8
	.type	_ZL29rocblas_internal_gemmt_kernelIlLi16ELi32ELi8ELc84ELc84ELc76ELb0ELb0EddPKdPdEviT_T9_T10_S3_lS5_S3_lS4_T11_S3_li,@function
_ZL29rocblas_internal_gemmt_kernelIlLi16ELi32ELi8ELc84ELc84ELc76ELb0ELb0EddPKdPdEviT_T9_T10_S3_lS5_S3_lS4_T11_S3_li: ; @_ZL29rocblas_internal_gemmt_kernelIlLi16ELi32ELi8ELc84ELc84ELc76ELb0ELb0EddPKdPdEviT_T9_T10_S3_lS5_S3_lS4_T11_S3_li
; %bb.0:
	s_clause 0x1
	s_load_b256 s[24:31], s[0:1], 0x48
	s_load_b512 s[8:23], s[0:1], 0x8
	s_wait_kmcnt 0x0
	v_cmp_neq_f64_e64 s2, s[24:25], 1.0
	s_and_b32 vcc_lo, exec_lo, s2
	s_cbranch_vccnz .LBB211_2
; %bb.1:
	v_cmp_neq_f64_e64 s2, s[10:11], 0
	s_cmp_lg_u64 s[8:9], 0
	s_cselect_b32 s3, -1, 0
	s_delay_alu instid0(SALU_CYCLE_1)
	s_and_b32 s2, s3, s2
.LBB211_2:
	s_delay_alu instid0(SALU_CYCLE_1)
	s_and_not1_b32 vcc_lo, exec_lo, s2
	s_cbranch_vccnz .LBB211_35
; %bb.3:
	s_load_b32 s5, s[0:1], 0x68
	s_lshr_b32 s6, ttmp7, 16
	s_wait_kmcnt 0x0
	s_cmp_ge_u32 s6, s5
	s_cbranch_scc1 .LBB211_35
; %bb.4:
	v_and_b32_e32 v9, 0x3ff, v0
	v_bfe_u32 v12, v0, 10, 10
	v_dual_mov_b32 v1, 0 :: v_dual_and_b32 v22, 7, v0
	s_load_b32 s4, s[0:1], 0x0
	s_lshl_b32 s2, ttmp9, 5
	s_delay_alu instid0(VALU_DEP_2)
	v_lshl_add_u32 v4, v12, 4, v9
	s_lshl_b32 s0, ttmp7, 5
	v_lshlrev_b32_e32 v8, 3, v22
	s_and_b32 s0, s0, 0x1fffe0
	s_ashr_i32 s1, s2, 31
	v_and_b32_e32 v0, 31, v4
	v_add_nc_u32_e32 v13, s0, v12
	v_lshrrev_b32_e32 v10, 3, v4
	v_cmp_neq_f64_e64 s7, s[10:11], 0
	s_mul_i32 s1, s14, s1
	v_or_b32_e32 v6, s2, v0
	v_cmp_neq_f64_e64 s33, s[24:25], 0
	v_lshrrev_b32_e32 v23, 5, v4
	v_mad_co_u64_u32 v[4:5], null, s28, v13, 0
	s_delay_alu instid0(VALU_DEP_4)
	v_mul_lo_u32 v7, s15, v6
	v_mad_co_u64_u32 v[2:3], null, s14, v6, 0
	v_add_nc_u32_e32 v14, 16, v13
	v_lshl_or_b32 v8, v10, 6, v8
	v_lshlrev_b32_e32 v0, 3, v0
	v_cmp_gt_i64_e64 s34, s[8:9], 0
	v_lshl_add_u32 v31, v12, 6, 0x800
	s_wait_alu 0xfffe
	v_add3_u32 v3, v3, s1, v7
	v_add_nc_u32_e32 v7, s0, v10
	s_wait_kmcnt 0x0
	v_cmp_gt_i32_e64 s0, s4, v6
	v_add_nc_u32_e32 v25, 0x800, v8
	v_lshl_or_b32 v24, v23, 8, v0
	v_mov_b32_e32 v0, v5
	v_cmp_gt_i32_e64 s1, s4, v7
	v_lshlrev_b32_e32 v8, 3, v7
	v_mad_co_u64_u32 v[6:7], null, s28, v14, 0
	v_lshlrev_b32_e32 v30, 3, v9
	v_lshlrev_b64_e32 v[2:3], 3, v[2:3]
	s_delay_alu instid0(VALU_DEP_4) | instskip(SKIP_4) | instid1(VALU_DEP_4)
	v_add_co_u32 v28, s3, s18, v8
	v_add_nc_u32_e32 v8, s2, v9
	v_mad_co_u64_u32 v[9:10], null, s29, v13, v[0:1]
	v_mov_b32_e32 v0, v7
	v_add_co_u32 v26, vcc_lo, s12, v2
	v_add_nc_u32_e32 v2, 16, v8
	v_add_co_ci_u32_e64 v27, null, s13, v3, vcc_lo
	s_delay_alu instid0(VALU_DEP_4)
	v_mad_co_u64_u32 v[10:11], null, s29, v14, v[0:1]
	s_wait_alu 0xf1ff
	v_add_co_ci_u32_e64 v29, null, s19, 0, s3
	v_cmp_le_i32_e32 vcc_lo, v13, v8
	v_cmp_gt_i32_e64 s2, s4, v8
	v_cmp_le_i32_e64 s3, v13, v2
	v_cmp_gt_i32_e64 s4, s4, v2
	v_mov_b32_e32 v5, v9
	v_ashrrev_i32_e32 v9, 31, v8
	v_mov_b32_e32 v7, v10
	s_and_b32 s12, vcc_lo, s2
	s_and_b32 s13, s3, s4
	v_cmp_le_i32_e32 vcc_lo, v14, v8
	v_cmp_le_i32_e64 s3, v14, v2
	v_lshlrev_b64_e32 v[4:5], 3, v[4:5]
	v_lshlrev_b64_e32 v[6:7], 3, v[6:7]
	;; [unrolled: 1-line block ×3, first 2 shown]
	v_ashrrev_i32_e32 v3, 31, v2
	s_and_b32 s14, s7, s34
	s_and_b32 s15, vcc_lo, s2
	s_and_b32 s4, s3, s4
	s_mov_b32 s7, 0
	s_branch .LBB211_6
.LBB211_5:                              ;   in Loop: Header=BB211_6 Depth=1
	s_wait_alu 0xfffe
	s_or_b32 exec_lo, exec_lo, s2
	s_add_co_i32 s6, s6, 0x10000
	s_delay_alu instid0(SALU_CYCLE_1)
	s_cmp_lt_u32 s6, s5
	s_cbranch_scc0 .LBB211_35
.LBB211_6:                              ; =>This Loop Header: Depth=1
                                        ;     Child Loop BB211_9 Depth 2
	v_mov_b32_e32 v16, 0
	v_dual_mov_b32 v12, 0 :: v_dual_mov_b32 v17, 0
	v_dual_mov_b32 v14, 0 :: v_dual_mov_b32 v13, 0
	;; [unrolled: 1-line block ×3, first 2 shown]
	v_mov_b32_e32 v11, 0
	s_wait_alu 0xfffe
	s_and_not1_b32 vcc_lo, exec_lo, s14
	s_wait_alu 0xfffe
	s_cbranch_vccnz .LBB211_15
; %bb.7:                                ;   in Loop: Header=BB211_6 Depth=1
	s_mul_u64 s[2:3], s[16:17], s[6:7]
	s_mul_u64 s[18:19], s[22:23], s[6:7]
	s_wait_alu 0xfffe
	s_lshl_b64 s[2:3], s[2:3], 3
	v_mov_b32_e32 v10, 0
	s_wait_alu 0xfffe
	v_add_co_u32 v32, vcc_lo, v26, s2
	s_wait_alu 0xfffd
	v_add_co_ci_u32_e64 v33, null, s3, v27, vcc_lo
	s_lshl_b64 s[2:3], s[18:19], 3
	v_mov_b32_e32 v14, 0
	s_wait_alu 0xfffe
	v_add_co_u32 v34, vcc_lo, v28, s2
	v_dual_mov_b32 v11, 0 :: v_dual_mov_b32 v12, 0
	v_dual_mov_b32 v15, 0 :: v_dual_mov_b32 v16, 0
	v_mov_b32_e32 v13, 0
	v_mov_b32_e32 v17, 0
	s_wait_alu 0xfffd
	v_add_co_ci_u32_e64 v35, null, s3, v29, vcc_lo
	s_mov_b64 s[2:3], 0
	s_branch .LBB211_9
.LBB211_8:                              ;   in Loop: Header=BB211_9 Depth=2
	s_wait_alu 0xfffe
	s_or_b32 exec_lo, exec_lo, s18
	s_wait_loadcnt 0x0
	ds_store_b64 v25, v[20:21]
	s_wait_dscnt 0x0
	s_barrier_signal -1
	s_barrier_wait -1
	global_inv scope:SCOPE_SE
	ds_load_b128 v[18:21], v31
	ds_load_2addr_b64 v[36:39], v30 offset1:16
	ds_load_b128 v[40:43], v31 offset:1024
	ds_load_b128 v[44:47], v31 offset:16
	;; [unrolled: 1-line block ×3, first 2 shown]
	s_add_nc_u64 s[2:3], s[2:3], 8
	s_wait_alu 0xfffe
	v_cmp_gt_i64_e64 s18, s[8:9], s[2:3]
	s_and_b32 vcc_lo, exec_lo, s18
	s_wait_dscnt 0x3
	v_fma_f64 v[16:17], v[36:37], v[18:19], v[16:17]
	v_fma_f64 v[14:15], v[38:39], v[18:19], v[14:15]
	s_wait_dscnt 0x2
	v_fma_f64 v[18:19], v[36:37], v[40:41], v[12:13]
	v_fma_f64 v[36:37], v[38:39], v[40:41], v[10:11]
	ds_load_2addr_b64 v[10:13], v30 offset0:32 offset1:48
	s_wait_dscnt 0x0
	v_fma_f64 v[16:17], v[10:11], v[20:21], v[16:17]
	v_fma_f64 v[14:15], v[12:13], v[20:21], v[14:15]
	v_fma_f64 v[18:19], v[10:11], v[42:43], v[18:19]
	v_fma_f64 v[20:21], v[12:13], v[42:43], v[36:37]
	ds_load_2addr_b64 v[10:13], v30 offset0:64 offset1:80
	s_wait_dscnt 0x0
	v_fma_f64 v[16:17], v[10:11], v[44:45], v[16:17]
	v_fma_f64 v[14:15], v[12:13], v[44:45], v[14:15]
	;; [unrolled: 6-line block ×3, first 2 shown]
	v_fma_f64 v[48:49], v[10:11], v[50:51], v[18:19]
	v_fma_f64 v[50:51], v[12:13], v[50:51], v[20:21]
	ds_load_b128 v[10:13], v31 offset:32
	ds_load_2addr_b64 v[14:17], v30 offset0:128 offset1:144
	ds_load_b128 v[18:21], v31 offset:1056
	ds_load_b128 v[36:39], v31 offset:48
	;; [unrolled: 1-line block ×3, first 2 shown]
	s_wait_dscnt 0x3
	v_fma_f64 v[44:45], v[14:15], v[10:11], v[44:45]
	v_fma_f64 v[10:11], v[16:17], v[10:11], v[46:47]
	s_wait_dscnt 0x2
	v_fma_f64 v[46:47], v[14:15], v[18:19], v[48:49]
	v_fma_f64 v[18:19], v[16:17], v[18:19], v[50:51]
	ds_load_2addr_b64 v[14:17], v30 offset0:160 offset1:176
	s_wait_dscnt 0x0
	v_fma_f64 v[44:45], v[14:15], v[12:13], v[44:45]
	v_fma_f64 v[48:49], v[16:17], v[12:13], v[10:11]
	;; [unrolled: 1-line block ×4, first 2 shown]
	ds_load_2addr_b64 v[10:13], v30 offset0:192 offset1:208
	ds_load_2addr_b64 v[18:21], v30 offset0:224 offset1:240
	s_wait_loadcnt_dscnt 0x0
	s_barrier_signal -1
	s_barrier_wait -1
	global_inv scope:SCOPE_SE
	v_fma_f64 v[44:45], v[10:11], v[36:37], v[44:45]
	v_fma_f64 v[36:37], v[12:13], v[36:37], v[48:49]
	v_fma_f64 v[10:11], v[10:11], v[40:41], v[14:15]
	v_fma_f64 v[40:41], v[12:13], v[40:41], v[16:17]
	s_delay_alu instid0(VALU_DEP_4) | instskip(NEXT) | instid1(VALU_DEP_4)
	v_fma_f64 v[16:17], v[18:19], v[38:39], v[44:45]
	v_fma_f64 v[14:15], v[20:21], v[38:39], v[36:37]
	s_delay_alu instid0(VALU_DEP_4) | instskip(NEXT) | instid1(VALU_DEP_4)
	v_fma_f64 v[12:13], v[18:19], v[42:43], v[10:11]
	v_fma_f64 v[10:11], v[20:21], v[42:43], v[40:41]
	s_wait_alu 0xfffe
	s_cbranch_vccz .LBB211_15
.LBB211_9:                              ;   Parent Loop BB211_6 Depth=1
                                        ; =>  This Inner Loop Header: Depth=2
	v_mov_b32_e32 v18, 0
	v_mov_b32_e32 v19, 0
	s_and_saveexec_b32 s18, s0
	s_cbranch_execz .LBB211_13
; %bb.10:                               ;   in Loop: Header=BB211_9 Depth=2
	v_mov_b32_e32 v18, 0
	s_wait_alu 0xfffe
	v_dual_mov_b32 v19, 0 :: v_dual_add_nc_u32 v0, s2, v23
	s_mov_b32 s19, exec_lo
	s_delay_alu instid0(VALU_DEP_1)
	v_cmpx_gt_u64_e64 s[8:9], v[0:1]
	s_cbranch_execz .LBB211_12
; %bb.11:                               ;   in Loop: Header=BB211_9 Depth=2
	v_lshlrev_b64_e32 v[18:19], 3, v[0:1]
	s_delay_alu instid0(VALU_DEP_1) | instskip(SKIP_1) | instid1(VALU_DEP_2)
	v_add_co_u32 v18, vcc_lo, v32, v18
	s_wait_alu 0xfffd
	v_add_co_ci_u32_e64 v19, null, v33, v19, vcc_lo
	global_load_b64 v[18:19], v[18:19], off
.LBB211_12:                             ;   in Loop: Header=BB211_9 Depth=2
	s_wait_alu 0xfffe
	s_or_b32 exec_lo, exec_lo, s19
.LBB211_13:                             ;   in Loop: Header=BB211_9 Depth=2
	s_wait_alu 0xfffe
	s_or_b32 exec_lo, exec_lo, s18
	v_add_nc_u32_e32 v0, s2, v22
	v_mov_b32_e32 v20, 0
	v_mov_b32_e32 v21, 0
	s_wait_loadcnt 0x0
	ds_store_b64 v24, v[18:19]
	v_cmp_gt_u64_e32 vcc_lo, s[8:9], v[0:1]
	s_and_b32 s19, vcc_lo, s1
	s_wait_alu 0xfffe
	s_and_saveexec_b32 s18, s19
	s_cbranch_execz .LBB211_8
; %bb.14:                               ;   in Loop: Header=BB211_9 Depth=2
	v_mad_co_u64_u32 v[18:19], null, s20, v0, 0
	s_delay_alu instid0(VALU_DEP_1) | instskip(NEXT) | instid1(VALU_DEP_1)
	v_mad_co_u64_u32 v[19:20], null, s21, v0, v[19:20]
	v_lshlrev_b64_e32 v[18:19], 3, v[18:19]
	s_delay_alu instid0(VALU_DEP_1) | instskip(SKIP_1) | instid1(VALU_DEP_2)
	v_add_co_u32 v18, vcc_lo, v34, v18
	s_wait_alu 0xfffd
	v_add_co_ci_u32_e64 v19, null, v35, v19, vcc_lo
	global_load_b64 v[20:21], v[18:19], off
	s_branch .LBB211_8
.LBB211_15:                             ;   in Loop: Header=BB211_6 Depth=1
	s_mul_u64 s[2:3], s[30:31], s[6:7]
	s_wait_alu 0xfffe
	s_lshl_b64 s[2:3], s[2:3], 3
	s_wait_alu 0xfffe
	s_add_nc_u64 s[2:3], s[26:27], s[2:3]
	s_wait_alu 0xfffe
	v_add_co_u32 v0, vcc_lo, s2, v4
	s_wait_alu 0xfffd
	v_add_co_ci_u32_e64 v18, null, s3, v5, vcc_lo
	s_and_saveexec_b32 s18, s12
	s_cbranch_execz .LBB211_19
; %bb.16:                               ;   in Loop: Header=BB211_6 Depth=1
	v_mul_f64_e32 v[16:17], s[10:11], v[16:17]
	s_and_b32 vcc_lo, exec_lo, s33
	s_wait_alu 0xfffe
	s_cbranch_vccz .LBB211_30
; %bb.17:                               ;   in Loop: Header=BB211_6 Depth=1
	v_add_co_u32 v19, vcc_lo, v0, v8
	s_wait_alu 0xfffd
	v_add_co_ci_u32_e64 v20, null, v18, v9, vcc_lo
	global_load_b64 v[32:33], v[19:20], off
	s_wait_loadcnt 0x0
	v_fma_f64 v[32:33], s[24:25], v[32:33], v[16:17]
	global_store_b64 v[19:20], v[32:33], off
	s_cbranch_execnz .LBB211_19
.LBB211_18:                             ;   in Loop: Header=BB211_6 Depth=1
	v_add_co_u32 v19, vcc_lo, v0, v8
	s_wait_alu 0xfffd
	v_add_co_ci_u32_e64 v20, null, v18, v9, vcc_lo
	global_store_b64 v[19:20], v[16:17], off
.LBB211_19:                             ;   in Loop: Header=BB211_6 Depth=1
	s_wait_alu 0xfffe
	s_or_b32 exec_lo, exec_lo, s18
	s_and_saveexec_b32 s18, s13
	s_cbranch_execz .LBB211_23
; %bb.20:                               ;   in Loop: Header=BB211_6 Depth=1
	v_mul_f64_e32 v[14:15], s[10:11], v[14:15]
	s_and_not1_b32 vcc_lo, exec_lo, s33
	s_wait_alu 0xfffe
	s_cbranch_vccnz .LBB211_31
; %bb.21:                               ;   in Loop: Header=BB211_6 Depth=1
	v_lshlrev_b64_e32 v[16:17], 3, v[2:3]
	s_delay_alu instid0(VALU_DEP_1) | instskip(SKIP_1) | instid1(VALU_DEP_2)
	v_add_co_u32 v16, vcc_lo, v0, v16
	s_wait_alu 0xfffd
	v_add_co_ci_u32_e64 v17, null, v18, v17, vcc_lo
	global_load_b64 v[19:20], v[16:17], off
	s_wait_loadcnt 0x0
	v_fma_f64 v[19:20], s[24:25], v[19:20], v[14:15]
	global_store_b64 v[16:17], v[19:20], off
	s_cbranch_execnz .LBB211_23
.LBB211_22:                             ;   in Loop: Header=BB211_6 Depth=1
	v_lshlrev_b64_e32 v[16:17], 3, v[2:3]
	s_delay_alu instid0(VALU_DEP_1) | instskip(SKIP_1) | instid1(VALU_DEP_2)
	v_add_co_u32 v16, vcc_lo, v0, v16
	s_wait_alu 0xfffd
	v_add_co_ci_u32_e64 v17, null, v18, v17, vcc_lo
	global_store_b64 v[16:17], v[14:15], off
.LBB211_23:                             ;   in Loop: Header=BB211_6 Depth=1
	s_wait_alu 0xfffe
	s_or_b32 exec_lo, exec_lo, s18
	v_add_co_u32 v0, vcc_lo, s2, v6
	s_wait_alu 0xfffd
	v_add_co_ci_u32_e64 v14, null, s3, v7, vcc_lo
	s_and_saveexec_b32 s2, s15
	s_cbranch_execz .LBB211_27
; %bb.24:                               ;   in Loop: Header=BB211_6 Depth=1
	v_mul_f64_e32 v[12:13], s[10:11], v[12:13]
	s_and_not1_b32 vcc_lo, exec_lo, s33
	s_wait_alu 0xfffe
	s_cbranch_vccnz .LBB211_32
; %bb.25:                               ;   in Loop: Header=BB211_6 Depth=1
	v_add_co_u32 v15, vcc_lo, v0, v8
	s_wait_alu 0xfffd
	v_add_co_ci_u32_e64 v16, null, v14, v9, vcc_lo
	global_load_b64 v[17:18], v[15:16], off
	s_wait_loadcnt 0x0
	v_fma_f64 v[17:18], s[24:25], v[17:18], v[12:13]
	global_store_b64 v[15:16], v[17:18], off
	s_cbranch_execnz .LBB211_27
.LBB211_26:                             ;   in Loop: Header=BB211_6 Depth=1
	v_add_co_u32 v15, vcc_lo, v0, v8
	s_wait_alu 0xfffd
	v_add_co_ci_u32_e64 v16, null, v14, v9, vcc_lo
	global_store_b64 v[15:16], v[12:13], off
.LBB211_27:                             ;   in Loop: Header=BB211_6 Depth=1
	s_wait_alu 0xfffe
	s_or_b32 exec_lo, exec_lo, s2
	s_and_saveexec_b32 s2, s4
	s_cbranch_execz .LBB211_5
; %bb.28:                               ;   in Loop: Header=BB211_6 Depth=1
	v_mul_f64_e32 v[10:11], s[10:11], v[10:11]
	v_lshlrev_b64_e32 v[12:13], 3, v[2:3]
	s_and_not1_b32 vcc_lo, exec_lo, s33
	s_wait_alu 0xfffe
	s_cbranch_vccnz .LBB211_33
; %bb.29:                               ;   in Loop: Header=BB211_6 Depth=1
	s_delay_alu instid0(VALU_DEP_1)
	v_add_co_u32 v15, vcc_lo, v0, v12
	s_wait_alu 0xfffd
	v_add_co_ci_u32_e64 v16, null, v14, v13, vcc_lo
	global_load_b64 v[17:18], v[15:16], off
	s_wait_loadcnt 0x0
	v_fma_f64 v[17:18], s[24:25], v[17:18], v[10:11]
	global_store_b64 v[15:16], v[17:18], off
	s_cbranch_execnz .LBB211_5
	s_branch .LBB211_34
.LBB211_30:                             ;   in Loop: Header=BB211_6 Depth=1
	s_branch .LBB211_18
.LBB211_31:                             ;   in Loop: Header=BB211_6 Depth=1
	s_branch .LBB211_22
.LBB211_32:                             ;   in Loop: Header=BB211_6 Depth=1
	s_branch .LBB211_26
.LBB211_33:                             ;   in Loop: Header=BB211_6 Depth=1
.LBB211_34:                             ;   in Loop: Header=BB211_6 Depth=1
	s_delay_alu instid0(VALU_DEP_1)
	v_add_co_u32 v12, vcc_lo, v0, v12
	s_wait_alu 0xfffd
	v_add_co_ci_u32_e64 v13, null, v14, v13, vcc_lo
	global_store_b64 v[12:13], v[10:11], off
	s_branch .LBB211_5
.LBB211_35:
	s_endpgm
	.section	.rodata,"a",@progbits
	.p2align	6, 0x0
	.amdhsa_kernel _ZL29rocblas_internal_gemmt_kernelIlLi16ELi32ELi8ELc84ELc84ELc76ELb0ELb0EddPKdPdEviT_T9_T10_S3_lS5_S3_lS4_T11_S3_li
		.amdhsa_group_segment_fixed_size 4096
		.amdhsa_private_segment_fixed_size 0
		.amdhsa_kernarg_size 108
		.amdhsa_user_sgpr_count 2
		.amdhsa_user_sgpr_dispatch_ptr 0
		.amdhsa_user_sgpr_queue_ptr 0
		.amdhsa_user_sgpr_kernarg_segment_ptr 1
		.amdhsa_user_sgpr_dispatch_id 0
		.amdhsa_user_sgpr_private_segment_size 0
		.amdhsa_wavefront_size32 1
		.amdhsa_uses_dynamic_stack 0
		.amdhsa_enable_private_segment 0
		.amdhsa_system_sgpr_workgroup_id_x 1
		.amdhsa_system_sgpr_workgroup_id_y 1
		.amdhsa_system_sgpr_workgroup_id_z 1
		.amdhsa_system_sgpr_workgroup_info 0
		.amdhsa_system_vgpr_workitem_id 1
		.amdhsa_next_free_vgpr 52
		.amdhsa_next_free_sgpr 35
		.amdhsa_reserve_vcc 1
		.amdhsa_float_round_mode_32 0
		.amdhsa_float_round_mode_16_64 0
		.amdhsa_float_denorm_mode_32 3
		.amdhsa_float_denorm_mode_16_64 3
		.amdhsa_fp16_overflow 0
		.amdhsa_workgroup_processor_mode 1
		.amdhsa_memory_ordered 1
		.amdhsa_forward_progress 1
		.amdhsa_inst_pref_size 16
		.amdhsa_round_robin_scheduling 0
		.amdhsa_exception_fp_ieee_invalid_op 0
		.amdhsa_exception_fp_denorm_src 0
		.amdhsa_exception_fp_ieee_div_zero 0
		.amdhsa_exception_fp_ieee_overflow 0
		.amdhsa_exception_fp_ieee_underflow 0
		.amdhsa_exception_fp_ieee_inexact 0
		.amdhsa_exception_int_div_zero 0
	.end_amdhsa_kernel
	.section	.text._ZL29rocblas_internal_gemmt_kernelIlLi16ELi32ELi8ELc84ELc84ELc76ELb0ELb0EddPKdPdEviT_T9_T10_S3_lS5_S3_lS4_T11_S3_li,"axG",@progbits,_ZL29rocblas_internal_gemmt_kernelIlLi16ELi32ELi8ELc84ELc84ELc76ELb0ELb0EddPKdPdEviT_T9_T10_S3_lS5_S3_lS4_T11_S3_li,comdat
.Lfunc_end211:
	.size	_ZL29rocblas_internal_gemmt_kernelIlLi16ELi32ELi8ELc84ELc84ELc76ELb0ELb0EddPKdPdEviT_T9_T10_S3_lS5_S3_lS4_T11_S3_li, .Lfunc_end211-_ZL29rocblas_internal_gemmt_kernelIlLi16ELi32ELi8ELc84ELc84ELc76ELb0ELb0EddPKdPdEviT_T9_T10_S3_lS5_S3_lS4_T11_S3_li
                                        ; -- End function
	.set _ZL29rocblas_internal_gemmt_kernelIlLi16ELi32ELi8ELc84ELc84ELc76ELb0ELb0EddPKdPdEviT_T9_T10_S3_lS5_S3_lS4_T11_S3_li.num_vgpr, 52
	.set _ZL29rocblas_internal_gemmt_kernelIlLi16ELi32ELi8ELc84ELc84ELc76ELb0ELb0EddPKdPdEviT_T9_T10_S3_lS5_S3_lS4_T11_S3_li.num_agpr, 0
	.set _ZL29rocblas_internal_gemmt_kernelIlLi16ELi32ELi8ELc84ELc84ELc76ELb0ELb0EddPKdPdEviT_T9_T10_S3_lS5_S3_lS4_T11_S3_li.numbered_sgpr, 35
	.set _ZL29rocblas_internal_gemmt_kernelIlLi16ELi32ELi8ELc84ELc84ELc76ELb0ELb0EddPKdPdEviT_T9_T10_S3_lS5_S3_lS4_T11_S3_li.num_named_barrier, 0
	.set _ZL29rocblas_internal_gemmt_kernelIlLi16ELi32ELi8ELc84ELc84ELc76ELb0ELb0EddPKdPdEviT_T9_T10_S3_lS5_S3_lS4_T11_S3_li.private_seg_size, 0
	.set _ZL29rocblas_internal_gemmt_kernelIlLi16ELi32ELi8ELc84ELc84ELc76ELb0ELb0EddPKdPdEviT_T9_T10_S3_lS5_S3_lS4_T11_S3_li.uses_vcc, 1
	.set _ZL29rocblas_internal_gemmt_kernelIlLi16ELi32ELi8ELc84ELc84ELc76ELb0ELb0EddPKdPdEviT_T9_T10_S3_lS5_S3_lS4_T11_S3_li.uses_flat_scratch, 0
	.set _ZL29rocblas_internal_gemmt_kernelIlLi16ELi32ELi8ELc84ELc84ELc76ELb0ELb0EddPKdPdEviT_T9_T10_S3_lS5_S3_lS4_T11_S3_li.has_dyn_sized_stack, 0
	.set _ZL29rocblas_internal_gemmt_kernelIlLi16ELi32ELi8ELc84ELc84ELc76ELb0ELb0EddPKdPdEviT_T9_T10_S3_lS5_S3_lS4_T11_S3_li.has_recursion, 0
	.set _ZL29rocblas_internal_gemmt_kernelIlLi16ELi32ELi8ELc84ELc84ELc76ELb0ELb0EddPKdPdEviT_T9_T10_S3_lS5_S3_lS4_T11_S3_li.has_indirect_call, 0
	.section	.AMDGPU.csdata,"",@progbits
; Kernel info:
; codeLenInByte = 2040
; TotalNumSgprs: 37
; NumVgprs: 52
; ScratchSize: 0
; MemoryBound: 0
; FloatMode: 240
; IeeeMode: 1
; LDSByteSize: 4096 bytes/workgroup (compile time only)
; SGPRBlocks: 0
; VGPRBlocks: 6
; NumSGPRsForWavesPerEU: 37
; NumVGPRsForWavesPerEU: 52
; Occupancy: 16
; WaveLimiterHint : 0
; COMPUTE_PGM_RSRC2:SCRATCH_EN: 0
; COMPUTE_PGM_RSRC2:USER_SGPR: 2
; COMPUTE_PGM_RSRC2:TRAP_HANDLER: 0
; COMPUTE_PGM_RSRC2:TGID_X_EN: 1
; COMPUTE_PGM_RSRC2:TGID_Y_EN: 1
; COMPUTE_PGM_RSRC2:TGID_Z_EN: 1
; COMPUTE_PGM_RSRC2:TIDIG_COMP_CNT: 1
	.section	.text._ZL29rocblas_internal_gemmt_kernelIlLi16ELi32ELi8ELc84ELc67ELc76ELb0ELb0EddPKdPdEviT_T9_T10_S3_lS5_S3_lS4_T11_S3_li,"axG",@progbits,_ZL29rocblas_internal_gemmt_kernelIlLi16ELi32ELi8ELc84ELc67ELc76ELb0ELb0EddPKdPdEviT_T9_T10_S3_lS5_S3_lS4_T11_S3_li,comdat
	.globl	_ZL29rocblas_internal_gemmt_kernelIlLi16ELi32ELi8ELc84ELc67ELc76ELb0ELb0EddPKdPdEviT_T9_T10_S3_lS5_S3_lS4_T11_S3_li ; -- Begin function _ZL29rocblas_internal_gemmt_kernelIlLi16ELi32ELi8ELc84ELc67ELc76ELb0ELb0EddPKdPdEviT_T9_T10_S3_lS5_S3_lS4_T11_S3_li
	.p2align	8
	.type	_ZL29rocblas_internal_gemmt_kernelIlLi16ELi32ELi8ELc84ELc67ELc76ELb0ELb0EddPKdPdEviT_T9_T10_S3_lS5_S3_lS4_T11_S3_li,@function
_ZL29rocblas_internal_gemmt_kernelIlLi16ELi32ELi8ELc84ELc67ELc76ELb0ELb0EddPKdPdEviT_T9_T10_S3_lS5_S3_lS4_T11_S3_li: ; @_ZL29rocblas_internal_gemmt_kernelIlLi16ELi32ELi8ELc84ELc67ELc76ELb0ELb0EddPKdPdEviT_T9_T10_S3_lS5_S3_lS4_T11_S3_li
; %bb.0:
	s_clause 0x1
	s_load_b256 s[24:31], s[0:1], 0x48
	s_load_b512 s[8:23], s[0:1], 0x8
	s_wait_kmcnt 0x0
	v_cmp_neq_f64_e64 s2, s[24:25], 1.0
	s_and_b32 vcc_lo, exec_lo, s2
	s_cbranch_vccnz .LBB212_2
; %bb.1:
	v_cmp_neq_f64_e64 s2, s[10:11], 0
	s_cmp_lg_u64 s[8:9], 0
	s_cselect_b32 s3, -1, 0
	s_delay_alu instid0(SALU_CYCLE_1)
	s_and_b32 s2, s3, s2
.LBB212_2:
	s_delay_alu instid0(SALU_CYCLE_1)
	s_and_not1_b32 vcc_lo, exec_lo, s2
	s_cbranch_vccnz .LBB212_35
; %bb.3:
	s_load_b32 s5, s[0:1], 0x68
	s_lshr_b32 s6, ttmp7, 16
	s_wait_kmcnt 0x0
	s_cmp_ge_u32 s6, s5
	s_cbranch_scc1 .LBB212_35
; %bb.4:
	v_and_b32_e32 v9, 0x3ff, v0
	v_bfe_u32 v12, v0, 10, 10
	v_dual_mov_b32 v1, 0 :: v_dual_and_b32 v22, 7, v0
	s_load_b32 s4, s[0:1], 0x0
	s_lshl_b32 s2, ttmp9, 5
	s_delay_alu instid0(VALU_DEP_2)
	v_lshl_add_u32 v4, v12, 4, v9
	s_lshl_b32 s0, ttmp7, 5
	v_lshlrev_b32_e32 v8, 3, v22
	s_and_b32 s0, s0, 0x1fffe0
	s_ashr_i32 s1, s2, 31
	v_and_b32_e32 v0, 31, v4
	v_add_nc_u32_e32 v13, s0, v12
	v_lshrrev_b32_e32 v10, 3, v4
	v_cmp_neq_f64_e64 s7, s[10:11], 0
	s_mul_i32 s1, s14, s1
	v_or_b32_e32 v6, s2, v0
	v_cmp_neq_f64_e64 s33, s[24:25], 0
	v_lshrrev_b32_e32 v23, 5, v4
	v_mad_co_u64_u32 v[4:5], null, s28, v13, 0
	s_delay_alu instid0(VALU_DEP_4)
	v_mul_lo_u32 v7, s15, v6
	v_mad_co_u64_u32 v[2:3], null, s14, v6, 0
	v_add_nc_u32_e32 v14, 16, v13
	v_lshl_or_b32 v8, v10, 6, v8
	v_lshlrev_b32_e32 v0, 3, v0
	v_cmp_gt_i64_e64 s34, s[8:9], 0
	v_lshl_add_u32 v31, v12, 6, 0x800
	s_wait_alu 0xfffe
	v_add3_u32 v3, v3, s1, v7
	v_add_nc_u32_e32 v7, s0, v10
	s_wait_kmcnt 0x0
	v_cmp_gt_i32_e64 s0, s4, v6
	v_add_nc_u32_e32 v25, 0x800, v8
	v_lshl_or_b32 v24, v23, 8, v0
	v_mov_b32_e32 v0, v5
	v_cmp_gt_i32_e64 s1, s4, v7
	v_lshlrev_b32_e32 v8, 3, v7
	v_mad_co_u64_u32 v[6:7], null, s28, v14, 0
	v_lshlrev_b32_e32 v30, 3, v9
	v_lshlrev_b64_e32 v[2:3], 3, v[2:3]
	s_delay_alu instid0(VALU_DEP_4) | instskip(SKIP_4) | instid1(VALU_DEP_4)
	v_add_co_u32 v28, s3, s18, v8
	v_add_nc_u32_e32 v8, s2, v9
	v_mad_co_u64_u32 v[9:10], null, s29, v13, v[0:1]
	v_mov_b32_e32 v0, v7
	v_add_co_u32 v26, vcc_lo, s12, v2
	v_add_nc_u32_e32 v2, 16, v8
	v_add_co_ci_u32_e64 v27, null, s13, v3, vcc_lo
	s_delay_alu instid0(VALU_DEP_4)
	v_mad_co_u64_u32 v[10:11], null, s29, v14, v[0:1]
	s_wait_alu 0xf1ff
	v_add_co_ci_u32_e64 v29, null, s19, 0, s3
	v_cmp_le_i32_e32 vcc_lo, v13, v8
	v_cmp_gt_i32_e64 s2, s4, v8
	v_cmp_le_i32_e64 s3, v13, v2
	v_cmp_gt_i32_e64 s4, s4, v2
	v_mov_b32_e32 v5, v9
	v_ashrrev_i32_e32 v9, 31, v8
	v_mov_b32_e32 v7, v10
	s_and_b32 s12, vcc_lo, s2
	s_and_b32 s13, s3, s4
	v_cmp_le_i32_e32 vcc_lo, v14, v8
	v_cmp_le_i32_e64 s3, v14, v2
	v_lshlrev_b64_e32 v[4:5], 3, v[4:5]
	v_lshlrev_b64_e32 v[6:7], 3, v[6:7]
	;; [unrolled: 1-line block ×3, first 2 shown]
	v_ashrrev_i32_e32 v3, 31, v2
	s_and_b32 s14, s7, s34
	s_and_b32 s15, vcc_lo, s2
	s_and_b32 s4, s3, s4
	s_mov_b32 s7, 0
	s_branch .LBB212_6
.LBB212_5:                              ;   in Loop: Header=BB212_6 Depth=1
	s_wait_alu 0xfffe
	s_or_b32 exec_lo, exec_lo, s2
	s_add_co_i32 s6, s6, 0x10000
	s_delay_alu instid0(SALU_CYCLE_1)
	s_cmp_lt_u32 s6, s5
	s_cbranch_scc0 .LBB212_35
.LBB212_6:                              ; =>This Loop Header: Depth=1
                                        ;     Child Loop BB212_9 Depth 2
	v_mov_b32_e32 v16, 0
	v_dual_mov_b32 v12, 0 :: v_dual_mov_b32 v17, 0
	v_dual_mov_b32 v14, 0 :: v_dual_mov_b32 v13, 0
	v_dual_mov_b32 v10, 0 :: v_dual_mov_b32 v15, 0
	v_mov_b32_e32 v11, 0
	s_wait_alu 0xfffe
	s_and_not1_b32 vcc_lo, exec_lo, s14
	s_wait_alu 0xfffe
	s_cbranch_vccnz .LBB212_15
; %bb.7:                                ;   in Loop: Header=BB212_6 Depth=1
	s_mul_u64 s[2:3], s[16:17], s[6:7]
	s_mul_u64 s[18:19], s[22:23], s[6:7]
	s_wait_alu 0xfffe
	s_lshl_b64 s[2:3], s[2:3], 3
	v_mov_b32_e32 v10, 0
	s_wait_alu 0xfffe
	v_add_co_u32 v32, vcc_lo, v26, s2
	s_wait_alu 0xfffd
	v_add_co_ci_u32_e64 v33, null, s3, v27, vcc_lo
	s_lshl_b64 s[2:3], s[18:19], 3
	v_mov_b32_e32 v14, 0
	s_wait_alu 0xfffe
	v_add_co_u32 v34, vcc_lo, v28, s2
	v_dual_mov_b32 v11, 0 :: v_dual_mov_b32 v12, 0
	v_dual_mov_b32 v15, 0 :: v_dual_mov_b32 v16, 0
	v_mov_b32_e32 v13, 0
	v_mov_b32_e32 v17, 0
	s_wait_alu 0xfffd
	v_add_co_ci_u32_e64 v35, null, s3, v29, vcc_lo
	s_mov_b64 s[2:3], 0
	s_branch .LBB212_9
.LBB212_8:                              ;   in Loop: Header=BB212_9 Depth=2
	s_wait_alu 0xfffe
	s_or_b32 exec_lo, exec_lo, s18
	s_wait_loadcnt 0x0
	ds_store_b64 v25, v[20:21]
	s_wait_dscnt 0x0
	s_barrier_signal -1
	s_barrier_wait -1
	global_inv scope:SCOPE_SE
	ds_load_b128 v[18:21], v31
	ds_load_2addr_b64 v[36:39], v30 offset1:16
	ds_load_b128 v[40:43], v31 offset:1024
	ds_load_b128 v[44:47], v31 offset:16
	;; [unrolled: 1-line block ×3, first 2 shown]
	s_add_nc_u64 s[2:3], s[2:3], 8
	s_wait_alu 0xfffe
	v_cmp_gt_i64_e64 s18, s[8:9], s[2:3]
	s_and_b32 vcc_lo, exec_lo, s18
	s_wait_dscnt 0x3
	v_fma_f64 v[16:17], v[36:37], v[18:19], v[16:17]
	v_fma_f64 v[14:15], v[38:39], v[18:19], v[14:15]
	s_wait_dscnt 0x2
	v_fma_f64 v[18:19], v[36:37], v[40:41], v[12:13]
	v_fma_f64 v[36:37], v[38:39], v[40:41], v[10:11]
	ds_load_2addr_b64 v[10:13], v30 offset0:32 offset1:48
	s_wait_dscnt 0x0
	v_fma_f64 v[16:17], v[10:11], v[20:21], v[16:17]
	v_fma_f64 v[14:15], v[12:13], v[20:21], v[14:15]
	v_fma_f64 v[18:19], v[10:11], v[42:43], v[18:19]
	v_fma_f64 v[20:21], v[12:13], v[42:43], v[36:37]
	ds_load_2addr_b64 v[10:13], v30 offset0:64 offset1:80
	s_wait_dscnt 0x0
	v_fma_f64 v[16:17], v[10:11], v[44:45], v[16:17]
	v_fma_f64 v[14:15], v[12:13], v[44:45], v[14:15]
	;; [unrolled: 6-line block ×3, first 2 shown]
	v_fma_f64 v[48:49], v[10:11], v[50:51], v[18:19]
	v_fma_f64 v[50:51], v[12:13], v[50:51], v[20:21]
	ds_load_b128 v[10:13], v31 offset:32
	ds_load_2addr_b64 v[14:17], v30 offset0:128 offset1:144
	ds_load_b128 v[18:21], v31 offset:1056
	ds_load_b128 v[36:39], v31 offset:48
	;; [unrolled: 1-line block ×3, first 2 shown]
	s_wait_dscnt 0x3
	v_fma_f64 v[44:45], v[14:15], v[10:11], v[44:45]
	v_fma_f64 v[10:11], v[16:17], v[10:11], v[46:47]
	s_wait_dscnt 0x2
	v_fma_f64 v[46:47], v[14:15], v[18:19], v[48:49]
	v_fma_f64 v[18:19], v[16:17], v[18:19], v[50:51]
	ds_load_2addr_b64 v[14:17], v30 offset0:160 offset1:176
	s_wait_dscnt 0x0
	v_fma_f64 v[44:45], v[14:15], v[12:13], v[44:45]
	v_fma_f64 v[48:49], v[16:17], v[12:13], v[10:11]
	;; [unrolled: 1-line block ×4, first 2 shown]
	ds_load_2addr_b64 v[10:13], v30 offset0:192 offset1:208
	ds_load_2addr_b64 v[18:21], v30 offset0:224 offset1:240
	s_wait_loadcnt_dscnt 0x0
	s_barrier_signal -1
	s_barrier_wait -1
	global_inv scope:SCOPE_SE
	v_fma_f64 v[44:45], v[10:11], v[36:37], v[44:45]
	v_fma_f64 v[36:37], v[12:13], v[36:37], v[48:49]
	;; [unrolled: 1-line block ×4, first 2 shown]
	s_delay_alu instid0(VALU_DEP_4) | instskip(NEXT) | instid1(VALU_DEP_4)
	v_fma_f64 v[16:17], v[18:19], v[38:39], v[44:45]
	v_fma_f64 v[14:15], v[20:21], v[38:39], v[36:37]
	s_delay_alu instid0(VALU_DEP_4) | instskip(NEXT) | instid1(VALU_DEP_4)
	v_fma_f64 v[12:13], v[18:19], v[42:43], v[10:11]
	v_fma_f64 v[10:11], v[20:21], v[42:43], v[40:41]
	s_wait_alu 0xfffe
	s_cbranch_vccz .LBB212_15
.LBB212_9:                              ;   Parent Loop BB212_6 Depth=1
                                        ; =>  This Inner Loop Header: Depth=2
	v_mov_b32_e32 v18, 0
	v_mov_b32_e32 v19, 0
	s_and_saveexec_b32 s18, s0
	s_cbranch_execz .LBB212_13
; %bb.10:                               ;   in Loop: Header=BB212_9 Depth=2
	v_mov_b32_e32 v18, 0
	s_wait_alu 0xfffe
	v_dual_mov_b32 v19, 0 :: v_dual_add_nc_u32 v0, s2, v23
	s_mov_b32 s19, exec_lo
	s_delay_alu instid0(VALU_DEP_1)
	v_cmpx_gt_u64_e64 s[8:9], v[0:1]
	s_cbranch_execz .LBB212_12
; %bb.11:                               ;   in Loop: Header=BB212_9 Depth=2
	v_lshlrev_b64_e32 v[18:19], 3, v[0:1]
	s_delay_alu instid0(VALU_DEP_1) | instskip(SKIP_1) | instid1(VALU_DEP_2)
	v_add_co_u32 v18, vcc_lo, v32, v18
	s_wait_alu 0xfffd
	v_add_co_ci_u32_e64 v19, null, v33, v19, vcc_lo
	global_load_b64 v[18:19], v[18:19], off
.LBB212_12:                             ;   in Loop: Header=BB212_9 Depth=2
	s_wait_alu 0xfffe
	s_or_b32 exec_lo, exec_lo, s19
.LBB212_13:                             ;   in Loop: Header=BB212_9 Depth=2
	s_wait_alu 0xfffe
	s_or_b32 exec_lo, exec_lo, s18
	v_add_nc_u32_e32 v0, s2, v22
	v_mov_b32_e32 v20, 0
	v_mov_b32_e32 v21, 0
	s_wait_loadcnt 0x0
	ds_store_b64 v24, v[18:19]
	v_cmp_gt_u64_e32 vcc_lo, s[8:9], v[0:1]
	s_and_b32 s19, vcc_lo, s1
	s_wait_alu 0xfffe
	s_and_saveexec_b32 s18, s19
	s_cbranch_execz .LBB212_8
; %bb.14:                               ;   in Loop: Header=BB212_9 Depth=2
	v_mad_co_u64_u32 v[18:19], null, s20, v0, 0
	s_delay_alu instid0(VALU_DEP_1) | instskip(NEXT) | instid1(VALU_DEP_1)
	v_mad_co_u64_u32 v[19:20], null, s21, v0, v[19:20]
	v_lshlrev_b64_e32 v[18:19], 3, v[18:19]
	s_delay_alu instid0(VALU_DEP_1) | instskip(SKIP_1) | instid1(VALU_DEP_2)
	v_add_co_u32 v18, vcc_lo, v34, v18
	s_wait_alu 0xfffd
	v_add_co_ci_u32_e64 v19, null, v35, v19, vcc_lo
	global_load_b64 v[20:21], v[18:19], off
	s_branch .LBB212_8
.LBB212_15:                             ;   in Loop: Header=BB212_6 Depth=1
	s_mul_u64 s[2:3], s[30:31], s[6:7]
	s_wait_alu 0xfffe
	s_lshl_b64 s[2:3], s[2:3], 3
	s_wait_alu 0xfffe
	s_add_nc_u64 s[2:3], s[26:27], s[2:3]
	s_wait_alu 0xfffe
	v_add_co_u32 v0, vcc_lo, s2, v4
	s_wait_alu 0xfffd
	v_add_co_ci_u32_e64 v18, null, s3, v5, vcc_lo
	s_and_saveexec_b32 s18, s12
	s_cbranch_execz .LBB212_19
; %bb.16:                               ;   in Loop: Header=BB212_6 Depth=1
	v_mul_f64_e32 v[16:17], s[10:11], v[16:17]
	s_and_b32 vcc_lo, exec_lo, s33
	s_wait_alu 0xfffe
	s_cbranch_vccz .LBB212_30
; %bb.17:                               ;   in Loop: Header=BB212_6 Depth=1
	v_add_co_u32 v19, vcc_lo, v0, v8
	s_wait_alu 0xfffd
	v_add_co_ci_u32_e64 v20, null, v18, v9, vcc_lo
	global_load_b64 v[32:33], v[19:20], off
	s_wait_loadcnt 0x0
	v_fma_f64 v[32:33], s[24:25], v[32:33], v[16:17]
	global_store_b64 v[19:20], v[32:33], off
	s_cbranch_execnz .LBB212_19
.LBB212_18:                             ;   in Loop: Header=BB212_6 Depth=1
	v_add_co_u32 v19, vcc_lo, v0, v8
	s_wait_alu 0xfffd
	v_add_co_ci_u32_e64 v20, null, v18, v9, vcc_lo
	global_store_b64 v[19:20], v[16:17], off
.LBB212_19:                             ;   in Loop: Header=BB212_6 Depth=1
	s_wait_alu 0xfffe
	s_or_b32 exec_lo, exec_lo, s18
	s_and_saveexec_b32 s18, s13
	s_cbranch_execz .LBB212_23
; %bb.20:                               ;   in Loop: Header=BB212_6 Depth=1
	v_mul_f64_e32 v[14:15], s[10:11], v[14:15]
	s_and_not1_b32 vcc_lo, exec_lo, s33
	s_wait_alu 0xfffe
	s_cbranch_vccnz .LBB212_31
; %bb.21:                               ;   in Loop: Header=BB212_6 Depth=1
	v_lshlrev_b64_e32 v[16:17], 3, v[2:3]
	s_delay_alu instid0(VALU_DEP_1) | instskip(SKIP_1) | instid1(VALU_DEP_2)
	v_add_co_u32 v16, vcc_lo, v0, v16
	s_wait_alu 0xfffd
	v_add_co_ci_u32_e64 v17, null, v18, v17, vcc_lo
	global_load_b64 v[19:20], v[16:17], off
	s_wait_loadcnt 0x0
	v_fma_f64 v[19:20], s[24:25], v[19:20], v[14:15]
	global_store_b64 v[16:17], v[19:20], off
	s_cbranch_execnz .LBB212_23
.LBB212_22:                             ;   in Loop: Header=BB212_6 Depth=1
	v_lshlrev_b64_e32 v[16:17], 3, v[2:3]
	s_delay_alu instid0(VALU_DEP_1) | instskip(SKIP_1) | instid1(VALU_DEP_2)
	v_add_co_u32 v16, vcc_lo, v0, v16
	s_wait_alu 0xfffd
	v_add_co_ci_u32_e64 v17, null, v18, v17, vcc_lo
	global_store_b64 v[16:17], v[14:15], off
.LBB212_23:                             ;   in Loop: Header=BB212_6 Depth=1
	s_wait_alu 0xfffe
	s_or_b32 exec_lo, exec_lo, s18
	v_add_co_u32 v0, vcc_lo, s2, v6
	s_wait_alu 0xfffd
	v_add_co_ci_u32_e64 v14, null, s3, v7, vcc_lo
	s_and_saveexec_b32 s2, s15
	s_cbranch_execz .LBB212_27
; %bb.24:                               ;   in Loop: Header=BB212_6 Depth=1
	v_mul_f64_e32 v[12:13], s[10:11], v[12:13]
	s_and_not1_b32 vcc_lo, exec_lo, s33
	s_wait_alu 0xfffe
	s_cbranch_vccnz .LBB212_32
; %bb.25:                               ;   in Loop: Header=BB212_6 Depth=1
	v_add_co_u32 v15, vcc_lo, v0, v8
	s_wait_alu 0xfffd
	v_add_co_ci_u32_e64 v16, null, v14, v9, vcc_lo
	global_load_b64 v[17:18], v[15:16], off
	s_wait_loadcnt 0x0
	v_fma_f64 v[17:18], s[24:25], v[17:18], v[12:13]
	global_store_b64 v[15:16], v[17:18], off
	s_cbranch_execnz .LBB212_27
.LBB212_26:                             ;   in Loop: Header=BB212_6 Depth=1
	v_add_co_u32 v15, vcc_lo, v0, v8
	s_wait_alu 0xfffd
	v_add_co_ci_u32_e64 v16, null, v14, v9, vcc_lo
	global_store_b64 v[15:16], v[12:13], off
.LBB212_27:                             ;   in Loop: Header=BB212_6 Depth=1
	s_wait_alu 0xfffe
	s_or_b32 exec_lo, exec_lo, s2
	s_and_saveexec_b32 s2, s4
	s_cbranch_execz .LBB212_5
; %bb.28:                               ;   in Loop: Header=BB212_6 Depth=1
	v_mul_f64_e32 v[10:11], s[10:11], v[10:11]
	v_lshlrev_b64_e32 v[12:13], 3, v[2:3]
	s_and_not1_b32 vcc_lo, exec_lo, s33
	s_wait_alu 0xfffe
	s_cbranch_vccnz .LBB212_33
; %bb.29:                               ;   in Loop: Header=BB212_6 Depth=1
	s_delay_alu instid0(VALU_DEP_1)
	v_add_co_u32 v15, vcc_lo, v0, v12
	s_wait_alu 0xfffd
	v_add_co_ci_u32_e64 v16, null, v14, v13, vcc_lo
	global_load_b64 v[17:18], v[15:16], off
	s_wait_loadcnt 0x0
	v_fma_f64 v[17:18], s[24:25], v[17:18], v[10:11]
	global_store_b64 v[15:16], v[17:18], off
	s_cbranch_execnz .LBB212_5
	s_branch .LBB212_34
.LBB212_30:                             ;   in Loop: Header=BB212_6 Depth=1
	s_branch .LBB212_18
.LBB212_31:                             ;   in Loop: Header=BB212_6 Depth=1
	s_branch .LBB212_22
.LBB212_32:                             ;   in Loop: Header=BB212_6 Depth=1
	s_branch .LBB212_26
.LBB212_33:                             ;   in Loop: Header=BB212_6 Depth=1
.LBB212_34:                             ;   in Loop: Header=BB212_6 Depth=1
	s_delay_alu instid0(VALU_DEP_1)
	v_add_co_u32 v12, vcc_lo, v0, v12
	s_wait_alu 0xfffd
	v_add_co_ci_u32_e64 v13, null, v14, v13, vcc_lo
	global_store_b64 v[12:13], v[10:11], off
	s_branch .LBB212_5
.LBB212_35:
	s_endpgm
	.section	.rodata,"a",@progbits
	.p2align	6, 0x0
	.amdhsa_kernel _ZL29rocblas_internal_gemmt_kernelIlLi16ELi32ELi8ELc84ELc67ELc76ELb0ELb0EddPKdPdEviT_T9_T10_S3_lS5_S3_lS4_T11_S3_li
		.amdhsa_group_segment_fixed_size 4096
		.amdhsa_private_segment_fixed_size 0
		.amdhsa_kernarg_size 108
		.amdhsa_user_sgpr_count 2
		.amdhsa_user_sgpr_dispatch_ptr 0
		.amdhsa_user_sgpr_queue_ptr 0
		.amdhsa_user_sgpr_kernarg_segment_ptr 1
		.amdhsa_user_sgpr_dispatch_id 0
		.amdhsa_user_sgpr_private_segment_size 0
		.amdhsa_wavefront_size32 1
		.amdhsa_uses_dynamic_stack 0
		.amdhsa_enable_private_segment 0
		.amdhsa_system_sgpr_workgroup_id_x 1
		.amdhsa_system_sgpr_workgroup_id_y 1
		.amdhsa_system_sgpr_workgroup_id_z 1
		.amdhsa_system_sgpr_workgroup_info 0
		.amdhsa_system_vgpr_workitem_id 1
		.amdhsa_next_free_vgpr 52
		.amdhsa_next_free_sgpr 35
		.amdhsa_reserve_vcc 1
		.amdhsa_float_round_mode_32 0
		.amdhsa_float_round_mode_16_64 0
		.amdhsa_float_denorm_mode_32 3
		.amdhsa_float_denorm_mode_16_64 3
		.amdhsa_fp16_overflow 0
		.amdhsa_workgroup_processor_mode 1
		.amdhsa_memory_ordered 1
		.amdhsa_forward_progress 1
		.amdhsa_inst_pref_size 16
		.amdhsa_round_robin_scheduling 0
		.amdhsa_exception_fp_ieee_invalid_op 0
		.amdhsa_exception_fp_denorm_src 0
		.amdhsa_exception_fp_ieee_div_zero 0
		.amdhsa_exception_fp_ieee_overflow 0
		.amdhsa_exception_fp_ieee_underflow 0
		.amdhsa_exception_fp_ieee_inexact 0
		.amdhsa_exception_int_div_zero 0
	.end_amdhsa_kernel
	.section	.text._ZL29rocblas_internal_gemmt_kernelIlLi16ELi32ELi8ELc84ELc67ELc76ELb0ELb0EddPKdPdEviT_T9_T10_S3_lS5_S3_lS4_T11_S3_li,"axG",@progbits,_ZL29rocblas_internal_gemmt_kernelIlLi16ELi32ELi8ELc84ELc67ELc76ELb0ELb0EddPKdPdEviT_T9_T10_S3_lS5_S3_lS4_T11_S3_li,comdat
.Lfunc_end212:
	.size	_ZL29rocblas_internal_gemmt_kernelIlLi16ELi32ELi8ELc84ELc67ELc76ELb0ELb0EddPKdPdEviT_T9_T10_S3_lS5_S3_lS4_T11_S3_li, .Lfunc_end212-_ZL29rocblas_internal_gemmt_kernelIlLi16ELi32ELi8ELc84ELc67ELc76ELb0ELb0EddPKdPdEviT_T9_T10_S3_lS5_S3_lS4_T11_S3_li
                                        ; -- End function
	.set _ZL29rocblas_internal_gemmt_kernelIlLi16ELi32ELi8ELc84ELc67ELc76ELb0ELb0EddPKdPdEviT_T9_T10_S3_lS5_S3_lS4_T11_S3_li.num_vgpr, 52
	.set _ZL29rocblas_internal_gemmt_kernelIlLi16ELi32ELi8ELc84ELc67ELc76ELb0ELb0EddPKdPdEviT_T9_T10_S3_lS5_S3_lS4_T11_S3_li.num_agpr, 0
	.set _ZL29rocblas_internal_gemmt_kernelIlLi16ELi32ELi8ELc84ELc67ELc76ELb0ELb0EddPKdPdEviT_T9_T10_S3_lS5_S3_lS4_T11_S3_li.numbered_sgpr, 35
	.set _ZL29rocblas_internal_gemmt_kernelIlLi16ELi32ELi8ELc84ELc67ELc76ELb0ELb0EddPKdPdEviT_T9_T10_S3_lS5_S3_lS4_T11_S3_li.num_named_barrier, 0
	.set _ZL29rocblas_internal_gemmt_kernelIlLi16ELi32ELi8ELc84ELc67ELc76ELb0ELb0EddPKdPdEviT_T9_T10_S3_lS5_S3_lS4_T11_S3_li.private_seg_size, 0
	.set _ZL29rocblas_internal_gemmt_kernelIlLi16ELi32ELi8ELc84ELc67ELc76ELb0ELb0EddPKdPdEviT_T9_T10_S3_lS5_S3_lS4_T11_S3_li.uses_vcc, 1
	.set _ZL29rocblas_internal_gemmt_kernelIlLi16ELi32ELi8ELc84ELc67ELc76ELb0ELb0EddPKdPdEviT_T9_T10_S3_lS5_S3_lS4_T11_S3_li.uses_flat_scratch, 0
	.set _ZL29rocblas_internal_gemmt_kernelIlLi16ELi32ELi8ELc84ELc67ELc76ELb0ELb0EddPKdPdEviT_T9_T10_S3_lS5_S3_lS4_T11_S3_li.has_dyn_sized_stack, 0
	.set _ZL29rocblas_internal_gemmt_kernelIlLi16ELi32ELi8ELc84ELc67ELc76ELb0ELb0EddPKdPdEviT_T9_T10_S3_lS5_S3_lS4_T11_S3_li.has_recursion, 0
	.set _ZL29rocblas_internal_gemmt_kernelIlLi16ELi32ELi8ELc84ELc67ELc76ELb0ELb0EddPKdPdEviT_T9_T10_S3_lS5_S3_lS4_T11_S3_li.has_indirect_call, 0
	.section	.AMDGPU.csdata,"",@progbits
; Kernel info:
; codeLenInByte = 2040
; TotalNumSgprs: 37
; NumVgprs: 52
; ScratchSize: 0
; MemoryBound: 0
; FloatMode: 240
; IeeeMode: 1
; LDSByteSize: 4096 bytes/workgroup (compile time only)
; SGPRBlocks: 0
; VGPRBlocks: 6
; NumSGPRsForWavesPerEU: 37
; NumVGPRsForWavesPerEU: 52
; Occupancy: 16
; WaveLimiterHint : 0
; COMPUTE_PGM_RSRC2:SCRATCH_EN: 0
; COMPUTE_PGM_RSRC2:USER_SGPR: 2
; COMPUTE_PGM_RSRC2:TRAP_HANDLER: 0
; COMPUTE_PGM_RSRC2:TGID_X_EN: 1
; COMPUTE_PGM_RSRC2:TGID_Y_EN: 1
; COMPUTE_PGM_RSRC2:TGID_Z_EN: 1
; COMPUTE_PGM_RSRC2:TIDIG_COMP_CNT: 1
	.section	.text._ZL29rocblas_internal_gemmt_kernelIlLi16ELi32ELi8ELc67ELc78ELc76ELb0ELb0EddPKdPdEviT_T9_T10_S3_lS5_S3_lS4_T11_S3_li,"axG",@progbits,_ZL29rocblas_internal_gemmt_kernelIlLi16ELi32ELi8ELc67ELc78ELc76ELb0ELb0EddPKdPdEviT_T9_T10_S3_lS5_S3_lS4_T11_S3_li,comdat
	.globl	_ZL29rocblas_internal_gemmt_kernelIlLi16ELi32ELi8ELc67ELc78ELc76ELb0ELb0EddPKdPdEviT_T9_T10_S3_lS5_S3_lS4_T11_S3_li ; -- Begin function _ZL29rocblas_internal_gemmt_kernelIlLi16ELi32ELi8ELc67ELc78ELc76ELb0ELb0EddPKdPdEviT_T9_T10_S3_lS5_S3_lS4_T11_S3_li
	.p2align	8
	.type	_ZL29rocblas_internal_gemmt_kernelIlLi16ELi32ELi8ELc67ELc78ELc76ELb0ELb0EddPKdPdEviT_T9_T10_S3_lS5_S3_lS4_T11_S3_li,@function
_ZL29rocblas_internal_gemmt_kernelIlLi16ELi32ELi8ELc67ELc78ELc76ELb0ELb0EddPKdPdEviT_T9_T10_S3_lS5_S3_lS4_T11_S3_li: ; @_ZL29rocblas_internal_gemmt_kernelIlLi16ELi32ELi8ELc67ELc78ELc76ELb0ELb0EddPKdPdEviT_T9_T10_S3_lS5_S3_lS4_T11_S3_li
; %bb.0:
	s_clause 0x1
	s_load_b256 s[24:31], s[0:1], 0x48
	s_load_b512 s[8:23], s[0:1], 0x8
	s_wait_kmcnt 0x0
	v_cmp_neq_f64_e64 s2, s[24:25], 1.0
	s_and_b32 vcc_lo, exec_lo, s2
	s_cbranch_vccnz .LBB213_2
; %bb.1:
	v_cmp_neq_f64_e64 s2, s[10:11], 0
	s_cmp_lg_u64 s[8:9], 0
	s_cselect_b32 s3, -1, 0
	s_delay_alu instid0(SALU_CYCLE_1)
	s_and_b32 s2, s3, s2
.LBB213_2:
	s_delay_alu instid0(SALU_CYCLE_1)
	s_and_not1_b32 vcc_lo, exec_lo, s2
	s_cbranch_vccnz .LBB213_35
; %bb.3:
	s_load_b32 s5, s[0:1], 0x68
	s_lshr_b32 s6, ttmp7, 16
	s_wait_kmcnt 0x0
	s_cmp_ge_u32 s6, s5
	s_cbranch_scc1 .LBB213_35
; %bb.4:
	v_and_b32_e32 v9, 0x3ff, v0
	v_bfe_u32 v12, v0, 10, 10
	s_load_b32 s4, s[0:1], 0x0
	s_lshl_b32 s1, ttmp7, 5
	s_lshl_b32 s0, ttmp9, 5
	s_and_b32 s1, s1, 0x1fffe0
	v_lshl_add_u32 v2, v12, 4, v9
	v_and_b32_e32 v22, 7, v0
	s_ashr_i32 s2, s0, 31
	v_add_nc_u32_e32 v16, s1, v12
	s_mul_i32 s2, s14, s2
	v_lshrrev_b32_e32 v10, 3, v2
	v_and_b32_e32 v11, 31, v2
	v_lshrrev_b32_e32 v23, 5, v2
	v_cmp_neq_f64_e64 s7, s[10:11], 0
	v_cmp_neq_f64_e64 s33, s[24:25], 0
	v_add_nc_u32_e32 v13, s1, v10
	v_or_b32_e32 v14, s0, v11
	v_add_nc_u32_e32 v18, 16, v16
	v_mad_co_u64_u32 v[4:5], null, s28, v16, 0
	s_delay_alu instid0(VALU_DEP_4) | instskip(NEXT) | instid1(VALU_DEP_4)
	v_mad_co_u64_u32 v[0:1], null, s20, v13, 0
	v_mad_co_u64_u32 v[2:3], null, s14, v14, 0
	v_mul_lo_u32 v17, s15, v14
	s_wait_kmcnt 0x0
	v_cmp_gt_i32_e64 s1, s4, v13
	v_cmp_gt_i64_e64 s34, s[8:9], 0
	v_lshl_add_u32 v31, v12, 6, 0x800
	v_mad_co_u64_u32 v[6:7], null, s21, v13, v[1:2]
	v_add3_u32 v3, v3, s2, v17
	v_lshlrev_b32_e32 v7, 3, v11
	s_delay_alu instid0(VALU_DEP_2) | instskip(NEXT) | instid1(VALU_DEP_4)
	v_lshlrev_b64_e32 v[2:3], 3, v[2:3]
	v_mov_b32_e32 v1, v6
	v_lshlrev_b32_e32 v15, 3, v22
	s_delay_alu instid0(VALU_DEP_4) | instskip(NEXT) | instid1(VALU_DEP_3)
	v_lshl_or_b32 v24, v23, 8, v7
	v_lshlrev_b64_e32 v[0:1], 3, v[0:1]
	s_delay_alu instid0(VALU_DEP_3) | instskip(SKIP_2) | instid1(VALU_DEP_1)
	v_lshl_or_b32 v15, v10, 6, v15
	v_mad_co_u64_u32 v[10:11], null, s28, v18, 0
	v_add_co_u32 v26, vcc_lo, s12, v2
	v_add_co_ci_u32_e64 v27, null, s13, v3, vcc_lo
	v_add_co_u32 v28, vcc_lo, s18, v0
	s_wait_alu 0xfffd
	v_add_co_ci_u32_e64 v29, null, s19, v1, vcc_lo
	v_mad_co_u64_u32 v[1:2], null, s29, v16, v[5:6]
	v_mov_b32_e32 v2, v11
	v_add_nc_u32_e32 v8, s0, v9
	v_cmp_gt_i32_e64 s0, s4, v14
	v_lshlrev_b32_e32 v30, 3, v9
	v_add_nc_u32_e32 v25, 0x800, v15
	v_mad_co_u64_u32 v[2:3], null, s29, v18, v[2:3]
	v_dual_mov_b32 v5, v1 :: v_dual_add_nc_u32 v0, 16, v8
	v_cmp_gt_i32_e64 s2, s4, v8
	v_ashrrev_i32_e32 v9, 31, v8
	v_mov_b32_e32 v3, 0
	s_delay_alu instid0(VALU_DEP_4)
	v_lshlrev_b64_e32 v[4:5], 3, v[4:5]
	v_cmp_gt_i32_e64 s4, s4, v0
	v_mov_b32_e32 v11, v2
	v_cmp_le_i32_e32 vcc_lo, v16, v8
	v_cmp_le_i32_e64 s3, v16, v0
	v_ashrrev_i32_e32 v1, 31, v0
	s_and_b32 s14, s7, s34
	v_lshlrev_b64_e32 v[6:7], 3, v[10:11]
	s_and_b32 s12, vcc_lo, s2
	s_and_b32 s13, s3, s4
	v_cmp_le_i32_e32 vcc_lo, v18, v8
	v_cmp_le_i32_e64 s3, v18, v0
	v_lshlrev_b64_e32 v[8:9], 3, v[8:9]
	s_mov_b32 s7, 0
	s_and_b32 s15, vcc_lo, s2
	s_and_b32 s4, s3, s4
	s_branch .LBB213_6
.LBB213_5:                              ;   in Loop: Header=BB213_6 Depth=1
	s_wait_alu 0xfffe
	s_or_b32 exec_lo, exec_lo, s2
	s_add_co_i32 s6, s6, 0x10000
	s_delay_alu instid0(SALU_CYCLE_1)
	s_cmp_lt_u32 s6, s5
	s_cbranch_scc0 .LBB213_35
.LBB213_6:                              ; =>This Loop Header: Depth=1
                                        ;     Child Loop BB213_9 Depth 2
	v_mov_b32_e32 v16, 0
	v_dual_mov_b32 v12, 0 :: v_dual_mov_b32 v17, 0
	v_dual_mov_b32 v14, 0 :: v_dual_mov_b32 v13, 0
	;; [unrolled: 1-line block ×3, first 2 shown]
	v_mov_b32_e32 v11, 0
	s_wait_alu 0xfffe
	s_and_not1_b32 vcc_lo, exec_lo, s14
	s_wait_alu 0xfffe
	s_cbranch_vccnz .LBB213_15
; %bb.7:                                ;   in Loop: Header=BB213_6 Depth=1
	s_mul_u64 s[2:3], s[16:17], s[6:7]
	s_mul_u64 s[18:19], s[22:23], s[6:7]
	s_wait_alu 0xfffe
	s_lshl_b64 s[2:3], s[2:3], 3
	v_mov_b32_e32 v10, 0
	s_wait_alu 0xfffe
	v_add_co_u32 v32, vcc_lo, v26, s2
	s_wait_alu 0xfffd
	v_add_co_ci_u32_e64 v33, null, s3, v27, vcc_lo
	s_lshl_b64 s[2:3], s[18:19], 3
	v_mov_b32_e32 v14, 0
	s_wait_alu 0xfffe
	v_add_co_u32 v34, vcc_lo, v28, s2
	v_dual_mov_b32 v11, 0 :: v_dual_mov_b32 v12, 0
	v_dual_mov_b32 v15, 0 :: v_dual_mov_b32 v16, 0
	v_mov_b32_e32 v13, 0
	v_mov_b32_e32 v17, 0
	s_wait_alu 0xfffd
	v_add_co_ci_u32_e64 v35, null, s3, v29, vcc_lo
	s_mov_b64 s[2:3], 0
	s_branch .LBB213_9
.LBB213_8:                              ;   in Loop: Header=BB213_9 Depth=2
	s_wait_alu 0xfffe
	s_or_b32 exec_lo, exec_lo, s18
	s_wait_loadcnt 0x0
	ds_store_b64 v25, v[20:21]
	s_wait_dscnt 0x0
	s_barrier_signal -1
	s_barrier_wait -1
	global_inv scope:SCOPE_SE
	ds_load_b128 v[18:21], v31
	ds_load_2addr_b64 v[36:39], v30 offset1:16
	ds_load_b128 v[40:43], v31 offset:1024
	ds_load_b128 v[44:47], v31 offset:16
	;; [unrolled: 1-line block ×3, first 2 shown]
	s_add_nc_u64 s[2:3], s[2:3], 8
	s_wait_alu 0xfffe
	v_cmp_gt_i64_e64 s18, s[8:9], s[2:3]
	s_and_b32 vcc_lo, exec_lo, s18
	s_wait_dscnt 0x3
	v_fma_f64 v[16:17], v[36:37], v[18:19], v[16:17]
	v_fma_f64 v[14:15], v[38:39], v[18:19], v[14:15]
	s_wait_dscnt 0x2
	v_fma_f64 v[18:19], v[36:37], v[40:41], v[12:13]
	v_fma_f64 v[36:37], v[38:39], v[40:41], v[10:11]
	ds_load_2addr_b64 v[10:13], v30 offset0:32 offset1:48
	s_wait_dscnt 0x0
	v_fma_f64 v[16:17], v[10:11], v[20:21], v[16:17]
	v_fma_f64 v[14:15], v[12:13], v[20:21], v[14:15]
	v_fma_f64 v[18:19], v[10:11], v[42:43], v[18:19]
	v_fma_f64 v[20:21], v[12:13], v[42:43], v[36:37]
	ds_load_2addr_b64 v[10:13], v30 offset0:64 offset1:80
	s_wait_dscnt 0x0
	v_fma_f64 v[16:17], v[10:11], v[44:45], v[16:17]
	v_fma_f64 v[14:15], v[12:13], v[44:45], v[14:15]
	;; [unrolled: 6-line block ×3, first 2 shown]
	v_fma_f64 v[48:49], v[10:11], v[50:51], v[18:19]
	v_fma_f64 v[50:51], v[12:13], v[50:51], v[20:21]
	ds_load_b128 v[10:13], v31 offset:32
	ds_load_2addr_b64 v[14:17], v30 offset0:128 offset1:144
	ds_load_b128 v[18:21], v31 offset:1056
	ds_load_b128 v[36:39], v31 offset:48
	;; [unrolled: 1-line block ×3, first 2 shown]
	s_wait_dscnt 0x3
	v_fma_f64 v[44:45], v[14:15], v[10:11], v[44:45]
	v_fma_f64 v[10:11], v[16:17], v[10:11], v[46:47]
	s_wait_dscnt 0x2
	v_fma_f64 v[46:47], v[14:15], v[18:19], v[48:49]
	v_fma_f64 v[18:19], v[16:17], v[18:19], v[50:51]
	ds_load_2addr_b64 v[14:17], v30 offset0:160 offset1:176
	s_wait_dscnt 0x0
	v_fma_f64 v[44:45], v[14:15], v[12:13], v[44:45]
	v_fma_f64 v[48:49], v[16:17], v[12:13], v[10:11]
	v_fma_f64 v[14:15], v[14:15], v[20:21], v[46:47]
	v_fma_f64 v[16:17], v[16:17], v[20:21], v[18:19]
	ds_load_2addr_b64 v[10:13], v30 offset0:192 offset1:208
	ds_load_2addr_b64 v[18:21], v30 offset0:224 offset1:240
	s_wait_loadcnt_dscnt 0x0
	s_barrier_signal -1
	s_barrier_wait -1
	global_inv scope:SCOPE_SE
	v_fma_f64 v[44:45], v[10:11], v[36:37], v[44:45]
	v_fma_f64 v[36:37], v[12:13], v[36:37], v[48:49]
	;; [unrolled: 1-line block ×4, first 2 shown]
	s_delay_alu instid0(VALU_DEP_4) | instskip(NEXT) | instid1(VALU_DEP_4)
	v_fma_f64 v[16:17], v[18:19], v[38:39], v[44:45]
	v_fma_f64 v[14:15], v[20:21], v[38:39], v[36:37]
	s_delay_alu instid0(VALU_DEP_4) | instskip(NEXT) | instid1(VALU_DEP_4)
	v_fma_f64 v[12:13], v[18:19], v[42:43], v[10:11]
	v_fma_f64 v[10:11], v[20:21], v[42:43], v[40:41]
	s_wait_alu 0xfffe
	s_cbranch_vccz .LBB213_15
.LBB213_9:                              ;   Parent Loop BB213_6 Depth=1
                                        ; =>  This Inner Loop Header: Depth=2
	v_mov_b32_e32 v18, 0
	v_mov_b32_e32 v19, 0
	s_and_saveexec_b32 s18, s0
	s_cbranch_execz .LBB213_13
; %bb.10:                               ;   in Loop: Header=BB213_9 Depth=2
	v_mov_b32_e32 v18, 0
	s_wait_alu 0xfffe
	v_dual_mov_b32 v19, 0 :: v_dual_add_nc_u32 v2, s2, v23
	s_mov_b32 s19, exec_lo
	s_delay_alu instid0(VALU_DEP_1)
	v_cmpx_gt_u64_e64 s[8:9], v[2:3]
	s_cbranch_execz .LBB213_12
; %bb.11:                               ;   in Loop: Header=BB213_9 Depth=2
	v_lshlrev_b64_e32 v[18:19], 3, v[2:3]
	s_delay_alu instid0(VALU_DEP_1) | instskip(SKIP_1) | instid1(VALU_DEP_2)
	v_add_co_u32 v18, vcc_lo, v32, v18
	s_wait_alu 0xfffd
	v_add_co_ci_u32_e64 v19, null, v33, v19, vcc_lo
	global_load_b64 v[18:19], v[18:19], off
.LBB213_12:                             ;   in Loop: Header=BB213_9 Depth=2
	s_wait_alu 0xfffe
	s_or_b32 exec_lo, exec_lo, s19
.LBB213_13:                             ;   in Loop: Header=BB213_9 Depth=2
	s_wait_alu 0xfffe
	s_or_b32 exec_lo, exec_lo, s18
	v_add_nc_u32_e32 v2, s2, v22
	v_mov_b32_e32 v20, 0
	v_mov_b32_e32 v21, 0
	s_wait_loadcnt 0x0
	ds_store_b64 v24, v[18:19]
	v_cmp_gt_u64_e32 vcc_lo, s[8:9], v[2:3]
	s_and_b32 s19, vcc_lo, s1
	s_wait_alu 0xfffe
	s_and_saveexec_b32 s18, s19
	s_cbranch_execz .LBB213_8
; %bb.14:                               ;   in Loop: Header=BB213_9 Depth=2
	v_lshlrev_b64_e32 v[18:19], 3, v[2:3]
	s_delay_alu instid0(VALU_DEP_1) | instskip(SKIP_1) | instid1(VALU_DEP_2)
	v_add_co_u32 v18, vcc_lo, v34, v18
	s_wait_alu 0xfffd
	v_add_co_ci_u32_e64 v19, null, v35, v19, vcc_lo
	global_load_b64 v[20:21], v[18:19], off
	s_branch .LBB213_8
.LBB213_15:                             ;   in Loop: Header=BB213_6 Depth=1
	s_mul_u64 s[2:3], s[30:31], s[6:7]
	s_wait_alu 0xfffe
	s_lshl_b64 s[2:3], s[2:3], 3
	s_wait_alu 0xfffe
	s_add_nc_u64 s[2:3], s[26:27], s[2:3]
	s_wait_alu 0xfffe
	v_add_co_u32 v2, vcc_lo, s2, v4
	s_wait_alu 0xfffd
	v_add_co_ci_u32_e64 v18, null, s3, v5, vcc_lo
	s_and_saveexec_b32 s18, s12
	s_cbranch_execz .LBB213_19
; %bb.16:                               ;   in Loop: Header=BB213_6 Depth=1
	v_mul_f64_e32 v[16:17], s[10:11], v[16:17]
	s_and_b32 vcc_lo, exec_lo, s33
	s_wait_alu 0xfffe
	s_cbranch_vccz .LBB213_30
; %bb.17:                               ;   in Loop: Header=BB213_6 Depth=1
	v_add_co_u32 v19, vcc_lo, v2, v8
	s_wait_alu 0xfffd
	v_add_co_ci_u32_e64 v20, null, v18, v9, vcc_lo
	global_load_b64 v[32:33], v[19:20], off
	s_wait_loadcnt 0x0
	v_fma_f64 v[32:33], s[24:25], v[32:33], v[16:17]
	global_store_b64 v[19:20], v[32:33], off
	s_cbranch_execnz .LBB213_19
.LBB213_18:                             ;   in Loop: Header=BB213_6 Depth=1
	v_add_co_u32 v19, vcc_lo, v2, v8
	s_wait_alu 0xfffd
	v_add_co_ci_u32_e64 v20, null, v18, v9, vcc_lo
	global_store_b64 v[19:20], v[16:17], off
.LBB213_19:                             ;   in Loop: Header=BB213_6 Depth=1
	s_wait_alu 0xfffe
	s_or_b32 exec_lo, exec_lo, s18
	s_and_saveexec_b32 s18, s13
	s_cbranch_execz .LBB213_23
; %bb.20:                               ;   in Loop: Header=BB213_6 Depth=1
	v_mul_f64_e32 v[14:15], s[10:11], v[14:15]
	s_and_not1_b32 vcc_lo, exec_lo, s33
	s_wait_alu 0xfffe
	s_cbranch_vccnz .LBB213_31
; %bb.21:                               ;   in Loop: Header=BB213_6 Depth=1
	v_lshlrev_b64_e32 v[16:17], 3, v[0:1]
	s_delay_alu instid0(VALU_DEP_1) | instskip(SKIP_1) | instid1(VALU_DEP_2)
	v_add_co_u32 v16, vcc_lo, v2, v16
	s_wait_alu 0xfffd
	v_add_co_ci_u32_e64 v17, null, v18, v17, vcc_lo
	global_load_b64 v[19:20], v[16:17], off
	s_wait_loadcnt 0x0
	v_fma_f64 v[19:20], s[24:25], v[19:20], v[14:15]
	global_store_b64 v[16:17], v[19:20], off
	s_cbranch_execnz .LBB213_23
.LBB213_22:                             ;   in Loop: Header=BB213_6 Depth=1
	v_lshlrev_b64_e32 v[16:17], 3, v[0:1]
	s_delay_alu instid0(VALU_DEP_1) | instskip(SKIP_1) | instid1(VALU_DEP_2)
	v_add_co_u32 v16, vcc_lo, v2, v16
	s_wait_alu 0xfffd
	v_add_co_ci_u32_e64 v17, null, v18, v17, vcc_lo
	global_store_b64 v[16:17], v[14:15], off
.LBB213_23:                             ;   in Loop: Header=BB213_6 Depth=1
	s_wait_alu 0xfffe
	s_or_b32 exec_lo, exec_lo, s18
	v_add_co_u32 v2, vcc_lo, s2, v6
	s_wait_alu 0xfffd
	v_add_co_ci_u32_e64 v14, null, s3, v7, vcc_lo
	s_and_saveexec_b32 s2, s15
	s_cbranch_execz .LBB213_27
; %bb.24:                               ;   in Loop: Header=BB213_6 Depth=1
	v_mul_f64_e32 v[12:13], s[10:11], v[12:13]
	s_and_not1_b32 vcc_lo, exec_lo, s33
	s_wait_alu 0xfffe
	s_cbranch_vccnz .LBB213_32
; %bb.25:                               ;   in Loop: Header=BB213_6 Depth=1
	v_add_co_u32 v15, vcc_lo, v2, v8
	s_wait_alu 0xfffd
	v_add_co_ci_u32_e64 v16, null, v14, v9, vcc_lo
	global_load_b64 v[17:18], v[15:16], off
	s_wait_loadcnt 0x0
	v_fma_f64 v[17:18], s[24:25], v[17:18], v[12:13]
	global_store_b64 v[15:16], v[17:18], off
	s_cbranch_execnz .LBB213_27
.LBB213_26:                             ;   in Loop: Header=BB213_6 Depth=1
	v_add_co_u32 v15, vcc_lo, v2, v8
	s_wait_alu 0xfffd
	v_add_co_ci_u32_e64 v16, null, v14, v9, vcc_lo
	global_store_b64 v[15:16], v[12:13], off
.LBB213_27:                             ;   in Loop: Header=BB213_6 Depth=1
	s_wait_alu 0xfffe
	s_or_b32 exec_lo, exec_lo, s2
	s_and_saveexec_b32 s2, s4
	s_cbranch_execz .LBB213_5
; %bb.28:                               ;   in Loop: Header=BB213_6 Depth=1
	v_mul_f64_e32 v[10:11], s[10:11], v[10:11]
	v_lshlrev_b64_e32 v[12:13], 3, v[0:1]
	s_and_not1_b32 vcc_lo, exec_lo, s33
	s_wait_alu 0xfffe
	s_cbranch_vccnz .LBB213_33
; %bb.29:                               ;   in Loop: Header=BB213_6 Depth=1
	s_delay_alu instid0(VALU_DEP_1)
	v_add_co_u32 v15, vcc_lo, v2, v12
	s_wait_alu 0xfffd
	v_add_co_ci_u32_e64 v16, null, v14, v13, vcc_lo
	global_load_b64 v[17:18], v[15:16], off
	s_wait_loadcnt 0x0
	v_fma_f64 v[17:18], s[24:25], v[17:18], v[10:11]
	global_store_b64 v[15:16], v[17:18], off
	s_cbranch_execnz .LBB213_5
	s_branch .LBB213_34
.LBB213_30:                             ;   in Loop: Header=BB213_6 Depth=1
	s_branch .LBB213_18
.LBB213_31:                             ;   in Loop: Header=BB213_6 Depth=1
	s_branch .LBB213_22
.LBB213_32:                             ;   in Loop: Header=BB213_6 Depth=1
	s_branch .LBB213_26
.LBB213_33:                             ;   in Loop: Header=BB213_6 Depth=1
.LBB213_34:                             ;   in Loop: Header=BB213_6 Depth=1
	s_delay_alu instid0(VALU_DEP_1)
	v_add_co_u32 v12, vcc_lo, v2, v12
	s_wait_alu 0xfffd
	v_add_co_ci_u32_e64 v13, null, v14, v13, vcc_lo
	global_store_b64 v[12:13], v[10:11], off
	s_branch .LBB213_5
.LBB213_35:
	s_endpgm
	.section	.rodata,"a",@progbits
	.p2align	6, 0x0
	.amdhsa_kernel _ZL29rocblas_internal_gemmt_kernelIlLi16ELi32ELi8ELc67ELc78ELc76ELb0ELb0EddPKdPdEviT_T9_T10_S3_lS5_S3_lS4_T11_S3_li
		.amdhsa_group_segment_fixed_size 4096
		.amdhsa_private_segment_fixed_size 0
		.amdhsa_kernarg_size 108
		.amdhsa_user_sgpr_count 2
		.amdhsa_user_sgpr_dispatch_ptr 0
		.amdhsa_user_sgpr_queue_ptr 0
		.amdhsa_user_sgpr_kernarg_segment_ptr 1
		.amdhsa_user_sgpr_dispatch_id 0
		.amdhsa_user_sgpr_private_segment_size 0
		.amdhsa_wavefront_size32 1
		.amdhsa_uses_dynamic_stack 0
		.amdhsa_enable_private_segment 0
		.amdhsa_system_sgpr_workgroup_id_x 1
		.amdhsa_system_sgpr_workgroup_id_y 1
		.amdhsa_system_sgpr_workgroup_id_z 1
		.amdhsa_system_sgpr_workgroup_info 0
		.amdhsa_system_vgpr_workitem_id 1
		.amdhsa_next_free_vgpr 52
		.amdhsa_next_free_sgpr 35
		.amdhsa_reserve_vcc 1
		.amdhsa_float_round_mode_32 0
		.amdhsa_float_round_mode_16_64 0
		.amdhsa_float_denorm_mode_32 3
		.amdhsa_float_denorm_mode_16_64 3
		.amdhsa_fp16_overflow 0
		.amdhsa_workgroup_processor_mode 1
		.amdhsa_memory_ordered 1
		.amdhsa_forward_progress 1
		.amdhsa_inst_pref_size 16
		.amdhsa_round_robin_scheduling 0
		.amdhsa_exception_fp_ieee_invalid_op 0
		.amdhsa_exception_fp_denorm_src 0
		.amdhsa_exception_fp_ieee_div_zero 0
		.amdhsa_exception_fp_ieee_overflow 0
		.amdhsa_exception_fp_ieee_underflow 0
		.amdhsa_exception_fp_ieee_inexact 0
		.amdhsa_exception_int_div_zero 0
	.end_amdhsa_kernel
	.section	.text._ZL29rocblas_internal_gemmt_kernelIlLi16ELi32ELi8ELc67ELc78ELc76ELb0ELb0EddPKdPdEviT_T9_T10_S3_lS5_S3_lS4_T11_S3_li,"axG",@progbits,_ZL29rocblas_internal_gemmt_kernelIlLi16ELi32ELi8ELc67ELc78ELc76ELb0ELb0EddPKdPdEviT_T9_T10_S3_lS5_S3_lS4_T11_S3_li,comdat
.Lfunc_end213:
	.size	_ZL29rocblas_internal_gemmt_kernelIlLi16ELi32ELi8ELc67ELc78ELc76ELb0ELb0EddPKdPdEviT_T9_T10_S3_lS5_S3_lS4_T11_S3_li, .Lfunc_end213-_ZL29rocblas_internal_gemmt_kernelIlLi16ELi32ELi8ELc67ELc78ELc76ELb0ELb0EddPKdPdEviT_T9_T10_S3_lS5_S3_lS4_T11_S3_li
                                        ; -- End function
	.set _ZL29rocblas_internal_gemmt_kernelIlLi16ELi32ELi8ELc67ELc78ELc76ELb0ELb0EddPKdPdEviT_T9_T10_S3_lS5_S3_lS4_T11_S3_li.num_vgpr, 52
	.set _ZL29rocblas_internal_gemmt_kernelIlLi16ELi32ELi8ELc67ELc78ELc76ELb0ELb0EddPKdPdEviT_T9_T10_S3_lS5_S3_lS4_T11_S3_li.num_agpr, 0
	.set _ZL29rocblas_internal_gemmt_kernelIlLi16ELi32ELi8ELc67ELc78ELc76ELb0ELb0EddPKdPdEviT_T9_T10_S3_lS5_S3_lS4_T11_S3_li.numbered_sgpr, 35
	.set _ZL29rocblas_internal_gemmt_kernelIlLi16ELi32ELi8ELc67ELc78ELc76ELb0ELb0EddPKdPdEviT_T9_T10_S3_lS5_S3_lS4_T11_S3_li.num_named_barrier, 0
	.set _ZL29rocblas_internal_gemmt_kernelIlLi16ELi32ELi8ELc67ELc78ELc76ELb0ELb0EddPKdPdEviT_T9_T10_S3_lS5_S3_lS4_T11_S3_li.private_seg_size, 0
	.set _ZL29rocblas_internal_gemmt_kernelIlLi16ELi32ELi8ELc67ELc78ELc76ELb0ELb0EddPKdPdEviT_T9_T10_S3_lS5_S3_lS4_T11_S3_li.uses_vcc, 1
	.set _ZL29rocblas_internal_gemmt_kernelIlLi16ELi32ELi8ELc67ELc78ELc76ELb0ELb0EddPKdPdEviT_T9_T10_S3_lS5_S3_lS4_T11_S3_li.uses_flat_scratch, 0
	.set _ZL29rocblas_internal_gemmt_kernelIlLi16ELi32ELi8ELc67ELc78ELc76ELb0ELb0EddPKdPdEviT_T9_T10_S3_lS5_S3_lS4_T11_S3_li.has_dyn_sized_stack, 0
	.set _ZL29rocblas_internal_gemmt_kernelIlLi16ELi32ELi8ELc67ELc78ELc76ELb0ELb0EddPKdPdEviT_T9_T10_S3_lS5_S3_lS4_T11_S3_li.has_recursion, 0
	.set _ZL29rocblas_internal_gemmt_kernelIlLi16ELi32ELi8ELc67ELc78ELc76ELb0ELb0EddPKdPdEviT_T9_T10_S3_lS5_S3_lS4_T11_S3_li.has_indirect_call, 0
	.section	.AMDGPU.csdata,"",@progbits
; Kernel info:
; codeLenInByte = 2036
; TotalNumSgprs: 37
; NumVgprs: 52
; ScratchSize: 0
; MemoryBound: 0
; FloatMode: 240
; IeeeMode: 1
; LDSByteSize: 4096 bytes/workgroup (compile time only)
; SGPRBlocks: 0
; VGPRBlocks: 6
; NumSGPRsForWavesPerEU: 37
; NumVGPRsForWavesPerEU: 52
; Occupancy: 16
; WaveLimiterHint : 0
; COMPUTE_PGM_RSRC2:SCRATCH_EN: 0
; COMPUTE_PGM_RSRC2:USER_SGPR: 2
; COMPUTE_PGM_RSRC2:TRAP_HANDLER: 0
; COMPUTE_PGM_RSRC2:TGID_X_EN: 1
; COMPUTE_PGM_RSRC2:TGID_Y_EN: 1
; COMPUTE_PGM_RSRC2:TGID_Z_EN: 1
; COMPUTE_PGM_RSRC2:TIDIG_COMP_CNT: 1
	.section	.text._ZL29rocblas_internal_gemmt_kernelIlLi16ELi32ELi8ELc67ELc84ELc76ELb0ELb0EddPKdPdEviT_T9_T10_S3_lS5_S3_lS4_T11_S3_li,"axG",@progbits,_ZL29rocblas_internal_gemmt_kernelIlLi16ELi32ELi8ELc67ELc84ELc76ELb0ELb0EddPKdPdEviT_T9_T10_S3_lS5_S3_lS4_T11_S3_li,comdat
	.globl	_ZL29rocblas_internal_gemmt_kernelIlLi16ELi32ELi8ELc67ELc84ELc76ELb0ELb0EddPKdPdEviT_T9_T10_S3_lS5_S3_lS4_T11_S3_li ; -- Begin function _ZL29rocblas_internal_gemmt_kernelIlLi16ELi32ELi8ELc67ELc84ELc76ELb0ELb0EddPKdPdEviT_T9_T10_S3_lS5_S3_lS4_T11_S3_li
	.p2align	8
	.type	_ZL29rocblas_internal_gemmt_kernelIlLi16ELi32ELi8ELc67ELc84ELc76ELb0ELb0EddPKdPdEviT_T9_T10_S3_lS5_S3_lS4_T11_S3_li,@function
_ZL29rocblas_internal_gemmt_kernelIlLi16ELi32ELi8ELc67ELc84ELc76ELb0ELb0EddPKdPdEviT_T9_T10_S3_lS5_S3_lS4_T11_S3_li: ; @_ZL29rocblas_internal_gemmt_kernelIlLi16ELi32ELi8ELc67ELc84ELc76ELb0ELb0EddPKdPdEviT_T9_T10_S3_lS5_S3_lS4_T11_S3_li
; %bb.0:
	s_clause 0x1
	s_load_b256 s[24:31], s[0:1], 0x48
	s_load_b512 s[8:23], s[0:1], 0x8
	s_wait_kmcnt 0x0
	v_cmp_neq_f64_e64 s2, s[24:25], 1.0
	s_and_b32 vcc_lo, exec_lo, s2
	s_cbranch_vccnz .LBB214_2
; %bb.1:
	v_cmp_neq_f64_e64 s2, s[10:11], 0
	s_cmp_lg_u64 s[8:9], 0
	s_cselect_b32 s3, -1, 0
	s_delay_alu instid0(SALU_CYCLE_1)
	s_and_b32 s2, s3, s2
.LBB214_2:
	s_delay_alu instid0(SALU_CYCLE_1)
	s_and_not1_b32 vcc_lo, exec_lo, s2
	s_cbranch_vccnz .LBB214_35
; %bb.3:
	s_load_b32 s5, s[0:1], 0x68
	s_lshr_b32 s6, ttmp7, 16
	s_wait_kmcnt 0x0
	s_cmp_ge_u32 s6, s5
	s_cbranch_scc1 .LBB214_35
; %bb.4:
	v_and_b32_e32 v9, 0x3ff, v0
	v_bfe_u32 v12, v0, 10, 10
	v_dual_mov_b32 v1, 0 :: v_dual_and_b32 v22, 7, v0
	s_load_b32 s4, s[0:1], 0x0
	s_lshl_b32 s2, ttmp9, 5
	s_delay_alu instid0(VALU_DEP_2)
	v_lshl_add_u32 v4, v12, 4, v9
	s_lshl_b32 s0, ttmp7, 5
	v_lshlrev_b32_e32 v8, 3, v22
	s_and_b32 s0, s0, 0x1fffe0
	s_ashr_i32 s1, s2, 31
	v_and_b32_e32 v0, 31, v4
	v_add_nc_u32_e32 v13, s0, v12
	v_lshrrev_b32_e32 v10, 3, v4
	v_cmp_neq_f64_e64 s7, s[10:11], 0
	s_mul_i32 s1, s14, s1
	v_or_b32_e32 v6, s2, v0
	v_cmp_neq_f64_e64 s33, s[24:25], 0
	v_lshrrev_b32_e32 v23, 5, v4
	v_mad_co_u64_u32 v[4:5], null, s28, v13, 0
	s_delay_alu instid0(VALU_DEP_4)
	v_mul_lo_u32 v7, s15, v6
	v_mad_co_u64_u32 v[2:3], null, s14, v6, 0
	v_add_nc_u32_e32 v14, 16, v13
	v_lshl_or_b32 v8, v10, 6, v8
	v_lshlrev_b32_e32 v0, 3, v0
	v_cmp_gt_i64_e64 s34, s[8:9], 0
	v_lshl_add_u32 v31, v12, 6, 0x800
	s_wait_alu 0xfffe
	v_add3_u32 v3, v3, s1, v7
	v_add_nc_u32_e32 v7, s0, v10
	s_wait_kmcnt 0x0
	v_cmp_gt_i32_e64 s0, s4, v6
	v_add_nc_u32_e32 v25, 0x800, v8
	v_lshl_or_b32 v24, v23, 8, v0
	v_mov_b32_e32 v0, v5
	v_cmp_gt_i32_e64 s1, s4, v7
	v_lshlrev_b32_e32 v8, 3, v7
	v_mad_co_u64_u32 v[6:7], null, s28, v14, 0
	v_lshlrev_b32_e32 v30, 3, v9
	v_lshlrev_b64_e32 v[2:3], 3, v[2:3]
	s_delay_alu instid0(VALU_DEP_4) | instskip(SKIP_4) | instid1(VALU_DEP_4)
	v_add_co_u32 v28, s3, s18, v8
	v_add_nc_u32_e32 v8, s2, v9
	v_mad_co_u64_u32 v[9:10], null, s29, v13, v[0:1]
	v_mov_b32_e32 v0, v7
	v_add_co_u32 v26, vcc_lo, s12, v2
	v_add_nc_u32_e32 v2, 16, v8
	v_add_co_ci_u32_e64 v27, null, s13, v3, vcc_lo
	s_delay_alu instid0(VALU_DEP_4)
	v_mad_co_u64_u32 v[10:11], null, s29, v14, v[0:1]
	s_wait_alu 0xf1ff
	v_add_co_ci_u32_e64 v29, null, s19, 0, s3
	v_cmp_le_i32_e32 vcc_lo, v13, v8
	v_cmp_gt_i32_e64 s2, s4, v8
	v_cmp_le_i32_e64 s3, v13, v2
	v_cmp_gt_i32_e64 s4, s4, v2
	v_mov_b32_e32 v5, v9
	v_ashrrev_i32_e32 v9, 31, v8
	v_mov_b32_e32 v7, v10
	s_and_b32 s12, vcc_lo, s2
	s_and_b32 s13, s3, s4
	v_cmp_le_i32_e32 vcc_lo, v14, v8
	v_cmp_le_i32_e64 s3, v14, v2
	v_lshlrev_b64_e32 v[4:5], 3, v[4:5]
	v_lshlrev_b64_e32 v[6:7], 3, v[6:7]
	;; [unrolled: 1-line block ×3, first 2 shown]
	v_ashrrev_i32_e32 v3, 31, v2
	s_and_b32 s14, s7, s34
	s_and_b32 s15, vcc_lo, s2
	s_and_b32 s4, s3, s4
	s_mov_b32 s7, 0
	s_branch .LBB214_6
.LBB214_5:                              ;   in Loop: Header=BB214_6 Depth=1
	s_wait_alu 0xfffe
	s_or_b32 exec_lo, exec_lo, s2
	s_add_co_i32 s6, s6, 0x10000
	s_delay_alu instid0(SALU_CYCLE_1)
	s_cmp_lt_u32 s6, s5
	s_cbranch_scc0 .LBB214_35
.LBB214_6:                              ; =>This Loop Header: Depth=1
                                        ;     Child Loop BB214_9 Depth 2
	v_mov_b32_e32 v16, 0
	v_dual_mov_b32 v12, 0 :: v_dual_mov_b32 v17, 0
	v_dual_mov_b32 v14, 0 :: v_dual_mov_b32 v13, 0
	;; [unrolled: 1-line block ×3, first 2 shown]
	v_mov_b32_e32 v11, 0
	s_wait_alu 0xfffe
	s_and_not1_b32 vcc_lo, exec_lo, s14
	s_wait_alu 0xfffe
	s_cbranch_vccnz .LBB214_15
; %bb.7:                                ;   in Loop: Header=BB214_6 Depth=1
	s_mul_u64 s[2:3], s[16:17], s[6:7]
	s_mul_u64 s[18:19], s[22:23], s[6:7]
	s_wait_alu 0xfffe
	s_lshl_b64 s[2:3], s[2:3], 3
	v_mov_b32_e32 v10, 0
	s_wait_alu 0xfffe
	v_add_co_u32 v32, vcc_lo, v26, s2
	s_wait_alu 0xfffd
	v_add_co_ci_u32_e64 v33, null, s3, v27, vcc_lo
	s_lshl_b64 s[2:3], s[18:19], 3
	v_mov_b32_e32 v14, 0
	s_wait_alu 0xfffe
	v_add_co_u32 v34, vcc_lo, v28, s2
	v_dual_mov_b32 v11, 0 :: v_dual_mov_b32 v12, 0
	v_dual_mov_b32 v15, 0 :: v_dual_mov_b32 v16, 0
	v_mov_b32_e32 v13, 0
	v_mov_b32_e32 v17, 0
	s_wait_alu 0xfffd
	v_add_co_ci_u32_e64 v35, null, s3, v29, vcc_lo
	s_mov_b64 s[2:3], 0
	s_branch .LBB214_9
.LBB214_8:                              ;   in Loop: Header=BB214_9 Depth=2
	s_wait_alu 0xfffe
	s_or_b32 exec_lo, exec_lo, s18
	s_wait_loadcnt 0x0
	ds_store_b64 v25, v[20:21]
	s_wait_dscnt 0x0
	s_barrier_signal -1
	s_barrier_wait -1
	global_inv scope:SCOPE_SE
	ds_load_b128 v[18:21], v31
	ds_load_2addr_b64 v[36:39], v30 offset1:16
	ds_load_b128 v[40:43], v31 offset:1024
	ds_load_b128 v[44:47], v31 offset:16
	;; [unrolled: 1-line block ×3, first 2 shown]
	s_add_nc_u64 s[2:3], s[2:3], 8
	s_wait_alu 0xfffe
	v_cmp_gt_i64_e64 s18, s[8:9], s[2:3]
	s_and_b32 vcc_lo, exec_lo, s18
	s_wait_dscnt 0x3
	v_fma_f64 v[16:17], v[36:37], v[18:19], v[16:17]
	v_fma_f64 v[14:15], v[38:39], v[18:19], v[14:15]
	s_wait_dscnt 0x2
	v_fma_f64 v[18:19], v[36:37], v[40:41], v[12:13]
	v_fma_f64 v[36:37], v[38:39], v[40:41], v[10:11]
	ds_load_2addr_b64 v[10:13], v30 offset0:32 offset1:48
	s_wait_dscnt 0x0
	v_fma_f64 v[16:17], v[10:11], v[20:21], v[16:17]
	v_fma_f64 v[14:15], v[12:13], v[20:21], v[14:15]
	v_fma_f64 v[18:19], v[10:11], v[42:43], v[18:19]
	v_fma_f64 v[20:21], v[12:13], v[42:43], v[36:37]
	ds_load_2addr_b64 v[10:13], v30 offset0:64 offset1:80
	s_wait_dscnt 0x0
	v_fma_f64 v[16:17], v[10:11], v[44:45], v[16:17]
	v_fma_f64 v[14:15], v[12:13], v[44:45], v[14:15]
	;; [unrolled: 6-line block ×3, first 2 shown]
	v_fma_f64 v[48:49], v[10:11], v[50:51], v[18:19]
	v_fma_f64 v[50:51], v[12:13], v[50:51], v[20:21]
	ds_load_b128 v[10:13], v31 offset:32
	ds_load_2addr_b64 v[14:17], v30 offset0:128 offset1:144
	ds_load_b128 v[18:21], v31 offset:1056
	ds_load_b128 v[36:39], v31 offset:48
	;; [unrolled: 1-line block ×3, first 2 shown]
	s_wait_dscnt 0x3
	v_fma_f64 v[44:45], v[14:15], v[10:11], v[44:45]
	v_fma_f64 v[10:11], v[16:17], v[10:11], v[46:47]
	s_wait_dscnt 0x2
	v_fma_f64 v[46:47], v[14:15], v[18:19], v[48:49]
	v_fma_f64 v[18:19], v[16:17], v[18:19], v[50:51]
	ds_load_2addr_b64 v[14:17], v30 offset0:160 offset1:176
	s_wait_dscnt 0x0
	v_fma_f64 v[44:45], v[14:15], v[12:13], v[44:45]
	v_fma_f64 v[48:49], v[16:17], v[12:13], v[10:11]
	;; [unrolled: 1-line block ×4, first 2 shown]
	ds_load_2addr_b64 v[10:13], v30 offset0:192 offset1:208
	ds_load_2addr_b64 v[18:21], v30 offset0:224 offset1:240
	s_wait_loadcnt_dscnt 0x0
	s_barrier_signal -1
	s_barrier_wait -1
	global_inv scope:SCOPE_SE
	v_fma_f64 v[44:45], v[10:11], v[36:37], v[44:45]
	v_fma_f64 v[36:37], v[12:13], v[36:37], v[48:49]
	;; [unrolled: 1-line block ×4, first 2 shown]
	s_delay_alu instid0(VALU_DEP_4) | instskip(NEXT) | instid1(VALU_DEP_4)
	v_fma_f64 v[16:17], v[18:19], v[38:39], v[44:45]
	v_fma_f64 v[14:15], v[20:21], v[38:39], v[36:37]
	s_delay_alu instid0(VALU_DEP_4) | instskip(NEXT) | instid1(VALU_DEP_4)
	v_fma_f64 v[12:13], v[18:19], v[42:43], v[10:11]
	v_fma_f64 v[10:11], v[20:21], v[42:43], v[40:41]
	s_wait_alu 0xfffe
	s_cbranch_vccz .LBB214_15
.LBB214_9:                              ;   Parent Loop BB214_6 Depth=1
                                        ; =>  This Inner Loop Header: Depth=2
	v_mov_b32_e32 v18, 0
	v_mov_b32_e32 v19, 0
	s_and_saveexec_b32 s18, s0
	s_cbranch_execz .LBB214_13
; %bb.10:                               ;   in Loop: Header=BB214_9 Depth=2
	v_mov_b32_e32 v18, 0
	s_wait_alu 0xfffe
	v_dual_mov_b32 v19, 0 :: v_dual_add_nc_u32 v0, s2, v23
	s_mov_b32 s19, exec_lo
	s_delay_alu instid0(VALU_DEP_1)
	v_cmpx_gt_u64_e64 s[8:9], v[0:1]
	s_cbranch_execz .LBB214_12
; %bb.11:                               ;   in Loop: Header=BB214_9 Depth=2
	v_lshlrev_b64_e32 v[18:19], 3, v[0:1]
	s_delay_alu instid0(VALU_DEP_1) | instskip(SKIP_1) | instid1(VALU_DEP_2)
	v_add_co_u32 v18, vcc_lo, v32, v18
	s_wait_alu 0xfffd
	v_add_co_ci_u32_e64 v19, null, v33, v19, vcc_lo
	global_load_b64 v[18:19], v[18:19], off
.LBB214_12:                             ;   in Loop: Header=BB214_9 Depth=2
	s_wait_alu 0xfffe
	s_or_b32 exec_lo, exec_lo, s19
.LBB214_13:                             ;   in Loop: Header=BB214_9 Depth=2
	s_wait_alu 0xfffe
	s_or_b32 exec_lo, exec_lo, s18
	v_add_nc_u32_e32 v0, s2, v22
	v_mov_b32_e32 v20, 0
	v_mov_b32_e32 v21, 0
	s_wait_loadcnt 0x0
	ds_store_b64 v24, v[18:19]
	v_cmp_gt_u64_e32 vcc_lo, s[8:9], v[0:1]
	s_and_b32 s19, vcc_lo, s1
	s_wait_alu 0xfffe
	s_and_saveexec_b32 s18, s19
	s_cbranch_execz .LBB214_8
; %bb.14:                               ;   in Loop: Header=BB214_9 Depth=2
	v_mad_co_u64_u32 v[18:19], null, s20, v0, 0
	s_delay_alu instid0(VALU_DEP_1) | instskip(NEXT) | instid1(VALU_DEP_1)
	v_mad_co_u64_u32 v[19:20], null, s21, v0, v[19:20]
	v_lshlrev_b64_e32 v[18:19], 3, v[18:19]
	s_delay_alu instid0(VALU_DEP_1) | instskip(SKIP_1) | instid1(VALU_DEP_2)
	v_add_co_u32 v18, vcc_lo, v34, v18
	s_wait_alu 0xfffd
	v_add_co_ci_u32_e64 v19, null, v35, v19, vcc_lo
	global_load_b64 v[20:21], v[18:19], off
	s_branch .LBB214_8
.LBB214_15:                             ;   in Loop: Header=BB214_6 Depth=1
	s_mul_u64 s[2:3], s[30:31], s[6:7]
	s_wait_alu 0xfffe
	s_lshl_b64 s[2:3], s[2:3], 3
	s_wait_alu 0xfffe
	s_add_nc_u64 s[2:3], s[26:27], s[2:3]
	s_wait_alu 0xfffe
	v_add_co_u32 v0, vcc_lo, s2, v4
	s_wait_alu 0xfffd
	v_add_co_ci_u32_e64 v18, null, s3, v5, vcc_lo
	s_and_saveexec_b32 s18, s12
	s_cbranch_execz .LBB214_19
; %bb.16:                               ;   in Loop: Header=BB214_6 Depth=1
	v_mul_f64_e32 v[16:17], s[10:11], v[16:17]
	s_and_b32 vcc_lo, exec_lo, s33
	s_wait_alu 0xfffe
	s_cbranch_vccz .LBB214_30
; %bb.17:                               ;   in Loop: Header=BB214_6 Depth=1
	v_add_co_u32 v19, vcc_lo, v0, v8
	s_wait_alu 0xfffd
	v_add_co_ci_u32_e64 v20, null, v18, v9, vcc_lo
	global_load_b64 v[32:33], v[19:20], off
	s_wait_loadcnt 0x0
	v_fma_f64 v[32:33], s[24:25], v[32:33], v[16:17]
	global_store_b64 v[19:20], v[32:33], off
	s_cbranch_execnz .LBB214_19
.LBB214_18:                             ;   in Loop: Header=BB214_6 Depth=1
	v_add_co_u32 v19, vcc_lo, v0, v8
	s_wait_alu 0xfffd
	v_add_co_ci_u32_e64 v20, null, v18, v9, vcc_lo
	global_store_b64 v[19:20], v[16:17], off
.LBB214_19:                             ;   in Loop: Header=BB214_6 Depth=1
	s_wait_alu 0xfffe
	s_or_b32 exec_lo, exec_lo, s18
	s_and_saveexec_b32 s18, s13
	s_cbranch_execz .LBB214_23
; %bb.20:                               ;   in Loop: Header=BB214_6 Depth=1
	v_mul_f64_e32 v[14:15], s[10:11], v[14:15]
	s_and_not1_b32 vcc_lo, exec_lo, s33
	s_wait_alu 0xfffe
	s_cbranch_vccnz .LBB214_31
; %bb.21:                               ;   in Loop: Header=BB214_6 Depth=1
	v_lshlrev_b64_e32 v[16:17], 3, v[2:3]
	s_delay_alu instid0(VALU_DEP_1) | instskip(SKIP_1) | instid1(VALU_DEP_2)
	v_add_co_u32 v16, vcc_lo, v0, v16
	s_wait_alu 0xfffd
	v_add_co_ci_u32_e64 v17, null, v18, v17, vcc_lo
	global_load_b64 v[19:20], v[16:17], off
	s_wait_loadcnt 0x0
	v_fma_f64 v[19:20], s[24:25], v[19:20], v[14:15]
	global_store_b64 v[16:17], v[19:20], off
	s_cbranch_execnz .LBB214_23
.LBB214_22:                             ;   in Loop: Header=BB214_6 Depth=1
	v_lshlrev_b64_e32 v[16:17], 3, v[2:3]
	s_delay_alu instid0(VALU_DEP_1) | instskip(SKIP_1) | instid1(VALU_DEP_2)
	v_add_co_u32 v16, vcc_lo, v0, v16
	s_wait_alu 0xfffd
	v_add_co_ci_u32_e64 v17, null, v18, v17, vcc_lo
	global_store_b64 v[16:17], v[14:15], off
.LBB214_23:                             ;   in Loop: Header=BB214_6 Depth=1
	s_wait_alu 0xfffe
	s_or_b32 exec_lo, exec_lo, s18
	v_add_co_u32 v0, vcc_lo, s2, v6
	s_wait_alu 0xfffd
	v_add_co_ci_u32_e64 v14, null, s3, v7, vcc_lo
	s_and_saveexec_b32 s2, s15
	s_cbranch_execz .LBB214_27
; %bb.24:                               ;   in Loop: Header=BB214_6 Depth=1
	v_mul_f64_e32 v[12:13], s[10:11], v[12:13]
	s_and_not1_b32 vcc_lo, exec_lo, s33
	s_wait_alu 0xfffe
	s_cbranch_vccnz .LBB214_32
; %bb.25:                               ;   in Loop: Header=BB214_6 Depth=1
	v_add_co_u32 v15, vcc_lo, v0, v8
	s_wait_alu 0xfffd
	v_add_co_ci_u32_e64 v16, null, v14, v9, vcc_lo
	global_load_b64 v[17:18], v[15:16], off
	s_wait_loadcnt 0x0
	v_fma_f64 v[17:18], s[24:25], v[17:18], v[12:13]
	global_store_b64 v[15:16], v[17:18], off
	s_cbranch_execnz .LBB214_27
.LBB214_26:                             ;   in Loop: Header=BB214_6 Depth=1
	v_add_co_u32 v15, vcc_lo, v0, v8
	s_wait_alu 0xfffd
	v_add_co_ci_u32_e64 v16, null, v14, v9, vcc_lo
	global_store_b64 v[15:16], v[12:13], off
.LBB214_27:                             ;   in Loop: Header=BB214_6 Depth=1
	s_wait_alu 0xfffe
	s_or_b32 exec_lo, exec_lo, s2
	s_and_saveexec_b32 s2, s4
	s_cbranch_execz .LBB214_5
; %bb.28:                               ;   in Loop: Header=BB214_6 Depth=1
	v_mul_f64_e32 v[10:11], s[10:11], v[10:11]
	v_lshlrev_b64_e32 v[12:13], 3, v[2:3]
	s_and_not1_b32 vcc_lo, exec_lo, s33
	s_wait_alu 0xfffe
	s_cbranch_vccnz .LBB214_33
; %bb.29:                               ;   in Loop: Header=BB214_6 Depth=1
	s_delay_alu instid0(VALU_DEP_1)
	v_add_co_u32 v15, vcc_lo, v0, v12
	s_wait_alu 0xfffd
	v_add_co_ci_u32_e64 v16, null, v14, v13, vcc_lo
	global_load_b64 v[17:18], v[15:16], off
	s_wait_loadcnt 0x0
	v_fma_f64 v[17:18], s[24:25], v[17:18], v[10:11]
	global_store_b64 v[15:16], v[17:18], off
	s_cbranch_execnz .LBB214_5
	s_branch .LBB214_34
.LBB214_30:                             ;   in Loop: Header=BB214_6 Depth=1
	s_branch .LBB214_18
.LBB214_31:                             ;   in Loop: Header=BB214_6 Depth=1
	s_branch .LBB214_22
.LBB214_32:                             ;   in Loop: Header=BB214_6 Depth=1
	s_branch .LBB214_26
.LBB214_33:                             ;   in Loop: Header=BB214_6 Depth=1
.LBB214_34:                             ;   in Loop: Header=BB214_6 Depth=1
	s_delay_alu instid0(VALU_DEP_1)
	v_add_co_u32 v12, vcc_lo, v0, v12
	s_wait_alu 0xfffd
	v_add_co_ci_u32_e64 v13, null, v14, v13, vcc_lo
	global_store_b64 v[12:13], v[10:11], off
	s_branch .LBB214_5
.LBB214_35:
	s_endpgm
	.section	.rodata,"a",@progbits
	.p2align	6, 0x0
	.amdhsa_kernel _ZL29rocblas_internal_gemmt_kernelIlLi16ELi32ELi8ELc67ELc84ELc76ELb0ELb0EddPKdPdEviT_T9_T10_S3_lS5_S3_lS4_T11_S3_li
		.amdhsa_group_segment_fixed_size 4096
		.amdhsa_private_segment_fixed_size 0
		.amdhsa_kernarg_size 108
		.amdhsa_user_sgpr_count 2
		.amdhsa_user_sgpr_dispatch_ptr 0
		.amdhsa_user_sgpr_queue_ptr 0
		.amdhsa_user_sgpr_kernarg_segment_ptr 1
		.amdhsa_user_sgpr_dispatch_id 0
		.amdhsa_user_sgpr_private_segment_size 0
		.amdhsa_wavefront_size32 1
		.amdhsa_uses_dynamic_stack 0
		.amdhsa_enable_private_segment 0
		.amdhsa_system_sgpr_workgroup_id_x 1
		.amdhsa_system_sgpr_workgroup_id_y 1
		.amdhsa_system_sgpr_workgroup_id_z 1
		.amdhsa_system_sgpr_workgroup_info 0
		.amdhsa_system_vgpr_workitem_id 1
		.amdhsa_next_free_vgpr 52
		.amdhsa_next_free_sgpr 35
		.amdhsa_reserve_vcc 1
		.amdhsa_float_round_mode_32 0
		.amdhsa_float_round_mode_16_64 0
		.amdhsa_float_denorm_mode_32 3
		.amdhsa_float_denorm_mode_16_64 3
		.amdhsa_fp16_overflow 0
		.amdhsa_workgroup_processor_mode 1
		.amdhsa_memory_ordered 1
		.amdhsa_forward_progress 1
		.amdhsa_inst_pref_size 16
		.amdhsa_round_robin_scheduling 0
		.amdhsa_exception_fp_ieee_invalid_op 0
		.amdhsa_exception_fp_denorm_src 0
		.amdhsa_exception_fp_ieee_div_zero 0
		.amdhsa_exception_fp_ieee_overflow 0
		.amdhsa_exception_fp_ieee_underflow 0
		.amdhsa_exception_fp_ieee_inexact 0
		.amdhsa_exception_int_div_zero 0
	.end_amdhsa_kernel
	.section	.text._ZL29rocblas_internal_gemmt_kernelIlLi16ELi32ELi8ELc67ELc84ELc76ELb0ELb0EddPKdPdEviT_T9_T10_S3_lS5_S3_lS4_T11_S3_li,"axG",@progbits,_ZL29rocblas_internal_gemmt_kernelIlLi16ELi32ELi8ELc67ELc84ELc76ELb0ELb0EddPKdPdEviT_T9_T10_S3_lS5_S3_lS4_T11_S3_li,comdat
.Lfunc_end214:
	.size	_ZL29rocblas_internal_gemmt_kernelIlLi16ELi32ELi8ELc67ELc84ELc76ELb0ELb0EddPKdPdEviT_T9_T10_S3_lS5_S3_lS4_T11_S3_li, .Lfunc_end214-_ZL29rocblas_internal_gemmt_kernelIlLi16ELi32ELi8ELc67ELc84ELc76ELb0ELb0EddPKdPdEviT_T9_T10_S3_lS5_S3_lS4_T11_S3_li
                                        ; -- End function
	.set _ZL29rocblas_internal_gemmt_kernelIlLi16ELi32ELi8ELc67ELc84ELc76ELb0ELb0EddPKdPdEviT_T9_T10_S3_lS5_S3_lS4_T11_S3_li.num_vgpr, 52
	.set _ZL29rocblas_internal_gemmt_kernelIlLi16ELi32ELi8ELc67ELc84ELc76ELb0ELb0EddPKdPdEviT_T9_T10_S3_lS5_S3_lS4_T11_S3_li.num_agpr, 0
	.set _ZL29rocblas_internal_gemmt_kernelIlLi16ELi32ELi8ELc67ELc84ELc76ELb0ELb0EddPKdPdEviT_T9_T10_S3_lS5_S3_lS4_T11_S3_li.numbered_sgpr, 35
	.set _ZL29rocblas_internal_gemmt_kernelIlLi16ELi32ELi8ELc67ELc84ELc76ELb0ELb0EddPKdPdEviT_T9_T10_S3_lS5_S3_lS4_T11_S3_li.num_named_barrier, 0
	.set _ZL29rocblas_internal_gemmt_kernelIlLi16ELi32ELi8ELc67ELc84ELc76ELb0ELb0EddPKdPdEviT_T9_T10_S3_lS5_S3_lS4_T11_S3_li.private_seg_size, 0
	.set _ZL29rocblas_internal_gemmt_kernelIlLi16ELi32ELi8ELc67ELc84ELc76ELb0ELb0EddPKdPdEviT_T9_T10_S3_lS5_S3_lS4_T11_S3_li.uses_vcc, 1
	.set _ZL29rocblas_internal_gemmt_kernelIlLi16ELi32ELi8ELc67ELc84ELc76ELb0ELb0EddPKdPdEviT_T9_T10_S3_lS5_S3_lS4_T11_S3_li.uses_flat_scratch, 0
	.set _ZL29rocblas_internal_gemmt_kernelIlLi16ELi32ELi8ELc67ELc84ELc76ELb0ELb0EddPKdPdEviT_T9_T10_S3_lS5_S3_lS4_T11_S3_li.has_dyn_sized_stack, 0
	.set _ZL29rocblas_internal_gemmt_kernelIlLi16ELi32ELi8ELc67ELc84ELc76ELb0ELb0EddPKdPdEviT_T9_T10_S3_lS5_S3_lS4_T11_S3_li.has_recursion, 0
	.set _ZL29rocblas_internal_gemmt_kernelIlLi16ELi32ELi8ELc67ELc84ELc76ELb0ELb0EddPKdPdEviT_T9_T10_S3_lS5_S3_lS4_T11_S3_li.has_indirect_call, 0
	.section	.AMDGPU.csdata,"",@progbits
; Kernel info:
; codeLenInByte = 2040
; TotalNumSgprs: 37
; NumVgprs: 52
; ScratchSize: 0
; MemoryBound: 0
; FloatMode: 240
; IeeeMode: 1
; LDSByteSize: 4096 bytes/workgroup (compile time only)
; SGPRBlocks: 0
; VGPRBlocks: 6
; NumSGPRsForWavesPerEU: 37
; NumVGPRsForWavesPerEU: 52
; Occupancy: 16
; WaveLimiterHint : 0
; COMPUTE_PGM_RSRC2:SCRATCH_EN: 0
; COMPUTE_PGM_RSRC2:USER_SGPR: 2
; COMPUTE_PGM_RSRC2:TRAP_HANDLER: 0
; COMPUTE_PGM_RSRC2:TGID_X_EN: 1
; COMPUTE_PGM_RSRC2:TGID_Y_EN: 1
; COMPUTE_PGM_RSRC2:TGID_Z_EN: 1
; COMPUTE_PGM_RSRC2:TIDIG_COMP_CNT: 1
	.section	.text._ZL29rocblas_internal_gemmt_kernelIlLi16ELi32ELi8ELc67ELc67ELc76ELb0ELb0EddPKdPdEviT_T9_T10_S3_lS5_S3_lS4_T11_S3_li,"axG",@progbits,_ZL29rocblas_internal_gemmt_kernelIlLi16ELi32ELi8ELc67ELc67ELc76ELb0ELb0EddPKdPdEviT_T9_T10_S3_lS5_S3_lS4_T11_S3_li,comdat
	.globl	_ZL29rocblas_internal_gemmt_kernelIlLi16ELi32ELi8ELc67ELc67ELc76ELb0ELb0EddPKdPdEviT_T9_T10_S3_lS5_S3_lS4_T11_S3_li ; -- Begin function _ZL29rocblas_internal_gemmt_kernelIlLi16ELi32ELi8ELc67ELc67ELc76ELb0ELb0EddPKdPdEviT_T9_T10_S3_lS5_S3_lS4_T11_S3_li
	.p2align	8
	.type	_ZL29rocblas_internal_gemmt_kernelIlLi16ELi32ELi8ELc67ELc67ELc76ELb0ELb0EddPKdPdEviT_T9_T10_S3_lS5_S3_lS4_T11_S3_li,@function
_ZL29rocblas_internal_gemmt_kernelIlLi16ELi32ELi8ELc67ELc67ELc76ELb0ELb0EddPKdPdEviT_T9_T10_S3_lS5_S3_lS4_T11_S3_li: ; @_ZL29rocblas_internal_gemmt_kernelIlLi16ELi32ELi8ELc67ELc67ELc76ELb0ELb0EddPKdPdEviT_T9_T10_S3_lS5_S3_lS4_T11_S3_li
; %bb.0:
	s_clause 0x1
	s_load_b256 s[24:31], s[0:1], 0x48
	s_load_b512 s[8:23], s[0:1], 0x8
	s_wait_kmcnt 0x0
	v_cmp_neq_f64_e64 s2, s[24:25], 1.0
	s_and_b32 vcc_lo, exec_lo, s2
	s_cbranch_vccnz .LBB215_2
; %bb.1:
	v_cmp_neq_f64_e64 s2, s[10:11], 0
	s_cmp_lg_u64 s[8:9], 0
	s_cselect_b32 s3, -1, 0
	s_delay_alu instid0(SALU_CYCLE_1)
	s_and_b32 s2, s3, s2
.LBB215_2:
	s_delay_alu instid0(SALU_CYCLE_1)
	s_and_not1_b32 vcc_lo, exec_lo, s2
	s_cbranch_vccnz .LBB215_35
; %bb.3:
	s_load_b32 s5, s[0:1], 0x68
	s_lshr_b32 s6, ttmp7, 16
	s_wait_kmcnt 0x0
	s_cmp_ge_u32 s6, s5
	s_cbranch_scc1 .LBB215_35
; %bb.4:
	v_and_b32_e32 v9, 0x3ff, v0
	v_bfe_u32 v12, v0, 10, 10
	v_dual_mov_b32 v1, 0 :: v_dual_and_b32 v22, 7, v0
	s_load_b32 s4, s[0:1], 0x0
	s_lshl_b32 s2, ttmp9, 5
	s_delay_alu instid0(VALU_DEP_2)
	v_lshl_add_u32 v4, v12, 4, v9
	s_lshl_b32 s0, ttmp7, 5
	v_lshlrev_b32_e32 v8, 3, v22
	s_and_b32 s0, s0, 0x1fffe0
	s_ashr_i32 s1, s2, 31
	v_and_b32_e32 v0, 31, v4
	v_add_nc_u32_e32 v13, s0, v12
	v_lshrrev_b32_e32 v10, 3, v4
	v_cmp_neq_f64_e64 s7, s[10:11], 0
	s_mul_i32 s1, s14, s1
	v_or_b32_e32 v6, s2, v0
	v_cmp_neq_f64_e64 s33, s[24:25], 0
	v_lshrrev_b32_e32 v23, 5, v4
	v_mad_co_u64_u32 v[4:5], null, s28, v13, 0
	s_delay_alu instid0(VALU_DEP_4)
	v_mul_lo_u32 v7, s15, v6
	v_mad_co_u64_u32 v[2:3], null, s14, v6, 0
	v_add_nc_u32_e32 v14, 16, v13
	v_lshl_or_b32 v8, v10, 6, v8
	v_lshlrev_b32_e32 v0, 3, v0
	v_cmp_gt_i64_e64 s34, s[8:9], 0
	v_lshl_add_u32 v31, v12, 6, 0x800
	s_wait_alu 0xfffe
	v_add3_u32 v3, v3, s1, v7
	v_add_nc_u32_e32 v7, s0, v10
	s_wait_kmcnt 0x0
	v_cmp_gt_i32_e64 s0, s4, v6
	v_add_nc_u32_e32 v25, 0x800, v8
	v_lshl_or_b32 v24, v23, 8, v0
	v_mov_b32_e32 v0, v5
	v_cmp_gt_i32_e64 s1, s4, v7
	v_lshlrev_b32_e32 v8, 3, v7
	v_mad_co_u64_u32 v[6:7], null, s28, v14, 0
	v_lshlrev_b32_e32 v30, 3, v9
	v_lshlrev_b64_e32 v[2:3], 3, v[2:3]
	s_delay_alu instid0(VALU_DEP_4) | instskip(SKIP_4) | instid1(VALU_DEP_4)
	v_add_co_u32 v28, s3, s18, v8
	v_add_nc_u32_e32 v8, s2, v9
	v_mad_co_u64_u32 v[9:10], null, s29, v13, v[0:1]
	v_mov_b32_e32 v0, v7
	v_add_co_u32 v26, vcc_lo, s12, v2
	v_add_nc_u32_e32 v2, 16, v8
	v_add_co_ci_u32_e64 v27, null, s13, v3, vcc_lo
	s_delay_alu instid0(VALU_DEP_4)
	v_mad_co_u64_u32 v[10:11], null, s29, v14, v[0:1]
	s_wait_alu 0xf1ff
	v_add_co_ci_u32_e64 v29, null, s19, 0, s3
	v_cmp_le_i32_e32 vcc_lo, v13, v8
	v_cmp_gt_i32_e64 s2, s4, v8
	v_cmp_le_i32_e64 s3, v13, v2
	v_cmp_gt_i32_e64 s4, s4, v2
	v_mov_b32_e32 v5, v9
	v_ashrrev_i32_e32 v9, 31, v8
	v_mov_b32_e32 v7, v10
	s_and_b32 s12, vcc_lo, s2
	s_and_b32 s13, s3, s4
	v_cmp_le_i32_e32 vcc_lo, v14, v8
	v_cmp_le_i32_e64 s3, v14, v2
	v_lshlrev_b64_e32 v[4:5], 3, v[4:5]
	v_lshlrev_b64_e32 v[6:7], 3, v[6:7]
	;; [unrolled: 1-line block ×3, first 2 shown]
	v_ashrrev_i32_e32 v3, 31, v2
	s_and_b32 s14, s7, s34
	s_and_b32 s15, vcc_lo, s2
	s_and_b32 s4, s3, s4
	s_mov_b32 s7, 0
	s_branch .LBB215_6
.LBB215_5:                              ;   in Loop: Header=BB215_6 Depth=1
	s_wait_alu 0xfffe
	s_or_b32 exec_lo, exec_lo, s2
	s_add_co_i32 s6, s6, 0x10000
	s_delay_alu instid0(SALU_CYCLE_1)
	s_cmp_lt_u32 s6, s5
	s_cbranch_scc0 .LBB215_35
.LBB215_6:                              ; =>This Loop Header: Depth=1
                                        ;     Child Loop BB215_9 Depth 2
	v_mov_b32_e32 v16, 0
	v_dual_mov_b32 v12, 0 :: v_dual_mov_b32 v17, 0
	v_dual_mov_b32 v14, 0 :: v_dual_mov_b32 v13, 0
	;; [unrolled: 1-line block ×3, first 2 shown]
	v_mov_b32_e32 v11, 0
	s_wait_alu 0xfffe
	s_and_not1_b32 vcc_lo, exec_lo, s14
	s_wait_alu 0xfffe
	s_cbranch_vccnz .LBB215_15
; %bb.7:                                ;   in Loop: Header=BB215_6 Depth=1
	s_mul_u64 s[2:3], s[16:17], s[6:7]
	s_mul_u64 s[18:19], s[22:23], s[6:7]
	s_wait_alu 0xfffe
	s_lshl_b64 s[2:3], s[2:3], 3
	v_mov_b32_e32 v10, 0
	s_wait_alu 0xfffe
	v_add_co_u32 v32, vcc_lo, v26, s2
	s_wait_alu 0xfffd
	v_add_co_ci_u32_e64 v33, null, s3, v27, vcc_lo
	s_lshl_b64 s[2:3], s[18:19], 3
	v_mov_b32_e32 v14, 0
	s_wait_alu 0xfffe
	v_add_co_u32 v34, vcc_lo, v28, s2
	v_dual_mov_b32 v11, 0 :: v_dual_mov_b32 v12, 0
	v_dual_mov_b32 v15, 0 :: v_dual_mov_b32 v16, 0
	v_mov_b32_e32 v13, 0
	v_mov_b32_e32 v17, 0
	s_wait_alu 0xfffd
	v_add_co_ci_u32_e64 v35, null, s3, v29, vcc_lo
	s_mov_b64 s[2:3], 0
	s_branch .LBB215_9
.LBB215_8:                              ;   in Loop: Header=BB215_9 Depth=2
	s_wait_alu 0xfffe
	s_or_b32 exec_lo, exec_lo, s18
	s_wait_loadcnt 0x0
	ds_store_b64 v25, v[20:21]
	s_wait_dscnt 0x0
	s_barrier_signal -1
	s_barrier_wait -1
	global_inv scope:SCOPE_SE
	ds_load_b128 v[18:21], v31
	ds_load_2addr_b64 v[36:39], v30 offset1:16
	ds_load_b128 v[40:43], v31 offset:1024
	ds_load_b128 v[44:47], v31 offset:16
	;; [unrolled: 1-line block ×3, first 2 shown]
	s_add_nc_u64 s[2:3], s[2:3], 8
	s_wait_alu 0xfffe
	v_cmp_gt_i64_e64 s18, s[8:9], s[2:3]
	s_and_b32 vcc_lo, exec_lo, s18
	s_wait_dscnt 0x3
	v_fma_f64 v[16:17], v[36:37], v[18:19], v[16:17]
	v_fma_f64 v[14:15], v[38:39], v[18:19], v[14:15]
	s_wait_dscnt 0x2
	v_fma_f64 v[18:19], v[36:37], v[40:41], v[12:13]
	v_fma_f64 v[36:37], v[38:39], v[40:41], v[10:11]
	ds_load_2addr_b64 v[10:13], v30 offset0:32 offset1:48
	s_wait_dscnt 0x0
	v_fma_f64 v[16:17], v[10:11], v[20:21], v[16:17]
	v_fma_f64 v[14:15], v[12:13], v[20:21], v[14:15]
	v_fma_f64 v[18:19], v[10:11], v[42:43], v[18:19]
	v_fma_f64 v[20:21], v[12:13], v[42:43], v[36:37]
	ds_load_2addr_b64 v[10:13], v30 offset0:64 offset1:80
	s_wait_dscnt 0x0
	v_fma_f64 v[16:17], v[10:11], v[44:45], v[16:17]
	v_fma_f64 v[14:15], v[12:13], v[44:45], v[14:15]
	;; [unrolled: 6-line block ×3, first 2 shown]
	v_fma_f64 v[48:49], v[10:11], v[50:51], v[18:19]
	v_fma_f64 v[50:51], v[12:13], v[50:51], v[20:21]
	ds_load_b128 v[10:13], v31 offset:32
	ds_load_2addr_b64 v[14:17], v30 offset0:128 offset1:144
	ds_load_b128 v[18:21], v31 offset:1056
	ds_load_b128 v[36:39], v31 offset:48
	;; [unrolled: 1-line block ×3, first 2 shown]
	s_wait_dscnt 0x3
	v_fma_f64 v[44:45], v[14:15], v[10:11], v[44:45]
	v_fma_f64 v[10:11], v[16:17], v[10:11], v[46:47]
	s_wait_dscnt 0x2
	v_fma_f64 v[46:47], v[14:15], v[18:19], v[48:49]
	v_fma_f64 v[18:19], v[16:17], v[18:19], v[50:51]
	ds_load_2addr_b64 v[14:17], v30 offset0:160 offset1:176
	s_wait_dscnt 0x0
	v_fma_f64 v[44:45], v[14:15], v[12:13], v[44:45]
	v_fma_f64 v[48:49], v[16:17], v[12:13], v[10:11]
	;; [unrolled: 1-line block ×4, first 2 shown]
	ds_load_2addr_b64 v[10:13], v30 offset0:192 offset1:208
	ds_load_2addr_b64 v[18:21], v30 offset0:224 offset1:240
	s_wait_loadcnt_dscnt 0x0
	s_barrier_signal -1
	s_barrier_wait -1
	global_inv scope:SCOPE_SE
	v_fma_f64 v[44:45], v[10:11], v[36:37], v[44:45]
	v_fma_f64 v[36:37], v[12:13], v[36:37], v[48:49]
	;; [unrolled: 1-line block ×4, first 2 shown]
	s_delay_alu instid0(VALU_DEP_4) | instskip(NEXT) | instid1(VALU_DEP_4)
	v_fma_f64 v[16:17], v[18:19], v[38:39], v[44:45]
	v_fma_f64 v[14:15], v[20:21], v[38:39], v[36:37]
	s_delay_alu instid0(VALU_DEP_4) | instskip(NEXT) | instid1(VALU_DEP_4)
	v_fma_f64 v[12:13], v[18:19], v[42:43], v[10:11]
	v_fma_f64 v[10:11], v[20:21], v[42:43], v[40:41]
	s_wait_alu 0xfffe
	s_cbranch_vccz .LBB215_15
.LBB215_9:                              ;   Parent Loop BB215_6 Depth=1
                                        ; =>  This Inner Loop Header: Depth=2
	v_mov_b32_e32 v18, 0
	v_mov_b32_e32 v19, 0
	s_and_saveexec_b32 s18, s0
	s_cbranch_execz .LBB215_13
; %bb.10:                               ;   in Loop: Header=BB215_9 Depth=2
	v_mov_b32_e32 v18, 0
	s_wait_alu 0xfffe
	v_dual_mov_b32 v19, 0 :: v_dual_add_nc_u32 v0, s2, v23
	s_mov_b32 s19, exec_lo
	s_delay_alu instid0(VALU_DEP_1)
	v_cmpx_gt_u64_e64 s[8:9], v[0:1]
	s_cbranch_execz .LBB215_12
; %bb.11:                               ;   in Loop: Header=BB215_9 Depth=2
	v_lshlrev_b64_e32 v[18:19], 3, v[0:1]
	s_delay_alu instid0(VALU_DEP_1) | instskip(SKIP_1) | instid1(VALU_DEP_2)
	v_add_co_u32 v18, vcc_lo, v32, v18
	s_wait_alu 0xfffd
	v_add_co_ci_u32_e64 v19, null, v33, v19, vcc_lo
	global_load_b64 v[18:19], v[18:19], off
.LBB215_12:                             ;   in Loop: Header=BB215_9 Depth=2
	s_wait_alu 0xfffe
	s_or_b32 exec_lo, exec_lo, s19
.LBB215_13:                             ;   in Loop: Header=BB215_9 Depth=2
	s_wait_alu 0xfffe
	s_or_b32 exec_lo, exec_lo, s18
	v_add_nc_u32_e32 v0, s2, v22
	v_mov_b32_e32 v20, 0
	v_mov_b32_e32 v21, 0
	s_wait_loadcnt 0x0
	ds_store_b64 v24, v[18:19]
	v_cmp_gt_u64_e32 vcc_lo, s[8:9], v[0:1]
	s_and_b32 s19, vcc_lo, s1
	s_wait_alu 0xfffe
	s_and_saveexec_b32 s18, s19
	s_cbranch_execz .LBB215_8
; %bb.14:                               ;   in Loop: Header=BB215_9 Depth=2
	v_mad_co_u64_u32 v[18:19], null, s20, v0, 0
	s_delay_alu instid0(VALU_DEP_1) | instskip(NEXT) | instid1(VALU_DEP_1)
	v_mad_co_u64_u32 v[19:20], null, s21, v0, v[19:20]
	v_lshlrev_b64_e32 v[18:19], 3, v[18:19]
	s_delay_alu instid0(VALU_DEP_1) | instskip(SKIP_1) | instid1(VALU_DEP_2)
	v_add_co_u32 v18, vcc_lo, v34, v18
	s_wait_alu 0xfffd
	v_add_co_ci_u32_e64 v19, null, v35, v19, vcc_lo
	global_load_b64 v[20:21], v[18:19], off
	s_branch .LBB215_8
.LBB215_15:                             ;   in Loop: Header=BB215_6 Depth=1
	s_mul_u64 s[2:3], s[30:31], s[6:7]
	s_wait_alu 0xfffe
	s_lshl_b64 s[2:3], s[2:3], 3
	s_wait_alu 0xfffe
	s_add_nc_u64 s[2:3], s[26:27], s[2:3]
	s_wait_alu 0xfffe
	v_add_co_u32 v0, vcc_lo, s2, v4
	s_wait_alu 0xfffd
	v_add_co_ci_u32_e64 v18, null, s3, v5, vcc_lo
	s_and_saveexec_b32 s18, s12
	s_cbranch_execz .LBB215_19
; %bb.16:                               ;   in Loop: Header=BB215_6 Depth=1
	v_mul_f64_e32 v[16:17], s[10:11], v[16:17]
	s_and_b32 vcc_lo, exec_lo, s33
	s_wait_alu 0xfffe
	s_cbranch_vccz .LBB215_30
; %bb.17:                               ;   in Loop: Header=BB215_6 Depth=1
	v_add_co_u32 v19, vcc_lo, v0, v8
	s_wait_alu 0xfffd
	v_add_co_ci_u32_e64 v20, null, v18, v9, vcc_lo
	global_load_b64 v[32:33], v[19:20], off
	s_wait_loadcnt 0x0
	v_fma_f64 v[32:33], s[24:25], v[32:33], v[16:17]
	global_store_b64 v[19:20], v[32:33], off
	s_cbranch_execnz .LBB215_19
.LBB215_18:                             ;   in Loop: Header=BB215_6 Depth=1
	v_add_co_u32 v19, vcc_lo, v0, v8
	s_wait_alu 0xfffd
	v_add_co_ci_u32_e64 v20, null, v18, v9, vcc_lo
	global_store_b64 v[19:20], v[16:17], off
.LBB215_19:                             ;   in Loop: Header=BB215_6 Depth=1
	s_wait_alu 0xfffe
	s_or_b32 exec_lo, exec_lo, s18
	s_and_saveexec_b32 s18, s13
	s_cbranch_execz .LBB215_23
; %bb.20:                               ;   in Loop: Header=BB215_6 Depth=1
	v_mul_f64_e32 v[14:15], s[10:11], v[14:15]
	s_and_not1_b32 vcc_lo, exec_lo, s33
	s_wait_alu 0xfffe
	s_cbranch_vccnz .LBB215_31
; %bb.21:                               ;   in Loop: Header=BB215_6 Depth=1
	v_lshlrev_b64_e32 v[16:17], 3, v[2:3]
	s_delay_alu instid0(VALU_DEP_1) | instskip(SKIP_1) | instid1(VALU_DEP_2)
	v_add_co_u32 v16, vcc_lo, v0, v16
	s_wait_alu 0xfffd
	v_add_co_ci_u32_e64 v17, null, v18, v17, vcc_lo
	global_load_b64 v[19:20], v[16:17], off
	s_wait_loadcnt 0x0
	v_fma_f64 v[19:20], s[24:25], v[19:20], v[14:15]
	global_store_b64 v[16:17], v[19:20], off
	s_cbranch_execnz .LBB215_23
.LBB215_22:                             ;   in Loop: Header=BB215_6 Depth=1
	v_lshlrev_b64_e32 v[16:17], 3, v[2:3]
	s_delay_alu instid0(VALU_DEP_1) | instskip(SKIP_1) | instid1(VALU_DEP_2)
	v_add_co_u32 v16, vcc_lo, v0, v16
	s_wait_alu 0xfffd
	v_add_co_ci_u32_e64 v17, null, v18, v17, vcc_lo
	global_store_b64 v[16:17], v[14:15], off
.LBB215_23:                             ;   in Loop: Header=BB215_6 Depth=1
	s_wait_alu 0xfffe
	s_or_b32 exec_lo, exec_lo, s18
	v_add_co_u32 v0, vcc_lo, s2, v6
	s_wait_alu 0xfffd
	v_add_co_ci_u32_e64 v14, null, s3, v7, vcc_lo
	s_and_saveexec_b32 s2, s15
	s_cbranch_execz .LBB215_27
; %bb.24:                               ;   in Loop: Header=BB215_6 Depth=1
	v_mul_f64_e32 v[12:13], s[10:11], v[12:13]
	s_and_not1_b32 vcc_lo, exec_lo, s33
	s_wait_alu 0xfffe
	s_cbranch_vccnz .LBB215_32
; %bb.25:                               ;   in Loop: Header=BB215_6 Depth=1
	v_add_co_u32 v15, vcc_lo, v0, v8
	s_wait_alu 0xfffd
	v_add_co_ci_u32_e64 v16, null, v14, v9, vcc_lo
	global_load_b64 v[17:18], v[15:16], off
	s_wait_loadcnt 0x0
	v_fma_f64 v[17:18], s[24:25], v[17:18], v[12:13]
	global_store_b64 v[15:16], v[17:18], off
	s_cbranch_execnz .LBB215_27
.LBB215_26:                             ;   in Loop: Header=BB215_6 Depth=1
	v_add_co_u32 v15, vcc_lo, v0, v8
	s_wait_alu 0xfffd
	v_add_co_ci_u32_e64 v16, null, v14, v9, vcc_lo
	global_store_b64 v[15:16], v[12:13], off
.LBB215_27:                             ;   in Loop: Header=BB215_6 Depth=1
	s_wait_alu 0xfffe
	s_or_b32 exec_lo, exec_lo, s2
	s_and_saveexec_b32 s2, s4
	s_cbranch_execz .LBB215_5
; %bb.28:                               ;   in Loop: Header=BB215_6 Depth=1
	v_mul_f64_e32 v[10:11], s[10:11], v[10:11]
	v_lshlrev_b64_e32 v[12:13], 3, v[2:3]
	s_and_not1_b32 vcc_lo, exec_lo, s33
	s_wait_alu 0xfffe
	s_cbranch_vccnz .LBB215_33
; %bb.29:                               ;   in Loop: Header=BB215_6 Depth=1
	s_delay_alu instid0(VALU_DEP_1)
	v_add_co_u32 v15, vcc_lo, v0, v12
	s_wait_alu 0xfffd
	v_add_co_ci_u32_e64 v16, null, v14, v13, vcc_lo
	global_load_b64 v[17:18], v[15:16], off
	s_wait_loadcnt 0x0
	v_fma_f64 v[17:18], s[24:25], v[17:18], v[10:11]
	global_store_b64 v[15:16], v[17:18], off
	s_cbranch_execnz .LBB215_5
	s_branch .LBB215_34
.LBB215_30:                             ;   in Loop: Header=BB215_6 Depth=1
	s_branch .LBB215_18
.LBB215_31:                             ;   in Loop: Header=BB215_6 Depth=1
	s_branch .LBB215_22
.LBB215_32:                             ;   in Loop: Header=BB215_6 Depth=1
	s_branch .LBB215_26
.LBB215_33:                             ;   in Loop: Header=BB215_6 Depth=1
.LBB215_34:                             ;   in Loop: Header=BB215_6 Depth=1
	s_delay_alu instid0(VALU_DEP_1)
	v_add_co_u32 v12, vcc_lo, v0, v12
	s_wait_alu 0xfffd
	v_add_co_ci_u32_e64 v13, null, v14, v13, vcc_lo
	global_store_b64 v[12:13], v[10:11], off
	s_branch .LBB215_5
.LBB215_35:
	s_endpgm
	.section	.rodata,"a",@progbits
	.p2align	6, 0x0
	.amdhsa_kernel _ZL29rocblas_internal_gemmt_kernelIlLi16ELi32ELi8ELc67ELc67ELc76ELb0ELb0EddPKdPdEviT_T9_T10_S3_lS5_S3_lS4_T11_S3_li
		.amdhsa_group_segment_fixed_size 4096
		.amdhsa_private_segment_fixed_size 0
		.amdhsa_kernarg_size 108
		.amdhsa_user_sgpr_count 2
		.amdhsa_user_sgpr_dispatch_ptr 0
		.amdhsa_user_sgpr_queue_ptr 0
		.amdhsa_user_sgpr_kernarg_segment_ptr 1
		.amdhsa_user_sgpr_dispatch_id 0
		.amdhsa_user_sgpr_private_segment_size 0
		.amdhsa_wavefront_size32 1
		.amdhsa_uses_dynamic_stack 0
		.amdhsa_enable_private_segment 0
		.amdhsa_system_sgpr_workgroup_id_x 1
		.amdhsa_system_sgpr_workgroup_id_y 1
		.amdhsa_system_sgpr_workgroup_id_z 1
		.amdhsa_system_sgpr_workgroup_info 0
		.amdhsa_system_vgpr_workitem_id 1
		.amdhsa_next_free_vgpr 52
		.amdhsa_next_free_sgpr 35
		.amdhsa_reserve_vcc 1
		.amdhsa_float_round_mode_32 0
		.amdhsa_float_round_mode_16_64 0
		.amdhsa_float_denorm_mode_32 3
		.amdhsa_float_denorm_mode_16_64 3
		.amdhsa_fp16_overflow 0
		.amdhsa_workgroup_processor_mode 1
		.amdhsa_memory_ordered 1
		.amdhsa_forward_progress 1
		.amdhsa_inst_pref_size 16
		.amdhsa_round_robin_scheduling 0
		.amdhsa_exception_fp_ieee_invalid_op 0
		.amdhsa_exception_fp_denorm_src 0
		.amdhsa_exception_fp_ieee_div_zero 0
		.amdhsa_exception_fp_ieee_overflow 0
		.amdhsa_exception_fp_ieee_underflow 0
		.amdhsa_exception_fp_ieee_inexact 0
		.amdhsa_exception_int_div_zero 0
	.end_amdhsa_kernel
	.section	.text._ZL29rocblas_internal_gemmt_kernelIlLi16ELi32ELi8ELc67ELc67ELc76ELb0ELb0EddPKdPdEviT_T9_T10_S3_lS5_S3_lS4_T11_S3_li,"axG",@progbits,_ZL29rocblas_internal_gemmt_kernelIlLi16ELi32ELi8ELc67ELc67ELc76ELb0ELb0EddPKdPdEviT_T9_T10_S3_lS5_S3_lS4_T11_S3_li,comdat
.Lfunc_end215:
	.size	_ZL29rocblas_internal_gemmt_kernelIlLi16ELi32ELi8ELc67ELc67ELc76ELb0ELb0EddPKdPdEviT_T9_T10_S3_lS5_S3_lS4_T11_S3_li, .Lfunc_end215-_ZL29rocblas_internal_gemmt_kernelIlLi16ELi32ELi8ELc67ELc67ELc76ELb0ELb0EddPKdPdEviT_T9_T10_S3_lS5_S3_lS4_T11_S3_li
                                        ; -- End function
	.set _ZL29rocblas_internal_gemmt_kernelIlLi16ELi32ELi8ELc67ELc67ELc76ELb0ELb0EddPKdPdEviT_T9_T10_S3_lS5_S3_lS4_T11_S3_li.num_vgpr, 52
	.set _ZL29rocblas_internal_gemmt_kernelIlLi16ELi32ELi8ELc67ELc67ELc76ELb0ELb0EddPKdPdEviT_T9_T10_S3_lS5_S3_lS4_T11_S3_li.num_agpr, 0
	.set _ZL29rocblas_internal_gemmt_kernelIlLi16ELi32ELi8ELc67ELc67ELc76ELb0ELb0EddPKdPdEviT_T9_T10_S3_lS5_S3_lS4_T11_S3_li.numbered_sgpr, 35
	.set _ZL29rocblas_internal_gemmt_kernelIlLi16ELi32ELi8ELc67ELc67ELc76ELb0ELb0EddPKdPdEviT_T9_T10_S3_lS5_S3_lS4_T11_S3_li.num_named_barrier, 0
	.set _ZL29rocblas_internal_gemmt_kernelIlLi16ELi32ELi8ELc67ELc67ELc76ELb0ELb0EddPKdPdEviT_T9_T10_S3_lS5_S3_lS4_T11_S3_li.private_seg_size, 0
	.set _ZL29rocblas_internal_gemmt_kernelIlLi16ELi32ELi8ELc67ELc67ELc76ELb0ELb0EddPKdPdEviT_T9_T10_S3_lS5_S3_lS4_T11_S3_li.uses_vcc, 1
	.set _ZL29rocblas_internal_gemmt_kernelIlLi16ELi32ELi8ELc67ELc67ELc76ELb0ELb0EddPKdPdEviT_T9_T10_S3_lS5_S3_lS4_T11_S3_li.uses_flat_scratch, 0
	.set _ZL29rocblas_internal_gemmt_kernelIlLi16ELi32ELi8ELc67ELc67ELc76ELb0ELb0EddPKdPdEviT_T9_T10_S3_lS5_S3_lS4_T11_S3_li.has_dyn_sized_stack, 0
	.set _ZL29rocblas_internal_gemmt_kernelIlLi16ELi32ELi8ELc67ELc67ELc76ELb0ELb0EddPKdPdEviT_T9_T10_S3_lS5_S3_lS4_T11_S3_li.has_recursion, 0
	.set _ZL29rocblas_internal_gemmt_kernelIlLi16ELi32ELi8ELc67ELc67ELc76ELb0ELb0EddPKdPdEviT_T9_T10_S3_lS5_S3_lS4_T11_S3_li.has_indirect_call, 0
	.section	.AMDGPU.csdata,"",@progbits
; Kernel info:
; codeLenInByte = 2040
; TotalNumSgprs: 37
; NumVgprs: 52
; ScratchSize: 0
; MemoryBound: 0
; FloatMode: 240
; IeeeMode: 1
; LDSByteSize: 4096 bytes/workgroup (compile time only)
; SGPRBlocks: 0
; VGPRBlocks: 6
; NumSGPRsForWavesPerEU: 37
; NumVGPRsForWavesPerEU: 52
; Occupancy: 16
; WaveLimiterHint : 0
; COMPUTE_PGM_RSRC2:SCRATCH_EN: 0
; COMPUTE_PGM_RSRC2:USER_SGPR: 2
; COMPUTE_PGM_RSRC2:TRAP_HANDLER: 0
; COMPUTE_PGM_RSRC2:TGID_X_EN: 1
; COMPUTE_PGM_RSRC2:TGID_Y_EN: 1
; COMPUTE_PGM_RSRC2:TGID_Z_EN: 1
; COMPUTE_PGM_RSRC2:TIDIG_COMP_CNT: 1
	.section	.text._ZL29rocblas_internal_gemmt_kernelIlLi16ELi32ELi8ELc78ELc78ELc85ELb0ELb0E19rocblas_complex_numIfEPKS1_S3_PS1_EviT_T9_T10_S5_lS7_S5_lS6_T11_S5_li,"axG",@progbits,_ZL29rocblas_internal_gemmt_kernelIlLi16ELi32ELi8ELc78ELc78ELc85ELb0ELb0E19rocblas_complex_numIfEPKS1_S3_PS1_EviT_T9_T10_S5_lS7_S5_lS6_T11_S5_li,comdat
	.globl	_ZL29rocblas_internal_gemmt_kernelIlLi16ELi32ELi8ELc78ELc78ELc85ELb0ELb0E19rocblas_complex_numIfEPKS1_S3_PS1_EviT_T9_T10_S5_lS7_S5_lS6_T11_S5_li ; -- Begin function _ZL29rocblas_internal_gemmt_kernelIlLi16ELi32ELi8ELc78ELc78ELc85ELb0ELb0E19rocblas_complex_numIfEPKS1_S3_PS1_EviT_T9_T10_S5_lS7_S5_lS6_T11_S5_li
	.p2align	8
	.type	_ZL29rocblas_internal_gemmt_kernelIlLi16ELi32ELi8ELc78ELc78ELc85ELb0ELb0E19rocblas_complex_numIfEPKS1_S3_PS1_EviT_T9_T10_S5_lS7_S5_lS6_T11_S5_li,@function
_ZL29rocblas_internal_gemmt_kernelIlLi16ELi32ELi8ELc78ELc78ELc85ELb0ELb0E19rocblas_complex_numIfEPKS1_S3_PS1_EviT_T9_T10_S5_lS7_S5_lS6_T11_S5_li: ; @_ZL29rocblas_internal_gemmt_kernelIlLi16ELi32ELi8ELc78ELc78ELc85ELb0ELb0E19rocblas_complex_numIfEPKS1_S3_PS1_EviT_T9_T10_S5_lS7_S5_lS6_T11_S5_li
; %bb.0:
	s_load_b256 s[20:27], s[0:1], 0x48
	s_wait_kmcnt 0x0
	s_load_b64 s[20:21], s[20:21], 0x0
	s_load_b512 s[4:19], s[0:1], 0x8
	s_wait_kmcnt 0x0
	s_cmp_eq_f32 s20, 1.0
	s_load_b64 s[6:7], s[6:7], 0x0
	s_cselect_b32 s2, -1, 0
	s_and_b32 s3, s21, 0x7fffffff
	s_delay_alu instid0(SALU_CYCLE_1) | instskip(SKIP_1) | instid1(SALU_CYCLE_1)
	s_cmp_eq_u32 s3, 0
	s_cselect_b32 s31, -1, 0
	s_and_b32 s3, s2, s31
	s_mov_b32 s2, 0
	s_and_not1_b32 vcc_lo, exec_lo, s3
	s_mov_b32 s3, -1
	s_cbranch_vccnz .LBB216_4
; %bb.1:
	s_cmp_lg_u64 s[4:5], 0
	s_cbranch_scc0 .LBB216_3
; %bb.2:
	s_wait_kmcnt 0x0
	s_cmp_neq_f32 s6, 0
	s_cselect_b32 s2, -1, 0
	s_cmp_neq_f32 s7, 0
	s_cselect_b32 s3, -1, 0
	s_delay_alu instid0(SALU_CYCLE_1)
	s_or_b32 s2, s2, s3
.LBB216_3:
	s_delay_alu instid0(SALU_CYCLE_1)
	s_mov_b32 s3, s2
.LBB216_4:
	s_delay_alu instid0(SALU_CYCLE_1)
	s_and_b32 vcc_lo, exec_lo, s3
	s_cbranch_vccz .LBB216_42
; %bb.5:
	s_load_b32 s30, s[0:1], 0x68
	s_lshr_b32 s28, ttmp7, 16
	s_wait_kmcnt 0x0
	s_cmp_ge_u32 s28, s30
	s_cbranch_scc1 .LBB216_42
; %bb.6:
	v_and_b32_e32 v10, 0x3ff, v0
	v_bfe_u32 v11, v0, 10, 10
	s_load_b32 s33, s[0:1], 0x0
	s_lshl_b32 s1, ttmp7, 5
	v_and_b32_e32 v14, 7, v0
	s_and_b32 s1, s1, 0x1fffe0
	v_lshl_add_u32 v2, v11, 4, v10
	v_add_nc_u32_e32 v13, s1, v11
	s_lshl_b32 s0, ttmp9, 5
	s_cmp_neq_f32 s6, 0
	v_lshl_add_u32 v23, v11, 6, 0x800
	v_lshrrev_b32_e32 v5, 3, v2
	v_lshrrev_b32_e32 v15, 5, v2
	v_and_b32_e32 v16, 31, v2
	v_mad_co_u64_u32 v[2:3], null, s24, v13, 0
	s_delay_alu instid0(VALU_DEP_4)
	v_add_nc_u32_e32 v12, s1, v5
	v_lshlrev_b32_e32 v9, 3, v14
	s_wait_alu 0xfffe
	v_or_b32_e32 v4, s0, v16
	s_cselect_b32 s1, -1, 0
	s_cmp_neq_f32 s7, 0
	v_mad_co_u64_u32 v[0:1], null, s16, v12, 0
	v_lshl_or_b32 v17, v5, 6, v9
	v_ashrrev_i32_e32 v5, 31, v4
	s_wait_kmcnt 0x0
	v_cmp_le_i32_e64 s16, s33, v4
	v_add_nc_u32_e32 v24, 16, v13
	s_cselect_b32 s2, -1, 0
	v_cmp_gt_i64_e64 s34, s[4:5], 0
	v_mad_co_u64_u32 v[7:8], null, s17, v12, v[1:2]
	s_wait_alu 0xfffe
	s_or_b32 s35, s1, s2
	v_mad_co_u64_u32 v[8:9], null, s24, v24, 0
	s_cmp_neq_f32 s20, 0
	v_add_nc_u32_e32 v17, 0x800, v17
	s_mov_b32 s29, 0
	v_dual_mov_b32 v1, v7 :: v_dual_add_nc_u32 v6, s0, v10
	v_cmp_gt_i32_e64 s0, s33, v4
	v_lshlrev_b64_e32 v[4:5], 3, v[4:5]
	v_lshlrev_b32_e32 v22, 3, v10
	s_delay_alu instid0(VALU_DEP_4) | instskip(NEXT) | instid1(VALU_DEP_3)
	v_lshlrev_b64_e32 v[0:1], 3, v[0:1]
	v_add_co_u32 v18, s1, s8, v4
	s_wait_alu 0xf1ff
	s_delay_alu instid0(VALU_DEP_4) | instskip(NEXT) | instid1(VALU_DEP_3)
	v_add_co_ci_u32_e64 v19, null, s9, v5, s1
	v_add_co_u32 v20, s1, s14, v0
	v_mov_b32_e32 v0, v3
	s_wait_alu 0xf1ff
	v_add_co_ci_u32_e64 v21, null, s15, v1, s1
	v_cmp_gt_i32_e64 s1, s33, v13
	s_cselect_b32 s15, -1, 0
	v_mad_co_u64_u32 v[0:1], null, s25, v13, v[0:1]
	v_mov_b32_e32 v1, v9
	s_xor_b32 s17, s31, -1
	s_and_b32 s14, s35, s34
	s_wait_alu 0xfffe
	s_or_b32 s15, s15, s17
	v_mad_co_u64_u32 v[4:5], null, s25, v24, v[1:2]
	s_delay_alu instid0(VALU_DEP_3) | instskip(SKIP_2) | instid1(VALU_DEP_3)
	v_mov_b32_e32 v3, v0
	v_dual_mov_b32 v1, 0 :: v_dual_lshlrev_b32 v16, 3, v16
	v_cmp_gt_i32_e32 vcc_lo, s33, v12
	v_lshlrev_b64_e32 v[2:3], 3, v[2:3]
	v_dual_mov_b32 v9, v4 :: v_dual_add_nc_u32 v10, 16, v6
	v_cmp_le_i32_e64 s2, v6, v13
	v_ashrrev_i32_e32 v7, 31, v6
	v_lshl_or_b32 v16, v15, 8, v16
	s_delay_alu instid0(VALU_DEP_4)
	v_lshlrev_b64_e32 v[4:5], 3, v[8:9]
	v_cmp_le_i32_e64 s3, v10, v13
	v_ashrrev_i32_e32 v11, 31, v10
	s_and_b32 s8, s1, s2
	v_cmp_le_i32_e64 s2, v6, v24
	v_lshlrev_b64_e32 v[6:7], 3, v[6:7]
	s_and_b32 s9, s1, s3
	v_cmp_gt_i32_e64 s1, s33, v24
	v_cmp_le_i32_e64 s3, v10, v24
	v_lshlrev_b64_e32 v[8:9], 3, v[10:11]
	s_xor_b32 s24, vcc_lo, -1
                                        ; implicit-def: $vgpr10_vgpr11
	s_and_b32 s17, s1, s2
	s_and_b32 s1, s1, s3
	s_branch .LBB216_8
.LBB216_7:                              ;   in Loop: Header=BB216_8 Depth=1
	s_wait_alu 0xfffe
	s_or_b32 exec_lo, exec_lo, s2
	s_add_co_i32 s28, s28, 0x10000
	s_delay_alu instid0(SALU_CYCLE_1)
	s_cmp_lt_u32 s28, s30
	s_cbranch_scc0 .LBB216_42
.LBB216_8:                              ; =>This Loop Header: Depth=1
                                        ;     Child Loop BB216_11 Depth 2
	s_and_not1_b32 vcc_lo, exec_lo, s14
	s_wait_alu 0xfffe
	s_cbranch_vccnz .LBB216_21
; %bb.9:                                ;   in Loop: Header=BB216_8 Depth=1
	s_mul_u64 s[2:3], s[12:13], s[28:29]
	s_mul_u64 s[34:35], s[18:19], s[28:29]
	s_wait_alu 0xfffe
	s_lshl_b64 s[2:3], s[2:3], 3
	v_dual_mov_b32 v26, 0 :: v_dual_mov_b32 v27, 0
	s_wait_alu 0xfffe
	v_add_co_u32 v12, vcc_lo, v18, s2
	s_wait_alu 0xfffd
	v_add_co_ci_u32_e64 v13, null, s3, v19, vcc_lo
	s_lshl_b64 s[2:3], s[34:35], 3
	v_dual_mov_b32 v29, 0 :: v_dual_mov_b32 v28, 0
	s_wait_alu 0xfffe
	v_add_co_u32 v24, vcc_lo, v20, s2
	s_wait_alu 0xfffd
	v_add_co_ci_u32_e64 v25, null, s3, v21, vcc_lo
	v_dual_mov_b32 v31, 0 :: v_dual_mov_b32 v30, 0
	v_dual_mov_b32 v33, 0 :: v_dual_mov_b32 v32, 0
	s_mov_b64 s[2:3], 0
	s_branch .LBB216_11
.LBB216_10:                             ;   in Loop: Header=BB216_11 Depth=2
	s_wait_alu 0xfffe
	s_or_b32 exec_lo, exec_lo, s25
	s_wait_dscnt 0x0
	s_barrier_signal -1
	s_barrier_wait -1
	global_inv scope:SCOPE_SE
	ds_load_b128 v[34:37], v23
	ds_load_2addr_b64 v[38:41], v22 offset1:16
	ds_load_b128 v[42:45], v23 offset:1024
	ds_load_b128 v[46:49], v23 offset:16
	;; [unrolled: 1-line block ×4, first 2 shown]
	ds_load_2addr_b64 v[58:61], v22 offset0:32 offset1:48
	ds_load_b128 v[62:65], v23 offset:1040
	s_add_nc_u64 s[2:3], s[2:3], 8
	s_wait_alu 0xfffe
	v_cmp_gt_i64_e64 s25, s[4:5], s[2:3]
	s_and_b32 vcc_lo, exec_lo, s25
	s_wait_dscnt 0x6
	v_mul_f32_e32 v0, v35, v39
	v_dual_mul_f32 v66, v34, v39 :: v_dual_mul_f32 v67, v35, v41
	s_wait_dscnt 0x5
	v_dual_mul_f32 v68, v34, v41 :: v_dual_mul_f32 v69, v43, v39
	v_dual_mul_f32 v39, v42, v39 :: v_dual_mul_f32 v70, v43, v41
	v_mul_f32_e32 v41, v42, v41
	v_fma_f32 v0, v34, v38, -v0
	v_fma_f32 v34, v34, v40, -v67
	v_fmac_f32_e32 v68, v35, v40
	v_fmac_f32_e32 v39, v43, v38
	;; [unrolled: 1-line block ×3, first 2 shown]
	v_add_f32_e32 v0, v32, v0
	v_fmac_f32_e32 v66, v35, v38
	v_fma_f32 v35, v42, v38, -v69
	v_fma_f32 v38, v42, v40, -v70
	v_add_f32_e32 v26, v26, v41
	s_delay_alu instid0(VALU_DEP_4) | instskip(NEXT) | instid1(VALU_DEP_4)
	v_add_f32_e32 v32, v33, v66
	v_dual_add_f32 v33, v30, v34 :: v_dual_add_f32 v34, v28, v35
	v_add_f32_e32 v35, v29, v39
	s_wait_dscnt 0x1
	v_dual_mul_f32 v39, v37, v59 :: v_dual_add_f32 v38, v27, v38
	ds_load_2addr_b64 v[27:30], v22 offset0:64 offset1:80
	v_mul_f32_e32 v42, v37, v61
	v_mul_f32_e32 v41, v36, v61
	;; [unrolled: 1-line block ×3, first 2 shown]
	v_fma_f32 v39, v36, v58, -v39
	v_add_f32_e32 v31, v31, v68
	v_fma_f32 v36, v36, v60, -v42
	s_delay_alu instid0(VALU_DEP_3) | instskip(SKIP_1) | instid1(VALU_DEP_3)
	v_add_f32_e32 v0, v0, v39
	v_mul_f32_e32 v39, v45, v59
	v_add_f32_e32 v36, v33, v36
	v_fmac_f32_e32 v41, v37, v60
	v_fmac_f32_e32 v40, v37, v58
	v_mul_f32_e32 v37, v45, v61
	v_fma_f32 v33, v44, v58, -v39
	s_delay_alu instid0(VALU_DEP_4) | instskip(NEXT) | instid1(VALU_DEP_3)
	v_add_f32_e32 v39, v31, v41
	v_fma_f32 v31, v44, v60, -v37
	v_mul_f32_e32 v41, v44, v61
	s_wait_dscnt 0x0
	v_mul_f32_e32 v37, v46, v28
	v_add_f32_e32 v40, v32, v40
	v_add_f32_e32 v38, v38, v31
	v_dual_mul_f32 v32, v44, v59 :: v_dual_fmac_f32 v41, v45, v60
	v_mul_f32_e32 v44, v47, v30
	s_delay_alu instid0(VALU_DEP_2) | instskip(NEXT) | instid1(VALU_DEP_3)
	v_dual_fmac_f32 v37, v47, v27 :: v_dual_fmac_f32 v32, v45, v58
	v_add_f32_e32 v41, v26, v41
	v_dual_add_f32 v42, v34, v33 :: v_dual_mul_f32 v33, v47, v28
	s_delay_alu instid0(VALU_DEP_3) | instskip(NEXT) | instid1(VALU_DEP_4)
	v_dual_mul_f32 v26, v46, v30 :: v_dual_add_f32 v37, v40, v37
	v_add_f32_e32 v35, v35, v32
	s_delay_alu instid0(VALU_DEP_3) | instskip(SKIP_4) | instid1(VALU_DEP_1)
	v_fma_f32 v43, v46, v27, -v33
	ds_load_2addr_b64 v[31:34], v22 offset0:96 offset1:112
	v_fmac_f32_e32 v26, v47, v29
	v_add_f32_e32 v0, v0, v43
	v_fma_f32 v43, v46, v29, -v44
	v_dual_add_f32 v39, v39, v26 :: v_dual_add_f32 v36, v36, v43
	v_mul_f32_e32 v43, v63, v30
	v_mul_f32_e32 v30, v62, v30
	s_delay_alu instid0(VALU_DEP_2) | instskip(SKIP_1) | instid1(VALU_DEP_3)
	v_fma_f32 v26, v62, v29, -v43
	v_mul_f32_e32 v40, v63, v28
	v_fmac_f32_e32 v30, v63, v29
	s_wait_dscnt 0x0
	v_dual_mul_f32 v28, v62, v28 :: v_dual_mul_f32 v47, v65, v34
	v_add_f32_e32 v43, v38, v26
	v_fma_f32 v40, v62, v27, -v40
	v_dual_mul_f32 v38, v48, v32 :: v_dual_add_f32 v41, v41, v30
	s_delay_alu instid0(VALU_DEP_4) | instskip(SKIP_1) | instid1(VALU_DEP_3)
	v_fmac_f32_e32 v28, v63, v27
	v_mul_f32_e32 v30, v48, v34
	v_fmac_f32_e32 v38, v49, v31
	v_add_f32_e32 v40, v42, v40
	s_delay_alu instid0(VALU_DEP_4)
	v_add_f32_e32 v42, v35, v28
	ds_load_2addr_b64 v[26:29], v22 offset0:128 offset1:144
	v_mul_f32_e32 v35, v49, v32
	v_mul_f32_e32 v44, v49, v34
	v_fmac_f32_e32 v30, v49, v33
	v_mul_f32_e32 v34, v64, v34
	s_delay_alu instid0(VALU_DEP_4)
	v_fma_f32 v35, v48, v31, -v35
	s_wait_dscnt 0x0
	v_mul_f32_e32 v49, v50, v27
	v_fma_f32 v44, v48, v33, -v44
	v_add_f32_e32 v48, v39, v30
	v_fma_f32 v30, v64, v33, -v47
	s_delay_alu instid0(VALU_DEP_4) | instskip(NEXT) | instid1(VALU_DEP_4)
	v_fmac_f32_e32 v49, v51, v26
	v_dual_add_f32 v45, v37, v38 :: v_dual_add_f32 v44, v36, v44
	s_delay_alu instid0(VALU_DEP_3) | instskip(SKIP_1) | instid1(VALU_DEP_3)
	v_dual_add_f32 v43, v43, v30 :: v_dual_add_f32 v0, v0, v35
	v_mul_f32_e32 v35, v65, v32
	v_dual_mul_f32 v32, v64, v32 :: v_dual_add_f32 v45, v45, v49
	s_delay_alu instid0(VALU_DEP_2) | instskip(SKIP_3) | instid1(VALU_DEP_2)
	v_fma_f32 v46, v64, v31, -v35
	ds_load_b128 v[35:38], v23 offset:1056
	v_fmac_f32_e32 v32, v65, v31
	v_dual_mul_f32 v31, v51, v27 :: v_dual_fmac_f32 v34, v65, v33
	v_add_f32_e32 v47, v42, v32
	s_delay_alu instid0(VALU_DEP_2)
	v_fma_f32 v39, v50, v26, -v31
	ds_load_2addr_b64 v[30:33], v22 offset0:160 offset1:176
	v_add_f32_e32 v46, v40, v46
	v_mul_f32_e32 v40, v51, v29
	v_add_f32_e32 v34, v41, v34
	v_add_f32_e32 v0, v0, v39
	s_delay_alu instid0(VALU_DEP_3) | instskip(SKIP_4) | instid1(VALU_DEP_2)
	v_fma_f32 v58, v50, v28, -v40
	ds_load_b128 v[39:42], v23 offset:1072
	s_wait_dscnt 0x2
	v_dual_mul_f32 v50, v50, v29 :: v_dual_mul_f32 v59, v36, v27
	v_mul_f32_e32 v27, v35, v27
	v_dual_fmac_f32 v50, v51, v28 :: v_dual_mul_f32 v51, v36, v29
	s_delay_alu instid0(VALU_DEP_3) | instskip(NEXT) | instid1(VALU_DEP_3)
	v_fma_f32 v49, v35, v26, -v59
	v_fmac_f32_e32 v27, v36, v26
	s_delay_alu instid0(VALU_DEP_3) | instskip(SKIP_2) | instid1(VALU_DEP_4)
	v_add_f32_e32 v48, v48, v50
	v_mul_f32_e32 v50, v35, v29
	v_fma_f32 v26, v35, v28, -v51
	v_add_f32_e32 v35, v47, v27
	s_wait_dscnt 0x1
	s_delay_alu instid0(VALU_DEP_3) | instskip(NEXT) | instid1(VALU_DEP_3)
	v_dual_mul_f32 v47, v53, v31 :: v_dual_fmac_f32 v50, v36, v28
	v_add_f32_e32 v43, v43, v26
	ds_load_2addr_b64 v[26:29], v22 offset0:192 offset1:208
	v_mul_f32_e32 v36, v52, v31
	v_add_f32_e32 v46, v46, v49
	v_fma_f32 v47, v52, v30, -v47
	v_mul_f32_e32 v49, v53, v33
	s_delay_alu instid0(VALU_DEP_4) | instskip(NEXT) | instid1(VALU_DEP_3)
	v_fmac_f32_e32 v36, v53, v30
	v_add_f32_e32 v0, v0, v47
	s_delay_alu instid0(VALU_DEP_3) | instskip(NEXT) | instid1(VALU_DEP_3)
	v_fma_f32 v47, v52, v32, -v49
	v_dual_add_f32 v45, v45, v36 :: v_dual_mul_f32 v36, v38, v31
	v_mul_f32_e32 v31, v37, v31
	s_delay_alu instid0(VALU_DEP_2) | instskip(NEXT) | instid1(VALU_DEP_2)
	v_fma_f32 v36, v37, v30, -v36
	v_fmac_f32_e32 v31, v38, v30
	v_add_f32_e32 v44, v44, v58
	s_delay_alu instid0(VALU_DEP_2) | instskip(NEXT) | instid1(VALU_DEP_2)
	v_dual_mul_f32 v30, v37, v33 :: v_dual_add_f32 v31, v35, v31
	v_dual_add_f32 v44, v44, v47 :: v_dual_mul_f32 v47, v38, v33
	v_add_f32_e32 v50, v34, v50
	v_mul_f32_e32 v34, v52, v33
	s_delay_alu instid0(VALU_DEP_4) | instskip(NEXT) | instid1(VALU_DEP_4)
	v_fmac_f32_e32 v30, v38, v32
	v_fma_f32 v33, v37, v32, -v47
	s_wait_dscnt 0x0
	s_delay_alu instid0(VALU_DEP_3) | instskip(NEXT) | instid1(VALU_DEP_2)
	v_dual_mul_f32 v47, v40, v27 :: v_dual_fmac_f32 v34, v53, v32
	v_dual_add_f32 v32, v43, v33 :: v_dual_mul_f32 v33, v54, v27
	v_mul_f32_e32 v43, v55, v29
	s_delay_alu instid0(VALU_DEP_2) | instskip(NEXT) | instid1(VALU_DEP_2)
	v_dual_fmac_f32 v33, v55, v26 :: v_dual_add_f32 v46, v46, v36
	v_fma_f32 v43, v54, v28, -v43
	s_delay_alu instid0(VALU_DEP_2) | instskip(SKIP_3) | instid1(VALU_DEP_3)
	v_dual_add_f32 v33, v45, v33 :: v_dual_add_f32 v48, v48, v34
	v_mul_f32_e32 v34, v55, v27
	v_mul_f32_e32 v27, v39, v27
	;; [unrolled: 1-line block ×3, first 2 shown]
	v_fma_f32 v38, v54, v26, -v34
	ds_load_2addr_b64 v[34:37], v22 offset0:224 offset1:240
	v_fmac_f32_e32 v27, v40, v26
	v_add_f32_e32 v30, v50, v30
	s_wait_loadcnt_dscnt 0x0
	v_add_f32_e32 v0, v0, v38
	s_barrier_signal -1
	v_dual_add_f32 v27, v31, v27 :: v_dual_mul_f32 v38, v54, v29
	v_mul_f32_e32 v29, v39, v29
	s_barrier_wait -1
	global_inv scope:SCOPE_SE
	v_fmac_f32_e32 v38, v55, v28
	v_fmac_f32_e32 v29, v40, v28
	s_delay_alu instid0(VALU_DEP_1) | instskip(SKIP_2) | instid1(VALU_DEP_2)
	v_add_f32_e32 v40, v30, v29
	v_mul_f32_e32 v29, v56, v37
	v_mul_f32_e32 v31, v57, v35
	v_fmac_f32_e32 v29, v57, v36
	v_add_f32_e32 v43, v44, v43
	v_fma_f32 v44, v39, v26, -v47
	v_fma_f32 v39, v39, v28, -v45
	;; [unrolled: 1-line block ×3, first 2 shown]
	s_delay_alu instid0(VALU_DEP_2) | instskip(SKIP_1) | instid1(VALU_DEP_2)
	v_dual_add_f32 v39, v32, v39 :: v_dual_mul_f32 v32, v57, v37
	v_mul_f32_e32 v28, v56, v35
	v_fma_f32 v30, v56, v36, -v32
	s_delay_alu instid0(VALU_DEP_4) | instskip(SKIP_1) | instid1(VALU_DEP_4)
	v_add_f32_e32 v32, v0, v31
	v_mul_f32_e32 v0, v42, v35
	v_fmac_f32_e32 v28, v57, v34
	s_delay_alu instid0(VALU_DEP_4) | instskip(SKIP_1) | instid1(VALU_DEP_4)
	v_dual_mul_f32 v35, v41, v35 :: v_dual_add_f32 v30, v43, v30
	v_mul_f32_e32 v43, v42, v37
	v_fma_f32 v0, v41, v34, -v0
	v_dual_mul_f32 v37, v41, v37 :: v_dual_add_f32 v26, v48, v38
	v_add_f32_e32 v38, v46, v44
	v_add_f32_e32 v33, v33, v28
	v_fmac_f32_e32 v35, v42, v34
	s_delay_alu instid0(VALU_DEP_4) | instskip(SKIP_3) | instid1(VALU_DEP_4)
	v_fmac_f32_e32 v37, v42, v36
	v_add_f32_e32 v31, v26, v29
	v_add_f32_e32 v28, v38, v0
	v_fma_f32 v0, v41, v36, -v43
	v_dual_add_f32 v29, v27, v35 :: v_dual_add_f32 v26, v40, v37
	s_delay_alu instid0(VALU_DEP_2)
	v_add_f32_e32 v27, v39, v0
	s_wait_alu 0xfffe
	s_cbranch_vccz .LBB216_22
.LBB216_11:                             ;   Parent Loop BB216_8 Depth=1
                                        ; =>  This Inner Loop Header: Depth=2
	s_mov_b32 s25, 0
	s_mov_b32 s33, s16
	s_and_saveexec_b32 s31, s0
	s_cbranch_execnz .LBB216_19
; %bb.12:                               ;   in Loop: Header=BB216_11 Depth=2
	s_or_b32 exec_lo, exec_lo, s31
	s_wait_alu 0xfffe
	s_and_saveexec_b32 s31, s33
	s_delay_alu instid0(SALU_CYCLE_1)
	s_xor_b32 s31, exec_lo, s31
	s_cbranch_execnz .LBB216_20
.LBB216_13:                             ;   in Loop: Header=BB216_11 Depth=2
	s_or_b32 exec_lo, exec_lo, s31
	s_and_saveexec_b32 s31, s25
	s_cbranch_execz .LBB216_15
.LBB216_14:                             ;   in Loop: Header=BB216_11 Depth=2
	v_mul_lo_u32 v0, s11, v10
	v_mul_lo_u32 v36, s10, v11
	v_mad_co_u64_u32 v[34:35], null, s10, v10, 0
	s_delay_alu instid0(VALU_DEP_1) | instskip(NEXT) | instid1(VALU_DEP_1)
	v_add3_u32 v35, v35, v36, v0
	v_lshlrev_b64_e32 v[34:35], 3, v[34:35]
	s_delay_alu instid0(VALU_DEP_1) | instskip(SKIP_1) | instid1(VALU_DEP_2)
	v_add_co_u32 v34, vcc_lo, v12, v34
	s_wait_alu 0xfffd
	v_add_co_ci_u32_e64 v35, null, v13, v35, vcc_lo
	global_load_b64 v[34:35], v[34:35], off
	s_wait_loadcnt 0x0
	ds_store_b64 v16, v[34:35]
.LBB216_15:                             ;   in Loop: Header=BB216_11 Depth=2
	s_or_b32 exec_lo, exec_lo, s31
	v_add_nc_u32_e32 v0, s2, v14
	s_delay_alu instid0(VALU_DEP_1) | instskip(SKIP_3) | instid1(SALU_CYCLE_1)
	v_cmp_le_u64_e32 vcc_lo, s[4:5], v[0:1]
	s_or_b32 s25, vcc_lo, s24
	s_wait_alu 0xfffe
	s_and_saveexec_b32 s31, s25
	s_xor_b32 s25, exec_lo, s31
; %bb.16:                               ;   in Loop: Header=BB216_11 Depth=2
	v_mov_b32_e32 v0, v1
	ds_store_b64 v17, v[0:1]
; %bb.17:                               ;   in Loop: Header=BB216_11 Depth=2
	s_wait_alu 0xfffe
	s_and_not1_saveexec_b32 s25, s25
	s_cbranch_execz .LBB216_10
; %bb.18:                               ;   in Loop: Header=BB216_11 Depth=2
	v_lshlrev_b64_e32 v[34:35], 3, v[0:1]
	s_delay_alu instid0(VALU_DEP_1) | instskip(SKIP_1) | instid1(VALU_DEP_2)
	v_add_co_u32 v34, vcc_lo, v24, v34
	s_wait_alu 0xfffd
	v_add_co_ci_u32_e64 v35, null, v25, v35, vcc_lo
	global_load_b64 v[34:35], v[34:35], off
	s_wait_loadcnt 0x0
	ds_store_b64 v17, v[34:35]
	s_branch .LBB216_10
.LBB216_19:                             ;   in Loop: Header=BB216_11 Depth=2
	s_wait_alu 0xfffe
	v_add_nc_u32_e32 v0, s2, v15
	v_mov_b32_e32 v11, v1
	s_and_not1_b32 s33, s16, exec_lo
	s_mov_b32 s25, exec_lo
	s_delay_alu instid0(VALU_DEP_2)
	v_cmp_le_u64_e32 vcc_lo, s[4:5], v[0:1]
	v_mov_b32_e32 v10, v0
	s_and_b32 s34, vcc_lo, exec_lo
	s_wait_alu 0xfffe
	s_or_b32 s33, s33, s34
	s_or_b32 exec_lo, exec_lo, s31
	s_wait_alu 0xfffe
	s_and_saveexec_b32 s31, s33
	s_delay_alu instid0(SALU_CYCLE_1)
	s_xor_b32 s31, exec_lo, s31
	s_cbranch_execz .LBB216_13
.LBB216_20:                             ;   in Loop: Header=BB216_11 Depth=2
	v_mov_b32_e32 v0, v1
	s_and_not1_b32 s25, s25, exec_lo
	ds_store_b64 v16, v[0:1]
	s_or_b32 exec_lo, exec_lo, s31
	s_wait_alu 0xfffe
	s_and_saveexec_b32 s31, s25
	s_cbranch_execnz .LBB216_14
	s_branch .LBB216_15
.LBB216_21:                             ;   in Loop: Header=BB216_8 Depth=1
	v_dual_mov_b32 v32, v1 :: v_dual_mov_b32 v33, v1
	v_dual_mov_b32 v30, v1 :: v_dual_mov_b32 v31, v1
	;; [unrolled: 1-line block ×4, first 2 shown]
.LBB216_22:                             ;   in Loop: Header=BB216_8 Depth=1
	s_mul_u64 s[2:3], s[26:27], s[28:29]
	s_wait_alu 0xfffe
	s_lshl_b64 s[2:3], s[2:3], 3
	s_wait_alu 0xfffe
	s_add_nc_u64 s[2:3], s[22:23], s[2:3]
	s_wait_alu 0xfffe
	v_add_co_u32 v0, vcc_lo, s2, v2
	s_wait_alu 0xfffd
	v_add_co_ci_u32_e64 v24, null, s3, v3, vcc_lo
	s_and_saveexec_b32 s25, s8
	s_cbranch_execz .LBB216_27
; %bb.23:                               ;   in Loop: Header=BB216_8 Depth=1
	v_mul_f32_e32 v13, s6, v33
	v_mul_f32_e32 v12, s7, v33
	s_and_b32 vcc_lo, exec_lo, s15
	s_mov_b32 s31, -1
	s_delay_alu instid0(VALU_DEP_2) | instskip(NEXT) | instid1(VALU_DEP_2)
	v_fmac_f32_e32 v13, s7, v32
	v_fma_f32 v12, v32, s6, -v12
	s_wait_alu 0xfffe
	s_cbranch_vccz .LBB216_25
; %bb.24:                               ;   in Loop: Header=BB216_8 Depth=1
	v_add_co_u32 v32, vcc_lo, v0, v6
	s_wait_alu 0xfffd
	v_add_co_ci_u32_e64 v33, null, v24, v7, vcc_lo
	s_mov_b32 s31, 0
	global_load_b64 v[34:35], v[32:33], off
	s_wait_loadcnt 0x0
	v_mul_f32_e32 v25, s21, v35
	s_delay_alu instid0(VALU_DEP_1) | instskip(SKIP_1) | instid1(VALU_DEP_1)
	v_fma_f32 v25, v34, s20, -v25
	v_mul_f32_e32 v35, s20, v35
	v_dual_fmac_f32 v35, s21, v34 :: v_dual_add_f32 v34, v12, v25
	s_delay_alu instid0(VALU_DEP_1)
	v_add_f32_e32 v35, v13, v35
	global_store_b64 v[32:33], v[34:35], off
.LBB216_25:                             ;   in Loop: Header=BB216_8 Depth=1
	s_and_not1_b32 vcc_lo, exec_lo, s31
	s_wait_alu 0xfffe
	s_cbranch_vccnz .LBB216_27
; %bb.26:                               ;   in Loop: Header=BB216_8 Depth=1
	v_add_co_u32 v32, vcc_lo, v0, v6
	s_wait_alu 0xfffd
	v_add_co_ci_u32_e64 v33, null, v24, v7, vcc_lo
	global_store_b64 v[32:33], v[12:13], off
.LBB216_27:                             ;   in Loop: Header=BB216_8 Depth=1
	s_wait_alu 0xfffe
	s_or_b32 exec_lo, exec_lo, s25
	s_and_saveexec_b32 s25, s9
	s_cbranch_execz .LBB216_32
; %bb.28:                               ;   in Loop: Header=BB216_8 Depth=1
	v_mul_f32_e32 v13, s6, v31
	v_mul_f32_e32 v12, s7, v31
	s_and_not1_b32 vcc_lo, exec_lo, s15
	s_mov_b32 s31, -1
	s_delay_alu instid0(VALU_DEP_2) | instskip(NEXT) | instid1(VALU_DEP_2)
	v_fmac_f32_e32 v13, s7, v30
	v_fma_f32 v12, v30, s6, -v12
	s_wait_alu 0xfffe
	s_cbranch_vccnz .LBB216_30
; %bb.29:                               ;   in Loop: Header=BB216_8 Depth=1
	v_add_co_u32 v30, vcc_lo, v0, v8
	s_wait_alu 0xfffd
	v_add_co_ci_u32_e64 v31, null, v24, v9, vcc_lo
	s_mov_b32 s31, 0
	global_load_b64 v[32:33], v[30:31], off
	s_wait_loadcnt 0x0
	v_mul_f32_e32 v25, s21, v33
	v_mul_f32_e32 v33, s20, v33
	s_delay_alu instid0(VALU_DEP_2) | instskip(NEXT) | instid1(VALU_DEP_1)
	v_fma_f32 v25, v32, s20, -v25
	v_dual_fmac_f32 v33, s21, v32 :: v_dual_add_f32 v32, v12, v25
	s_delay_alu instid0(VALU_DEP_1)
	v_add_f32_e32 v33, v13, v33
	global_store_b64 v[30:31], v[32:33], off
.LBB216_30:                             ;   in Loop: Header=BB216_8 Depth=1
	s_and_not1_b32 vcc_lo, exec_lo, s31
	s_wait_alu 0xfffe
	s_cbranch_vccnz .LBB216_32
; %bb.31:                               ;   in Loop: Header=BB216_8 Depth=1
	v_add_co_u32 v30, vcc_lo, v0, v8
	s_wait_alu 0xfffd
	v_add_co_ci_u32_e64 v31, null, v24, v9, vcc_lo
	global_store_b64 v[30:31], v[12:13], off
.LBB216_32:                             ;   in Loop: Header=BB216_8 Depth=1
	s_wait_alu 0xfffe
	s_or_b32 exec_lo, exec_lo, s25
	v_add_co_u32 v0, vcc_lo, s2, v4
	s_wait_alu 0xfffd
	v_add_co_ci_u32_e64 v24, null, s3, v5, vcc_lo
	s_and_saveexec_b32 s2, s17
	s_cbranch_execz .LBB216_37
; %bb.33:                               ;   in Loop: Header=BB216_8 Depth=1
	v_mul_f32_e32 v13, s6, v29
	v_mul_f32_e32 v12, s7, v29
	s_and_not1_b32 vcc_lo, exec_lo, s15
	s_mov_b32 s3, -1
	s_delay_alu instid0(VALU_DEP_2) | instskip(NEXT) | instid1(VALU_DEP_2)
	v_fmac_f32_e32 v13, s7, v28
	v_fma_f32 v12, v28, s6, -v12
	s_wait_alu 0xfffe
	s_cbranch_vccnz .LBB216_35
; %bb.34:                               ;   in Loop: Header=BB216_8 Depth=1
	v_add_co_u32 v28, vcc_lo, v0, v6
	s_wait_alu 0xfffd
	v_add_co_ci_u32_e64 v29, null, v24, v7, vcc_lo
	s_mov_b32 s3, 0
	global_load_b64 v[30:31], v[28:29], off
	s_wait_loadcnt 0x0
	v_mul_f32_e32 v25, s21, v31
	s_delay_alu instid0(VALU_DEP_1) | instskip(SKIP_1) | instid1(VALU_DEP_1)
	v_fma_f32 v25, v30, s20, -v25
	v_mul_f32_e32 v31, s20, v31
	v_dual_fmac_f32 v31, s21, v30 :: v_dual_add_f32 v30, v12, v25
	s_delay_alu instid0(VALU_DEP_1)
	v_add_f32_e32 v31, v13, v31
	global_store_b64 v[28:29], v[30:31], off
.LBB216_35:                             ;   in Loop: Header=BB216_8 Depth=1
	s_wait_alu 0xfffe
	s_and_not1_b32 vcc_lo, exec_lo, s3
	s_wait_alu 0xfffe
	s_cbranch_vccnz .LBB216_37
; %bb.36:                               ;   in Loop: Header=BB216_8 Depth=1
	v_add_co_u32 v28, vcc_lo, v0, v6
	s_wait_alu 0xfffd
	v_add_co_ci_u32_e64 v29, null, v24, v7, vcc_lo
	global_store_b64 v[28:29], v[12:13], off
.LBB216_37:                             ;   in Loop: Header=BB216_8 Depth=1
	s_wait_alu 0xfffe
	s_or_b32 exec_lo, exec_lo, s2
	s_and_saveexec_b32 s2, s1
	s_cbranch_execz .LBB216_7
; %bb.38:                               ;   in Loop: Header=BB216_8 Depth=1
	v_mul_f32_e32 v13, s6, v26
	v_mul_f32_e32 v12, s7, v26
	s_and_not1_b32 vcc_lo, exec_lo, s15
	s_mov_b32 s3, -1
	s_delay_alu instid0(VALU_DEP_2) | instskip(NEXT) | instid1(VALU_DEP_2)
	v_fmac_f32_e32 v13, s7, v27
	v_fma_f32 v12, v27, s6, -v12
	s_wait_alu 0xfffe
	s_cbranch_vccnz .LBB216_40
; %bb.39:                               ;   in Loop: Header=BB216_8 Depth=1
	v_add_co_u32 v25, vcc_lo, v0, v8
	s_wait_alu 0xfffd
	v_add_co_ci_u32_e64 v26, null, v24, v9, vcc_lo
	s_mov_b32 s3, 0
	global_load_b64 v[27:28], v[25:26], off
	s_wait_loadcnt 0x0
	v_mul_f32_e32 v29, s21, v28
	v_mul_f32_e32 v28, s20, v28
	s_delay_alu instid0(VALU_DEP_1) | instskip(NEXT) | instid1(VALU_DEP_3)
	v_fmac_f32_e32 v28, s21, v27
	v_fma_f32 v29, v27, s20, -v29
	s_delay_alu instid0(VALU_DEP_1)
	v_dual_add_f32 v28, v13, v28 :: v_dual_add_f32 v27, v12, v29
	global_store_b64 v[25:26], v[27:28], off
.LBB216_40:                             ;   in Loop: Header=BB216_8 Depth=1
	s_wait_alu 0xfffe
	s_and_not1_b32 vcc_lo, exec_lo, s3
	s_wait_alu 0xfffe
	s_cbranch_vccnz .LBB216_7
; %bb.41:                               ;   in Loop: Header=BB216_8 Depth=1
	v_add_co_u32 v25, vcc_lo, v0, v8
	s_wait_alu 0xfffd
	v_add_co_ci_u32_e64 v26, null, v24, v9, vcc_lo
	global_store_b64 v[25:26], v[12:13], off
	s_branch .LBB216_7
.LBB216_42:
	s_endpgm
	.section	.rodata,"a",@progbits
	.p2align	6, 0x0
	.amdhsa_kernel _ZL29rocblas_internal_gemmt_kernelIlLi16ELi32ELi8ELc78ELc78ELc85ELb0ELb0E19rocblas_complex_numIfEPKS1_S3_PS1_EviT_T9_T10_S5_lS7_S5_lS6_T11_S5_li
		.amdhsa_group_segment_fixed_size 4096
		.amdhsa_private_segment_fixed_size 0
		.amdhsa_kernarg_size 108
		.amdhsa_user_sgpr_count 2
		.amdhsa_user_sgpr_dispatch_ptr 0
		.amdhsa_user_sgpr_queue_ptr 0
		.amdhsa_user_sgpr_kernarg_segment_ptr 1
		.amdhsa_user_sgpr_dispatch_id 0
		.amdhsa_user_sgpr_private_segment_size 0
		.amdhsa_wavefront_size32 1
		.amdhsa_uses_dynamic_stack 0
		.amdhsa_enable_private_segment 0
		.amdhsa_system_sgpr_workgroup_id_x 1
		.amdhsa_system_sgpr_workgroup_id_y 1
		.amdhsa_system_sgpr_workgroup_id_z 1
		.amdhsa_system_sgpr_workgroup_info 0
		.amdhsa_system_vgpr_workitem_id 1
		.amdhsa_next_free_vgpr 71
		.amdhsa_next_free_sgpr 36
		.amdhsa_reserve_vcc 1
		.amdhsa_float_round_mode_32 0
		.amdhsa_float_round_mode_16_64 0
		.amdhsa_float_denorm_mode_32 3
		.amdhsa_float_denorm_mode_16_64 3
		.amdhsa_fp16_overflow 0
		.amdhsa_workgroup_processor_mode 1
		.amdhsa_memory_ordered 1
		.amdhsa_forward_progress 1
		.amdhsa_inst_pref_size 26
		.amdhsa_round_robin_scheduling 0
		.amdhsa_exception_fp_ieee_invalid_op 0
		.amdhsa_exception_fp_denorm_src 0
		.amdhsa_exception_fp_ieee_div_zero 0
		.amdhsa_exception_fp_ieee_overflow 0
		.amdhsa_exception_fp_ieee_underflow 0
		.amdhsa_exception_fp_ieee_inexact 0
		.amdhsa_exception_int_div_zero 0
	.end_amdhsa_kernel
	.section	.text._ZL29rocblas_internal_gemmt_kernelIlLi16ELi32ELi8ELc78ELc78ELc85ELb0ELb0E19rocblas_complex_numIfEPKS1_S3_PS1_EviT_T9_T10_S5_lS7_S5_lS6_T11_S5_li,"axG",@progbits,_ZL29rocblas_internal_gemmt_kernelIlLi16ELi32ELi8ELc78ELc78ELc85ELb0ELb0E19rocblas_complex_numIfEPKS1_S3_PS1_EviT_T9_T10_S5_lS7_S5_lS6_T11_S5_li,comdat
.Lfunc_end216:
	.size	_ZL29rocblas_internal_gemmt_kernelIlLi16ELi32ELi8ELc78ELc78ELc85ELb0ELb0E19rocblas_complex_numIfEPKS1_S3_PS1_EviT_T9_T10_S5_lS7_S5_lS6_T11_S5_li, .Lfunc_end216-_ZL29rocblas_internal_gemmt_kernelIlLi16ELi32ELi8ELc78ELc78ELc85ELb0ELb0E19rocblas_complex_numIfEPKS1_S3_PS1_EviT_T9_T10_S5_lS7_S5_lS6_T11_S5_li
                                        ; -- End function
	.set _ZL29rocblas_internal_gemmt_kernelIlLi16ELi32ELi8ELc78ELc78ELc85ELb0ELb0E19rocblas_complex_numIfEPKS1_S3_PS1_EviT_T9_T10_S5_lS7_S5_lS6_T11_S5_li.num_vgpr, 71
	.set _ZL29rocblas_internal_gemmt_kernelIlLi16ELi32ELi8ELc78ELc78ELc85ELb0ELb0E19rocblas_complex_numIfEPKS1_S3_PS1_EviT_T9_T10_S5_lS7_S5_lS6_T11_S5_li.num_agpr, 0
	.set _ZL29rocblas_internal_gemmt_kernelIlLi16ELi32ELi8ELc78ELc78ELc85ELb0ELb0E19rocblas_complex_numIfEPKS1_S3_PS1_EviT_T9_T10_S5_lS7_S5_lS6_T11_S5_li.numbered_sgpr, 36
	.set _ZL29rocblas_internal_gemmt_kernelIlLi16ELi32ELi8ELc78ELc78ELc85ELb0ELb0E19rocblas_complex_numIfEPKS1_S3_PS1_EviT_T9_T10_S5_lS7_S5_lS6_T11_S5_li.num_named_barrier, 0
	.set _ZL29rocblas_internal_gemmt_kernelIlLi16ELi32ELi8ELc78ELc78ELc85ELb0ELb0E19rocblas_complex_numIfEPKS1_S3_PS1_EviT_T9_T10_S5_lS7_S5_lS6_T11_S5_li.private_seg_size, 0
	.set _ZL29rocblas_internal_gemmt_kernelIlLi16ELi32ELi8ELc78ELc78ELc85ELb0ELb0E19rocblas_complex_numIfEPKS1_S3_PS1_EviT_T9_T10_S5_lS7_S5_lS6_T11_S5_li.uses_vcc, 1
	.set _ZL29rocblas_internal_gemmt_kernelIlLi16ELi32ELi8ELc78ELc78ELc85ELb0ELb0E19rocblas_complex_numIfEPKS1_S3_PS1_EviT_T9_T10_S5_lS7_S5_lS6_T11_S5_li.uses_flat_scratch, 0
	.set _ZL29rocblas_internal_gemmt_kernelIlLi16ELi32ELi8ELc78ELc78ELc85ELb0ELb0E19rocblas_complex_numIfEPKS1_S3_PS1_EviT_T9_T10_S5_lS7_S5_lS6_T11_S5_li.has_dyn_sized_stack, 0
	.set _ZL29rocblas_internal_gemmt_kernelIlLi16ELi32ELi8ELc78ELc78ELc85ELb0ELb0E19rocblas_complex_numIfEPKS1_S3_PS1_EviT_T9_T10_S5_lS7_S5_lS6_T11_S5_li.has_recursion, 0
	.set _ZL29rocblas_internal_gemmt_kernelIlLi16ELi32ELi8ELc78ELc78ELc85ELb0ELb0E19rocblas_complex_numIfEPKS1_S3_PS1_EviT_T9_T10_S5_lS7_S5_lS6_T11_S5_li.has_indirect_call, 0
	.section	.AMDGPU.csdata,"",@progbits
; Kernel info:
; codeLenInByte = 3264
; TotalNumSgprs: 38
; NumVgprs: 71
; ScratchSize: 0
; MemoryBound: 0
; FloatMode: 240
; IeeeMode: 1
; LDSByteSize: 4096 bytes/workgroup (compile time only)
; SGPRBlocks: 0
; VGPRBlocks: 8
; NumSGPRsForWavesPerEU: 38
; NumVGPRsForWavesPerEU: 71
; Occupancy: 16
; WaveLimiterHint : 0
; COMPUTE_PGM_RSRC2:SCRATCH_EN: 0
; COMPUTE_PGM_RSRC2:USER_SGPR: 2
; COMPUTE_PGM_RSRC2:TRAP_HANDLER: 0
; COMPUTE_PGM_RSRC2:TGID_X_EN: 1
; COMPUTE_PGM_RSRC2:TGID_Y_EN: 1
; COMPUTE_PGM_RSRC2:TGID_Z_EN: 1
; COMPUTE_PGM_RSRC2:TIDIG_COMP_CNT: 1
	.section	.text._ZL29rocblas_internal_gemmt_kernelIlLi16ELi32ELi8ELc78ELc84ELc85ELb0ELb0E19rocblas_complex_numIfEPKS1_S3_PS1_EviT_T9_T10_S5_lS7_S5_lS6_T11_S5_li,"axG",@progbits,_ZL29rocblas_internal_gemmt_kernelIlLi16ELi32ELi8ELc78ELc84ELc85ELb0ELb0E19rocblas_complex_numIfEPKS1_S3_PS1_EviT_T9_T10_S5_lS7_S5_lS6_T11_S5_li,comdat
	.globl	_ZL29rocblas_internal_gemmt_kernelIlLi16ELi32ELi8ELc78ELc84ELc85ELb0ELb0E19rocblas_complex_numIfEPKS1_S3_PS1_EviT_T9_T10_S5_lS7_S5_lS6_T11_S5_li ; -- Begin function _ZL29rocblas_internal_gemmt_kernelIlLi16ELi32ELi8ELc78ELc84ELc85ELb0ELb0E19rocblas_complex_numIfEPKS1_S3_PS1_EviT_T9_T10_S5_lS7_S5_lS6_T11_S5_li
	.p2align	8
	.type	_ZL29rocblas_internal_gemmt_kernelIlLi16ELi32ELi8ELc78ELc84ELc85ELb0ELb0E19rocblas_complex_numIfEPKS1_S3_PS1_EviT_T9_T10_S5_lS7_S5_lS6_T11_S5_li,@function
_ZL29rocblas_internal_gemmt_kernelIlLi16ELi32ELi8ELc78ELc84ELc85ELb0ELb0E19rocblas_complex_numIfEPKS1_S3_PS1_EviT_T9_T10_S5_lS7_S5_lS6_T11_S5_li: ; @_ZL29rocblas_internal_gemmt_kernelIlLi16ELi32ELi8ELc78ELc84ELc85ELb0ELb0E19rocblas_complex_numIfEPKS1_S3_PS1_EviT_T9_T10_S5_lS7_S5_lS6_T11_S5_li
; %bb.0:
	s_load_b256 s[20:27], s[0:1], 0x48
	s_wait_kmcnt 0x0
	s_load_b64 s[20:21], s[20:21], 0x0
	s_load_b512 s[4:19], s[0:1], 0x8
	s_wait_kmcnt 0x0
	s_cmp_eq_f32 s20, 1.0
	s_load_b64 s[6:7], s[6:7], 0x0
	s_cselect_b32 s2, -1, 0
	s_and_b32 s3, s21, 0x7fffffff
	s_delay_alu instid0(SALU_CYCLE_1) | instskip(SKIP_1) | instid1(SALU_CYCLE_1)
	s_cmp_eq_u32 s3, 0
	s_cselect_b32 s33, -1, 0
	s_and_b32 s3, s2, s33
	s_mov_b32 s2, 0
	s_and_not1_b32 vcc_lo, exec_lo, s3
	s_mov_b32 s3, -1
	s_cbranch_vccnz .LBB217_4
; %bb.1:
	s_cmp_lg_u64 s[4:5], 0
	s_cbranch_scc0 .LBB217_3
; %bb.2:
	s_wait_kmcnt 0x0
	s_cmp_neq_f32 s6, 0
	s_cselect_b32 s2, -1, 0
	s_cmp_neq_f32 s7, 0
	s_cselect_b32 s3, -1, 0
	s_delay_alu instid0(SALU_CYCLE_1)
	s_or_b32 s2, s2, s3
.LBB217_3:
	s_delay_alu instid0(SALU_CYCLE_1)
	s_mov_b32 s3, s2
.LBB217_4:
	s_delay_alu instid0(SALU_CYCLE_1)
	s_and_b32 vcc_lo, exec_lo, s3
	s_cbranch_vccz .LBB217_42
; %bb.5:
	s_load_b32 s30, s[0:1], 0x68
	s_lshr_b32 s28, ttmp7, 16
	s_wait_kmcnt 0x0
	s_cmp_ge_u32 s28, s30
	s_cbranch_scc1 .LBB217_42
; %bb.6:
	v_and_b32_e32 v7, 0x3ff, v0
	v_bfe_u32 v8, v0, 10, 10
	v_and_b32_e32 v14, 7, v0
	s_load_b32 s34, s[0:1], 0x0
	s_lshl_b32 s0, ttmp7, 5
	s_lshl_b32 s1, ttmp9, 5
	v_lshl_add_u32 v2, v8, 4, v7
	s_and_b32 s2, s0, 0x1fffe0
	v_lshlrev_b32_e32 v4, 3, v14
	v_add_nc_u32_e32 v11, s2, v8
	s_cmp_neq_f32 s6, 0
	v_lshrrev_b32_e32 v5, 3, v2
	v_lshrrev_b32_e32 v15, 5, v2
	v_lshl_add_u32 v23, v8, 6, 0x800
	v_add_nc_u32_e32 v12, 16, v11
	s_cselect_b32 s0, -1, 0
	v_lshl_or_b32 v4, v5, 6, v4
	v_add_nc_u32_e32 v6, s2, v5
	s_cmp_neq_f32 s7, 0
	v_cmp_gt_i64_e64 s35, s[4:5], 0
	s_mov_b32 s29, 0
	v_add_nc_u32_e32 v19, 0x800, v4
	v_mad_co_u64_u32 v[4:5], null, s24, v12, 0
	v_and_b32_e32 v3, 31, v2
	s_cselect_b32 s3, -1, 0
	s_wait_alu 0xfffe
	s_or_b32 s36, s0, s3
	s_cmp_neq_f32 s20, 0
	v_or_b32_e32 v0, s1, v3
	v_lshlrev_b32_e32 v3, 3, v3
	s_delay_alu instid0(VALU_DEP_2) | instskip(NEXT) | instid1(VALU_DEP_2)
	v_ashrrev_i32_e32 v1, 31, v0
	v_lshl_or_b32 v16, v15, 8, v3
	s_wait_kmcnt 0x0
	v_cmp_gt_i32_e64 s0, s34, v0
	v_cmp_le_i32_e64 s31, s34, v0
	v_lshlrev_b64_e32 v[1:2], 3, v[0:1]
	v_lshlrev_b32_e32 v0, 3, v6
	s_delay_alu instid0(VALU_DEP_2) | instskip(NEXT) | instid1(VALU_DEP_1)
	v_add_co_u32 v17, vcc_lo, s8, v1
	v_add_co_ci_u32_e64 v18, null, s9, v2, vcc_lo
	v_mad_co_u64_u32 v[2:3], null, s24, v11, 0
	v_cmp_gt_i32_e32 vcc_lo, s34, v6
	v_mov_b32_e32 v1, 0
	v_add_co_u32 v20, s2, s14, v0
	s_wait_alu 0xf1ff
	v_add_co_ci_u32_e64 v21, null, s15, 0, s2
	v_mov_b32_e32 v0, v3
	v_add_nc_u32_e32 v6, s1, v7
	v_cmp_gt_i32_e64 s1, s34, v11
	v_lshlrev_b32_e32 v22, 3, v7
	s_cselect_b32 s15, -1, 0
	v_mad_co_u64_u32 v[9:10], null, s25, v11, v[0:1]
	v_add_nc_u32_e32 v8, 16, v6
	v_mov_b32_e32 v0, v5
	v_cmp_le_i32_e64 s2, v6, v11
	v_ashrrev_i32_e32 v7, 31, v6
	s_xor_b32 s24, s33, -1
	v_cmp_le_i32_e64 s3, v8, v11
	v_mad_co_u64_u32 v[10:11], null, s25, v12, v[0:1]
	v_mov_b32_e32 v3, v9
	v_ashrrev_i32_e32 v9, 31, v8
	s_and_b32 s8, s1, s2
	s_and_b32 s9, s1, s3
	v_cmp_gt_i32_e64 s1, s34, v12
	v_cmp_le_i32_e64 s2, v6, v12
	v_mov_b32_e32 v5, v10
	v_cmp_le_i32_e64 s3, v8, v12
	v_lshlrev_b64_e32 v[2:3], 3, v[2:3]
	v_lshlrev_b64_e32 v[6:7], 3, v[6:7]
	;; [unrolled: 1-line block ×4, first 2 shown]
	s_and_b32 s14, s36, s35
	s_wait_alu 0xfffe
	s_or_b32 s15, s15, s24
	s_and_b32 s24, s1, s2
	s_and_b32 s1, s1, s3
	s_xor_b32 s25, vcc_lo, -1
                                        ; implicit-def: $vgpr10_vgpr11
	s_branch .LBB217_8
.LBB217_7:                              ;   in Loop: Header=BB217_8 Depth=1
	s_wait_alu 0xfffe
	s_or_b32 exec_lo, exec_lo, s2
	s_add_co_i32 s28, s28, 0x10000
	s_delay_alu instid0(SALU_CYCLE_1)
	s_cmp_lt_u32 s28, s30
	s_cbranch_scc0 .LBB217_42
.LBB217_8:                              ; =>This Loop Header: Depth=1
                                        ;     Child Loop BB217_11 Depth 2
	s_and_not1_b32 vcc_lo, exec_lo, s14
	s_wait_alu 0xfffe
	s_cbranch_vccnz .LBB217_21
; %bb.9:                                ;   in Loop: Header=BB217_8 Depth=1
	s_mul_u64 s[2:3], s[12:13], s[28:29]
	s_mul_u64 s[34:35], s[18:19], s[28:29]
	s_wait_alu 0xfffe
	s_lshl_b64 s[2:3], s[2:3], 3
	v_dual_mov_b32 v26, 0 :: v_dual_mov_b32 v27, 0
	s_wait_alu 0xfffe
	v_add_co_u32 v12, vcc_lo, v17, s2
	s_wait_alu 0xfffd
	v_add_co_ci_u32_e64 v13, null, s3, v18, vcc_lo
	s_lshl_b64 s[2:3], s[34:35], 3
	v_dual_mov_b32 v29, 0 :: v_dual_mov_b32 v28, 0
	s_wait_alu 0xfffe
	v_add_co_u32 v24, vcc_lo, v20, s2
	s_wait_alu 0xfffd
	v_add_co_ci_u32_e64 v25, null, s3, v21, vcc_lo
	v_dual_mov_b32 v31, 0 :: v_dual_mov_b32 v30, 0
	v_dual_mov_b32 v33, 0 :: v_dual_mov_b32 v32, 0
	s_mov_b64 s[2:3], 0
	s_branch .LBB217_11
.LBB217_10:                             ;   in Loop: Header=BB217_11 Depth=2
	s_or_b32 exec_lo, exec_lo, s33
	s_wait_dscnt 0x0
	s_barrier_signal -1
	s_barrier_wait -1
	global_inv scope:SCOPE_SE
	ds_load_b128 v[34:37], v23
	ds_load_2addr_b64 v[38:41], v22 offset1:16
	ds_load_b128 v[42:45], v23 offset:1024
	ds_load_b128 v[46:49], v23 offset:16
	;; [unrolled: 1-line block ×4, first 2 shown]
	ds_load_2addr_b64 v[58:61], v22 offset0:32 offset1:48
	ds_load_b128 v[62:65], v23 offset:1040
	s_add_nc_u64 s[2:3], s[2:3], 8
	s_wait_alu 0xfffe
	v_cmp_gt_i64_e64 s33, s[4:5], s[2:3]
	s_and_b32 vcc_lo, exec_lo, s33
	s_wait_dscnt 0x6
	v_mul_f32_e32 v0, v35, v39
	v_dual_mul_f32 v66, v34, v39 :: v_dual_mul_f32 v67, v35, v41
	s_wait_dscnt 0x5
	v_dual_mul_f32 v68, v34, v41 :: v_dual_mul_f32 v69, v43, v39
	v_dual_mul_f32 v39, v42, v39 :: v_dual_mul_f32 v70, v43, v41
	v_mul_f32_e32 v41, v42, v41
	v_fma_f32 v0, v34, v38, -v0
	v_fma_f32 v34, v34, v40, -v67
	v_fmac_f32_e32 v68, v35, v40
	v_fmac_f32_e32 v39, v43, v38
	;; [unrolled: 1-line block ×3, first 2 shown]
	v_add_f32_e32 v0, v32, v0
	v_fmac_f32_e32 v66, v35, v38
	v_fma_f32 v35, v42, v38, -v69
	v_fma_f32 v38, v42, v40, -v70
	v_add_f32_e32 v26, v26, v41
	s_delay_alu instid0(VALU_DEP_4) | instskip(NEXT) | instid1(VALU_DEP_4)
	v_add_f32_e32 v32, v33, v66
	v_dual_add_f32 v33, v30, v34 :: v_dual_add_f32 v34, v28, v35
	v_add_f32_e32 v35, v29, v39
	s_wait_dscnt 0x1
	v_dual_mul_f32 v39, v37, v59 :: v_dual_add_f32 v38, v27, v38
	ds_load_2addr_b64 v[27:30], v22 offset0:64 offset1:80
	v_mul_f32_e32 v42, v37, v61
	v_mul_f32_e32 v41, v36, v61
	;; [unrolled: 1-line block ×3, first 2 shown]
	v_fma_f32 v39, v36, v58, -v39
	v_add_f32_e32 v31, v31, v68
	v_fma_f32 v36, v36, v60, -v42
	s_delay_alu instid0(VALU_DEP_3) | instskip(SKIP_1) | instid1(VALU_DEP_3)
	v_add_f32_e32 v0, v0, v39
	v_mul_f32_e32 v39, v45, v59
	v_add_f32_e32 v36, v33, v36
	v_fmac_f32_e32 v41, v37, v60
	v_fmac_f32_e32 v40, v37, v58
	v_mul_f32_e32 v37, v45, v61
	v_fma_f32 v33, v44, v58, -v39
	s_delay_alu instid0(VALU_DEP_4) | instskip(NEXT) | instid1(VALU_DEP_3)
	v_add_f32_e32 v39, v31, v41
	v_fma_f32 v31, v44, v60, -v37
	v_mul_f32_e32 v41, v44, v61
	s_wait_dscnt 0x0
	v_mul_f32_e32 v37, v46, v28
	v_add_f32_e32 v40, v32, v40
	v_add_f32_e32 v38, v38, v31
	v_dual_mul_f32 v32, v44, v59 :: v_dual_fmac_f32 v41, v45, v60
	v_mul_f32_e32 v44, v47, v30
	s_delay_alu instid0(VALU_DEP_2) | instskip(NEXT) | instid1(VALU_DEP_3)
	v_dual_fmac_f32 v37, v47, v27 :: v_dual_fmac_f32 v32, v45, v58
	v_add_f32_e32 v41, v26, v41
	v_dual_add_f32 v42, v34, v33 :: v_dual_mul_f32 v33, v47, v28
	s_delay_alu instid0(VALU_DEP_3) | instskip(NEXT) | instid1(VALU_DEP_4)
	v_dual_mul_f32 v26, v46, v30 :: v_dual_add_f32 v37, v40, v37
	v_add_f32_e32 v35, v35, v32
	s_delay_alu instid0(VALU_DEP_3) | instskip(SKIP_4) | instid1(VALU_DEP_1)
	v_fma_f32 v43, v46, v27, -v33
	ds_load_2addr_b64 v[31:34], v22 offset0:96 offset1:112
	v_fmac_f32_e32 v26, v47, v29
	v_add_f32_e32 v0, v0, v43
	v_fma_f32 v43, v46, v29, -v44
	v_dual_add_f32 v39, v39, v26 :: v_dual_add_f32 v36, v36, v43
	v_mul_f32_e32 v43, v63, v30
	v_mul_f32_e32 v30, v62, v30
	s_delay_alu instid0(VALU_DEP_2) | instskip(SKIP_1) | instid1(VALU_DEP_3)
	v_fma_f32 v26, v62, v29, -v43
	v_mul_f32_e32 v40, v63, v28
	v_fmac_f32_e32 v30, v63, v29
	s_wait_dscnt 0x0
	v_dual_mul_f32 v28, v62, v28 :: v_dual_mul_f32 v47, v65, v34
	v_add_f32_e32 v43, v38, v26
	v_fma_f32 v40, v62, v27, -v40
	v_dual_mul_f32 v38, v48, v32 :: v_dual_add_f32 v41, v41, v30
	s_delay_alu instid0(VALU_DEP_4) | instskip(SKIP_1) | instid1(VALU_DEP_3)
	v_fmac_f32_e32 v28, v63, v27
	v_mul_f32_e32 v30, v48, v34
	v_fmac_f32_e32 v38, v49, v31
	v_add_f32_e32 v40, v42, v40
	s_delay_alu instid0(VALU_DEP_4)
	v_add_f32_e32 v42, v35, v28
	ds_load_2addr_b64 v[26:29], v22 offset0:128 offset1:144
	v_mul_f32_e32 v35, v49, v32
	v_mul_f32_e32 v44, v49, v34
	v_fmac_f32_e32 v30, v49, v33
	v_mul_f32_e32 v34, v64, v34
	s_delay_alu instid0(VALU_DEP_4)
	v_fma_f32 v35, v48, v31, -v35
	s_wait_dscnt 0x0
	v_mul_f32_e32 v49, v50, v27
	v_fma_f32 v44, v48, v33, -v44
	v_add_f32_e32 v48, v39, v30
	v_fma_f32 v30, v64, v33, -v47
	s_delay_alu instid0(VALU_DEP_4) | instskip(NEXT) | instid1(VALU_DEP_4)
	v_fmac_f32_e32 v49, v51, v26
	v_dual_add_f32 v45, v37, v38 :: v_dual_add_f32 v44, v36, v44
	s_delay_alu instid0(VALU_DEP_3) | instskip(SKIP_1) | instid1(VALU_DEP_3)
	v_dual_add_f32 v43, v43, v30 :: v_dual_add_f32 v0, v0, v35
	v_mul_f32_e32 v35, v65, v32
	v_dual_mul_f32 v32, v64, v32 :: v_dual_add_f32 v45, v45, v49
	s_delay_alu instid0(VALU_DEP_2) | instskip(SKIP_3) | instid1(VALU_DEP_2)
	v_fma_f32 v46, v64, v31, -v35
	ds_load_b128 v[35:38], v23 offset:1056
	v_fmac_f32_e32 v32, v65, v31
	v_dual_mul_f32 v31, v51, v27 :: v_dual_fmac_f32 v34, v65, v33
	v_add_f32_e32 v47, v42, v32
	s_delay_alu instid0(VALU_DEP_2)
	v_fma_f32 v39, v50, v26, -v31
	ds_load_2addr_b64 v[30:33], v22 offset0:160 offset1:176
	v_add_f32_e32 v46, v40, v46
	v_mul_f32_e32 v40, v51, v29
	v_add_f32_e32 v34, v41, v34
	v_add_f32_e32 v0, v0, v39
	s_delay_alu instid0(VALU_DEP_3) | instskip(SKIP_4) | instid1(VALU_DEP_2)
	v_fma_f32 v58, v50, v28, -v40
	ds_load_b128 v[39:42], v23 offset:1072
	s_wait_dscnt 0x2
	v_dual_mul_f32 v50, v50, v29 :: v_dual_mul_f32 v59, v36, v27
	v_mul_f32_e32 v27, v35, v27
	v_dual_fmac_f32 v50, v51, v28 :: v_dual_mul_f32 v51, v36, v29
	s_delay_alu instid0(VALU_DEP_3) | instskip(NEXT) | instid1(VALU_DEP_3)
	v_fma_f32 v49, v35, v26, -v59
	v_fmac_f32_e32 v27, v36, v26
	s_delay_alu instid0(VALU_DEP_3) | instskip(SKIP_2) | instid1(VALU_DEP_4)
	v_add_f32_e32 v48, v48, v50
	v_mul_f32_e32 v50, v35, v29
	v_fma_f32 v26, v35, v28, -v51
	v_add_f32_e32 v35, v47, v27
	s_wait_dscnt 0x1
	s_delay_alu instid0(VALU_DEP_3) | instskip(NEXT) | instid1(VALU_DEP_3)
	v_dual_mul_f32 v47, v53, v31 :: v_dual_fmac_f32 v50, v36, v28
	v_add_f32_e32 v43, v43, v26
	ds_load_2addr_b64 v[26:29], v22 offset0:192 offset1:208
	v_mul_f32_e32 v36, v52, v31
	v_add_f32_e32 v46, v46, v49
	v_fma_f32 v47, v52, v30, -v47
	v_mul_f32_e32 v49, v53, v33
	s_delay_alu instid0(VALU_DEP_4) | instskip(NEXT) | instid1(VALU_DEP_3)
	v_fmac_f32_e32 v36, v53, v30
	v_add_f32_e32 v0, v0, v47
	s_delay_alu instid0(VALU_DEP_3) | instskip(NEXT) | instid1(VALU_DEP_3)
	v_fma_f32 v47, v52, v32, -v49
	v_dual_add_f32 v45, v45, v36 :: v_dual_mul_f32 v36, v38, v31
	v_mul_f32_e32 v31, v37, v31
	s_delay_alu instid0(VALU_DEP_2) | instskip(NEXT) | instid1(VALU_DEP_2)
	v_fma_f32 v36, v37, v30, -v36
	v_fmac_f32_e32 v31, v38, v30
	v_add_f32_e32 v44, v44, v58
	s_delay_alu instid0(VALU_DEP_2) | instskip(NEXT) | instid1(VALU_DEP_2)
	v_dual_mul_f32 v30, v37, v33 :: v_dual_add_f32 v31, v35, v31
	v_dual_add_f32 v44, v44, v47 :: v_dual_mul_f32 v47, v38, v33
	v_add_f32_e32 v50, v34, v50
	v_mul_f32_e32 v34, v52, v33
	s_delay_alu instid0(VALU_DEP_4) | instskip(NEXT) | instid1(VALU_DEP_4)
	v_fmac_f32_e32 v30, v38, v32
	v_fma_f32 v33, v37, v32, -v47
	s_wait_dscnt 0x0
	s_delay_alu instid0(VALU_DEP_3) | instskip(NEXT) | instid1(VALU_DEP_2)
	v_dual_mul_f32 v47, v40, v27 :: v_dual_fmac_f32 v34, v53, v32
	v_dual_add_f32 v32, v43, v33 :: v_dual_mul_f32 v33, v54, v27
	v_mul_f32_e32 v43, v55, v29
	s_delay_alu instid0(VALU_DEP_2) | instskip(NEXT) | instid1(VALU_DEP_2)
	v_dual_fmac_f32 v33, v55, v26 :: v_dual_add_f32 v46, v46, v36
	v_fma_f32 v43, v54, v28, -v43
	s_delay_alu instid0(VALU_DEP_2) | instskip(SKIP_3) | instid1(VALU_DEP_3)
	v_dual_add_f32 v33, v45, v33 :: v_dual_add_f32 v48, v48, v34
	v_mul_f32_e32 v34, v55, v27
	v_mul_f32_e32 v27, v39, v27
	;; [unrolled: 1-line block ×3, first 2 shown]
	v_fma_f32 v38, v54, v26, -v34
	ds_load_2addr_b64 v[34:37], v22 offset0:224 offset1:240
	v_fmac_f32_e32 v27, v40, v26
	v_add_f32_e32 v30, v50, v30
	s_wait_loadcnt_dscnt 0x0
	v_add_f32_e32 v0, v0, v38
	s_barrier_signal -1
	v_dual_add_f32 v27, v31, v27 :: v_dual_mul_f32 v38, v54, v29
	v_mul_f32_e32 v29, v39, v29
	s_barrier_wait -1
	global_inv scope:SCOPE_SE
	v_fmac_f32_e32 v38, v55, v28
	v_fmac_f32_e32 v29, v40, v28
	s_delay_alu instid0(VALU_DEP_1) | instskip(SKIP_2) | instid1(VALU_DEP_2)
	v_add_f32_e32 v40, v30, v29
	v_mul_f32_e32 v29, v56, v37
	v_mul_f32_e32 v31, v57, v35
	v_fmac_f32_e32 v29, v57, v36
	v_add_f32_e32 v43, v44, v43
	v_fma_f32 v44, v39, v26, -v47
	v_fma_f32 v39, v39, v28, -v45
	;; [unrolled: 1-line block ×3, first 2 shown]
	s_delay_alu instid0(VALU_DEP_2) | instskip(SKIP_1) | instid1(VALU_DEP_2)
	v_dual_add_f32 v39, v32, v39 :: v_dual_mul_f32 v32, v57, v37
	v_mul_f32_e32 v28, v56, v35
	v_fma_f32 v30, v56, v36, -v32
	s_delay_alu instid0(VALU_DEP_4) | instskip(SKIP_1) | instid1(VALU_DEP_4)
	v_add_f32_e32 v32, v0, v31
	v_mul_f32_e32 v0, v42, v35
	v_fmac_f32_e32 v28, v57, v34
	s_delay_alu instid0(VALU_DEP_4) | instskip(SKIP_1) | instid1(VALU_DEP_4)
	v_dual_mul_f32 v35, v41, v35 :: v_dual_add_f32 v30, v43, v30
	v_mul_f32_e32 v43, v42, v37
	v_fma_f32 v0, v41, v34, -v0
	v_dual_mul_f32 v37, v41, v37 :: v_dual_add_f32 v26, v48, v38
	v_add_f32_e32 v38, v46, v44
	v_add_f32_e32 v33, v33, v28
	v_fmac_f32_e32 v35, v42, v34
	s_delay_alu instid0(VALU_DEP_4) | instskip(SKIP_3) | instid1(VALU_DEP_4)
	v_fmac_f32_e32 v37, v42, v36
	v_add_f32_e32 v31, v26, v29
	v_add_f32_e32 v28, v38, v0
	v_fma_f32 v0, v41, v36, -v43
	v_dual_add_f32 v29, v27, v35 :: v_dual_add_f32 v26, v40, v37
	s_delay_alu instid0(VALU_DEP_2)
	v_add_f32_e32 v27, v39, v0
	s_wait_alu 0xfffe
	s_cbranch_vccz .LBB217_22
.LBB217_11:                             ;   Parent Loop BB217_8 Depth=1
                                        ; =>  This Inner Loop Header: Depth=2
	s_mov_b32 s33, 0
	s_mov_b32 s35, s31
	s_and_saveexec_b32 s34, s0
	s_cbranch_execnz .LBB217_19
; %bb.12:                               ;   in Loop: Header=BB217_11 Depth=2
	s_wait_alu 0xfffe
	s_or_b32 exec_lo, exec_lo, s34
	s_and_saveexec_b32 s34, s35
	s_wait_alu 0xfffe
	s_xor_b32 s34, exec_lo, s34
	s_cbranch_execnz .LBB217_20
.LBB217_13:                             ;   in Loop: Header=BB217_11 Depth=2
	s_wait_alu 0xfffe
	s_or_b32 exec_lo, exec_lo, s34
	s_and_saveexec_b32 s34, s33
	s_cbranch_execz .LBB217_15
.LBB217_14:                             ;   in Loop: Header=BB217_11 Depth=2
	v_mul_lo_u32 v0, s11, v10
	v_mul_lo_u32 v36, s10, v11
	v_mad_co_u64_u32 v[34:35], null, s10, v10, 0
	s_delay_alu instid0(VALU_DEP_1) | instskip(NEXT) | instid1(VALU_DEP_1)
	v_add3_u32 v35, v35, v36, v0
	v_lshlrev_b64_e32 v[34:35], 3, v[34:35]
	s_delay_alu instid0(VALU_DEP_1) | instskip(SKIP_1) | instid1(VALU_DEP_2)
	v_add_co_u32 v34, vcc_lo, v12, v34
	s_wait_alu 0xfffd
	v_add_co_ci_u32_e64 v35, null, v13, v35, vcc_lo
	global_load_b64 v[34:35], v[34:35], off
	s_wait_loadcnt 0x0
	ds_store_b64 v16, v[34:35]
.LBB217_15:                             ;   in Loop: Header=BB217_11 Depth=2
	s_wait_alu 0xfffe
	s_or_b32 exec_lo, exec_lo, s34
	v_add_nc_u32_e32 v0, s2, v14
	s_delay_alu instid0(VALU_DEP_1) | instskip(SKIP_1) | instid1(SALU_CYCLE_1)
	v_cmp_le_u64_e32 vcc_lo, s[4:5], v[0:1]
	s_or_b32 s33, vcc_lo, s25
	s_and_saveexec_b32 s34, s33
	s_wait_alu 0xfffe
	s_xor_b32 s33, exec_lo, s34
; %bb.16:                               ;   in Loop: Header=BB217_11 Depth=2
	v_mov_b32_e32 v0, v1
	ds_store_b64 v19, v[0:1]
; %bb.17:                               ;   in Loop: Header=BB217_11 Depth=2
	s_and_not1_saveexec_b32 s33, s33
	s_cbranch_execz .LBB217_10
; %bb.18:                               ;   in Loop: Header=BB217_11 Depth=2
	v_mad_co_u64_u32 v[34:35], null, s16, v0, 0
	s_delay_alu instid0(VALU_DEP_1) | instskip(NEXT) | instid1(VALU_DEP_1)
	v_mad_co_u64_u32 v[35:36], null, s17, v0, v[35:36]
	v_lshlrev_b64_e32 v[34:35], 3, v[34:35]
	s_delay_alu instid0(VALU_DEP_1) | instskip(SKIP_1) | instid1(VALU_DEP_2)
	v_add_co_u32 v34, vcc_lo, v24, v34
	s_wait_alu 0xfffd
	v_add_co_ci_u32_e64 v35, null, v25, v35, vcc_lo
	global_load_b64 v[34:35], v[34:35], off
	s_wait_loadcnt 0x0
	ds_store_b64 v19, v[34:35]
	s_branch .LBB217_10
.LBB217_19:                             ;   in Loop: Header=BB217_11 Depth=2
	s_wait_alu 0xfffe
	v_add_nc_u32_e32 v0, s2, v15
	v_mov_b32_e32 v11, v1
	s_and_not1_b32 s35, s31, exec_lo
	s_mov_b32 s33, exec_lo
	s_delay_alu instid0(VALU_DEP_2)
	v_cmp_le_u64_e32 vcc_lo, s[4:5], v[0:1]
	v_mov_b32_e32 v10, v0
	s_and_b32 s36, vcc_lo, exec_lo
	s_wait_alu 0xfffe
	s_or_b32 s35, s35, s36
	s_or_b32 exec_lo, exec_lo, s34
	s_wait_alu 0xfffe
	s_and_saveexec_b32 s34, s35
	s_wait_alu 0xfffe
	s_xor_b32 s34, exec_lo, s34
	s_cbranch_execz .LBB217_13
.LBB217_20:                             ;   in Loop: Header=BB217_11 Depth=2
	v_mov_b32_e32 v0, v1
	s_and_not1_b32 s33, s33, exec_lo
	ds_store_b64 v16, v[0:1]
	s_wait_alu 0xfffe
	s_or_b32 exec_lo, exec_lo, s34
	s_and_saveexec_b32 s34, s33
	s_cbranch_execnz .LBB217_14
	s_branch .LBB217_15
.LBB217_21:                             ;   in Loop: Header=BB217_8 Depth=1
	v_dual_mov_b32 v32, v1 :: v_dual_mov_b32 v33, v1
	v_dual_mov_b32 v30, v1 :: v_dual_mov_b32 v31, v1
	;; [unrolled: 1-line block ×4, first 2 shown]
.LBB217_22:                             ;   in Loop: Header=BB217_8 Depth=1
	s_mul_u64 s[2:3], s[26:27], s[28:29]
	s_wait_alu 0xfffe
	s_lshl_b64 s[2:3], s[2:3], 3
	s_wait_alu 0xfffe
	s_add_nc_u64 s[2:3], s[22:23], s[2:3]
	s_wait_alu 0xfffe
	v_add_co_u32 v0, vcc_lo, s2, v2
	s_wait_alu 0xfffd
	v_add_co_ci_u32_e64 v24, null, s3, v3, vcc_lo
	s_and_saveexec_b32 s33, s8
	s_cbranch_execz .LBB217_27
; %bb.23:                               ;   in Loop: Header=BB217_8 Depth=1
	v_mul_f32_e32 v13, s6, v33
	v_mul_f32_e32 v12, s7, v33
	s_and_b32 vcc_lo, exec_lo, s15
	s_mov_b32 s34, -1
	s_delay_alu instid0(VALU_DEP_2) | instskip(NEXT) | instid1(VALU_DEP_2)
	v_fmac_f32_e32 v13, s7, v32
	v_fma_f32 v12, v32, s6, -v12
	s_wait_alu 0xfffe
	s_cbranch_vccz .LBB217_25
; %bb.24:                               ;   in Loop: Header=BB217_8 Depth=1
	v_add_co_u32 v32, vcc_lo, v0, v6
	s_wait_alu 0xfffd
	v_add_co_ci_u32_e64 v33, null, v24, v7, vcc_lo
	s_mov_b32 s34, 0
	global_load_b64 v[34:35], v[32:33], off
	s_wait_loadcnt 0x0
	v_mul_f32_e32 v25, s21, v35
	s_delay_alu instid0(VALU_DEP_1) | instskip(SKIP_1) | instid1(VALU_DEP_1)
	v_fma_f32 v25, v34, s20, -v25
	v_mul_f32_e32 v35, s20, v35
	v_dual_fmac_f32 v35, s21, v34 :: v_dual_add_f32 v34, v12, v25
	s_delay_alu instid0(VALU_DEP_1)
	v_add_f32_e32 v35, v13, v35
	global_store_b64 v[32:33], v[34:35], off
.LBB217_25:                             ;   in Loop: Header=BB217_8 Depth=1
	s_wait_alu 0xfffe
	s_and_not1_b32 vcc_lo, exec_lo, s34
	s_wait_alu 0xfffe
	s_cbranch_vccnz .LBB217_27
; %bb.26:                               ;   in Loop: Header=BB217_8 Depth=1
	v_add_co_u32 v32, vcc_lo, v0, v6
	s_wait_alu 0xfffd
	v_add_co_ci_u32_e64 v33, null, v24, v7, vcc_lo
	global_store_b64 v[32:33], v[12:13], off
.LBB217_27:                             ;   in Loop: Header=BB217_8 Depth=1
	s_or_b32 exec_lo, exec_lo, s33
	s_and_saveexec_b32 s33, s9
	s_cbranch_execz .LBB217_32
; %bb.28:                               ;   in Loop: Header=BB217_8 Depth=1
	v_mul_f32_e32 v13, s6, v31
	v_mul_f32_e32 v12, s7, v31
	s_and_not1_b32 vcc_lo, exec_lo, s15
	s_mov_b32 s34, -1
	s_delay_alu instid0(VALU_DEP_2) | instskip(NEXT) | instid1(VALU_DEP_2)
	v_fmac_f32_e32 v13, s7, v30
	v_fma_f32 v12, v30, s6, -v12
	s_wait_alu 0xfffe
	s_cbranch_vccnz .LBB217_30
; %bb.29:                               ;   in Loop: Header=BB217_8 Depth=1
	v_add_co_u32 v30, vcc_lo, v0, v8
	s_wait_alu 0xfffd
	v_add_co_ci_u32_e64 v31, null, v24, v9, vcc_lo
	s_mov_b32 s34, 0
	global_load_b64 v[32:33], v[30:31], off
	s_wait_loadcnt 0x0
	v_mul_f32_e32 v25, s21, v33
	v_mul_f32_e32 v33, s20, v33
	s_delay_alu instid0(VALU_DEP_2) | instskip(NEXT) | instid1(VALU_DEP_1)
	v_fma_f32 v25, v32, s20, -v25
	v_dual_fmac_f32 v33, s21, v32 :: v_dual_add_f32 v32, v12, v25
	s_delay_alu instid0(VALU_DEP_1)
	v_add_f32_e32 v33, v13, v33
	global_store_b64 v[30:31], v[32:33], off
.LBB217_30:                             ;   in Loop: Header=BB217_8 Depth=1
	s_wait_alu 0xfffe
	s_and_not1_b32 vcc_lo, exec_lo, s34
	s_wait_alu 0xfffe
	s_cbranch_vccnz .LBB217_32
; %bb.31:                               ;   in Loop: Header=BB217_8 Depth=1
	v_add_co_u32 v30, vcc_lo, v0, v8
	s_wait_alu 0xfffd
	v_add_co_ci_u32_e64 v31, null, v24, v9, vcc_lo
	global_store_b64 v[30:31], v[12:13], off
.LBB217_32:                             ;   in Loop: Header=BB217_8 Depth=1
	s_or_b32 exec_lo, exec_lo, s33
	v_add_co_u32 v0, vcc_lo, s2, v4
	s_wait_alu 0xfffd
	v_add_co_ci_u32_e64 v24, null, s3, v5, vcc_lo
	s_and_saveexec_b32 s2, s24
	s_cbranch_execz .LBB217_37
; %bb.33:                               ;   in Loop: Header=BB217_8 Depth=1
	v_mul_f32_e32 v13, s6, v29
	v_mul_f32_e32 v12, s7, v29
	s_and_not1_b32 vcc_lo, exec_lo, s15
	s_mov_b32 s3, -1
	s_delay_alu instid0(VALU_DEP_2) | instskip(NEXT) | instid1(VALU_DEP_2)
	v_fmac_f32_e32 v13, s7, v28
	v_fma_f32 v12, v28, s6, -v12
	s_wait_alu 0xfffe
	s_cbranch_vccnz .LBB217_35
; %bb.34:                               ;   in Loop: Header=BB217_8 Depth=1
	v_add_co_u32 v28, vcc_lo, v0, v6
	s_wait_alu 0xfffd
	v_add_co_ci_u32_e64 v29, null, v24, v7, vcc_lo
	s_mov_b32 s3, 0
	global_load_b64 v[30:31], v[28:29], off
	s_wait_loadcnt 0x0
	v_mul_f32_e32 v25, s21, v31
	s_delay_alu instid0(VALU_DEP_1) | instskip(SKIP_1) | instid1(VALU_DEP_1)
	v_fma_f32 v25, v30, s20, -v25
	v_mul_f32_e32 v31, s20, v31
	v_dual_fmac_f32 v31, s21, v30 :: v_dual_add_f32 v30, v12, v25
	s_delay_alu instid0(VALU_DEP_1)
	v_add_f32_e32 v31, v13, v31
	global_store_b64 v[28:29], v[30:31], off
.LBB217_35:                             ;   in Loop: Header=BB217_8 Depth=1
	s_wait_alu 0xfffe
	s_and_not1_b32 vcc_lo, exec_lo, s3
	s_wait_alu 0xfffe
	s_cbranch_vccnz .LBB217_37
; %bb.36:                               ;   in Loop: Header=BB217_8 Depth=1
	v_add_co_u32 v28, vcc_lo, v0, v6
	s_wait_alu 0xfffd
	v_add_co_ci_u32_e64 v29, null, v24, v7, vcc_lo
	global_store_b64 v[28:29], v[12:13], off
.LBB217_37:                             ;   in Loop: Header=BB217_8 Depth=1
	s_wait_alu 0xfffe
	s_or_b32 exec_lo, exec_lo, s2
	s_and_saveexec_b32 s2, s1
	s_cbranch_execz .LBB217_7
; %bb.38:                               ;   in Loop: Header=BB217_8 Depth=1
	v_mul_f32_e32 v13, s6, v26
	v_mul_f32_e32 v12, s7, v26
	s_and_not1_b32 vcc_lo, exec_lo, s15
	s_mov_b32 s3, -1
	s_delay_alu instid0(VALU_DEP_2) | instskip(NEXT) | instid1(VALU_DEP_2)
	v_fmac_f32_e32 v13, s7, v27
	v_fma_f32 v12, v27, s6, -v12
	s_wait_alu 0xfffe
	s_cbranch_vccnz .LBB217_40
; %bb.39:                               ;   in Loop: Header=BB217_8 Depth=1
	v_add_co_u32 v25, vcc_lo, v0, v8
	s_wait_alu 0xfffd
	v_add_co_ci_u32_e64 v26, null, v24, v9, vcc_lo
	s_mov_b32 s3, 0
	global_load_b64 v[27:28], v[25:26], off
	s_wait_loadcnt 0x0
	v_mul_f32_e32 v29, s21, v28
	v_mul_f32_e32 v28, s20, v28
	s_delay_alu instid0(VALU_DEP_1) | instskip(NEXT) | instid1(VALU_DEP_3)
	v_fmac_f32_e32 v28, s21, v27
	v_fma_f32 v29, v27, s20, -v29
	s_delay_alu instid0(VALU_DEP_1)
	v_dual_add_f32 v28, v13, v28 :: v_dual_add_f32 v27, v12, v29
	global_store_b64 v[25:26], v[27:28], off
.LBB217_40:                             ;   in Loop: Header=BB217_8 Depth=1
	s_wait_alu 0xfffe
	s_and_not1_b32 vcc_lo, exec_lo, s3
	s_wait_alu 0xfffe
	s_cbranch_vccnz .LBB217_7
; %bb.41:                               ;   in Loop: Header=BB217_8 Depth=1
	v_add_co_u32 v25, vcc_lo, v0, v8
	s_wait_alu 0xfffd
	v_add_co_ci_u32_e64 v26, null, v24, v9, vcc_lo
	global_store_b64 v[25:26], v[12:13], off
	s_branch .LBB217_7
.LBB217_42:
	s_endpgm
	.section	.rodata,"a",@progbits
	.p2align	6, 0x0
	.amdhsa_kernel _ZL29rocblas_internal_gemmt_kernelIlLi16ELi32ELi8ELc78ELc84ELc85ELb0ELb0E19rocblas_complex_numIfEPKS1_S3_PS1_EviT_T9_T10_S5_lS7_S5_lS6_T11_S5_li
		.amdhsa_group_segment_fixed_size 4096
		.amdhsa_private_segment_fixed_size 0
		.amdhsa_kernarg_size 108
		.amdhsa_user_sgpr_count 2
		.amdhsa_user_sgpr_dispatch_ptr 0
		.amdhsa_user_sgpr_queue_ptr 0
		.amdhsa_user_sgpr_kernarg_segment_ptr 1
		.amdhsa_user_sgpr_dispatch_id 0
		.amdhsa_user_sgpr_private_segment_size 0
		.amdhsa_wavefront_size32 1
		.amdhsa_uses_dynamic_stack 0
		.amdhsa_enable_private_segment 0
		.amdhsa_system_sgpr_workgroup_id_x 1
		.amdhsa_system_sgpr_workgroup_id_y 1
		.amdhsa_system_sgpr_workgroup_id_z 1
		.amdhsa_system_sgpr_workgroup_info 0
		.amdhsa_system_vgpr_workitem_id 1
		.amdhsa_next_free_vgpr 71
		.amdhsa_next_free_sgpr 37
		.amdhsa_reserve_vcc 1
		.amdhsa_float_round_mode_32 0
		.amdhsa_float_round_mode_16_64 0
		.amdhsa_float_denorm_mode_32 3
		.amdhsa_float_denorm_mode_16_64 3
		.amdhsa_fp16_overflow 0
		.amdhsa_workgroup_processor_mode 1
		.amdhsa_memory_ordered 1
		.amdhsa_forward_progress 1
		.amdhsa_inst_pref_size 26
		.amdhsa_round_robin_scheduling 0
		.amdhsa_exception_fp_ieee_invalid_op 0
		.amdhsa_exception_fp_denorm_src 0
		.amdhsa_exception_fp_ieee_div_zero 0
		.amdhsa_exception_fp_ieee_overflow 0
		.amdhsa_exception_fp_ieee_underflow 0
		.amdhsa_exception_fp_ieee_inexact 0
		.amdhsa_exception_int_div_zero 0
	.end_amdhsa_kernel
	.section	.text._ZL29rocblas_internal_gemmt_kernelIlLi16ELi32ELi8ELc78ELc84ELc85ELb0ELb0E19rocblas_complex_numIfEPKS1_S3_PS1_EviT_T9_T10_S5_lS7_S5_lS6_T11_S5_li,"axG",@progbits,_ZL29rocblas_internal_gemmt_kernelIlLi16ELi32ELi8ELc78ELc84ELc85ELb0ELb0E19rocblas_complex_numIfEPKS1_S3_PS1_EviT_T9_T10_S5_lS7_S5_lS6_T11_S5_li,comdat
.Lfunc_end217:
	.size	_ZL29rocblas_internal_gemmt_kernelIlLi16ELi32ELi8ELc78ELc84ELc85ELb0ELb0E19rocblas_complex_numIfEPKS1_S3_PS1_EviT_T9_T10_S5_lS7_S5_lS6_T11_S5_li, .Lfunc_end217-_ZL29rocblas_internal_gemmt_kernelIlLi16ELi32ELi8ELc78ELc84ELc85ELb0ELb0E19rocblas_complex_numIfEPKS1_S3_PS1_EviT_T9_T10_S5_lS7_S5_lS6_T11_S5_li
                                        ; -- End function
	.set _ZL29rocblas_internal_gemmt_kernelIlLi16ELi32ELi8ELc78ELc84ELc85ELb0ELb0E19rocblas_complex_numIfEPKS1_S3_PS1_EviT_T9_T10_S5_lS7_S5_lS6_T11_S5_li.num_vgpr, 71
	.set _ZL29rocblas_internal_gemmt_kernelIlLi16ELi32ELi8ELc78ELc84ELc85ELb0ELb0E19rocblas_complex_numIfEPKS1_S3_PS1_EviT_T9_T10_S5_lS7_S5_lS6_T11_S5_li.num_agpr, 0
	.set _ZL29rocblas_internal_gemmt_kernelIlLi16ELi32ELi8ELc78ELc84ELc85ELb0ELb0E19rocblas_complex_numIfEPKS1_S3_PS1_EviT_T9_T10_S5_lS7_S5_lS6_T11_S5_li.numbered_sgpr, 37
	.set _ZL29rocblas_internal_gemmt_kernelIlLi16ELi32ELi8ELc78ELc84ELc85ELb0ELb0E19rocblas_complex_numIfEPKS1_S3_PS1_EviT_T9_T10_S5_lS7_S5_lS6_T11_S5_li.num_named_barrier, 0
	.set _ZL29rocblas_internal_gemmt_kernelIlLi16ELi32ELi8ELc78ELc84ELc85ELb0ELb0E19rocblas_complex_numIfEPKS1_S3_PS1_EviT_T9_T10_S5_lS7_S5_lS6_T11_S5_li.private_seg_size, 0
	.set _ZL29rocblas_internal_gemmt_kernelIlLi16ELi32ELi8ELc78ELc84ELc85ELb0ELb0E19rocblas_complex_numIfEPKS1_S3_PS1_EviT_T9_T10_S5_lS7_S5_lS6_T11_S5_li.uses_vcc, 1
	.set _ZL29rocblas_internal_gemmt_kernelIlLi16ELi32ELi8ELc78ELc84ELc85ELb0ELb0E19rocblas_complex_numIfEPKS1_S3_PS1_EviT_T9_T10_S5_lS7_S5_lS6_T11_S5_li.uses_flat_scratch, 0
	.set _ZL29rocblas_internal_gemmt_kernelIlLi16ELi32ELi8ELc78ELc84ELc85ELb0ELb0E19rocblas_complex_numIfEPKS1_S3_PS1_EviT_T9_T10_S5_lS7_S5_lS6_T11_S5_li.has_dyn_sized_stack, 0
	.set _ZL29rocblas_internal_gemmt_kernelIlLi16ELi32ELi8ELc78ELc84ELc85ELb0ELb0E19rocblas_complex_numIfEPKS1_S3_PS1_EviT_T9_T10_S5_lS7_S5_lS6_T11_S5_li.has_recursion, 0
	.set _ZL29rocblas_internal_gemmt_kernelIlLi16ELi32ELi8ELc78ELc84ELc85ELb0ELb0E19rocblas_complex_numIfEPKS1_S3_PS1_EviT_T9_T10_S5_lS7_S5_lS6_T11_S5_li.has_indirect_call, 0
	.section	.AMDGPU.csdata,"",@progbits
; Kernel info:
; codeLenInByte = 3244
; TotalNumSgprs: 39
; NumVgprs: 71
; ScratchSize: 0
; MemoryBound: 0
; FloatMode: 240
; IeeeMode: 1
; LDSByteSize: 4096 bytes/workgroup (compile time only)
; SGPRBlocks: 0
; VGPRBlocks: 8
; NumSGPRsForWavesPerEU: 39
; NumVGPRsForWavesPerEU: 71
; Occupancy: 16
; WaveLimiterHint : 0
; COMPUTE_PGM_RSRC2:SCRATCH_EN: 0
; COMPUTE_PGM_RSRC2:USER_SGPR: 2
; COMPUTE_PGM_RSRC2:TRAP_HANDLER: 0
; COMPUTE_PGM_RSRC2:TGID_X_EN: 1
; COMPUTE_PGM_RSRC2:TGID_Y_EN: 1
; COMPUTE_PGM_RSRC2:TGID_Z_EN: 1
; COMPUTE_PGM_RSRC2:TIDIG_COMP_CNT: 1
	.section	.text._ZL29rocblas_internal_gemmt_kernelIlLi16ELi32ELi8ELc78ELc67ELc85ELb0ELb1E19rocblas_complex_numIfEPKS1_S3_PS1_EviT_T9_T10_S5_lS7_S5_lS6_T11_S5_li,"axG",@progbits,_ZL29rocblas_internal_gemmt_kernelIlLi16ELi32ELi8ELc78ELc67ELc85ELb0ELb1E19rocblas_complex_numIfEPKS1_S3_PS1_EviT_T9_T10_S5_lS7_S5_lS6_T11_S5_li,comdat
	.globl	_ZL29rocblas_internal_gemmt_kernelIlLi16ELi32ELi8ELc78ELc67ELc85ELb0ELb1E19rocblas_complex_numIfEPKS1_S3_PS1_EviT_T9_T10_S5_lS7_S5_lS6_T11_S5_li ; -- Begin function _ZL29rocblas_internal_gemmt_kernelIlLi16ELi32ELi8ELc78ELc67ELc85ELb0ELb1E19rocblas_complex_numIfEPKS1_S3_PS1_EviT_T9_T10_S5_lS7_S5_lS6_T11_S5_li
	.p2align	8
	.type	_ZL29rocblas_internal_gemmt_kernelIlLi16ELi32ELi8ELc78ELc67ELc85ELb0ELb1E19rocblas_complex_numIfEPKS1_S3_PS1_EviT_T9_T10_S5_lS7_S5_lS6_T11_S5_li,@function
_ZL29rocblas_internal_gemmt_kernelIlLi16ELi32ELi8ELc78ELc67ELc85ELb0ELb1E19rocblas_complex_numIfEPKS1_S3_PS1_EviT_T9_T10_S5_lS7_S5_lS6_T11_S5_li: ; @_ZL29rocblas_internal_gemmt_kernelIlLi16ELi32ELi8ELc78ELc67ELc85ELb0ELb1E19rocblas_complex_numIfEPKS1_S3_PS1_EviT_T9_T10_S5_lS7_S5_lS6_T11_S5_li
; %bb.0:
	s_load_b256 s[20:27], s[0:1], 0x48
	s_wait_kmcnt 0x0
	s_load_b64 s[20:21], s[20:21], 0x0
	s_load_b512 s[4:19], s[0:1], 0x8
	s_wait_kmcnt 0x0
	s_cmp_eq_f32 s20, 1.0
	s_load_b64 s[6:7], s[6:7], 0x0
	s_cselect_b32 s2, -1, 0
	s_and_b32 s3, s21, 0x7fffffff
	s_delay_alu instid0(SALU_CYCLE_1) | instskip(SKIP_1) | instid1(SALU_CYCLE_1)
	s_cmp_eq_u32 s3, 0
	s_cselect_b32 s33, -1, 0
	s_and_b32 s3, s2, s33
	s_mov_b32 s2, 0
	s_and_not1_b32 vcc_lo, exec_lo, s3
	s_mov_b32 s3, -1
	s_cbranch_vccnz .LBB218_4
; %bb.1:
	s_cmp_lg_u64 s[4:5], 0
	s_cbranch_scc0 .LBB218_3
; %bb.2:
	s_wait_kmcnt 0x0
	s_cmp_neq_f32 s6, 0
	s_cselect_b32 s2, -1, 0
	s_cmp_neq_f32 s7, 0
	s_cselect_b32 s3, -1, 0
	s_delay_alu instid0(SALU_CYCLE_1)
	s_or_b32 s2, s2, s3
.LBB218_3:
	s_delay_alu instid0(SALU_CYCLE_1)
	s_mov_b32 s3, s2
.LBB218_4:
	s_delay_alu instid0(SALU_CYCLE_1)
	s_and_b32 vcc_lo, exec_lo, s3
	s_cbranch_vccz .LBB218_42
; %bb.5:
	s_load_b32 s30, s[0:1], 0x68
	s_lshr_b32 s28, ttmp7, 16
	s_wait_kmcnt 0x0
	s_cmp_ge_u32 s28, s30
	s_cbranch_scc1 .LBB218_42
; %bb.6:
	v_and_b32_e32 v7, 0x3ff, v0
	v_bfe_u32 v8, v0, 10, 10
	v_and_b32_e32 v14, 7, v0
	s_load_b32 s34, s[0:1], 0x0
	s_lshl_b32 s0, ttmp7, 5
	s_lshl_b32 s1, ttmp9, 5
	v_lshl_add_u32 v2, v8, 4, v7
	s_and_b32 s2, s0, 0x1fffe0
	v_lshlrev_b32_e32 v4, 3, v14
	v_add_nc_u32_e32 v11, s2, v8
	s_cmp_neq_f32 s6, 0
	v_lshrrev_b32_e32 v5, 3, v2
	v_lshrrev_b32_e32 v15, 5, v2
	v_lshl_add_u32 v23, v8, 6, 0x800
	v_add_nc_u32_e32 v12, 16, v11
	s_cselect_b32 s0, -1, 0
	v_lshl_or_b32 v4, v5, 6, v4
	v_add_nc_u32_e32 v6, s2, v5
	s_cmp_neq_f32 s7, 0
	v_cmp_gt_i64_e64 s35, s[4:5], 0
	s_mov_b32 s29, 0
	v_add_nc_u32_e32 v19, 0x800, v4
	v_mad_co_u64_u32 v[4:5], null, s24, v12, 0
	v_and_b32_e32 v3, 31, v2
	s_cselect_b32 s3, -1, 0
	s_wait_alu 0xfffe
	s_or_b32 s36, s0, s3
	s_cmp_neq_f32 s20, 0
	v_or_b32_e32 v0, s1, v3
	v_lshlrev_b32_e32 v3, 3, v3
	s_delay_alu instid0(VALU_DEP_2) | instskip(NEXT) | instid1(VALU_DEP_2)
	v_ashrrev_i32_e32 v1, 31, v0
	v_lshl_or_b32 v16, v15, 8, v3
	s_wait_kmcnt 0x0
	v_cmp_gt_i32_e64 s0, s34, v0
	v_cmp_le_i32_e64 s31, s34, v0
	v_lshlrev_b64_e32 v[1:2], 3, v[0:1]
	v_lshlrev_b32_e32 v0, 3, v6
	s_delay_alu instid0(VALU_DEP_2) | instskip(NEXT) | instid1(VALU_DEP_1)
	v_add_co_u32 v17, vcc_lo, s8, v1
	v_add_co_ci_u32_e64 v18, null, s9, v2, vcc_lo
	v_mad_co_u64_u32 v[2:3], null, s24, v11, 0
	v_cmp_gt_i32_e32 vcc_lo, s34, v6
	v_mov_b32_e32 v1, 0
	v_add_co_u32 v20, s2, s14, v0
	s_wait_alu 0xf1ff
	v_add_co_ci_u32_e64 v21, null, s15, 0, s2
	v_mov_b32_e32 v0, v3
	v_add_nc_u32_e32 v6, s1, v7
	v_cmp_gt_i32_e64 s1, s34, v11
	v_lshlrev_b32_e32 v22, 3, v7
	s_cselect_b32 s15, -1, 0
	v_mad_co_u64_u32 v[9:10], null, s25, v11, v[0:1]
	v_add_nc_u32_e32 v8, 16, v6
	v_mov_b32_e32 v0, v5
	v_cmp_le_i32_e64 s2, v6, v11
	v_ashrrev_i32_e32 v7, 31, v6
	s_xor_b32 s24, s33, -1
	v_cmp_le_i32_e64 s3, v8, v11
	v_mad_co_u64_u32 v[10:11], null, s25, v12, v[0:1]
	v_mov_b32_e32 v3, v9
	v_ashrrev_i32_e32 v9, 31, v8
	s_and_b32 s8, s1, s2
	s_and_b32 s9, s1, s3
	v_cmp_gt_i32_e64 s1, s34, v12
	v_cmp_le_i32_e64 s2, v6, v12
	v_mov_b32_e32 v5, v10
	v_cmp_le_i32_e64 s3, v8, v12
	v_lshlrev_b64_e32 v[2:3], 3, v[2:3]
	v_lshlrev_b64_e32 v[6:7], 3, v[6:7]
	;; [unrolled: 1-line block ×4, first 2 shown]
	s_and_b32 s14, s36, s35
	s_wait_alu 0xfffe
	s_or_b32 s15, s15, s24
	s_and_b32 s24, s1, s2
	s_and_b32 s1, s1, s3
	s_xor_b32 s25, vcc_lo, -1
                                        ; implicit-def: $vgpr10_vgpr11
	s_branch .LBB218_8
.LBB218_7:                              ;   in Loop: Header=BB218_8 Depth=1
	s_wait_alu 0xfffe
	s_or_b32 exec_lo, exec_lo, s2
	s_add_co_i32 s28, s28, 0x10000
	s_delay_alu instid0(SALU_CYCLE_1)
	s_cmp_lt_u32 s28, s30
	s_cbranch_scc0 .LBB218_42
.LBB218_8:                              ; =>This Loop Header: Depth=1
                                        ;     Child Loop BB218_11 Depth 2
	s_and_not1_b32 vcc_lo, exec_lo, s14
	s_wait_alu 0xfffe
	s_cbranch_vccnz .LBB218_21
; %bb.9:                                ;   in Loop: Header=BB218_8 Depth=1
	s_mul_u64 s[2:3], s[12:13], s[28:29]
	s_mul_u64 s[34:35], s[18:19], s[28:29]
	s_wait_alu 0xfffe
	s_lshl_b64 s[2:3], s[2:3], 3
	v_dual_mov_b32 v26, 0 :: v_dual_mov_b32 v27, 0
	s_wait_alu 0xfffe
	v_add_co_u32 v12, vcc_lo, v17, s2
	s_wait_alu 0xfffd
	v_add_co_ci_u32_e64 v13, null, s3, v18, vcc_lo
	s_lshl_b64 s[2:3], s[34:35], 3
	v_dual_mov_b32 v29, 0 :: v_dual_mov_b32 v28, 0
	s_wait_alu 0xfffe
	v_add_co_u32 v24, vcc_lo, v20, s2
	s_wait_alu 0xfffd
	v_add_co_ci_u32_e64 v25, null, s3, v21, vcc_lo
	v_dual_mov_b32 v31, 0 :: v_dual_mov_b32 v30, 0
	v_dual_mov_b32 v33, 0 :: v_dual_mov_b32 v32, 0
	s_mov_b64 s[2:3], 0
	s_branch .LBB218_11
.LBB218_10:                             ;   in Loop: Header=BB218_11 Depth=2
	s_or_b32 exec_lo, exec_lo, s33
	ds_store_b32 v19, v34 offset:4
	s_wait_dscnt 0x0
	s_barrier_signal -1
	s_barrier_wait -1
	global_inv scope:SCOPE_SE
	ds_load_b128 v[34:37], v23
	ds_load_2addr_b64 v[38:41], v22 offset1:16
	ds_load_b128 v[42:45], v23 offset:1024
	ds_load_b128 v[46:49], v23 offset:16
	;; [unrolled: 1-line block ×4, first 2 shown]
	ds_load_2addr_b64 v[58:61], v22 offset0:32 offset1:48
	ds_load_b128 v[62:65], v23 offset:1040
	s_add_nc_u64 s[2:3], s[2:3], 8
	s_wait_alu 0xfffe
	v_cmp_gt_i64_e64 s33, s[4:5], s[2:3]
	s_and_b32 vcc_lo, exec_lo, s33
	s_wait_dscnt 0x6
	v_mul_f32_e32 v0, v35, v39
	v_dual_mul_f32 v66, v34, v39 :: v_dual_mul_f32 v67, v35, v41
	s_wait_dscnt 0x5
	v_dual_mul_f32 v68, v34, v41 :: v_dual_mul_f32 v69, v43, v39
	v_dual_mul_f32 v39, v42, v39 :: v_dual_mul_f32 v70, v43, v41
	v_mul_f32_e32 v41, v42, v41
	v_fma_f32 v0, v34, v38, -v0
	v_fma_f32 v34, v34, v40, -v67
	s_delay_alu instid0(VALU_DEP_4)
	v_fmac_f32_e32 v39, v43, v38
	v_fmac_f32_e32 v68, v35, v40
	;; [unrolled: 1-line block ×3, first 2 shown]
	v_add_f32_e32 v0, v32, v0
	v_fmac_f32_e32 v66, v35, v38
	v_fma_f32 v35, v42, v38, -v69
	s_delay_alu instid0(VALU_DEP_2)
	v_add_f32_e32 v32, v33, v66
	v_add_f32_e32 v33, v30, v34
	v_fma_f32 v30, v42, v40, -v70
	s_wait_dscnt 0x1
	v_mul_f32_e32 v38, v37, v59
	v_add_f32_e32 v34, v28, v35
	v_dual_add_f32 v35, v29, v39 :: v_dual_add_f32 v26, v26, v41
	v_add_f32_e32 v39, v27, v30
	ds_load_2addr_b64 v[27:30], v22 offset0:64 offset1:80
	v_fma_f32 v38, v36, v58, -v38
	v_mul_f32_e32 v42, v37, v61
	v_mul_f32_e32 v41, v36, v61
	s_delay_alu instid0(VALU_DEP_3) | instskip(SKIP_1) | instid1(VALU_DEP_3)
	v_dual_add_f32 v31, v31, v68 :: v_dual_add_f32 v0, v0, v38
	v_mul_f32_e32 v38, v45, v59
	v_dual_mul_f32 v40, v36, v59 :: v_dual_fmac_f32 v41, v37, v60
	v_fma_f32 v36, v36, v60, -v42
	s_delay_alu instid0(VALU_DEP_2) | instskip(SKIP_1) | instid1(VALU_DEP_3)
	v_fmac_f32_e32 v40, v37, v58
	v_mul_f32_e32 v37, v45, v61
	v_add_f32_e32 v36, v33, v36
	v_fma_f32 v33, v44, v58, -v38
	v_add_f32_e32 v38, v31, v41
	v_mul_f32_e32 v41, v44, v61
	v_fma_f32 v31, v44, v60, -v37
	v_add_f32_e32 v40, v32, v40
	v_mul_f32_e32 v32, v44, v59
	s_wait_dscnt 0x0
	v_dual_add_f32 v42, v34, v33 :: v_dual_mul_f32 v33, v47, v28
	v_fmac_f32_e32 v41, v45, v60
	s_delay_alu instid0(VALU_DEP_3) | instskip(SKIP_1) | instid1(VALU_DEP_4)
	v_dual_mul_f32 v37, v46, v28 :: v_dual_fmac_f32 v32, v45, v58
	v_add_f32_e32 v39, v39, v31
	v_fma_f32 v43, v46, v27, -v33
	s_delay_alu instid0(VALU_DEP_3) | instskip(NEXT) | instid1(VALU_DEP_4)
	v_fmac_f32_e32 v37, v47, v27
	v_add_f32_e32 v35, v35, v32
	ds_load_2addr_b64 v[31:34], v22 offset0:96 offset1:112
	v_mul_f32_e32 v44, v47, v30
	v_add_f32_e32 v0, v0, v43
	v_dual_add_f32 v37, v40, v37 :: v_dual_mul_f32 v40, v63, v28
	v_mul_f32_e32 v28, v62, v28
	s_delay_alu instid0(VALU_DEP_4)
	v_fma_f32 v43, v46, v29, -v44
	v_add_f32_e32 v41, v26, v41
	v_mul_f32_e32 v26, v46, v30
	v_fma_f32 v40, v62, v27, -v40
	v_fmac_f32_e32 v28, v63, v27
	v_dual_add_f32 v36, v36, v43 :: v_dual_mul_f32 v43, v63, v30
	v_mul_f32_e32 v30, v62, v30
	s_delay_alu instid0(VALU_DEP_4) | instskip(NEXT) | instid1(VALU_DEP_4)
	v_add_f32_e32 v40, v42, v40
	v_add_f32_e32 v42, v35, v28
	s_wait_dscnt 0x0
	s_delay_alu instid0(VALU_DEP_3) | instskip(NEXT) | instid1(VALU_DEP_1)
	v_dual_fmac_f32 v30, v63, v29 :: v_dual_mul_f32 v35, v49, v32
	v_add_f32_e32 v41, v41, v30
	s_delay_alu instid0(VALU_DEP_2) | instskip(NEXT) | instid1(VALU_DEP_1)
	v_fma_f32 v35, v48, v31, -v35
	v_dual_add_f32 v0, v0, v35 :: v_dual_mul_f32 v35, v65, v32
	v_dual_fmac_f32 v26, v47, v29 :: v_dual_mul_f32 v47, v65, v34
	s_delay_alu instid0(VALU_DEP_2) | instskip(NEXT) | instid1(VALU_DEP_2)
	v_fma_f32 v46, v64, v31, -v35
	v_add_f32_e32 v44, v38, v26
	v_fma_f32 v26, v62, v29, -v43
	v_dual_mul_f32 v38, v48, v32 :: v_dual_mul_f32 v43, v49, v34
	s_delay_alu instid0(VALU_DEP_2) | instskip(SKIP_3) | instid1(VALU_DEP_2)
	v_dual_mul_f32 v32, v64, v32 :: v_dual_add_f32 v39, v39, v26
	ds_load_2addr_b64 v[26:29], v22 offset0:128 offset1:144
	v_fmac_f32_e32 v38, v49, v31
	v_fma_f32 v43, v48, v33, -v43
	v_add_f32_e32 v45, v37, v38
	s_delay_alu instid0(VALU_DEP_2) | instskip(SKIP_4) | instid1(VALU_DEP_2)
	v_add_f32_e32 v43, v36, v43
	ds_load_b128 v[35:38], v23 offset:1056
	v_mul_f32_e32 v30, v48, v34
	v_fmac_f32_e32 v32, v65, v31
	s_wait_dscnt 0x1
	v_dual_fmac_f32 v30, v49, v33 :: v_dual_mul_f32 v49, v50, v27
	s_delay_alu instid0(VALU_DEP_1) | instskip(SKIP_2) | instid1(VALU_DEP_4)
	v_dual_mul_f32 v31, v51, v27 :: v_dual_add_f32 v44, v44, v30
	v_fma_f32 v30, v64, v33, -v47
	v_add_f32_e32 v47, v42, v32
	v_fmac_f32_e32 v49, v51, v26
	s_delay_alu instid0(VALU_DEP_3) | instskip(SKIP_1) | instid1(VALU_DEP_3)
	v_add_f32_e32 v48, v39, v30
	v_fma_f32 v39, v50, v26, -v31
	v_dual_add_f32 v45, v45, v49 :: v_dual_mul_f32 v34, v64, v34
	s_delay_alu instid0(VALU_DEP_2) | instskip(NEXT) | instid1(VALU_DEP_2)
	v_add_f32_e32 v0, v0, v39
	v_fmac_f32_e32 v34, v65, v33
	ds_load_2addr_b64 v[30:33], v22 offset0:160 offset1:176
	v_add_f32_e32 v46, v40, v46
	v_mul_f32_e32 v40, v51, v29
	s_delay_alu instid0(VALU_DEP_1) | instskip(NEXT) | instid1(VALU_DEP_1)
	v_fma_f32 v58, v50, v28, -v40
	v_dual_mul_f32 v50, v50, v29 :: v_dual_add_f32 v43, v43, v58
	s_delay_alu instid0(VALU_DEP_1)
	v_fmac_f32_e32 v50, v51, v28
	v_add_f32_e32 v34, v41, v34
	ds_load_b128 v[39:42], v23 offset:1072
	s_wait_dscnt 0x2
	v_mul_f32_e32 v59, v36, v27
	v_dual_mul_f32 v27, v35, v27 :: v_dual_add_f32 v44, v44, v50
	v_mul_f32_e32 v50, v35, v29
	v_mul_f32_e32 v51, v36, v29
	s_delay_alu instid0(VALU_DEP_4) | instskip(NEXT) | instid1(VALU_DEP_4)
	v_fma_f32 v49, v35, v26, -v59
	v_fmac_f32_e32 v27, v36, v26
	s_delay_alu instid0(VALU_DEP_4)
	v_fmac_f32_e32 v50, v36, v28
	s_wait_dscnt 0x1
	v_mul_f32_e32 v36, v52, v31
	v_fma_f32 v26, v35, v28, -v51
	v_add_f32_e32 v35, v47, v27
	v_mul_f32_e32 v47, v53, v31
	s_delay_alu instid0(VALU_DEP_4) | instskip(NEXT) | instid1(VALU_DEP_2)
	v_fmac_f32_e32 v36, v53, v30
	v_fma_f32 v47, v52, v30, -v47
	s_delay_alu instid0(VALU_DEP_2) | instskip(SKIP_1) | instid1(VALU_DEP_3)
	v_dual_add_f32 v45, v45, v36 :: v_dual_mul_f32 v36, v38, v31
	v_dual_mul_f32 v31, v37, v31 :: v_dual_add_f32 v46, v46, v49
	v_dual_mul_f32 v49, v53, v33 :: v_dual_add_f32 v0, v0, v47
	s_delay_alu instid0(VALU_DEP_3) | instskip(NEXT) | instid1(VALU_DEP_3)
	v_fma_f32 v36, v37, v30, -v36
	v_dual_fmac_f32 v31, v38, v30 :: v_dual_mul_f32 v30, v37, v33
	s_delay_alu instid0(VALU_DEP_3) | instskip(NEXT) | instid1(VALU_DEP_2)
	v_fma_f32 v47, v52, v32, -v49
	v_dual_add_f32 v31, v35, v31 :: v_dual_fmac_f32 v30, v38, v32
	s_delay_alu instid0(VALU_DEP_2)
	v_add_f32_e32 v43, v43, v47
	v_dual_mul_f32 v47, v38, v33 :: v_dual_add_f32 v48, v48, v26
	ds_load_2addr_b64 v[26:29], v22 offset0:192 offset1:208
	v_add_f32_e32 v50, v34, v50
	v_mul_f32_e32 v34, v52, v33
	v_fma_f32 v33, v37, v32, -v47
	s_wait_dscnt 0x0
	s_delay_alu instid0(VALU_DEP_2) | instskip(NEXT) | instid1(VALU_DEP_1)
	v_dual_fmac_f32 v34, v53, v32 :: v_dual_mul_f32 v47, v55, v29
	v_fma_f32 v47, v54, v28, -v47
	s_delay_alu instid0(VALU_DEP_1) | instskip(SKIP_3) | instid1(VALU_DEP_3)
	v_dual_add_f32 v43, v43, v47 :: v_dual_add_f32 v32, v48, v33
	v_mul_f32_e32 v33, v54, v27
	v_mul_f32_e32 v48, v40, v27
	;; [unrolled: 1-line block ×3, first 2 shown]
	v_dual_fmac_f32 v33, v55, v26 :: v_dual_add_f32 v46, v46, v36
	s_delay_alu instid0(VALU_DEP_1) | instskip(SKIP_3) | instid1(VALU_DEP_3)
	v_dual_add_f32 v33, v45, v33 :: v_dual_add_f32 v44, v44, v34
	v_mul_f32_e32 v34, v55, v27
	v_mul_f32_e32 v27, v39, v27
	v_fma_f32 v45, v39, v26, -v48
	v_fma_f32 v38, v54, v26, -v34
	ds_load_2addr_b64 v[34:37], v22 offset0:224 offset1:240
	v_fmac_f32_e32 v27, v40, v26
	s_wait_loadcnt_dscnt 0x0
	s_barrier_signal -1
	v_add_f32_e32 v0, v0, v38
	s_barrier_wait -1
	v_dual_add_f32 v27, v31, v27 :: v_dual_mul_f32 v38, v54, v29
	v_mul_f32_e32 v29, v39, v29
	v_fma_f32 v39, v39, v28, -v47
	v_add_f32_e32 v30, v50, v30
	global_inv scope:SCOPE_SE
	v_fmac_f32_e32 v38, v55, v28
	v_fmac_f32_e32 v29, v40, v28
	s_delay_alu instid0(VALU_DEP_1) | instskip(SKIP_4) | instid1(VALU_DEP_4)
	v_dual_add_f32 v39, v32, v39 :: v_dual_add_f32 v40, v30, v29
	v_mul_f32_e32 v31, v57, v35
	v_mul_f32_e32 v32, v57, v37
	v_mul_f32_e32 v28, v56, v35
	v_mul_f32_e32 v29, v56, v37
	v_fma_f32 v31, v56, v34, -v31
	s_delay_alu instid0(VALU_DEP_4) | instskip(NEXT) | instid1(VALU_DEP_4)
	v_fma_f32 v30, v56, v36, -v32
	v_fmac_f32_e32 v28, v57, v34
	s_delay_alu instid0(VALU_DEP_4) | instskip(NEXT) | instid1(VALU_DEP_4)
	v_dual_fmac_f32 v29, v57, v36 :: v_dual_add_f32 v26, v44, v38
	v_add_f32_e32 v32, v0, v31
	v_mul_f32_e32 v0, v42, v35
	v_add_f32_e32 v38, v46, v45
	v_dual_add_f32 v30, v43, v30 :: v_dual_mul_f32 v35, v41, v35
	v_mul_f32_e32 v43, v42, v37
	s_delay_alu instid0(VALU_DEP_4)
	v_fma_f32 v0, v41, v34, -v0
	v_mul_f32_e32 v37, v41, v37
	v_add_f32_e32 v33, v33, v28
	v_fmac_f32_e32 v35, v42, v34
	v_add_f32_e32 v31, v26, v29
	v_add_f32_e32 v28, v38, v0
	v_fma_f32 v0, v41, v36, -v43
	v_fmac_f32_e32 v37, v42, v36
	v_add_f32_e32 v29, v27, v35
	s_delay_alu instid0(VALU_DEP_2)
	v_dual_add_f32 v27, v39, v0 :: v_dual_add_f32 v26, v40, v37
	s_wait_alu 0xfffe
	s_cbranch_vccz .LBB218_22
.LBB218_11:                             ;   Parent Loop BB218_8 Depth=1
                                        ; =>  This Inner Loop Header: Depth=2
	s_mov_b32 s33, 0
	s_mov_b32 s35, s31
	s_and_saveexec_b32 s34, s0
	s_cbranch_execnz .LBB218_19
; %bb.12:                               ;   in Loop: Header=BB218_11 Depth=2
	s_wait_alu 0xfffe
	s_or_b32 exec_lo, exec_lo, s34
	s_and_saveexec_b32 s34, s35
	s_wait_alu 0xfffe
	s_xor_b32 s34, exec_lo, s34
	s_cbranch_execnz .LBB218_20
.LBB218_13:                             ;   in Loop: Header=BB218_11 Depth=2
	s_wait_alu 0xfffe
	s_or_b32 exec_lo, exec_lo, s34
	s_and_saveexec_b32 s34, s33
	s_cbranch_execz .LBB218_15
.LBB218_14:                             ;   in Loop: Header=BB218_11 Depth=2
	v_mul_lo_u32 v0, s11, v10
	v_mul_lo_u32 v36, s10, v11
	v_mad_co_u64_u32 v[34:35], null, s10, v10, 0
	s_delay_alu instid0(VALU_DEP_1) | instskip(NEXT) | instid1(VALU_DEP_1)
	v_add3_u32 v35, v35, v36, v0
	v_lshlrev_b64_e32 v[34:35], 3, v[34:35]
	s_delay_alu instid0(VALU_DEP_1) | instskip(SKIP_1) | instid1(VALU_DEP_2)
	v_add_co_u32 v34, vcc_lo, v12, v34
	s_wait_alu 0xfffd
	v_add_co_ci_u32_e64 v35, null, v13, v35, vcc_lo
	global_load_b64 v[34:35], v[34:35], off
	s_wait_loadcnt 0x0
	ds_store_b64 v16, v[34:35]
.LBB218_15:                             ;   in Loop: Header=BB218_11 Depth=2
	s_wait_alu 0xfffe
	s_or_b32 exec_lo, exec_lo, s34
	v_add_nc_u32_e32 v0, s2, v14
	s_delay_alu instid0(VALU_DEP_1) | instskip(SKIP_1) | instid1(SALU_CYCLE_1)
	v_cmp_le_u64_e32 vcc_lo, s[4:5], v[0:1]
	s_or_b32 s33, vcc_lo, s25
	s_and_saveexec_b32 s34, s33
	s_wait_alu 0xfffe
	s_xor_b32 s33, exec_lo, s34
; %bb.16:                               ;   in Loop: Header=BB218_11 Depth=2
	ds_store_b32 v19, v1
; %bb.17:                               ;   in Loop: Header=BB218_11 Depth=2
	s_or_saveexec_b32 s33, s33
	v_mov_b32_e32 v34, 0
	s_xor_b32 exec_lo, exec_lo, s33
	s_cbranch_execz .LBB218_10
; %bb.18:                               ;   in Loop: Header=BB218_11 Depth=2
	v_mad_co_u64_u32 v[34:35], null, s16, v0, 0
	s_delay_alu instid0(VALU_DEP_1) | instskip(NEXT) | instid1(VALU_DEP_1)
	v_mad_co_u64_u32 v[35:36], null, s17, v0, v[35:36]
	v_lshlrev_b64_e32 v[34:35], 3, v[34:35]
	s_delay_alu instid0(VALU_DEP_1) | instskip(SKIP_1) | instid1(VALU_DEP_2)
	v_add_co_u32 v34, vcc_lo, v24, v34
	s_wait_alu 0xfffd
	v_add_co_ci_u32_e64 v35, null, v25, v35, vcc_lo
	global_load_b64 v[35:36], v[34:35], off
	s_wait_loadcnt 0x0
	v_xor_b32_e32 v34, 0x80000000, v36
	ds_store_b32 v19, v35
	s_branch .LBB218_10
.LBB218_19:                             ;   in Loop: Header=BB218_11 Depth=2
	s_wait_alu 0xfffe
	v_add_nc_u32_e32 v0, s2, v15
	v_mov_b32_e32 v11, v1
	s_and_not1_b32 s35, s31, exec_lo
	s_mov_b32 s33, exec_lo
	s_delay_alu instid0(VALU_DEP_2)
	v_cmp_le_u64_e32 vcc_lo, s[4:5], v[0:1]
	v_mov_b32_e32 v10, v0
	s_and_b32 s36, vcc_lo, exec_lo
	s_wait_alu 0xfffe
	s_or_b32 s35, s35, s36
	s_or_b32 exec_lo, exec_lo, s34
	s_wait_alu 0xfffe
	s_and_saveexec_b32 s34, s35
	s_wait_alu 0xfffe
	s_xor_b32 s34, exec_lo, s34
	s_cbranch_execz .LBB218_13
.LBB218_20:                             ;   in Loop: Header=BB218_11 Depth=2
	v_mov_b32_e32 v0, v1
	s_and_not1_b32 s33, s33, exec_lo
	ds_store_b64 v16, v[0:1]
	s_wait_alu 0xfffe
	s_or_b32 exec_lo, exec_lo, s34
	s_and_saveexec_b32 s34, s33
	s_cbranch_execnz .LBB218_14
	s_branch .LBB218_15
.LBB218_21:                             ;   in Loop: Header=BB218_8 Depth=1
	v_dual_mov_b32 v32, v1 :: v_dual_mov_b32 v33, v1
	v_dual_mov_b32 v30, v1 :: v_dual_mov_b32 v31, v1
	;; [unrolled: 1-line block ×4, first 2 shown]
.LBB218_22:                             ;   in Loop: Header=BB218_8 Depth=1
	s_mul_u64 s[2:3], s[26:27], s[28:29]
	s_wait_alu 0xfffe
	s_lshl_b64 s[2:3], s[2:3], 3
	s_wait_alu 0xfffe
	s_add_nc_u64 s[2:3], s[22:23], s[2:3]
	s_wait_alu 0xfffe
	v_add_co_u32 v0, vcc_lo, s2, v2
	s_wait_alu 0xfffd
	v_add_co_ci_u32_e64 v24, null, s3, v3, vcc_lo
	s_and_saveexec_b32 s33, s8
	s_cbranch_execz .LBB218_27
; %bb.23:                               ;   in Loop: Header=BB218_8 Depth=1
	v_mul_f32_e32 v13, s6, v33
	v_mul_f32_e32 v12, s7, v33
	s_and_b32 vcc_lo, exec_lo, s15
	s_mov_b32 s34, -1
	s_delay_alu instid0(VALU_DEP_2) | instskip(NEXT) | instid1(VALU_DEP_2)
	v_fmac_f32_e32 v13, s7, v32
	v_fma_f32 v12, v32, s6, -v12
	s_wait_alu 0xfffe
	s_cbranch_vccz .LBB218_25
; %bb.24:                               ;   in Loop: Header=BB218_8 Depth=1
	v_add_co_u32 v32, vcc_lo, v0, v6
	s_wait_alu 0xfffd
	v_add_co_ci_u32_e64 v33, null, v24, v7, vcc_lo
	s_mov_b32 s34, 0
	global_load_b64 v[34:35], v[32:33], off
	s_wait_loadcnt 0x0
	v_mul_f32_e32 v25, s21, v35
	s_delay_alu instid0(VALU_DEP_1) | instskip(SKIP_1) | instid1(VALU_DEP_1)
	v_fma_f32 v25, v34, s20, -v25
	v_mul_f32_e32 v35, s20, v35
	v_dual_fmac_f32 v35, s21, v34 :: v_dual_add_f32 v34, v12, v25
	s_delay_alu instid0(VALU_DEP_1)
	v_add_f32_e32 v35, v13, v35
	global_store_b64 v[32:33], v[34:35], off
.LBB218_25:                             ;   in Loop: Header=BB218_8 Depth=1
	s_wait_alu 0xfffe
	s_and_not1_b32 vcc_lo, exec_lo, s34
	s_wait_alu 0xfffe
	s_cbranch_vccnz .LBB218_27
; %bb.26:                               ;   in Loop: Header=BB218_8 Depth=1
	v_add_co_u32 v32, vcc_lo, v0, v6
	s_wait_alu 0xfffd
	v_add_co_ci_u32_e64 v33, null, v24, v7, vcc_lo
	global_store_b64 v[32:33], v[12:13], off
.LBB218_27:                             ;   in Loop: Header=BB218_8 Depth=1
	s_or_b32 exec_lo, exec_lo, s33
	s_and_saveexec_b32 s33, s9
	s_cbranch_execz .LBB218_32
; %bb.28:                               ;   in Loop: Header=BB218_8 Depth=1
	v_mul_f32_e32 v13, s6, v31
	v_mul_f32_e32 v12, s7, v31
	s_and_not1_b32 vcc_lo, exec_lo, s15
	s_mov_b32 s34, -1
	s_delay_alu instid0(VALU_DEP_2) | instskip(NEXT) | instid1(VALU_DEP_2)
	v_fmac_f32_e32 v13, s7, v30
	v_fma_f32 v12, v30, s6, -v12
	s_wait_alu 0xfffe
	s_cbranch_vccnz .LBB218_30
; %bb.29:                               ;   in Loop: Header=BB218_8 Depth=1
	v_add_co_u32 v30, vcc_lo, v0, v8
	s_wait_alu 0xfffd
	v_add_co_ci_u32_e64 v31, null, v24, v9, vcc_lo
	s_mov_b32 s34, 0
	global_load_b64 v[32:33], v[30:31], off
	s_wait_loadcnt 0x0
	v_mul_f32_e32 v25, s21, v33
	v_mul_f32_e32 v33, s20, v33
	s_delay_alu instid0(VALU_DEP_2) | instskip(NEXT) | instid1(VALU_DEP_1)
	v_fma_f32 v25, v32, s20, -v25
	v_dual_fmac_f32 v33, s21, v32 :: v_dual_add_f32 v32, v12, v25
	s_delay_alu instid0(VALU_DEP_1)
	v_add_f32_e32 v33, v13, v33
	global_store_b64 v[30:31], v[32:33], off
.LBB218_30:                             ;   in Loop: Header=BB218_8 Depth=1
	s_wait_alu 0xfffe
	s_and_not1_b32 vcc_lo, exec_lo, s34
	s_wait_alu 0xfffe
	s_cbranch_vccnz .LBB218_32
; %bb.31:                               ;   in Loop: Header=BB218_8 Depth=1
	v_add_co_u32 v30, vcc_lo, v0, v8
	s_wait_alu 0xfffd
	v_add_co_ci_u32_e64 v31, null, v24, v9, vcc_lo
	global_store_b64 v[30:31], v[12:13], off
.LBB218_32:                             ;   in Loop: Header=BB218_8 Depth=1
	s_or_b32 exec_lo, exec_lo, s33
	v_add_co_u32 v0, vcc_lo, s2, v4
	s_wait_alu 0xfffd
	v_add_co_ci_u32_e64 v24, null, s3, v5, vcc_lo
	s_and_saveexec_b32 s2, s24
	s_cbranch_execz .LBB218_37
; %bb.33:                               ;   in Loop: Header=BB218_8 Depth=1
	v_mul_f32_e32 v13, s6, v29
	v_mul_f32_e32 v12, s7, v29
	s_and_not1_b32 vcc_lo, exec_lo, s15
	s_mov_b32 s3, -1
	s_delay_alu instid0(VALU_DEP_2) | instskip(NEXT) | instid1(VALU_DEP_2)
	v_fmac_f32_e32 v13, s7, v28
	v_fma_f32 v12, v28, s6, -v12
	s_wait_alu 0xfffe
	s_cbranch_vccnz .LBB218_35
; %bb.34:                               ;   in Loop: Header=BB218_8 Depth=1
	v_add_co_u32 v28, vcc_lo, v0, v6
	s_wait_alu 0xfffd
	v_add_co_ci_u32_e64 v29, null, v24, v7, vcc_lo
	s_mov_b32 s3, 0
	global_load_b64 v[30:31], v[28:29], off
	s_wait_loadcnt 0x0
	v_mul_f32_e32 v25, s21, v31
	s_delay_alu instid0(VALU_DEP_1) | instskip(SKIP_1) | instid1(VALU_DEP_1)
	v_fma_f32 v25, v30, s20, -v25
	v_mul_f32_e32 v31, s20, v31
	v_dual_fmac_f32 v31, s21, v30 :: v_dual_add_f32 v30, v12, v25
	s_delay_alu instid0(VALU_DEP_1)
	v_add_f32_e32 v31, v13, v31
	global_store_b64 v[28:29], v[30:31], off
.LBB218_35:                             ;   in Loop: Header=BB218_8 Depth=1
	s_wait_alu 0xfffe
	s_and_not1_b32 vcc_lo, exec_lo, s3
	s_wait_alu 0xfffe
	s_cbranch_vccnz .LBB218_37
; %bb.36:                               ;   in Loop: Header=BB218_8 Depth=1
	v_add_co_u32 v28, vcc_lo, v0, v6
	s_wait_alu 0xfffd
	v_add_co_ci_u32_e64 v29, null, v24, v7, vcc_lo
	global_store_b64 v[28:29], v[12:13], off
.LBB218_37:                             ;   in Loop: Header=BB218_8 Depth=1
	s_wait_alu 0xfffe
	s_or_b32 exec_lo, exec_lo, s2
	s_and_saveexec_b32 s2, s1
	s_cbranch_execz .LBB218_7
; %bb.38:                               ;   in Loop: Header=BB218_8 Depth=1
	v_mul_f32_e32 v13, s6, v26
	v_mul_f32_e32 v12, s7, v26
	s_and_not1_b32 vcc_lo, exec_lo, s15
	s_mov_b32 s3, -1
	s_delay_alu instid0(VALU_DEP_2) | instskip(NEXT) | instid1(VALU_DEP_2)
	v_fmac_f32_e32 v13, s7, v27
	v_fma_f32 v12, v27, s6, -v12
	s_wait_alu 0xfffe
	s_cbranch_vccnz .LBB218_40
; %bb.39:                               ;   in Loop: Header=BB218_8 Depth=1
	v_add_co_u32 v25, vcc_lo, v0, v8
	s_wait_alu 0xfffd
	v_add_co_ci_u32_e64 v26, null, v24, v9, vcc_lo
	s_mov_b32 s3, 0
	global_load_b64 v[27:28], v[25:26], off
	s_wait_loadcnt 0x0
	v_mul_f32_e32 v29, s21, v28
	v_mul_f32_e32 v28, s20, v28
	s_delay_alu instid0(VALU_DEP_1) | instskip(NEXT) | instid1(VALU_DEP_3)
	v_fmac_f32_e32 v28, s21, v27
	v_fma_f32 v29, v27, s20, -v29
	s_delay_alu instid0(VALU_DEP_1)
	v_dual_add_f32 v28, v13, v28 :: v_dual_add_f32 v27, v12, v29
	global_store_b64 v[25:26], v[27:28], off
.LBB218_40:                             ;   in Loop: Header=BB218_8 Depth=1
	s_wait_alu 0xfffe
	s_and_not1_b32 vcc_lo, exec_lo, s3
	s_wait_alu 0xfffe
	s_cbranch_vccnz .LBB218_7
; %bb.41:                               ;   in Loop: Header=BB218_8 Depth=1
	v_add_co_u32 v25, vcc_lo, v0, v8
	s_wait_alu 0xfffd
	v_add_co_ci_u32_e64 v26, null, v24, v9, vcc_lo
	global_store_b64 v[25:26], v[12:13], off
	s_branch .LBB218_7
.LBB218_42:
	s_endpgm
	.section	.rodata,"a",@progbits
	.p2align	6, 0x0
	.amdhsa_kernel _ZL29rocblas_internal_gemmt_kernelIlLi16ELi32ELi8ELc78ELc67ELc85ELb0ELb1E19rocblas_complex_numIfEPKS1_S3_PS1_EviT_T9_T10_S5_lS7_S5_lS6_T11_S5_li
		.amdhsa_group_segment_fixed_size 4096
		.amdhsa_private_segment_fixed_size 0
		.amdhsa_kernarg_size 108
		.amdhsa_user_sgpr_count 2
		.amdhsa_user_sgpr_dispatch_ptr 0
		.amdhsa_user_sgpr_queue_ptr 0
		.amdhsa_user_sgpr_kernarg_segment_ptr 1
		.amdhsa_user_sgpr_dispatch_id 0
		.amdhsa_user_sgpr_private_segment_size 0
		.amdhsa_wavefront_size32 1
		.amdhsa_uses_dynamic_stack 0
		.amdhsa_enable_private_segment 0
		.amdhsa_system_sgpr_workgroup_id_x 1
		.amdhsa_system_sgpr_workgroup_id_y 1
		.amdhsa_system_sgpr_workgroup_id_z 1
		.amdhsa_system_sgpr_workgroup_info 0
		.amdhsa_system_vgpr_workitem_id 1
		.amdhsa_next_free_vgpr 71
		.amdhsa_next_free_sgpr 37
		.amdhsa_reserve_vcc 1
		.amdhsa_float_round_mode_32 0
		.amdhsa_float_round_mode_16_64 0
		.amdhsa_float_denorm_mode_32 3
		.amdhsa_float_denorm_mode_16_64 3
		.amdhsa_fp16_overflow 0
		.amdhsa_workgroup_processor_mode 1
		.amdhsa_memory_ordered 1
		.amdhsa_forward_progress 1
		.amdhsa_inst_pref_size 26
		.amdhsa_round_robin_scheduling 0
		.amdhsa_exception_fp_ieee_invalid_op 0
		.amdhsa_exception_fp_denorm_src 0
		.amdhsa_exception_fp_ieee_div_zero 0
		.amdhsa_exception_fp_ieee_overflow 0
		.amdhsa_exception_fp_ieee_underflow 0
		.amdhsa_exception_fp_ieee_inexact 0
		.amdhsa_exception_int_div_zero 0
	.end_amdhsa_kernel
	.section	.text._ZL29rocblas_internal_gemmt_kernelIlLi16ELi32ELi8ELc78ELc67ELc85ELb0ELb1E19rocblas_complex_numIfEPKS1_S3_PS1_EviT_T9_T10_S5_lS7_S5_lS6_T11_S5_li,"axG",@progbits,_ZL29rocblas_internal_gemmt_kernelIlLi16ELi32ELi8ELc78ELc67ELc85ELb0ELb1E19rocblas_complex_numIfEPKS1_S3_PS1_EviT_T9_T10_S5_lS7_S5_lS6_T11_S5_li,comdat
.Lfunc_end218:
	.size	_ZL29rocblas_internal_gemmt_kernelIlLi16ELi32ELi8ELc78ELc67ELc85ELb0ELb1E19rocblas_complex_numIfEPKS1_S3_PS1_EviT_T9_T10_S5_lS7_S5_lS6_T11_S5_li, .Lfunc_end218-_ZL29rocblas_internal_gemmt_kernelIlLi16ELi32ELi8ELc78ELc67ELc85ELb0ELb1E19rocblas_complex_numIfEPKS1_S3_PS1_EviT_T9_T10_S5_lS7_S5_lS6_T11_S5_li
                                        ; -- End function
	.set _ZL29rocblas_internal_gemmt_kernelIlLi16ELi32ELi8ELc78ELc67ELc85ELb0ELb1E19rocblas_complex_numIfEPKS1_S3_PS1_EviT_T9_T10_S5_lS7_S5_lS6_T11_S5_li.num_vgpr, 71
	.set _ZL29rocblas_internal_gemmt_kernelIlLi16ELi32ELi8ELc78ELc67ELc85ELb0ELb1E19rocblas_complex_numIfEPKS1_S3_PS1_EviT_T9_T10_S5_lS7_S5_lS6_T11_S5_li.num_agpr, 0
	.set _ZL29rocblas_internal_gemmt_kernelIlLi16ELi32ELi8ELc78ELc67ELc85ELb0ELb1E19rocblas_complex_numIfEPKS1_S3_PS1_EviT_T9_T10_S5_lS7_S5_lS6_T11_S5_li.numbered_sgpr, 37
	.set _ZL29rocblas_internal_gemmt_kernelIlLi16ELi32ELi8ELc78ELc67ELc85ELb0ELb1E19rocblas_complex_numIfEPKS1_S3_PS1_EviT_T9_T10_S5_lS7_S5_lS6_T11_S5_li.num_named_barrier, 0
	.set _ZL29rocblas_internal_gemmt_kernelIlLi16ELi32ELi8ELc78ELc67ELc85ELb0ELb1E19rocblas_complex_numIfEPKS1_S3_PS1_EviT_T9_T10_S5_lS7_S5_lS6_T11_S5_li.private_seg_size, 0
	.set _ZL29rocblas_internal_gemmt_kernelIlLi16ELi32ELi8ELc78ELc67ELc85ELb0ELb1E19rocblas_complex_numIfEPKS1_S3_PS1_EviT_T9_T10_S5_lS7_S5_lS6_T11_S5_li.uses_vcc, 1
	.set _ZL29rocblas_internal_gemmt_kernelIlLi16ELi32ELi8ELc78ELc67ELc85ELb0ELb1E19rocblas_complex_numIfEPKS1_S3_PS1_EviT_T9_T10_S5_lS7_S5_lS6_T11_S5_li.uses_flat_scratch, 0
	.set _ZL29rocblas_internal_gemmt_kernelIlLi16ELi32ELi8ELc78ELc67ELc85ELb0ELb1E19rocblas_complex_numIfEPKS1_S3_PS1_EviT_T9_T10_S5_lS7_S5_lS6_T11_S5_li.has_dyn_sized_stack, 0
	.set _ZL29rocblas_internal_gemmt_kernelIlLi16ELi32ELi8ELc78ELc67ELc85ELb0ELb1E19rocblas_complex_numIfEPKS1_S3_PS1_EviT_T9_T10_S5_lS7_S5_lS6_T11_S5_li.has_recursion, 0
	.set _ZL29rocblas_internal_gemmt_kernelIlLi16ELi32ELi8ELc78ELc67ELc85ELb0ELb1E19rocblas_complex_numIfEPKS1_S3_PS1_EviT_T9_T10_S5_lS7_S5_lS6_T11_S5_li.has_indirect_call, 0
	.section	.AMDGPU.csdata,"",@progbits
; Kernel info:
; codeLenInByte = 3268
; TotalNumSgprs: 39
; NumVgprs: 71
; ScratchSize: 0
; MemoryBound: 0
; FloatMode: 240
; IeeeMode: 1
; LDSByteSize: 4096 bytes/workgroup (compile time only)
; SGPRBlocks: 0
; VGPRBlocks: 8
; NumSGPRsForWavesPerEU: 39
; NumVGPRsForWavesPerEU: 71
; Occupancy: 16
; WaveLimiterHint : 0
; COMPUTE_PGM_RSRC2:SCRATCH_EN: 0
; COMPUTE_PGM_RSRC2:USER_SGPR: 2
; COMPUTE_PGM_RSRC2:TRAP_HANDLER: 0
; COMPUTE_PGM_RSRC2:TGID_X_EN: 1
; COMPUTE_PGM_RSRC2:TGID_Y_EN: 1
; COMPUTE_PGM_RSRC2:TGID_Z_EN: 1
; COMPUTE_PGM_RSRC2:TIDIG_COMP_CNT: 1
	.section	.text._ZL29rocblas_internal_gemmt_kernelIlLi16ELi32ELi8ELc84ELc78ELc85ELb0ELb0E19rocblas_complex_numIfEPKS1_S3_PS1_EviT_T9_T10_S5_lS7_S5_lS6_T11_S5_li,"axG",@progbits,_ZL29rocblas_internal_gemmt_kernelIlLi16ELi32ELi8ELc84ELc78ELc85ELb0ELb0E19rocblas_complex_numIfEPKS1_S3_PS1_EviT_T9_T10_S5_lS7_S5_lS6_T11_S5_li,comdat
	.globl	_ZL29rocblas_internal_gemmt_kernelIlLi16ELi32ELi8ELc84ELc78ELc85ELb0ELb0E19rocblas_complex_numIfEPKS1_S3_PS1_EviT_T9_T10_S5_lS7_S5_lS6_T11_S5_li ; -- Begin function _ZL29rocblas_internal_gemmt_kernelIlLi16ELi32ELi8ELc84ELc78ELc85ELb0ELb0E19rocblas_complex_numIfEPKS1_S3_PS1_EviT_T9_T10_S5_lS7_S5_lS6_T11_S5_li
	.p2align	8
	.type	_ZL29rocblas_internal_gemmt_kernelIlLi16ELi32ELi8ELc84ELc78ELc85ELb0ELb0E19rocblas_complex_numIfEPKS1_S3_PS1_EviT_T9_T10_S5_lS7_S5_lS6_T11_S5_li,@function
_ZL29rocblas_internal_gemmt_kernelIlLi16ELi32ELi8ELc84ELc78ELc85ELb0ELb0E19rocblas_complex_numIfEPKS1_S3_PS1_EviT_T9_T10_S5_lS7_S5_lS6_T11_S5_li: ; @_ZL29rocblas_internal_gemmt_kernelIlLi16ELi32ELi8ELc84ELc78ELc85ELb0ELb0E19rocblas_complex_numIfEPKS1_S3_PS1_EviT_T9_T10_S5_lS7_S5_lS6_T11_S5_li
; %bb.0:
	s_load_b256 s[20:27], s[0:1], 0x48
	s_wait_kmcnt 0x0
	s_load_b64 s[20:21], s[20:21], 0x0
	s_load_b512 s[4:19], s[0:1], 0x8
	s_wait_kmcnt 0x0
	s_cmp_eq_f32 s20, 1.0
	s_load_b64 s[6:7], s[6:7], 0x0
	s_cselect_b32 s2, -1, 0
	s_and_b32 s3, s21, 0x7fffffff
	s_delay_alu instid0(SALU_CYCLE_1) | instskip(SKIP_1) | instid1(SALU_CYCLE_1)
	s_cmp_eq_u32 s3, 0
	s_cselect_b32 s31, -1, 0
	s_and_b32 s3, s2, s31
	s_mov_b32 s2, 0
	s_and_not1_b32 vcc_lo, exec_lo, s3
	s_mov_b32 s3, -1
	s_cbranch_vccnz .LBB219_4
; %bb.1:
	s_cmp_lg_u64 s[4:5], 0
	s_cbranch_scc0 .LBB219_3
; %bb.2:
	s_wait_kmcnt 0x0
	s_cmp_neq_f32 s6, 0
	s_cselect_b32 s2, -1, 0
	s_cmp_neq_f32 s7, 0
	s_cselect_b32 s3, -1, 0
	s_delay_alu instid0(SALU_CYCLE_1)
	s_or_b32 s2, s2, s3
.LBB219_3:
	s_delay_alu instid0(SALU_CYCLE_1)
	s_mov_b32 s3, s2
.LBB219_4:
	s_delay_alu instid0(SALU_CYCLE_1)
	s_and_b32 vcc_lo, exec_lo, s3
	s_cbranch_vccz .LBB219_42
; %bb.5:
	s_load_b32 s30, s[0:1], 0x68
	s_lshr_b32 s28, ttmp7, 16
	s_wait_kmcnt 0x0
	s_cmp_ge_u32 s28, s30
	s_cbranch_scc1 .LBB219_42
; %bb.6:
	v_and_b32_e32 v8, 0x3ff, v0
	v_bfe_u32 v9, v0, 10, 10
	s_load_b32 s33, s[0:1], 0x0
	s_lshl_b32 s2, ttmp9, 5
	s_lshl_b32 s0, ttmp7, 5
	v_cmp_gt_i64_e64 s34, s[4:5], 0
	v_lshl_add_u32 v2, v9, 4, v8
	s_and_b32 s0, s0, 0x1fffe0
	s_cmp_neq_f32 s6, 0
	v_add_nc_u32_e32 v13, s0, v9
	v_lshl_add_u32 v23, v9, 6, 0x800
	v_and_b32_e32 v16, 31, v2
	v_lshrrev_b32_e32 v10, 3, v2
	v_lshrrev_b32_e32 v15, 5, v2
	v_add_nc_u32_e32 v24, 16, v13
	v_mad_co_u64_u32 v[2:3], null, s24, v13, 0
	v_or_b32_e32 v17, s2, v16
	v_add_nc_u32_e32 v12, s0, v10
	s_cselect_b32 s0, -1, 0
	s_cmp_neq_f32 s7, 0
	s_mov_b32 s29, 0
	v_mul_lo_u32 v18, s11, v17
	v_mad_co_u64_u32 v[4:5], null, s10, v17, 0
	s_cselect_b32 s1, -1, 0
	s_ashr_i32 s3, s2, 31
	s_wait_alu 0xfffe
	s_or_b32 s11, s0, s1
	s_mul_i32 s0, s10, s3
	s_wait_kmcnt 0x0
	v_cmp_le_i32_e64 s10, s33, v17
	s_cmp_neq_f32 s20, 0
	s_wait_alu 0xfffe
	v_add3_u32 v5, v5, s0, v18
	v_cmp_gt_i32_e64 s0, s33, v17
	s_delay_alu instid0(VALU_DEP_2) | instskip(NEXT) | instid1(VALU_DEP_1)
	v_lshlrev_b64_e32 v[4:5], 3, v[4:5]
	v_add_co_u32 v18, s1, s8, v4
	s_wait_alu 0xf1ff
	s_delay_alu instid0(VALU_DEP_2) | instskip(SKIP_3) | instid1(VALU_DEP_1)
	v_add_co_ci_u32_e64 v19, null, s9, v5, s1
	v_mad_co_u64_u32 v[4:5], null, s24, v24, 0
	v_and_b32_e32 v14, 7, v0
	v_mad_co_u64_u32 v[0:1], null, s16, v12, 0
	v_mad_co_u64_u32 v[6:7], null, s17, v12, v[1:2]
	s_delay_alu instid0(VALU_DEP_1) | instskip(SKIP_1) | instid1(VALU_DEP_2)
	v_dual_mov_b32 v1, v6 :: v_dual_add_nc_u32 v6, s2, v8
	v_lshlrev_b32_e32 v22, 3, v8
	v_lshlrev_b64_e32 v[0:1], 3, v[0:1]
	s_delay_alu instid0(VALU_DEP_3) | instskip(NEXT) | instid1(VALU_DEP_2)
	v_add_nc_u32_e32 v8, 16, v6
	v_add_co_u32 v20, s1, s14, v0
	v_mov_b32_e32 v0, v3
	s_wait_alu 0xf1ff
	s_delay_alu instid0(VALU_DEP_4)
	v_add_co_ci_u32_e64 v21, null, s15, v1, s1
	v_cmp_gt_i32_e64 s1, s33, v13
	v_cmp_le_i32_e64 s2, v6, v13
	v_mad_co_u64_u32 v[0:1], null, s25, v13, v[0:1]
	v_mov_b32_e32 v1, v5
	v_lshlrev_b32_e32 v11, 3, v14
	v_cmp_le_i32_e64 s3, v8, v13
	v_ashrrev_i32_e32 v9, 31, v8
	s_cselect_b32 s14, -1, 0
	s_and_b32 s8, s1, s2
	v_lshl_or_b32 v10, v10, 6, v11
	v_mov_b32_e32 v3, v0
	v_cmp_gt_i32_e32 vcc_lo, s33, v12
	s_and_b32 s9, s1, s3
	s_xor_b32 s15, s31, -1
	v_add_nc_u32_e32 v17, 0x800, v10
	v_mad_co_u64_u32 v[10:11], null, s25, v24, v[1:2]
	v_mov_b32_e32 v1, 0
	v_cmp_gt_i32_e64 s1, s33, v24
	v_cmp_le_i32_e64 s2, v6, v24
	v_cmp_le_i32_e64 s3, v8, v24
	v_lshlrev_b64_e32 v[2:3], 3, v[2:3]
	v_lshlrev_b64_e32 v[8:9], 3, v[8:9]
	v_mov_b32_e32 v5, v10
	v_lshlrev_b32_e32 v7, 3, v16
	s_and_b32 s11, s11, s34
	s_wait_alu 0xfffe
	s_or_b32 s14, s14, s15
	s_and_b32 s15, s1, s2
	v_lshlrev_b64_e32 v[4:5], 3, v[4:5]
	v_lshl_or_b32 v16, v15, 8, v7
	v_ashrrev_i32_e32 v7, 31, v6
	s_and_b32 s1, s1, s3
	s_xor_b32 s16, vcc_lo, -1
                                        ; implicit-def: $vgpr10_vgpr11
	s_delay_alu instid0(VALU_DEP_1)
	v_lshlrev_b64_e32 v[6:7], 3, v[6:7]
	s_branch .LBB219_8
.LBB219_7:                              ;   in Loop: Header=BB219_8 Depth=1
	s_wait_alu 0xfffe
	s_or_b32 exec_lo, exec_lo, s2
	s_add_co_i32 s28, s28, 0x10000
	s_delay_alu instid0(SALU_CYCLE_1)
	s_cmp_lt_u32 s28, s30
	s_cbranch_scc0 .LBB219_42
.LBB219_8:                              ; =>This Loop Header: Depth=1
                                        ;     Child Loop BB219_11 Depth 2
	s_and_not1_b32 vcc_lo, exec_lo, s11
	s_wait_alu 0xfffe
	s_cbranch_vccnz .LBB219_21
; %bb.9:                                ;   in Loop: Header=BB219_8 Depth=1
	s_mul_u64 s[2:3], s[12:13], s[28:29]
	s_mul_u64 s[24:25], s[18:19], s[28:29]
	s_wait_alu 0xfffe
	s_lshl_b64 s[2:3], s[2:3], 3
	v_dual_mov_b32 v26, 0 :: v_dual_mov_b32 v27, 0
	s_wait_alu 0xfffe
	v_add_co_u32 v12, vcc_lo, v18, s2
	s_wait_alu 0xfffd
	v_add_co_ci_u32_e64 v13, null, s3, v19, vcc_lo
	s_lshl_b64 s[2:3], s[24:25], 3
	v_dual_mov_b32 v29, 0 :: v_dual_mov_b32 v28, 0
	s_wait_alu 0xfffe
	v_add_co_u32 v24, vcc_lo, v20, s2
	s_wait_alu 0xfffd
	v_add_co_ci_u32_e64 v25, null, s3, v21, vcc_lo
	v_dual_mov_b32 v31, 0 :: v_dual_mov_b32 v30, 0
	v_dual_mov_b32 v33, 0 :: v_dual_mov_b32 v32, 0
	s_mov_b64 s[2:3], 0
	s_branch .LBB219_11
.LBB219_10:                             ;   in Loop: Header=BB219_11 Depth=2
	s_wait_alu 0xfffe
	s_or_b32 exec_lo, exec_lo, s17
	s_wait_dscnt 0x0
	s_barrier_signal -1
	s_barrier_wait -1
	global_inv scope:SCOPE_SE
	ds_load_b128 v[34:37], v23
	ds_load_2addr_b64 v[38:41], v22 offset1:16
	ds_load_b128 v[42:45], v23 offset:1024
	ds_load_b128 v[46:49], v23 offset:16
	;; [unrolled: 1-line block ×4, first 2 shown]
	ds_load_2addr_b64 v[58:61], v22 offset0:32 offset1:48
	ds_load_b128 v[62:65], v23 offset:1040
	s_add_nc_u64 s[2:3], s[2:3], 8
	s_wait_alu 0xfffe
	v_cmp_gt_i64_e64 s17, s[4:5], s[2:3]
	s_and_b32 vcc_lo, exec_lo, s17
	s_wait_dscnt 0x6
	v_mul_f32_e32 v0, v35, v39
	v_dual_mul_f32 v66, v34, v39 :: v_dual_mul_f32 v67, v35, v41
	s_wait_dscnt 0x5
	v_dual_mul_f32 v68, v34, v41 :: v_dual_mul_f32 v69, v43, v39
	v_dual_mul_f32 v39, v42, v39 :: v_dual_mul_f32 v70, v43, v41
	v_mul_f32_e32 v41, v42, v41
	v_fma_f32 v0, v34, v38, -v0
	v_fma_f32 v34, v34, v40, -v67
	v_fmac_f32_e32 v68, v35, v40
	v_fmac_f32_e32 v39, v43, v38
	v_fmac_f32_e32 v41, v43, v40
	v_add_f32_e32 v0, v32, v0
	v_fmac_f32_e32 v66, v35, v38
	v_fma_f32 v35, v42, v38, -v69
	v_fma_f32 v38, v42, v40, -v70
	v_add_f32_e32 v26, v26, v41
	s_delay_alu instid0(VALU_DEP_4) | instskip(NEXT) | instid1(VALU_DEP_4)
	v_add_f32_e32 v32, v33, v66
	v_dual_add_f32 v33, v30, v34 :: v_dual_add_f32 v34, v28, v35
	v_add_f32_e32 v35, v29, v39
	s_wait_dscnt 0x1
	v_dual_mul_f32 v39, v37, v59 :: v_dual_add_f32 v38, v27, v38
	ds_load_2addr_b64 v[27:30], v22 offset0:64 offset1:80
	v_mul_f32_e32 v42, v37, v61
	v_mul_f32_e32 v41, v36, v61
	;; [unrolled: 1-line block ×3, first 2 shown]
	v_fma_f32 v39, v36, v58, -v39
	v_add_f32_e32 v31, v31, v68
	v_fma_f32 v36, v36, v60, -v42
	s_delay_alu instid0(VALU_DEP_3) | instskip(SKIP_1) | instid1(VALU_DEP_3)
	v_add_f32_e32 v0, v0, v39
	v_mul_f32_e32 v39, v45, v59
	v_add_f32_e32 v36, v33, v36
	v_fmac_f32_e32 v41, v37, v60
	v_fmac_f32_e32 v40, v37, v58
	v_mul_f32_e32 v37, v45, v61
	v_fma_f32 v33, v44, v58, -v39
	s_delay_alu instid0(VALU_DEP_4) | instskip(NEXT) | instid1(VALU_DEP_3)
	v_add_f32_e32 v39, v31, v41
	v_fma_f32 v31, v44, v60, -v37
	v_mul_f32_e32 v41, v44, v61
	s_wait_dscnt 0x0
	v_mul_f32_e32 v37, v46, v28
	v_add_f32_e32 v40, v32, v40
	v_add_f32_e32 v38, v38, v31
	v_dual_mul_f32 v32, v44, v59 :: v_dual_fmac_f32 v41, v45, v60
	v_mul_f32_e32 v44, v47, v30
	s_delay_alu instid0(VALU_DEP_2) | instskip(NEXT) | instid1(VALU_DEP_3)
	v_dual_fmac_f32 v37, v47, v27 :: v_dual_fmac_f32 v32, v45, v58
	v_add_f32_e32 v41, v26, v41
	v_dual_add_f32 v42, v34, v33 :: v_dual_mul_f32 v33, v47, v28
	s_delay_alu instid0(VALU_DEP_3) | instskip(NEXT) | instid1(VALU_DEP_4)
	v_dual_mul_f32 v26, v46, v30 :: v_dual_add_f32 v37, v40, v37
	v_add_f32_e32 v35, v35, v32
	s_delay_alu instid0(VALU_DEP_3) | instskip(SKIP_4) | instid1(VALU_DEP_1)
	v_fma_f32 v43, v46, v27, -v33
	ds_load_2addr_b64 v[31:34], v22 offset0:96 offset1:112
	v_fmac_f32_e32 v26, v47, v29
	v_add_f32_e32 v0, v0, v43
	v_fma_f32 v43, v46, v29, -v44
	v_dual_add_f32 v39, v39, v26 :: v_dual_add_f32 v36, v36, v43
	v_mul_f32_e32 v43, v63, v30
	v_mul_f32_e32 v30, v62, v30
	s_delay_alu instid0(VALU_DEP_2) | instskip(SKIP_1) | instid1(VALU_DEP_3)
	v_fma_f32 v26, v62, v29, -v43
	v_mul_f32_e32 v40, v63, v28
	v_fmac_f32_e32 v30, v63, v29
	s_wait_dscnt 0x0
	v_dual_mul_f32 v28, v62, v28 :: v_dual_mul_f32 v47, v65, v34
	v_add_f32_e32 v43, v38, v26
	v_fma_f32 v40, v62, v27, -v40
	v_dual_mul_f32 v38, v48, v32 :: v_dual_add_f32 v41, v41, v30
	s_delay_alu instid0(VALU_DEP_4) | instskip(SKIP_1) | instid1(VALU_DEP_3)
	v_fmac_f32_e32 v28, v63, v27
	v_mul_f32_e32 v30, v48, v34
	v_fmac_f32_e32 v38, v49, v31
	v_add_f32_e32 v40, v42, v40
	s_delay_alu instid0(VALU_DEP_4)
	v_add_f32_e32 v42, v35, v28
	ds_load_2addr_b64 v[26:29], v22 offset0:128 offset1:144
	v_mul_f32_e32 v35, v49, v32
	v_mul_f32_e32 v44, v49, v34
	v_fmac_f32_e32 v30, v49, v33
	v_mul_f32_e32 v34, v64, v34
	s_delay_alu instid0(VALU_DEP_4)
	v_fma_f32 v35, v48, v31, -v35
	s_wait_dscnt 0x0
	v_mul_f32_e32 v49, v50, v27
	v_fma_f32 v44, v48, v33, -v44
	v_add_f32_e32 v48, v39, v30
	v_fma_f32 v30, v64, v33, -v47
	s_delay_alu instid0(VALU_DEP_4) | instskip(NEXT) | instid1(VALU_DEP_4)
	v_fmac_f32_e32 v49, v51, v26
	v_dual_add_f32 v45, v37, v38 :: v_dual_add_f32 v44, v36, v44
	s_delay_alu instid0(VALU_DEP_3) | instskip(SKIP_1) | instid1(VALU_DEP_3)
	v_dual_add_f32 v43, v43, v30 :: v_dual_add_f32 v0, v0, v35
	v_mul_f32_e32 v35, v65, v32
	v_dual_mul_f32 v32, v64, v32 :: v_dual_add_f32 v45, v45, v49
	s_delay_alu instid0(VALU_DEP_2) | instskip(SKIP_3) | instid1(VALU_DEP_2)
	v_fma_f32 v46, v64, v31, -v35
	ds_load_b128 v[35:38], v23 offset:1056
	v_fmac_f32_e32 v32, v65, v31
	v_dual_mul_f32 v31, v51, v27 :: v_dual_fmac_f32 v34, v65, v33
	v_add_f32_e32 v47, v42, v32
	s_delay_alu instid0(VALU_DEP_2)
	v_fma_f32 v39, v50, v26, -v31
	ds_load_2addr_b64 v[30:33], v22 offset0:160 offset1:176
	v_add_f32_e32 v46, v40, v46
	v_mul_f32_e32 v40, v51, v29
	v_add_f32_e32 v34, v41, v34
	v_add_f32_e32 v0, v0, v39
	s_delay_alu instid0(VALU_DEP_3) | instskip(SKIP_4) | instid1(VALU_DEP_2)
	v_fma_f32 v58, v50, v28, -v40
	ds_load_b128 v[39:42], v23 offset:1072
	s_wait_dscnt 0x2
	v_dual_mul_f32 v50, v50, v29 :: v_dual_mul_f32 v59, v36, v27
	v_mul_f32_e32 v27, v35, v27
	v_dual_fmac_f32 v50, v51, v28 :: v_dual_mul_f32 v51, v36, v29
	s_delay_alu instid0(VALU_DEP_3) | instskip(NEXT) | instid1(VALU_DEP_3)
	v_fma_f32 v49, v35, v26, -v59
	v_fmac_f32_e32 v27, v36, v26
	s_delay_alu instid0(VALU_DEP_3) | instskip(SKIP_2) | instid1(VALU_DEP_4)
	v_add_f32_e32 v48, v48, v50
	v_mul_f32_e32 v50, v35, v29
	v_fma_f32 v26, v35, v28, -v51
	v_add_f32_e32 v35, v47, v27
	s_wait_dscnt 0x1
	s_delay_alu instid0(VALU_DEP_3) | instskip(NEXT) | instid1(VALU_DEP_3)
	v_dual_mul_f32 v47, v53, v31 :: v_dual_fmac_f32 v50, v36, v28
	v_add_f32_e32 v43, v43, v26
	ds_load_2addr_b64 v[26:29], v22 offset0:192 offset1:208
	v_mul_f32_e32 v36, v52, v31
	v_add_f32_e32 v46, v46, v49
	v_fma_f32 v47, v52, v30, -v47
	v_mul_f32_e32 v49, v53, v33
	s_delay_alu instid0(VALU_DEP_4) | instskip(NEXT) | instid1(VALU_DEP_3)
	v_fmac_f32_e32 v36, v53, v30
	v_add_f32_e32 v0, v0, v47
	s_delay_alu instid0(VALU_DEP_3) | instskip(NEXT) | instid1(VALU_DEP_3)
	v_fma_f32 v47, v52, v32, -v49
	v_dual_add_f32 v45, v45, v36 :: v_dual_mul_f32 v36, v38, v31
	v_mul_f32_e32 v31, v37, v31
	s_delay_alu instid0(VALU_DEP_2) | instskip(NEXT) | instid1(VALU_DEP_2)
	v_fma_f32 v36, v37, v30, -v36
	v_fmac_f32_e32 v31, v38, v30
	v_add_f32_e32 v44, v44, v58
	s_delay_alu instid0(VALU_DEP_2) | instskip(NEXT) | instid1(VALU_DEP_2)
	v_dual_mul_f32 v30, v37, v33 :: v_dual_add_f32 v31, v35, v31
	v_dual_add_f32 v44, v44, v47 :: v_dual_mul_f32 v47, v38, v33
	v_add_f32_e32 v50, v34, v50
	v_mul_f32_e32 v34, v52, v33
	s_delay_alu instid0(VALU_DEP_4) | instskip(NEXT) | instid1(VALU_DEP_4)
	v_fmac_f32_e32 v30, v38, v32
	v_fma_f32 v33, v37, v32, -v47
	s_wait_dscnt 0x0
	s_delay_alu instid0(VALU_DEP_3) | instskip(NEXT) | instid1(VALU_DEP_2)
	v_dual_mul_f32 v47, v40, v27 :: v_dual_fmac_f32 v34, v53, v32
	v_dual_add_f32 v32, v43, v33 :: v_dual_mul_f32 v33, v54, v27
	v_mul_f32_e32 v43, v55, v29
	s_delay_alu instid0(VALU_DEP_2) | instskip(NEXT) | instid1(VALU_DEP_2)
	v_dual_fmac_f32 v33, v55, v26 :: v_dual_add_f32 v46, v46, v36
	v_fma_f32 v43, v54, v28, -v43
	s_delay_alu instid0(VALU_DEP_2) | instskip(SKIP_3) | instid1(VALU_DEP_3)
	v_dual_add_f32 v33, v45, v33 :: v_dual_add_f32 v48, v48, v34
	v_mul_f32_e32 v34, v55, v27
	v_mul_f32_e32 v27, v39, v27
	;; [unrolled: 1-line block ×3, first 2 shown]
	v_fma_f32 v38, v54, v26, -v34
	ds_load_2addr_b64 v[34:37], v22 offset0:224 offset1:240
	v_fmac_f32_e32 v27, v40, v26
	v_add_f32_e32 v30, v50, v30
	s_wait_loadcnt_dscnt 0x0
	v_add_f32_e32 v0, v0, v38
	s_barrier_signal -1
	v_dual_add_f32 v27, v31, v27 :: v_dual_mul_f32 v38, v54, v29
	v_mul_f32_e32 v29, v39, v29
	s_barrier_wait -1
	global_inv scope:SCOPE_SE
	v_fmac_f32_e32 v38, v55, v28
	v_fmac_f32_e32 v29, v40, v28
	s_delay_alu instid0(VALU_DEP_1) | instskip(SKIP_2) | instid1(VALU_DEP_2)
	v_add_f32_e32 v40, v30, v29
	v_mul_f32_e32 v29, v56, v37
	v_mul_f32_e32 v31, v57, v35
	v_fmac_f32_e32 v29, v57, v36
	v_add_f32_e32 v43, v44, v43
	v_fma_f32 v44, v39, v26, -v47
	v_fma_f32 v39, v39, v28, -v45
	;; [unrolled: 1-line block ×3, first 2 shown]
	s_delay_alu instid0(VALU_DEP_2) | instskip(SKIP_1) | instid1(VALU_DEP_2)
	v_dual_add_f32 v39, v32, v39 :: v_dual_mul_f32 v32, v57, v37
	v_mul_f32_e32 v28, v56, v35
	v_fma_f32 v30, v56, v36, -v32
	s_delay_alu instid0(VALU_DEP_4) | instskip(SKIP_1) | instid1(VALU_DEP_4)
	v_add_f32_e32 v32, v0, v31
	v_mul_f32_e32 v0, v42, v35
	v_fmac_f32_e32 v28, v57, v34
	s_delay_alu instid0(VALU_DEP_4) | instskip(SKIP_1) | instid1(VALU_DEP_4)
	v_dual_mul_f32 v35, v41, v35 :: v_dual_add_f32 v30, v43, v30
	v_mul_f32_e32 v43, v42, v37
	v_fma_f32 v0, v41, v34, -v0
	v_dual_mul_f32 v37, v41, v37 :: v_dual_add_f32 v26, v48, v38
	v_add_f32_e32 v38, v46, v44
	v_add_f32_e32 v33, v33, v28
	v_fmac_f32_e32 v35, v42, v34
	s_delay_alu instid0(VALU_DEP_4) | instskip(SKIP_3) | instid1(VALU_DEP_4)
	v_fmac_f32_e32 v37, v42, v36
	v_add_f32_e32 v31, v26, v29
	v_add_f32_e32 v28, v38, v0
	v_fma_f32 v0, v41, v36, -v43
	v_dual_add_f32 v29, v27, v35 :: v_dual_add_f32 v26, v40, v37
	s_delay_alu instid0(VALU_DEP_2)
	v_add_f32_e32 v27, v39, v0
	s_wait_alu 0xfffe
	s_cbranch_vccz .LBB219_22
.LBB219_11:                             ;   Parent Loop BB219_8 Depth=1
                                        ; =>  This Inner Loop Header: Depth=2
	s_mov_b32 s17, 0
	s_mov_b32 s25, s10
	s_and_saveexec_b32 s24, s0
	s_cbranch_execnz .LBB219_19
; %bb.12:                               ;   in Loop: Header=BB219_11 Depth=2
	s_wait_alu 0xfffe
	s_or_b32 exec_lo, exec_lo, s24
	s_and_saveexec_b32 s24, s25
	s_wait_alu 0xfffe
	s_xor_b32 s24, exec_lo, s24
	s_cbranch_execnz .LBB219_20
.LBB219_13:                             ;   in Loop: Header=BB219_11 Depth=2
	s_wait_alu 0xfffe
	s_or_b32 exec_lo, exec_lo, s24
	s_and_saveexec_b32 s24, s17
	s_cbranch_execz .LBB219_15
.LBB219_14:                             ;   in Loop: Header=BB219_11 Depth=2
	v_lshlrev_b64_e32 v[34:35], 3, v[10:11]
	s_delay_alu instid0(VALU_DEP_1) | instskip(SKIP_1) | instid1(VALU_DEP_2)
	v_add_co_u32 v34, vcc_lo, v12, v34
	s_wait_alu 0xfffd
	v_add_co_ci_u32_e64 v35, null, v13, v35, vcc_lo
	global_load_b64 v[34:35], v[34:35], off
	s_wait_loadcnt 0x0
	ds_store_b64 v16, v[34:35]
.LBB219_15:                             ;   in Loop: Header=BB219_11 Depth=2
	s_wait_alu 0xfffe
	s_or_b32 exec_lo, exec_lo, s24
	v_add_nc_u32_e32 v0, s2, v14
	s_delay_alu instid0(VALU_DEP_1)
	v_cmp_le_u64_e32 vcc_lo, s[4:5], v[0:1]
	s_or_b32 s17, vcc_lo, s16
	s_wait_alu 0xfffe
	s_and_saveexec_b32 s24, s17
	s_wait_alu 0xfffe
	s_xor_b32 s17, exec_lo, s24
; %bb.16:                               ;   in Loop: Header=BB219_11 Depth=2
	v_mov_b32_e32 v0, v1
	ds_store_b64 v17, v[0:1]
; %bb.17:                               ;   in Loop: Header=BB219_11 Depth=2
	s_wait_alu 0xfffe
	s_and_not1_saveexec_b32 s17, s17
	s_cbranch_execz .LBB219_10
; %bb.18:                               ;   in Loop: Header=BB219_11 Depth=2
	v_lshlrev_b64_e32 v[34:35], 3, v[0:1]
	s_delay_alu instid0(VALU_DEP_1) | instskip(SKIP_1) | instid1(VALU_DEP_2)
	v_add_co_u32 v34, vcc_lo, v24, v34
	s_wait_alu 0xfffd
	v_add_co_ci_u32_e64 v35, null, v25, v35, vcc_lo
	global_load_b64 v[34:35], v[34:35], off
	s_wait_loadcnt 0x0
	ds_store_b64 v17, v[34:35]
	s_branch .LBB219_10
.LBB219_19:                             ;   in Loop: Header=BB219_11 Depth=2
	s_wait_alu 0xfffe
	v_add_nc_u32_e32 v0, s2, v15
	v_mov_b32_e32 v11, v1
	s_and_not1_b32 s25, s10, exec_lo
	s_mov_b32 s17, exec_lo
	s_delay_alu instid0(VALU_DEP_2)
	v_cmp_le_u64_e32 vcc_lo, s[4:5], v[0:1]
	v_mov_b32_e32 v10, v0
	s_and_b32 s31, vcc_lo, exec_lo
	s_wait_alu 0xfffe
	s_or_b32 s25, s25, s31
	s_or_b32 exec_lo, exec_lo, s24
	s_wait_alu 0xfffe
	s_and_saveexec_b32 s24, s25
	s_wait_alu 0xfffe
	s_xor_b32 s24, exec_lo, s24
	s_cbranch_execz .LBB219_13
.LBB219_20:                             ;   in Loop: Header=BB219_11 Depth=2
	v_mov_b32_e32 v0, v1
	s_and_not1_b32 s17, s17, exec_lo
	ds_store_b64 v16, v[0:1]
	s_wait_alu 0xfffe
	s_or_b32 exec_lo, exec_lo, s24
	s_and_saveexec_b32 s24, s17
	s_cbranch_execnz .LBB219_14
	s_branch .LBB219_15
.LBB219_21:                             ;   in Loop: Header=BB219_8 Depth=1
	v_dual_mov_b32 v32, v1 :: v_dual_mov_b32 v33, v1
	v_dual_mov_b32 v30, v1 :: v_dual_mov_b32 v31, v1
	;; [unrolled: 1-line block ×4, first 2 shown]
.LBB219_22:                             ;   in Loop: Header=BB219_8 Depth=1
	s_mul_u64 s[2:3], s[26:27], s[28:29]
	s_wait_alu 0xfffe
	s_lshl_b64 s[2:3], s[2:3], 3
	s_wait_alu 0xfffe
	s_add_nc_u64 s[2:3], s[22:23], s[2:3]
	s_wait_alu 0xfffe
	v_add_co_u32 v0, vcc_lo, s2, v2
	s_wait_alu 0xfffd
	v_add_co_ci_u32_e64 v24, null, s3, v3, vcc_lo
	s_and_saveexec_b32 s17, s8
	s_cbranch_execz .LBB219_27
; %bb.23:                               ;   in Loop: Header=BB219_8 Depth=1
	v_mul_f32_e32 v13, s6, v33
	v_mul_f32_e32 v12, s7, v33
	s_and_b32 vcc_lo, exec_lo, s14
	s_mov_b32 s24, -1
	s_delay_alu instid0(VALU_DEP_2) | instskip(NEXT) | instid1(VALU_DEP_2)
	v_fmac_f32_e32 v13, s7, v32
	v_fma_f32 v12, v32, s6, -v12
	s_wait_alu 0xfffe
	s_cbranch_vccz .LBB219_25
; %bb.24:                               ;   in Loop: Header=BB219_8 Depth=1
	v_add_co_u32 v32, vcc_lo, v0, v6
	s_wait_alu 0xfffd
	v_add_co_ci_u32_e64 v33, null, v24, v7, vcc_lo
	s_mov_b32 s24, 0
	global_load_b64 v[34:35], v[32:33], off
	s_wait_loadcnt 0x0
	v_mul_f32_e32 v25, s21, v35
	s_delay_alu instid0(VALU_DEP_1) | instskip(SKIP_1) | instid1(VALU_DEP_1)
	v_fma_f32 v25, v34, s20, -v25
	v_mul_f32_e32 v35, s20, v35
	v_dual_fmac_f32 v35, s21, v34 :: v_dual_add_f32 v34, v12, v25
	s_delay_alu instid0(VALU_DEP_1)
	v_add_f32_e32 v35, v13, v35
	global_store_b64 v[32:33], v[34:35], off
.LBB219_25:                             ;   in Loop: Header=BB219_8 Depth=1
	s_wait_alu 0xfffe
	s_and_not1_b32 vcc_lo, exec_lo, s24
	s_wait_alu 0xfffe
	s_cbranch_vccnz .LBB219_27
; %bb.26:                               ;   in Loop: Header=BB219_8 Depth=1
	v_add_co_u32 v32, vcc_lo, v0, v6
	s_wait_alu 0xfffd
	v_add_co_ci_u32_e64 v33, null, v24, v7, vcc_lo
	global_store_b64 v[32:33], v[12:13], off
.LBB219_27:                             ;   in Loop: Header=BB219_8 Depth=1
	s_wait_alu 0xfffe
	s_or_b32 exec_lo, exec_lo, s17
	s_and_saveexec_b32 s17, s9
	s_cbranch_execz .LBB219_32
; %bb.28:                               ;   in Loop: Header=BB219_8 Depth=1
	v_mul_f32_e32 v13, s6, v31
	v_mul_f32_e32 v12, s7, v31
	s_and_not1_b32 vcc_lo, exec_lo, s14
	s_mov_b32 s24, -1
	s_delay_alu instid0(VALU_DEP_2) | instskip(NEXT) | instid1(VALU_DEP_2)
	v_fmac_f32_e32 v13, s7, v30
	v_fma_f32 v12, v30, s6, -v12
	s_wait_alu 0xfffe
	s_cbranch_vccnz .LBB219_30
; %bb.29:                               ;   in Loop: Header=BB219_8 Depth=1
	v_add_co_u32 v30, vcc_lo, v0, v8
	s_wait_alu 0xfffd
	v_add_co_ci_u32_e64 v31, null, v24, v9, vcc_lo
	s_mov_b32 s24, 0
	global_load_b64 v[32:33], v[30:31], off
	s_wait_loadcnt 0x0
	v_mul_f32_e32 v25, s21, v33
	v_mul_f32_e32 v33, s20, v33
	s_delay_alu instid0(VALU_DEP_2) | instskip(NEXT) | instid1(VALU_DEP_1)
	v_fma_f32 v25, v32, s20, -v25
	v_dual_fmac_f32 v33, s21, v32 :: v_dual_add_f32 v32, v12, v25
	s_delay_alu instid0(VALU_DEP_1)
	v_add_f32_e32 v33, v13, v33
	global_store_b64 v[30:31], v[32:33], off
.LBB219_30:                             ;   in Loop: Header=BB219_8 Depth=1
	s_wait_alu 0xfffe
	s_and_not1_b32 vcc_lo, exec_lo, s24
	s_wait_alu 0xfffe
	s_cbranch_vccnz .LBB219_32
; %bb.31:                               ;   in Loop: Header=BB219_8 Depth=1
	v_add_co_u32 v30, vcc_lo, v0, v8
	s_wait_alu 0xfffd
	v_add_co_ci_u32_e64 v31, null, v24, v9, vcc_lo
	global_store_b64 v[30:31], v[12:13], off
.LBB219_32:                             ;   in Loop: Header=BB219_8 Depth=1
	s_wait_alu 0xfffe
	s_or_b32 exec_lo, exec_lo, s17
	v_add_co_u32 v0, vcc_lo, s2, v4
	s_wait_alu 0xfffd
	v_add_co_ci_u32_e64 v24, null, s3, v5, vcc_lo
	s_and_saveexec_b32 s2, s15
	s_cbranch_execz .LBB219_37
; %bb.33:                               ;   in Loop: Header=BB219_8 Depth=1
	v_mul_f32_e32 v13, s6, v29
	v_mul_f32_e32 v12, s7, v29
	s_and_not1_b32 vcc_lo, exec_lo, s14
	s_mov_b32 s3, -1
	s_delay_alu instid0(VALU_DEP_2) | instskip(NEXT) | instid1(VALU_DEP_2)
	v_fmac_f32_e32 v13, s7, v28
	v_fma_f32 v12, v28, s6, -v12
	s_wait_alu 0xfffe
	s_cbranch_vccnz .LBB219_35
; %bb.34:                               ;   in Loop: Header=BB219_8 Depth=1
	v_add_co_u32 v28, vcc_lo, v0, v6
	s_wait_alu 0xfffd
	v_add_co_ci_u32_e64 v29, null, v24, v7, vcc_lo
	s_mov_b32 s3, 0
	global_load_b64 v[30:31], v[28:29], off
	s_wait_loadcnt 0x0
	v_mul_f32_e32 v25, s21, v31
	s_delay_alu instid0(VALU_DEP_1) | instskip(SKIP_1) | instid1(VALU_DEP_1)
	v_fma_f32 v25, v30, s20, -v25
	v_mul_f32_e32 v31, s20, v31
	v_dual_fmac_f32 v31, s21, v30 :: v_dual_add_f32 v30, v12, v25
	s_delay_alu instid0(VALU_DEP_1)
	v_add_f32_e32 v31, v13, v31
	global_store_b64 v[28:29], v[30:31], off
.LBB219_35:                             ;   in Loop: Header=BB219_8 Depth=1
	s_wait_alu 0xfffe
	s_and_not1_b32 vcc_lo, exec_lo, s3
	s_wait_alu 0xfffe
	s_cbranch_vccnz .LBB219_37
; %bb.36:                               ;   in Loop: Header=BB219_8 Depth=1
	v_add_co_u32 v28, vcc_lo, v0, v6
	s_wait_alu 0xfffd
	v_add_co_ci_u32_e64 v29, null, v24, v7, vcc_lo
	global_store_b64 v[28:29], v[12:13], off
.LBB219_37:                             ;   in Loop: Header=BB219_8 Depth=1
	s_wait_alu 0xfffe
	s_or_b32 exec_lo, exec_lo, s2
	s_and_saveexec_b32 s2, s1
	s_cbranch_execz .LBB219_7
; %bb.38:                               ;   in Loop: Header=BB219_8 Depth=1
	v_mul_f32_e32 v13, s6, v26
	v_mul_f32_e32 v12, s7, v26
	s_and_not1_b32 vcc_lo, exec_lo, s14
	s_mov_b32 s3, -1
	s_delay_alu instid0(VALU_DEP_2) | instskip(NEXT) | instid1(VALU_DEP_2)
	v_fmac_f32_e32 v13, s7, v27
	v_fma_f32 v12, v27, s6, -v12
	s_wait_alu 0xfffe
	s_cbranch_vccnz .LBB219_40
; %bb.39:                               ;   in Loop: Header=BB219_8 Depth=1
	v_add_co_u32 v25, vcc_lo, v0, v8
	s_wait_alu 0xfffd
	v_add_co_ci_u32_e64 v26, null, v24, v9, vcc_lo
	s_mov_b32 s3, 0
	global_load_b64 v[27:28], v[25:26], off
	s_wait_loadcnt 0x0
	v_mul_f32_e32 v29, s21, v28
	v_mul_f32_e32 v28, s20, v28
	s_delay_alu instid0(VALU_DEP_1) | instskip(NEXT) | instid1(VALU_DEP_3)
	v_fmac_f32_e32 v28, s21, v27
	v_fma_f32 v29, v27, s20, -v29
	s_delay_alu instid0(VALU_DEP_1)
	v_dual_add_f32 v28, v13, v28 :: v_dual_add_f32 v27, v12, v29
	global_store_b64 v[25:26], v[27:28], off
.LBB219_40:                             ;   in Loop: Header=BB219_8 Depth=1
	s_wait_alu 0xfffe
	s_and_not1_b32 vcc_lo, exec_lo, s3
	s_wait_alu 0xfffe
	s_cbranch_vccnz .LBB219_7
; %bb.41:                               ;   in Loop: Header=BB219_8 Depth=1
	v_add_co_u32 v25, vcc_lo, v0, v8
	s_wait_alu 0xfffd
	v_add_co_ci_u32_e64 v26, null, v24, v9, vcc_lo
	global_store_b64 v[25:26], v[12:13], off
	s_branch .LBB219_7
.LBB219_42:
	s_endpgm
	.section	.rodata,"a",@progbits
	.p2align	6, 0x0
	.amdhsa_kernel _ZL29rocblas_internal_gemmt_kernelIlLi16ELi32ELi8ELc84ELc78ELc85ELb0ELb0E19rocblas_complex_numIfEPKS1_S3_PS1_EviT_T9_T10_S5_lS7_S5_lS6_T11_S5_li
		.amdhsa_group_segment_fixed_size 4096
		.amdhsa_private_segment_fixed_size 0
		.amdhsa_kernarg_size 108
		.amdhsa_user_sgpr_count 2
		.amdhsa_user_sgpr_dispatch_ptr 0
		.amdhsa_user_sgpr_queue_ptr 0
		.amdhsa_user_sgpr_kernarg_segment_ptr 1
		.amdhsa_user_sgpr_dispatch_id 0
		.amdhsa_user_sgpr_private_segment_size 0
		.amdhsa_wavefront_size32 1
		.amdhsa_uses_dynamic_stack 0
		.amdhsa_enable_private_segment 0
		.amdhsa_system_sgpr_workgroup_id_x 1
		.amdhsa_system_sgpr_workgroup_id_y 1
		.amdhsa_system_sgpr_workgroup_id_z 1
		.amdhsa_system_sgpr_workgroup_info 0
		.amdhsa_system_vgpr_workitem_id 1
		.amdhsa_next_free_vgpr 71
		.amdhsa_next_free_sgpr 35
		.amdhsa_reserve_vcc 1
		.amdhsa_float_round_mode_32 0
		.amdhsa_float_round_mode_16_64 0
		.amdhsa_float_denorm_mode_32 3
		.amdhsa_float_denorm_mode_16_64 3
		.amdhsa_fp16_overflow 0
		.amdhsa_workgroup_processor_mode 1
		.amdhsa_memory_ordered 1
		.amdhsa_forward_progress 1
		.amdhsa_inst_pref_size 26
		.amdhsa_round_robin_scheduling 0
		.amdhsa_exception_fp_ieee_invalid_op 0
		.amdhsa_exception_fp_denorm_src 0
		.amdhsa_exception_fp_ieee_div_zero 0
		.amdhsa_exception_fp_ieee_overflow 0
		.amdhsa_exception_fp_ieee_underflow 0
		.amdhsa_exception_fp_ieee_inexact 0
		.amdhsa_exception_int_div_zero 0
	.end_amdhsa_kernel
	.section	.text._ZL29rocblas_internal_gemmt_kernelIlLi16ELi32ELi8ELc84ELc78ELc85ELb0ELb0E19rocblas_complex_numIfEPKS1_S3_PS1_EviT_T9_T10_S5_lS7_S5_lS6_T11_S5_li,"axG",@progbits,_ZL29rocblas_internal_gemmt_kernelIlLi16ELi32ELi8ELc84ELc78ELc85ELb0ELb0E19rocblas_complex_numIfEPKS1_S3_PS1_EviT_T9_T10_S5_lS7_S5_lS6_T11_S5_li,comdat
.Lfunc_end219:
	.size	_ZL29rocblas_internal_gemmt_kernelIlLi16ELi32ELi8ELc84ELc78ELc85ELb0ELb0E19rocblas_complex_numIfEPKS1_S3_PS1_EviT_T9_T10_S5_lS7_S5_lS6_T11_S5_li, .Lfunc_end219-_ZL29rocblas_internal_gemmt_kernelIlLi16ELi32ELi8ELc84ELc78ELc85ELb0ELb0E19rocblas_complex_numIfEPKS1_S3_PS1_EviT_T9_T10_S5_lS7_S5_lS6_T11_S5_li
                                        ; -- End function
	.set _ZL29rocblas_internal_gemmt_kernelIlLi16ELi32ELi8ELc84ELc78ELc85ELb0ELb0E19rocblas_complex_numIfEPKS1_S3_PS1_EviT_T9_T10_S5_lS7_S5_lS6_T11_S5_li.num_vgpr, 71
	.set _ZL29rocblas_internal_gemmt_kernelIlLi16ELi32ELi8ELc84ELc78ELc85ELb0ELb0E19rocblas_complex_numIfEPKS1_S3_PS1_EviT_T9_T10_S5_lS7_S5_lS6_T11_S5_li.num_agpr, 0
	.set _ZL29rocblas_internal_gemmt_kernelIlLi16ELi32ELi8ELc84ELc78ELc85ELb0ELb0E19rocblas_complex_numIfEPKS1_S3_PS1_EviT_T9_T10_S5_lS7_S5_lS6_T11_S5_li.numbered_sgpr, 35
	.set _ZL29rocblas_internal_gemmt_kernelIlLi16ELi32ELi8ELc84ELc78ELc85ELb0ELb0E19rocblas_complex_numIfEPKS1_S3_PS1_EviT_T9_T10_S5_lS7_S5_lS6_T11_S5_li.num_named_barrier, 0
	.set _ZL29rocblas_internal_gemmt_kernelIlLi16ELi32ELi8ELc84ELc78ELc85ELb0ELb0E19rocblas_complex_numIfEPKS1_S3_PS1_EviT_T9_T10_S5_lS7_S5_lS6_T11_S5_li.private_seg_size, 0
	.set _ZL29rocblas_internal_gemmt_kernelIlLi16ELi32ELi8ELc84ELc78ELc85ELb0ELb0E19rocblas_complex_numIfEPKS1_S3_PS1_EviT_T9_T10_S5_lS7_S5_lS6_T11_S5_li.uses_vcc, 1
	.set _ZL29rocblas_internal_gemmt_kernelIlLi16ELi32ELi8ELc84ELc78ELc85ELb0ELb0E19rocblas_complex_numIfEPKS1_S3_PS1_EviT_T9_T10_S5_lS7_S5_lS6_T11_S5_li.uses_flat_scratch, 0
	.set _ZL29rocblas_internal_gemmt_kernelIlLi16ELi32ELi8ELc84ELc78ELc85ELb0ELb0E19rocblas_complex_numIfEPKS1_S3_PS1_EviT_T9_T10_S5_lS7_S5_lS6_T11_S5_li.has_dyn_sized_stack, 0
	.set _ZL29rocblas_internal_gemmt_kernelIlLi16ELi32ELi8ELc84ELc78ELc85ELb0ELb0E19rocblas_complex_numIfEPKS1_S3_PS1_EviT_T9_T10_S5_lS7_S5_lS6_T11_S5_li.has_recursion, 0
	.set _ZL29rocblas_internal_gemmt_kernelIlLi16ELi32ELi8ELc84ELc78ELc85ELb0ELb0E19rocblas_complex_numIfEPKS1_S3_PS1_EviT_T9_T10_S5_lS7_S5_lS6_T11_S5_li.has_indirect_call, 0
	.section	.AMDGPU.csdata,"",@progbits
; Kernel info:
; codeLenInByte = 3280
; TotalNumSgprs: 37
; NumVgprs: 71
; ScratchSize: 0
; MemoryBound: 0
; FloatMode: 240
; IeeeMode: 1
; LDSByteSize: 4096 bytes/workgroup (compile time only)
; SGPRBlocks: 0
; VGPRBlocks: 8
; NumSGPRsForWavesPerEU: 37
; NumVGPRsForWavesPerEU: 71
; Occupancy: 16
; WaveLimiterHint : 0
; COMPUTE_PGM_RSRC2:SCRATCH_EN: 0
; COMPUTE_PGM_RSRC2:USER_SGPR: 2
; COMPUTE_PGM_RSRC2:TRAP_HANDLER: 0
; COMPUTE_PGM_RSRC2:TGID_X_EN: 1
; COMPUTE_PGM_RSRC2:TGID_Y_EN: 1
; COMPUTE_PGM_RSRC2:TGID_Z_EN: 1
; COMPUTE_PGM_RSRC2:TIDIG_COMP_CNT: 1
	.section	.text._ZL29rocblas_internal_gemmt_kernelIlLi16ELi32ELi8ELc84ELc84ELc85ELb0ELb0E19rocblas_complex_numIfEPKS1_S3_PS1_EviT_T9_T10_S5_lS7_S5_lS6_T11_S5_li,"axG",@progbits,_ZL29rocblas_internal_gemmt_kernelIlLi16ELi32ELi8ELc84ELc84ELc85ELb0ELb0E19rocblas_complex_numIfEPKS1_S3_PS1_EviT_T9_T10_S5_lS7_S5_lS6_T11_S5_li,comdat
	.globl	_ZL29rocblas_internal_gemmt_kernelIlLi16ELi32ELi8ELc84ELc84ELc85ELb0ELb0E19rocblas_complex_numIfEPKS1_S3_PS1_EviT_T9_T10_S5_lS7_S5_lS6_T11_S5_li ; -- Begin function _ZL29rocblas_internal_gemmt_kernelIlLi16ELi32ELi8ELc84ELc84ELc85ELb0ELb0E19rocblas_complex_numIfEPKS1_S3_PS1_EviT_T9_T10_S5_lS7_S5_lS6_T11_S5_li
	.p2align	8
	.type	_ZL29rocblas_internal_gemmt_kernelIlLi16ELi32ELi8ELc84ELc84ELc85ELb0ELb0E19rocblas_complex_numIfEPKS1_S3_PS1_EviT_T9_T10_S5_lS7_S5_lS6_T11_S5_li,@function
_ZL29rocblas_internal_gemmt_kernelIlLi16ELi32ELi8ELc84ELc84ELc85ELb0ELb0E19rocblas_complex_numIfEPKS1_S3_PS1_EviT_T9_T10_S5_lS7_S5_lS6_T11_S5_li: ; @_ZL29rocblas_internal_gemmt_kernelIlLi16ELi32ELi8ELc84ELc84ELc85ELb0ELb0E19rocblas_complex_numIfEPKS1_S3_PS1_EviT_T9_T10_S5_lS7_S5_lS6_T11_S5_li
; %bb.0:
	s_load_b256 s[20:27], s[0:1], 0x48
	s_wait_kmcnt 0x0
	s_load_b64 s[20:21], s[20:21], 0x0
	s_load_b512 s[4:19], s[0:1], 0x8
	s_wait_kmcnt 0x0
	s_cmp_eq_f32 s20, 1.0
	s_load_b64 s[6:7], s[6:7], 0x0
	s_cselect_b32 s2, -1, 0
	s_and_b32 s3, s21, 0x7fffffff
	s_delay_alu instid0(SALU_CYCLE_1) | instskip(SKIP_1) | instid1(SALU_CYCLE_1)
	s_cmp_eq_u32 s3, 0
	s_cselect_b32 s31, -1, 0
	s_and_b32 s3, s2, s31
	s_mov_b32 s2, 0
	s_and_not1_b32 vcc_lo, exec_lo, s3
	s_mov_b32 s3, -1
	s_cbranch_vccnz .LBB220_4
; %bb.1:
	s_cmp_lg_u64 s[4:5], 0
	s_cbranch_scc0 .LBB220_3
; %bb.2:
	s_wait_kmcnt 0x0
	s_cmp_neq_f32 s6, 0
	s_cselect_b32 s2, -1, 0
	s_cmp_neq_f32 s7, 0
	s_cselect_b32 s3, -1, 0
	s_delay_alu instid0(SALU_CYCLE_1)
	s_or_b32 s2, s2, s3
.LBB220_3:
	s_delay_alu instid0(SALU_CYCLE_1)
	s_mov_b32 s3, s2
.LBB220_4:
	s_delay_alu instid0(SALU_CYCLE_1)
	s_and_b32 vcc_lo, exec_lo, s3
	s_cbranch_vccz .LBB220_42
; %bb.5:
	s_load_b32 s30, s[0:1], 0x68
	s_lshr_b32 s28, ttmp7, 16
	s_wait_kmcnt 0x0
	s_cmp_ge_u32 s28, s30
	s_cbranch_scc1 .LBB220_42
; %bb.6:
	v_and_b32_e32 v7, 0x3ff, v0
	v_bfe_u32 v8, v0, 10, 10
	s_load_b32 s33, s[0:1], 0x0
	s_lshl_b32 s2, ttmp9, 5
	s_lshl_b32 s0, ttmp7, 5
	v_and_b32_e32 v14, 7, v0
	v_lshl_add_u32 v2, v8, 4, v7
	s_and_b32 s0, s0, 0x1fffe0
	s_cmp_neq_f32 s6, 0
	v_add_nc_u32_e32 v11, s0, v8
	v_lshl_add_u32 v23, v8, 6, 0x800
	v_and_b32_e32 v3, 31, v2
	s_cselect_b32 s1, -1, 0
	s_cmp_neq_f32 s7, 0
	v_lshrrev_b32_e32 v9, 3, v2
	v_lshrrev_b32_e32 v15, 5, v2
	v_or_b32_e32 v4, s2, v3
	s_cselect_b32 s3, -1, 0
	v_lshlrev_b32_e32 v3, 3, v3
	v_add_nc_u32_e32 v2, s0, v9
	v_add_nc_u32_e32 v12, 16, v11
	v_mul_lo_u32 v6, s11, v4
	v_mad_co_u64_u32 v[0:1], null, s10, v4, 0
	s_ashr_i32 s11, s2, 31
	v_lshl_or_b32 v16, v15, 8, v3
	s_wait_alu 0xfffe
	s_mul_i32 s10, s10, s11
	s_or_b32 s11, s1, s3
	s_wait_kmcnt 0x0
	v_cmp_gt_i32_e32 vcc_lo, s33, v2
	v_cmp_gt_i32_e64 s0, s33, v4
	s_wait_alu 0xfffe
	v_add3_u32 v1, v1, s10, v6
	v_cmp_le_i32_e64 s10, s33, v4
	s_cmp_neq_f32 s20, 0
	v_cmp_gt_i64_e64 s34, s[4:5], 0
	s_mov_b32 s29, 0
	v_lshlrev_b64_e32 v[0:1], 3, v[0:1]
	s_delay_alu instid0(VALU_DEP_1) | instskip(SKIP_1) | instid1(VALU_DEP_2)
	v_add_co_u32 v18, s1, s8, v0
	s_wait_alu 0xf1ff
	v_add_co_ci_u32_e64 v19, null, s9, v1, s1
	v_mov_b32_e32 v1, 0
	v_lshlrev_b32_e32 v5, 3, v14
	v_lshlrev_b32_e32 v0, 3, v2
	v_mad_co_u64_u32 v[2:3], null, s24, v11, 0
	s_delay_alu instid0(VALU_DEP_3) | instskip(NEXT) | instid1(VALU_DEP_3)
	v_lshl_or_b32 v5, v9, 6, v5
	v_add_co_u32 v20, s1, s14, v0
	s_wait_alu 0xf1ff
	v_add_co_ci_u32_e64 v21, null, s15, 0, s1
	s_delay_alu instid0(VALU_DEP_3)
	v_add_nc_u32_e32 v17, 0x800, v5
	v_mad_co_u64_u32 v[4:5], null, s24, v12, 0
	v_mov_b32_e32 v0, v3
	v_add_nc_u32_e32 v6, s2, v7
	v_cmp_gt_i32_e64 s1, s33, v11
	v_lshlrev_b32_e32 v22, 3, v7
	s_cselect_b32 s14, -1, 0
	v_mad_co_u64_u32 v[9:10], null, s25, v11, v[0:1]
	v_add_nc_u32_e32 v8, 16, v6
	v_mov_b32_e32 v0, v5
	v_cmp_le_i32_e64 s2, v6, v11
	v_ashrrev_i32_e32 v7, 31, v6
	s_xor_b32 s15, s31, -1
	v_cmp_le_i32_e64 s3, v8, v11
	v_mad_co_u64_u32 v[10:11], null, s25, v12, v[0:1]
	v_mov_b32_e32 v3, v9
	v_ashrrev_i32_e32 v9, 31, v8
	s_and_b32 s8, s1, s2
	s_and_b32 s9, s1, s3
	v_cmp_gt_i32_e64 s1, s33, v12
	v_cmp_le_i32_e64 s2, v6, v12
	v_mov_b32_e32 v5, v10
	v_cmp_le_i32_e64 s3, v8, v12
	v_lshlrev_b64_e32 v[2:3], 3, v[2:3]
	v_lshlrev_b64_e32 v[6:7], 3, v[6:7]
	;; [unrolled: 1-line block ×4, first 2 shown]
	s_and_b32 s11, s11, s34
	s_wait_alu 0xfffe
	s_or_b32 s14, s14, s15
	s_and_b32 s15, s1, s2
	s_and_b32 s1, s1, s3
	s_xor_b32 s24, vcc_lo, -1
                                        ; implicit-def: $vgpr10_vgpr11
	s_branch .LBB220_8
.LBB220_7:                              ;   in Loop: Header=BB220_8 Depth=1
	s_wait_alu 0xfffe
	s_or_b32 exec_lo, exec_lo, s2
	s_add_co_i32 s28, s28, 0x10000
	s_delay_alu instid0(SALU_CYCLE_1)
	s_cmp_lt_u32 s28, s30
	s_cbranch_scc0 .LBB220_42
.LBB220_8:                              ; =>This Loop Header: Depth=1
                                        ;     Child Loop BB220_11 Depth 2
	s_and_not1_b32 vcc_lo, exec_lo, s11
	s_wait_alu 0xfffe
	s_cbranch_vccnz .LBB220_21
; %bb.9:                                ;   in Loop: Header=BB220_8 Depth=1
	s_mul_u64 s[2:3], s[12:13], s[28:29]
	s_mul_u64 s[34:35], s[18:19], s[28:29]
	s_wait_alu 0xfffe
	s_lshl_b64 s[2:3], s[2:3], 3
	v_dual_mov_b32 v26, 0 :: v_dual_mov_b32 v27, 0
	s_wait_alu 0xfffe
	v_add_co_u32 v12, vcc_lo, v18, s2
	s_wait_alu 0xfffd
	v_add_co_ci_u32_e64 v13, null, s3, v19, vcc_lo
	s_lshl_b64 s[2:3], s[34:35], 3
	v_dual_mov_b32 v29, 0 :: v_dual_mov_b32 v28, 0
	s_wait_alu 0xfffe
	v_add_co_u32 v24, vcc_lo, v20, s2
	s_wait_alu 0xfffd
	v_add_co_ci_u32_e64 v25, null, s3, v21, vcc_lo
	v_dual_mov_b32 v31, 0 :: v_dual_mov_b32 v30, 0
	v_dual_mov_b32 v33, 0 :: v_dual_mov_b32 v32, 0
	s_mov_b64 s[2:3], 0
	s_branch .LBB220_11
.LBB220_10:                             ;   in Loop: Header=BB220_11 Depth=2
	s_wait_alu 0xfffe
	s_or_b32 exec_lo, exec_lo, s25
	s_wait_dscnt 0x0
	s_barrier_signal -1
	s_barrier_wait -1
	global_inv scope:SCOPE_SE
	ds_load_b128 v[34:37], v23
	ds_load_2addr_b64 v[38:41], v22 offset1:16
	ds_load_b128 v[42:45], v23 offset:1024
	ds_load_b128 v[46:49], v23 offset:16
	;; [unrolled: 1-line block ×4, first 2 shown]
	ds_load_2addr_b64 v[58:61], v22 offset0:32 offset1:48
	ds_load_b128 v[62:65], v23 offset:1040
	s_add_nc_u64 s[2:3], s[2:3], 8
	s_wait_alu 0xfffe
	v_cmp_gt_i64_e64 s25, s[4:5], s[2:3]
	s_and_b32 vcc_lo, exec_lo, s25
	s_wait_dscnt 0x6
	v_mul_f32_e32 v0, v35, v39
	v_dual_mul_f32 v66, v34, v39 :: v_dual_mul_f32 v67, v35, v41
	s_wait_dscnt 0x5
	v_dual_mul_f32 v68, v34, v41 :: v_dual_mul_f32 v69, v43, v39
	v_dual_mul_f32 v39, v42, v39 :: v_dual_mul_f32 v70, v43, v41
	v_mul_f32_e32 v41, v42, v41
	v_fma_f32 v0, v34, v38, -v0
	v_fma_f32 v34, v34, v40, -v67
	v_fmac_f32_e32 v68, v35, v40
	v_fmac_f32_e32 v39, v43, v38
	;; [unrolled: 1-line block ×3, first 2 shown]
	v_add_f32_e32 v0, v32, v0
	v_fmac_f32_e32 v66, v35, v38
	v_fma_f32 v35, v42, v38, -v69
	v_fma_f32 v38, v42, v40, -v70
	v_add_f32_e32 v26, v26, v41
	s_delay_alu instid0(VALU_DEP_4) | instskip(NEXT) | instid1(VALU_DEP_4)
	v_add_f32_e32 v32, v33, v66
	v_dual_add_f32 v33, v30, v34 :: v_dual_add_f32 v34, v28, v35
	v_add_f32_e32 v35, v29, v39
	s_wait_dscnt 0x1
	v_dual_mul_f32 v39, v37, v59 :: v_dual_add_f32 v38, v27, v38
	ds_load_2addr_b64 v[27:30], v22 offset0:64 offset1:80
	v_mul_f32_e32 v42, v37, v61
	v_mul_f32_e32 v41, v36, v61
	;; [unrolled: 1-line block ×3, first 2 shown]
	v_fma_f32 v39, v36, v58, -v39
	v_add_f32_e32 v31, v31, v68
	v_fma_f32 v36, v36, v60, -v42
	s_delay_alu instid0(VALU_DEP_3) | instskip(SKIP_1) | instid1(VALU_DEP_3)
	v_add_f32_e32 v0, v0, v39
	v_mul_f32_e32 v39, v45, v59
	v_add_f32_e32 v36, v33, v36
	v_fmac_f32_e32 v41, v37, v60
	v_fmac_f32_e32 v40, v37, v58
	v_mul_f32_e32 v37, v45, v61
	v_fma_f32 v33, v44, v58, -v39
	s_delay_alu instid0(VALU_DEP_4) | instskip(NEXT) | instid1(VALU_DEP_3)
	v_add_f32_e32 v39, v31, v41
	v_fma_f32 v31, v44, v60, -v37
	v_mul_f32_e32 v41, v44, v61
	s_wait_dscnt 0x0
	v_mul_f32_e32 v37, v46, v28
	v_add_f32_e32 v40, v32, v40
	v_add_f32_e32 v38, v38, v31
	v_dual_mul_f32 v32, v44, v59 :: v_dual_fmac_f32 v41, v45, v60
	v_mul_f32_e32 v44, v47, v30
	s_delay_alu instid0(VALU_DEP_2) | instskip(NEXT) | instid1(VALU_DEP_3)
	v_dual_fmac_f32 v37, v47, v27 :: v_dual_fmac_f32 v32, v45, v58
	v_add_f32_e32 v41, v26, v41
	v_dual_add_f32 v42, v34, v33 :: v_dual_mul_f32 v33, v47, v28
	s_delay_alu instid0(VALU_DEP_3) | instskip(NEXT) | instid1(VALU_DEP_4)
	v_dual_mul_f32 v26, v46, v30 :: v_dual_add_f32 v37, v40, v37
	v_add_f32_e32 v35, v35, v32
	s_delay_alu instid0(VALU_DEP_3) | instskip(SKIP_4) | instid1(VALU_DEP_1)
	v_fma_f32 v43, v46, v27, -v33
	ds_load_2addr_b64 v[31:34], v22 offset0:96 offset1:112
	v_fmac_f32_e32 v26, v47, v29
	v_add_f32_e32 v0, v0, v43
	v_fma_f32 v43, v46, v29, -v44
	v_dual_add_f32 v39, v39, v26 :: v_dual_add_f32 v36, v36, v43
	v_mul_f32_e32 v43, v63, v30
	v_mul_f32_e32 v30, v62, v30
	s_delay_alu instid0(VALU_DEP_2) | instskip(SKIP_1) | instid1(VALU_DEP_3)
	v_fma_f32 v26, v62, v29, -v43
	v_mul_f32_e32 v40, v63, v28
	v_fmac_f32_e32 v30, v63, v29
	s_wait_dscnt 0x0
	v_dual_mul_f32 v28, v62, v28 :: v_dual_mul_f32 v47, v65, v34
	v_add_f32_e32 v43, v38, v26
	v_fma_f32 v40, v62, v27, -v40
	v_dual_mul_f32 v38, v48, v32 :: v_dual_add_f32 v41, v41, v30
	s_delay_alu instid0(VALU_DEP_4) | instskip(SKIP_1) | instid1(VALU_DEP_3)
	v_fmac_f32_e32 v28, v63, v27
	v_mul_f32_e32 v30, v48, v34
	v_fmac_f32_e32 v38, v49, v31
	v_add_f32_e32 v40, v42, v40
	s_delay_alu instid0(VALU_DEP_4)
	v_add_f32_e32 v42, v35, v28
	ds_load_2addr_b64 v[26:29], v22 offset0:128 offset1:144
	v_mul_f32_e32 v35, v49, v32
	v_mul_f32_e32 v44, v49, v34
	v_fmac_f32_e32 v30, v49, v33
	v_mul_f32_e32 v34, v64, v34
	s_delay_alu instid0(VALU_DEP_4)
	v_fma_f32 v35, v48, v31, -v35
	s_wait_dscnt 0x0
	v_mul_f32_e32 v49, v50, v27
	v_fma_f32 v44, v48, v33, -v44
	v_add_f32_e32 v48, v39, v30
	v_fma_f32 v30, v64, v33, -v47
	s_delay_alu instid0(VALU_DEP_4) | instskip(NEXT) | instid1(VALU_DEP_4)
	v_fmac_f32_e32 v49, v51, v26
	v_dual_add_f32 v45, v37, v38 :: v_dual_add_f32 v44, v36, v44
	s_delay_alu instid0(VALU_DEP_3) | instskip(SKIP_1) | instid1(VALU_DEP_3)
	v_dual_add_f32 v43, v43, v30 :: v_dual_add_f32 v0, v0, v35
	v_mul_f32_e32 v35, v65, v32
	v_dual_mul_f32 v32, v64, v32 :: v_dual_add_f32 v45, v45, v49
	s_delay_alu instid0(VALU_DEP_2) | instskip(SKIP_3) | instid1(VALU_DEP_2)
	v_fma_f32 v46, v64, v31, -v35
	ds_load_b128 v[35:38], v23 offset:1056
	v_fmac_f32_e32 v32, v65, v31
	v_dual_mul_f32 v31, v51, v27 :: v_dual_fmac_f32 v34, v65, v33
	v_add_f32_e32 v47, v42, v32
	s_delay_alu instid0(VALU_DEP_2)
	v_fma_f32 v39, v50, v26, -v31
	ds_load_2addr_b64 v[30:33], v22 offset0:160 offset1:176
	v_add_f32_e32 v46, v40, v46
	v_mul_f32_e32 v40, v51, v29
	v_add_f32_e32 v34, v41, v34
	v_add_f32_e32 v0, v0, v39
	s_delay_alu instid0(VALU_DEP_3) | instskip(SKIP_4) | instid1(VALU_DEP_2)
	v_fma_f32 v58, v50, v28, -v40
	ds_load_b128 v[39:42], v23 offset:1072
	s_wait_dscnt 0x2
	v_dual_mul_f32 v50, v50, v29 :: v_dual_mul_f32 v59, v36, v27
	v_mul_f32_e32 v27, v35, v27
	v_dual_fmac_f32 v50, v51, v28 :: v_dual_mul_f32 v51, v36, v29
	s_delay_alu instid0(VALU_DEP_3) | instskip(NEXT) | instid1(VALU_DEP_3)
	v_fma_f32 v49, v35, v26, -v59
	v_fmac_f32_e32 v27, v36, v26
	s_delay_alu instid0(VALU_DEP_3) | instskip(SKIP_2) | instid1(VALU_DEP_4)
	v_add_f32_e32 v48, v48, v50
	v_mul_f32_e32 v50, v35, v29
	v_fma_f32 v26, v35, v28, -v51
	v_add_f32_e32 v35, v47, v27
	s_wait_dscnt 0x1
	s_delay_alu instid0(VALU_DEP_3) | instskip(NEXT) | instid1(VALU_DEP_3)
	v_dual_mul_f32 v47, v53, v31 :: v_dual_fmac_f32 v50, v36, v28
	v_add_f32_e32 v43, v43, v26
	ds_load_2addr_b64 v[26:29], v22 offset0:192 offset1:208
	v_mul_f32_e32 v36, v52, v31
	v_add_f32_e32 v46, v46, v49
	v_fma_f32 v47, v52, v30, -v47
	v_mul_f32_e32 v49, v53, v33
	s_delay_alu instid0(VALU_DEP_4) | instskip(NEXT) | instid1(VALU_DEP_3)
	v_fmac_f32_e32 v36, v53, v30
	v_add_f32_e32 v0, v0, v47
	s_delay_alu instid0(VALU_DEP_3) | instskip(NEXT) | instid1(VALU_DEP_3)
	v_fma_f32 v47, v52, v32, -v49
	v_dual_add_f32 v45, v45, v36 :: v_dual_mul_f32 v36, v38, v31
	v_mul_f32_e32 v31, v37, v31
	s_delay_alu instid0(VALU_DEP_2) | instskip(NEXT) | instid1(VALU_DEP_2)
	v_fma_f32 v36, v37, v30, -v36
	v_fmac_f32_e32 v31, v38, v30
	v_add_f32_e32 v44, v44, v58
	s_delay_alu instid0(VALU_DEP_2) | instskip(NEXT) | instid1(VALU_DEP_2)
	v_dual_mul_f32 v30, v37, v33 :: v_dual_add_f32 v31, v35, v31
	v_dual_add_f32 v44, v44, v47 :: v_dual_mul_f32 v47, v38, v33
	v_add_f32_e32 v50, v34, v50
	v_mul_f32_e32 v34, v52, v33
	s_delay_alu instid0(VALU_DEP_4) | instskip(NEXT) | instid1(VALU_DEP_4)
	v_fmac_f32_e32 v30, v38, v32
	v_fma_f32 v33, v37, v32, -v47
	s_wait_dscnt 0x0
	s_delay_alu instid0(VALU_DEP_3) | instskip(NEXT) | instid1(VALU_DEP_2)
	v_dual_mul_f32 v47, v40, v27 :: v_dual_fmac_f32 v34, v53, v32
	v_dual_add_f32 v32, v43, v33 :: v_dual_mul_f32 v33, v54, v27
	v_mul_f32_e32 v43, v55, v29
	s_delay_alu instid0(VALU_DEP_2) | instskip(NEXT) | instid1(VALU_DEP_2)
	v_dual_fmac_f32 v33, v55, v26 :: v_dual_add_f32 v46, v46, v36
	v_fma_f32 v43, v54, v28, -v43
	s_delay_alu instid0(VALU_DEP_2) | instskip(SKIP_3) | instid1(VALU_DEP_3)
	v_dual_add_f32 v33, v45, v33 :: v_dual_add_f32 v48, v48, v34
	v_mul_f32_e32 v34, v55, v27
	v_mul_f32_e32 v27, v39, v27
	;; [unrolled: 1-line block ×3, first 2 shown]
	v_fma_f32 v38, v54, v26, -v34
	ds_load_2addr_b64 v[34:37], v22 offset0:224 offset1:240
	v_fmac_f32_e32 v27, v40, v26
	v_add_f32_e32 v30, v50, v30
	s_wait_loadcnt_dscnt 0x0
	v_add_f32_e32 v0, v0, v38
	s_barrier_signal -1
	v_dual_add_f32 v27, v31, v27 :: v_dual_mul_f32 v38, v54, v29
	v_mul_f32_e32 v29, v39, v29
	s_barrier_wait -1
	global_inv scope:SCOPE_SE
	v_fmac_f32_e32 v38, v55, v28
	v_fmac_f32_e32 v29, v40, v28
	s_delay_alu instid0(VALU_DEP_1) | instskip(SKIP_2) | instid1(VALU_DEP_2)
	v_add_f32_e32 v40, v30, v29
	v_mul_f32_e32 v29, v56, v37
	v_mul_f32_e32 v31, v57, v35
	v_fmac_f32_e32 v29, v57, v36
	v_add_f32_e32 v43, v44, v43
	v_fma_f32 v44, v39, v26, -v47
	v_fma_f32 v39, v39, v28, -v45
	;; [unrolled: 1-line block ×3, first 2 shown]
	s_delay_alu instid0(VALU_DEP_2) | instskip(SKIP_1) | instid1(VALU_DEP_2)
	v_dual_add_f32 v39, v32, v39 :: v_dual_mul_f32 v32, v57, v37
	v_mul_f32_e32 v28, v56, v35
	v_fma_f32 v30, v56, v36, -v32
	s_delay_alu instid0(VALU_DEP_4) | instskip(SKIP_1) | instid1(VALU_DEP_4)
	v_add_f32_e32 v32, v0, v31
	v_mul_f32_e32 v0, v42, v35
	v_fmac_f32_e32 v28, v57, v34
	s_delay_alu instid0(VALU_DEP_4) | instskip(SKIP_1) | instid1(VALU_DEP_4)
	v_dual_mul_f32 v35, v41, v35 :: v_dual_add_f32 v30, v43, v30
	v_mul_f32_e32 v43, v42, v37
	v_fma_f32 v0, v41, v34, -v0
	v_dual_mul_f32 v37, v41, v37 :: v_dual_add_f32 v26, v48, v38
	v_add_f32_e32 v38, v46, v44
	v_add_f32_e32 v33, v33, v28
	v_fmac_f32_e32 v35, v42, v34
	s_delay_alu instid0(VALU_DEP_4) | instskip(SKIP_3) | instid1(VALU_DEP_4)
	v_fmac_f32_e32 v37, v42, v36
	v_add_f32_e32 v31, v26, v29
	v_add_f32_e32 v28, v38, v0
	v_fma_f32 v0, v41, v36, -v43
	v_dual_add_f32 v29, v27, v35 :: v_dual_add_f32 v26, v40, v37
	s_delay_alu instid0(VALU_DEP_2)
	v_add_f32_e32 v27, v39, v0
	s_wait_alu 0xfffe
	s_cbranch_vccz .LBB220_22
.LBB220_11:                             ;   Parent Loop BB220_8 Depth=1
                                        ; =>  This Inner Loop Header: Depth=2
	s_mov_b32 s25, 0
	s_mov_b32 s33, s10
	s_and_saveexec_b32 s31, s0
	s_cbranch_execnz .LBB220_19
; %bb.12:                               ;   in Loop: Header=BB220_11 Depth=2
	s_or_b32 exec_lo, exec_lo, s31
	s_wait_alu 0xfffe
	s_and_saveexec_b32 s31, s33
	s_delay_alu instid0(SALU_CYCLE_1)
	s_xor_b32 s31, exec_lo, s31
	s_cbranch_execnz .LBB220_20
.LBB220_13:                             ;   in Loop: Header=BB220_11 Depth=2
	s_or_b32 exec_lo, exec_lo, s31
	s_and_saveexec_b32 s31, s25
	s_cbranch_execz .LBB220_15
.LBB220_14:                             ;   in Loop: Header=BB220_11 Depth=2
	v_lshlrev_b64_e32 v[34:35], 3, v[10:11]
	s_delay_alu instid0(VALU_DEP_1) | instskip(SKIP_1) | instid1(VALU_DEP_2)
	v_add_co_u32 v34, vcc_lo, v12, v34
	s_wait_alu 0xfffd
	v_add_co_ci_u32_e64 v35, null, v13, v35, vcc_lo
	global_load_b64 v[34:35], v[34:35], off
	s_wait_loadcnt 0x0
	ds_store_b64 v16, v[34:35]
.LBB220_15:                             ;   in Loop: Header=BB220_11 Depth=2
	s_or_b32 exec_lo, exec_lo, s31
	v_add_nc_u32_e32 v0, s2, v14
	s_delay_alu instid0(VALU_DEP_1) | instskip(SKIP_3) | instid1(SALU_CYCLE_1)
	v_cmp_le_u64_e32 vcc_lo, s[4:5], v[0:1]
	s_or_b32 s25, vcc_lo, s24
	s_wait_alu 0xfffe
	s_and_saveexec_b32 s31, s25
	s_xor_b32 s25, exec_lo, s31
; %bb.16:                               ;   in Loop: Header=BB220_11 Depth=2
	v_mov_b32_e32 v0, v1
	ds_store_b64 v17, v[0:1]
; %bb.17:                               ;   in Loop: Header=BB220_11 Depth=2
	s_wait_alu 0xfffe
	s_and_not1_saveexec_b32 s25, s25
	s_cbranch_execz .LBB220_10
; %bb.18:                               ;   in Loop: Header=BB220_11 Depth=2
	v_mad_co_u64_u32 v[34:35], null, s16, v0, 0
	s_delay_alu instid0(VALU_DEP_1) | instskip(NEXT) | instid1(VALU_DEP_1)
	v_mad_co_u64_u32 v[35:36], null, s17, v0, v[35:36]
	v_lshlrev_b64_e32 v[34:35], 3, v[34:35]
	s_delay_alu instid0(VALU_DEP_1) | instskip(SKIP_1) | instid1(VALU_DEP_2)
	v_add_co_u32 v34, vcc_lo, v24, v34
	s_wait_alu 0xfffd
	v_add_co_ci_u32_e64 v35, null, v25, v35, vcc_lo
	global_load_b64 v[34:35], v[34:35], off
	s_wait_loadcnt 0x0
	ds_store_b64 v17, v[34:35]
	s_branch .LBB220_10
.LBB220_19:                             ;   in Loop: Header=BB220_11 Depth=2
	s_wait_alu 0xfffe
	v_add_nc_u32_e32 v0, s2, v15
	v_mov_b32_e32 v11, v1
	s_and_not1_b32 s33, s10, exec_lo
	s_mov_b32 s25, exec_lo
	s_delay_alu instid0(VALU_DEP_2)
	v_cmp_le_u64_e32 vcc_lo, s[4:5], v[0:1]
	v_mov_b32_e32 v10, v0
	s_and_b32 s34, vcc_lo, exec_lo
	s_wait_alu 0xfffe
	s_or_b32 s33, s33, s34
	s_or_b32 exec_lo, exec_lo, s31
	s_wait_alu 0xfffe
	s_and_saveexec_b32 s31, s33
	s_delay_alu instid0(SALU_CYCLE_1)
	s_xor_b32 s31, exec_lo, s31
	s_cbranch_execz .LBB220_13
.LBB220_20:                             ;   in Loop: Header=BB220_11 Depth=2
	v_mov_b32_e32 v0, v1
	s_and_not1_b32 s25, s25, exec_lo
	ds_store_b64 v16, v[0:1]
	s_or_b32 exec_lo, exec_lo, s31
	s_wait_alu 0xfffe
	s_and_saveexec_b32 s31, s25
	s_cbranch_execnz .LBB220_14
	s_branch .LBB220_15
.LBB220_21:                             ;   in Loop: Header=BB220_8 Depth=1
	v_dual_mov_b32 v32, v1 :: v_dual_mov_b32 v33, v1
	v_dual_mov_b32 v30, v1 :: v_dual_mov_b32 v31, v1
	;; [unrolled: 1-line block ×4, first 2 shown]
.LBB220_22:                             ;   in Loop: Header=BB220_8 Depth=1
	s_mul_u64 s[2:3], s[26:27], s[28:29]
	s_wait_alu 0xfffe
	s_lshl_b64 s[2:3], s[2:3], 3
	s_wait_alu 0xfffe
	s_add_nc_u64 s[2:3], s[22:23], s[2:3]
	s_wait_alu 0xfffe
	v_add_co_u32 v0, vcc_lo, s2, v2
	s_wait_alu 0xfffd
	v_add_co_ci_u32_e64 v24, null, s3, v3, vcc_lo
	s_and_saveexec_b32 s25, s8
	s_cbranch_execz .LBB220_27
; %bb.23:                               ;   in Loop: Header=BB220_8 Depth=1
	v_mul_f32_e32 v13, s6, v33
	v_mul_f32_e32 v12, s7, v33
	s_and_b32 vcc_lo, exec_lo, s14
	s_mov_b32 s31, -1
	s_delay_alu instid0(VALU_DEP_2) | instskip(NEXT) | instid1(VALU_DEP_2)
	v_fmac_f32_e32 v13, s7, v32
	v_fma_f32 v12, v32, s6, -v12
	s_wait_alu 0xfffe
	s_cbranch_vccz .LBB220_25
; %bb.24:                               ;   in Loop: Header=BB220_8 Depth=1
	v_add_co_u32 v32, vcc_lo, v0, v6
	s_wait_alu 0xfffd
	v_add_co_ci_u32_e64 v33, null, v24, v7, vcc_lo
	s_mov_b32 s31, 0
	global_load_b64 v[34:35], v[32:33], off
	s_wait_loadcnt 0x0
	v_mul_f32_e32 v25, s21, v35
	s_delay_alu instid0(VALU_DEP_1) | instskip(SKIP_1) | instid1(VALU_DEP_1)
	v_fma_f32 v25, v34, s20, -v25
	v_mul_f32_e32 v35, s20, v35
	v_dual_fmac_f32 v35, s21, v34 :: v_dual_add_f32 v34, v12, v25
	s_delay_alu instid0(VALU_DEP_1)
	v_add_f32_e32 v35, v13, v35
	global_store_b64 v[32:33], v[34:35], off
.LBB220_25:                             ;   in Loop: Header=BB220_8 Depth=1
	s_and_not1_b32 vcc_lo, exec_lo, s31
	s_wait_alu 0xfffe
	s_cbranch_vccnz .LBB220_27
; %bb.26:                               ;   in Loop: Header=BB220_8 Depth=1
	v_add_co_u32 v32, vcc_lo, v0, v6
	s_wait_alu 0xfffd
	v_add_co_ci_u32_e64 v33, null, v24, v7, vcc_lo
	global_store_b64 v[32:33], v[12:13], off
.LBB220_27:                             ;   in Loop: Header=BB220_8 Depth=1
	s_wait_alu 0xfffe
	s_or_b32 exec_lo, exec_lo, s25
	s_and_saveexec_b32 s25, s9
	s_cbranch_execz .LBB220_32
; %bb.28:                               ;   in Loop: Header=BB220_8 Depth=1
	v_mul_f32_e32 v13, s6, v31
	v_mul_f32_e32 v12, s7, v31
	s_and_not1_b32 vcc_lo, exec_lo, s14
	s_mov_b32 s31, -1
	s_delay_alu instid0(VALU_DEP_2) | instskip(NEXT) | instid1(VALU_DEP_2)
	v_fmac_f32_e32 v13, s7, v30
	v_fma_f32 v12, v30, s6, -v12
	s_wait_alu 0xfffe
	s_cbranch_vccnz .LBB220_30
; %bb.29:                               ;   in Loop: Header=BB220_8 Depth=1
	v_add_co_u32 v30, vcc_lo, v0, v8
	s_wait_alu 0xfffd
	v_add_co_ci_u32_e64 v31, null, v24, v9, vcc_lo
	s_mov_b32 s31, 0
	global_load_b64 v[32:33], v[30:31], off
	s_wait_loadcnt 0x0
	v_mul_f32_e32 v25, s21, v33
	v_mul_f32_e32 v33, s20, v33
	s_delay_alu instid0(VALU_DEP_2) | instskip(NEXT) | instid1(VALU_DEP_1)
	v_fma_f32 v25, v32, s20, -v25
	v_dual_fmac_f32 v33, s21, v32 :: v_dual_add_f32 v32, v12, v25
	s_delay_alu instid0(VALU_DEP_1)
	v_add_f32_e32 v33, v13, v33
	global_store_b64 v[30:31], v[32:33], off
.LBB220_30:                             ;   in Loop: Header=BB220_8 Depth=1
	s_and_not1_b32 vcc_lo, exec_lo, s31
	s_wait_alu 0xfffe
	s_cbranch_vccnz .LBB220_32
; %bb.31:                               ;   in Loop: Header=BB220_8 Depth=1
	v_add_co_u32 v30, vcc_lo, v0, v8
	s_wait_alu 0xfffd
	v_add_co_ci_u32_e64 v31, null, v24, v9, vcc_lo
	global_store_b64 v[30:31], v[12:13], off
.LBB220_32:                             ;   in Loop: Header=BB220_8 Depth=1
	s_wait_alu 0xfffe
	s_or_b32 exec_lo, exec_lo, s25
	v_add_co_u32 v0, vcc_lo, s2, v4
	s_wait_alu 0xfffd
	v_add_co_ci_u32_e64 v24, null, s3, v5, vcc_lo
	s_and_saveexec_b32 s2, s15
	s_cbranch_execz .LBB220_37
; %bb.33:                               ;   in Loop: Header=BB220_8 Depth=1
	v_mul_f32_e32 v13, s6, v29
	v_mul_f32_e32 v12, s7, v29
	s_and_not1_b32 vcc_lo, exec_lo, s14
	s_mov_b32 s3, -1
	s_delay_alu instid0(VALU_DEP_2) | instskip(NEXT) | instid1(VALU_DEP_2)
	v_fmac_f32_e32 v13, s7, v28
	v_fma_f32 v12, v28, s6, -v12
	s_wait_alu 0xfffe
	s_cbranch_vccnz .LBB220_35
; %bb.34:                               ;   in Loop: Header=BB220_8 Depth=1
	v_add_co_u32 v28, vcc_lo, v0, v6
	s_wait_alu 0xfffd
	v_add_co_ci_u32_e64 v29, null, v24, v7, vcc_lo
	s_mov_b32 s3, 0
	global_load_b64 v[30:31], v[28:29], off
	s_wait_loadcnt 0x0
	v_mul_f32_e32 v25, s21, v31
	s_delay_alu instid0(VALU_DEP_1) | instskip(SKIP_1) | instid1(VALU_DEP_1)
	v_fma_f32 v25, v30, s20, -v25
	v_mul_f32_e32 v31, s20, v31
	v_dual_fmac_f32 v31, s21, v30 :: v_dual_add_f32 v30, v12, v25
	s_delay_alu instid0(VALU_DEP_1)
	v_add_f32_e32 v31, v13, v31
	global_store_b64 v[28:29], v[30:31], off
.LBB220_35:                             ;   in Loop: Header=BB220_8 Depth=1
	s_wait_alu 0xfffe
	s_and_not1_b32 vcc_lo, exec_lo, s3
	s_wait_alu 0xfffe
	s_cbranch_vccnz .LBB220_37
; %bb.36:                               ;   in Loop: Header=BB220_8 Depth=1
	v_add_co_u32 v28, vcc_lo, v0, v6
	s_wait_alu 0xfffd
	v_add_co_ci_u32_e64 v29, null, v24, v7, vcc_lo
	global_store_b64 v[28:29], v[12:13], off
.LBB220_37:                             ;   in Loop: Header=BB220_8 Depth=1
	s_wait_alu 0xfffe
	s_or_b32 exec_lo, exec_lo, s2
	s_and_saveexec_b32 s2, s1
	s_cbranch_execz .LBB220_7
; %bb.38:                               ;   in Loop: Header=BB220_8 Depth=1
	v_mul_f32_e32 v13, s6, v26
	v_mul_f32_e32 v12, s7, v26
	s_and_not1_b32 vcc_lo, exec_lo, s14
	s_mov_b32 s3, -1
	s_delay_alu instid0(VALU_DEP_2) | instskip(NEXT) | instid1(VALU_DEP_2)
	v_fmac_f32_e32 v13, s7, v27
	v_fma_f32 v12, v27, s6, -v12
	s_wait_alu 0xfffe
	s_cbranch_vccnz .LBB220_40
; %bb.39:                               ;   in Loop: Header=BB220_8 Depth=1
	v_add_co_u32 v25, vcc_lo, v0, v8
	s_wait_alu 0xfffd
	v_add_co_ci_u32_e64 v26, null, v24, v9, vcc_lo
	s_mov_b32 s3, 0
	global_load_b64 v[27:28], v[25:26], off
	s_wait_loadcnt 0x0
	v_mul_f32_e32 v29, s21, v28
	v_mul_f32_e32 v28, s20, v28
	s_delay_alu instid0(VALU_DEP_1) | instskip(NEXT) | instid1(VALU_DEP_3)
	v_fmac_f32_e32 v28, s21, v27
	v_fma_f32 v29, v27, s20, -v29
	s_delay_alu instid0(VALU_DEP_1)
	v_dual_add_f32 v28, v13, v28 :: v_dual_add_f32 v27, v12, v29
	global_store_b64 v[25:26], v[27:28], off
.LBB220_40:                             ;   in Loop: Header=BB220_8 Depth=1
	s_wait_alu 0xfffe
	s_and_not1_b32 vcc_lo, exec_lo, s3
	s_wait_alu 0xfffe
	s_cbranch_vccnz .LBB220_7
; %bb.41:                               ;   in Loop: Header=BB220_8 Depth=1
	v_add_co_u32 v25, vcc_lo, v0, v8
	s_wait_alu 0xfffd
	v_add_co_ci_u32_e64 v26, null, v24, v9, vcc_lo
	global_store_b64 v[25:26], v[12:13], off
	s_branch .LBB220_7
.LBB220_42:
	s_endpgm
	.section	.rodata,"a",@progbits
	.p2align	6, 0x0
	.amdhsa_kernel _ZL29rocblas_internal_gemmt_kernelIlLi16ELi32ELi8ELc84ELc84ELc85ELb0ELb0E19rocblas_complex_numIfEPKS1_S3_PS1_EviT_T9_T10_S5_lS7_S5_lS6_T11_S5_li
		.amdhsa_group_segment_fixed_size 4096
		.amdhsa_private_segment_fixed_size 0
		.amdhsa_kernarg_size 108
		.amdhsa_user_sgpr_count 2
		.amdhsa_user_sgpr_dispatch_ptr 0
		.amdhsa_user_sgpr_queue_ptr 0
		.amdhsa_user_sgpr_kernarg_segment_ptr 1
		.amdhsa_user_sgpr_dispatch_id 0
		.amdhsa_user_sgpr_private_segment_size 0
		.amdhsa_wavefront_size32 1
		.amdhsa_uses_dynamic_stack 0
		.amdhsa_enable_private_segment 0
		.amdhsa_system_sgpr_workgroup_id_x 1
		.amdhsa_system_sgpr_workgroup_id_y 1
		.amdhsa_system_sgpr_workgroup_id_z 1
		.amdhsa_system_sgpr_workgroup_info 0
		.amdhsa_system_vgpr_workitem_id 1
		.amdhsa_next_free_vgpr 71
		.amdhsa_next_free_sgpr 36
		.amdhsa_reserve_vcc 1
		.amdhsa_float_round_mode_32 0
		.amdhsa_float_round_mode_16_64 0
		.amdhsa_float_denorm_mode_32 3
		.amdhsa_float_denorm_mode_16_64 3
		.amdhsa_fp16_overflow 0
		.amdhsa_workgroup_processor_mode 1
		.amdhsa_memory_ordered 1
		.amdhsa_forward_progress 1
		.amdhsa_inst_pref_size 26
		.amdhsa_round_robin_scheduling 0
		.amdhsa_exception_fp_ieee_invalid_op 0
		.amdhsa_exception_fp_denorm_src 0
		.amdhsa_exception_fp_ieee_div_zero 0
		.amdhsa_exception_fp_ieee_overflow 0
		.amdhsa_exception_fp_ieee_underflow 0
		.amdhsa_exception_fp_ieee_inexact 0
		.amdhsa_exception_int_div_zero 0
	.end_amdhsa_kernel
	.section	.text._ZL29rocblas_internal_gemmt_kernelIlLi16ELi32ELi8ELc84ELc84ELc85ELb0ELb0E19rocblas_complex_numIfEPKS1_S3_PS1_EviT_T9_T10_S5_lS7_S5_lS6_T11_S5_li,"axG",@progbits,_ZL29rocblas_internal_gemmt_kernelIlLi16ELi32ELi8ELc84ELc84ELc85ELb0ELb0E19rocblas_complex_numIfEPKS1_S3_PS1_EviT_T9_T10_S5_lS7_S5_lS6_T11_S5_li,comdat
.Lfunc_end220:
	.size	_ZL29rocblas_internal_gemmt_kernelIlLi16ELi32ELi8ELc84ELc84ELc85ELb0ELb0E19rocblas_complex_numIfEPKS1_S3_PS1_EviT_T9_T10_S5_lS7_S5_lS6_T11_S5_li, .Lfunc_end220-_ZL29rocblas_internal_gemmt_kernelIlLi16ELi32ELi8ELc84ELc84ELc85ELb0ELb0E19rocblas_complex_numIfEPKS1_S3_PS1_EviT_T9_T10_S5_lS7_S5_lS6_T11_S5_li
                                        ; -- End function
	.set _ZL29rocblas_internal_gemmt_kernelIlLi16ELi32ELi8ELc84ELc84ELc85ELb0ELb0E19rocblas_complex_numIfEPKS1_S3_PS1_EviT_T9_T10_S5_lS7_S5_lS6_T11_S5_li.num_vgpr, 71
	.set _ZL29rocblas_internal_gemmt_kernelIlLi16ELi32ELi8ELc84ELc84ELc85ELb0ELb0E19rocblas_complex_numIfEPKS1_S3_PS1_EviT_T9_T10_S5_lS7_S5_lS6_T11_S5_li.num_agpr, 0
	.set _ZL29rocblas_internal_gemmt_kernelIlLi16ELi32ELi8ELc84ELc84ELc85ELb0ELb0E19rocblas_complex_numIfEPKS1_S3_PS1_EviT_T9_T10_S5_lS7_S5_lS6_T11_S5_li.numbered_sgpr, 36
	.set _ZL29rocblas_internal_gemmt_kernelIlLi16ELi32ELi8ELc84ELc84ELc85ELb0ELb0E19rocblas_complex_numIfEPKS1_S3_PS1_EviT_T9_T10_S5_lS7_S5_lS6_T11_S5_li.num_named_barrier, 0
	.set _ZL29rocblas_internal_gemmt_kernelIlLi16ELi32ELi8ELc84ELc84ELc85ELb0ELb0E19rocblas_complex_numIfEPKS1_S3_PS1_EviT_T9_T10_S5_lS7_S5_lS6_T11_S5_li.private_seg_size, 0
	.set _ZL29rocblas_internal_gemmt_kernelIlLi16ELi32ELi8ELc84ELc84ELc85ELb0ELb0E19rocblas_complex_numIfEPKS1_S3_PS1_EviT_T9_T10_S5_lS7_S5_lS6_T11_S5_li.uses_vcc, 1
	.set _ZL29rocblas_internal_gemmt_kernelIlLi16ELi32ELi8ELc84ELc84ELc85ELb0ELb0E19rocblas_complex_numIfEPKS1_S3_PS1_EviT_T9_T10_S5_lS7_S5_lS6_T11_S5_li.uses_flat_scratch, 0
	.set _ZL29rocblas_internal_gemmt_kernelIlLi16ELi32ELi8ELc84ELc84ELc85ELb0ELb0E19rocblas_complex_numIfEPKS1_S3_PS1_EviT_T9_T10_S5_lS7_S5_lS6_T11_S5_li.has_dyn_sized_stack, 0
	.set _ZL29rocblas_internal_gemmt_kernelIlLi16ELi32ELi8ELc84ELc84ELc85ELb0ELb0E19rocblas_complex_numIfEPKS1_S3_PS1_EviT_T9_T10_S5_lS7_S5_lS6_T11_S5_li.has_recursion, 0
	.set _ZL29rocblas_internal_gemmt_kernelIlLi16ELi32ELi8ELc84ELc84ELc85ELb0ELb0E19rocblas_complex_numIfEPKS1_S3_PS1_EviT_T9_T10_S5_lS7_S5_lS6_T11_S5_li.has_indirect_call, 0
	.section	.AMDGPU.csdata,"",@progbits
; Kernel info:
; codeLenInByte = 3248
; TotalNumSgprs: 38
; NumVgprs: 71
; ScratchSize: 0
; MemoryBound: 0
; FloatMode: 240
; IeeeMode: 1
; LDSByteSize: 4096 bytes/workgroup (compile time only)
; SGPRBlocks: 0
; VGPRBlocks: 8
; NumSGPRsForWavesPerEU: 38
; NumVGPRsForWavesPerEU: 71
; Occupancy: 16
; WaveLimiterHint : 0
; COMPUTE_PGM_RSRC2:SCRATCH_EN: 0
; COMPUTE_PGM_RSRC2:USER_SGPR: 2
; COMPUTE_PGM_RSRC2:TRAP_HANDLER: 0
; COMPUTE_PGM_RSRC2:TGID_X_EN: 1
; COMPUTE_PGM_RSRC2:TGID_Y_EN: 1
; COMPUTE_PGM_RSRC2:TGID_Z_EN: 1
; COMPUTE_PGM_RSRC2:TIDIG_COMP_CNT: 1
	.section	.text._ZL29rocblas_internal_gemmt_kernelIlLi16ELi32ELi8ELc84ELc67ELc85ELb0ELb1E19rocblas_complex_numIfEPKS1_S3_PS1_EviT_T9_T10_S5_lS7_S5_lS6_T11_S5_li,"axG",@progbits,_ZL29rocblas_internal_gemmt_kernelIlLi16ELi32ELi8ELc84ELc67ELc85ELb0ELb1E19rocblas_complex_numIfEPKS1_S3_PS1_EviT_T9_T10_S5_lS7_S5_lS6_T11_S5_li,comdat
	.globl	_ZL29rocblas_internal_gemmt_kernelIlLi16ELi32ELi8ELc84ELc67ELc85ELb0ELb1E19rocblas_complex_numIfEPKS1_S3_PS1_EviT_T9_T10_S5_lS7_S5_lS6_T11_S5_li ; -- Begin function _ZL29rocblas_internal_gemmt_kernelIlLi16ELi32ELi8ELc84ELc67ELc85ELb0ELb1E19rocblas_complex_numIfEPKS1_S3_PS1_EviT_T9_T10_S5_lS7_S5_lS6_T11_S5_li
	.p2align	8
	.type	_ZL29rocblas_internal_gemmt_kernelIlLi16ELi32ELi8ELc84ELc67ELc85ELb0ELb1E19rocblas_complex_numIfEPKS1_S3_PS1_EviT_T9_T10_S5_lS7_S5_lS6_T11_S5_li,@function
_ZL29rocblas_internal_gemmt_kernelIlLi16ELi32ELi8ELc84ELc67ELc85ELb0ELb1E19rocblas_complex_numIfEPKS1_S3_PS1_EviT_T9_T10_S5_lS7_S5_lS6_T11_S5_li: ; @_ZL29rocblas_internal_gemmt_kernelIlLi16ELi32ELi8ELc84ELc67ELc85ELb0ELb1E19rocblas_complex_numIfEPKS1_S3_PS1_EviT_T9_T10_S5_lS7_S5_lS6_T11_S5_li
; %bb.0:
	s_load_b256 s[20:27], s[0:1], 0x48
	s_wait_kmcnt 0x0
	s_load_b64 s[20:21], s[20:21], 0x0
	s_load_b512 s[4:19], s[0:1], 0x8
	s_wait_kmcnt 0x0
	s_cmp_eq_f32 s20, 1.0
	s_load_b64 s[6:7], s[6:7], 0x0
	s_cselect_b32 s2, -1, 0
	s_and_b32 s3, s21, 0x7fffffff
	s_delay_alu instid0(SALU_CYCLE_1) | instskip(SKIP_1) | instid1(SALU_CYCLE_1)
	s_cmp_eq_u32 s3, 0
	s_cselect_b32 s31, -1, 0
	s_and_b32 s3, s2, s31
	s_mov_b32 s2, 0
	s_and_not1_b32 vcc_lo, exec_lo, s3
	s_mov_b32 s3, -1
	s_cbranch_vccnz .LBB221_4
; %bb.1:
	s_cmp_lg_u64 s[4:5], 0
	s_cbranch_scc0 .LBB221_3
; %bb.2:
	s_wait_kmcnt 0x0
	s_cmp_neq_f32 s6, 0
	s_cselect_b32 s2, -1, 0
	s_cmp_neq_f32 s7, 0
	s_cselect_b32 s3, -1, 0
	s_delay_alu instid0(SALU_CYCLE_1)
	s_or_b32 s2, s2, s3
.LBB221_3:
	s_delay_alu instid0(SALU_CYCLE_1)
	s_mov_b32 s3, s2
.LBB221_4:
	s_delay_alu instid0(SALU_CYCLE_1)
	s_and_b32 vcc_lo, exec_lo, s3
	s_cbranch_vccz .LBB221_42
; %bb.5:
	s_load_b32 s30, s[0:1], 0x68
	s_lshr_b32 s28, ttmp7, 16
	s_wait_kmcnt 0x0
	s_cmp_ge_u32 s28, s30
	s_cbranch_scc1 .LBB221_42
; %bb.6:
	v_and_b32_e32 v7, 0x3ff, v0
	v_bfe_u32 v8, v0, 10, 10
	s_load_b32 s33, s[0:1], 0x0
	s_lshl_b32 s2, ttmp9, 5
	s_lshl_b32 s0, ttmp7, 5
	v_and_b32_e32 v14, 7, v0
	v_lshl_add_u32 v2, v8, 4, v7
	s_and_b32 s0, s0, 0x1fffe0
	s_cmp_neq_f32 s6, 0
	v_add_nc_u32_e32 v11, s0, v8
	v_lshl_add_u32 v23, v8, 6, 0x800
	v_and_b32_e32 v3, 31, v2
	s_cselect_b32 s1, -1, 0
	s_cmp_neq_f32 s7, 0
	v_lshrrev_b32_e32 v9, 3, v2
	v_lshrrev_b32_e32 v15, 5, v2
	v_or_b32_e32 v4, s2, v3
	s_cselect_b32 s3, -1, 0
	v_lshlrev_b32_e32 v3, 3, v3
	v_add_nc_u32_e32 v2, s0, v9
	v_add_nc_u32_e32 v12, 16, v11
	v_mul_lo_u32 v6, s11, v4
	v_mad_co_u64_u32 v[0:1], null, s10, v4, 0
	s_ashr_i32 s11, s2, 31
	v_lshl_or_b32 v16, v15, 8, v3
	s_wait_alu 0xfffe
	s_mul_i32 s10, s10, s11
	s_or_b32 s11, s1, s3
	s_wait_kmcnt 0x0
	v_cmp_gt_i32_e32 vcc_lo, s33, v2
	v_cmp_gt_i32_e64 s0, s33, v4
	s_wait_alu 0xfffe
	v_add3_u32 v1, v1, s10, v6
	v_cmp_le_i32_e64 s10, s33, v4
	s_cmp_neq_f32 s20, 0
	v_cmp_gt_i64_e64 s34, s[4:5], 0
	s_mov_b32 s29, 0
	v_lshlrev_b64_e32 v[0:1], 3, v[0:1]
	s_delay_alu instid0(VALU_DEP_1) | instskip(SKIP_1) | instid1(VALU_DEP_2)
	v_add_co_u32 v18, s1, s8, v0
	s_wait_alu 0xf1ff
	v_add_co_ci_u32_e64 v19, null, s9, v1, s1
	v_mov_b32_e32 v1, 0
	v_lshlrev_b32_e32 v5, 3, v14
	v_lshlrev_b32_e32 v0, 3, v2
	v_mad_co_u64_u32 v[2:3], null, s24, v11, 0
	s_delay_alu instid0(VALU_DEP_3) | instskip(NEXT) | instid1(VALU_DEP_3)
	v_lshl_or_b32 v5, v9, 6, v5
	v_add_co_u32 v20, s1, s14, v0
	s_wait_alu 0xf1ff
	v_add_co_ci_u32_e64 v21, null, s15, 0, s1
	s_delay_alu instid0(VALU_DEP_3)
	v_add_nc_u32_e32 v17, 0x800, v5
	v_mad_co_u64_u32 v[4:5], null, s24, v12, 0
	v_mov_b32_e32 v0, v3
	v_add_nc_u32_e32 v6, s2, v7
	v_cmp_gt_i32_e64 s1, s33, v11
	v_lshlrev_b32_e32 v22, 3, v7
	s_cselect_b32 s14, -1, 0
	v_mad_co_u64_u32 v[9:10], null, s25, v11, v[0:1]
	v_add_nc_u32_e32 v8, 16, v6
	v_mov_b32_e32 v0, v5
	v_cmp_le_i32_e64 s2, v6, v11
	v_ashrrev_i32_e32 v7, 31, v6
	s_xor_b32 s15, s31, -1
	v_cmp_le_i32_e64 s3, v8, v11
	v_mad_co_u64_u32 v[10:11], null, s25, v12, v[0:1]
	v_mov_b32_e32 v3, v9
	v_ashrrev_i32_e32 v9, 31, v8
	s_and_b32 s8, s1, s2
	s_and_b32 s9, s1, s3
	v_cmp_gt_i32_e64 s1, s33, v12
	v_cmp_le_i32_e64 s2, v6, v12
	v_mov_b32_e32 v5, v10
	v_cmp_le_i32_e64 s3, v8, v12
	v_lshlrev_b64_e32 v[2:3], 3, v[2:3]
	v_lshlrev_b64_e32 v[6:7], 3, v[6:7]
	;; [unrolled: 1-line block ×4, first 2 shown]
	s_and_b32 s11, s11, s34
	s_wait_alu 0xfffe
	s_or_b32 s14, s14, s15
	s_and_b32 s15, s1, s2
	s_and_b32 s1, s1, s3
	s_xor_b32 s24, vcc_lo, -1
                                        ; implicit-def: $vgpr10_vgpr11
	s_branch .LBB221_8
.LBB221_7:                              ;   in Loop: Header=BB221_8 Depth=1
	s_wait_alu 0xfffe
	s_or_b32 exec_lo, exec_lo, s2
	s_add_co_i32 s28, s28, 0x10000
	s_delay_alu instid0(SALU_CYCLE_1)
	s_cmp_lt_u32 s28, s30
	s_cbranch_scc0 .LBB221_42
.LBB221_8:                              ; =>This Loop Header: Depth=1
                                        ;     Child Loop BB221_11 Depth 2
	s_and_not1_b32 vcc_lo, exec_lo, s11
	s_wait_alu 0xfffe
	s_cbranch_vccnz .LBB221_21
; %bb.9:                                ;   in Loop: Header=BB221_8 Depth=1
	s_mul_u64 s[2:3], s[12:13], s[28:29]
	s_mul_u64 s[34:35], s[18:19], s[28:29]
	s_wait_alu 0xfffe
	s_lshl_b64 s[2:3], s[2:3], 3
	v_dual_mov_b32 v26, 0 :: v_dual_mov_b32 v27, 0
	s_wait_alu 0xfffe
	v_add_co_u32 v12, vcc_lo, v18, s2
	s_wait_alu 0xfffd
	v_add_co_ci_u32_e64 v13, null, s3, v19, vcc_lo
	s_lshl_b64 s[2:3], s[34:35], 3
	v_dual_mov_b32 v29, 0 :: v_dual_mov_b32 v28, 0
	s_wait_alu 0xfffe
	v_add_co_u32 v24, vcc_lo, v20, s2
	s_wait_alu 0xfffd
	v_add_co_ci_u32_e64 v25, null, s3, v21, vcc_lo
	v_dual_mov_b32 v31, 0 :: v_dual_mov_b32 v30, 0
	v_dual_mov_b32 v33, 0 :: v_dual_mov_b32 v32, 0
	s_mov_b64 s[2:3], 0
	s_branch .LBB221_11
.LBB221_10:                             ;   in Loop: Header=BB221_11 Depth=2
	s_or_b32 exec_lo, exec_lo, s25
	ds_store_b32 v17, v34 offset:4
	s_wait_dscnt 0x0
	s_barrier_signal -1
	s_barrier_wait -1
	global_inv scope:SCOPE_SE
	ds_load_b128 v[34:37], v23
	ds_load_2addr_b64 v[38:41], v22 offset1:16
	ds_load_b128 v[42:45], v23 offset:1024
	ds_load_b128 v[46:49], v23 offset:16
	ds_load_b128 v[50:53], v23 offset:32
	ds_load_b128 v[54:57], v23 offset:48
	ds_load_2addr_b64 v[58:61], v22 offset0:32 offset1:48
	ds_load_b128 v[62:65], v23 offset:1040
	s_add_nc_u64 s[2:3], s[2:3], 8
	s_wait_alu 0xfffe
	v_cmp_gt_i64_e64 s25, s[4:5], s[2:3]
	s_and_b32 vcc_lo, exec_lo, s25
	s_wait_dscnt 0x6
	v_mul_f32_e32 v0, v35, v39
	v_dual_mul_f32 v66, v34, v39 :: v_dual_mul_f32 v67, v35, v41
	s_wait_dscnt 0x5
	v_dual_mul_f32 v68, v34, v41 :: v_dual_mul_f32 v69, v43, v39
	v_dual_mul_f32 v39, v42, v39 :: v_dual_mul_f32 v70, v43, v41
	v_mul_f32_e32 v41, v42, v41
	v_fma_f32 v0, v34, v38, -v0
	v_fma_f32 v34, v34, v40, -v67
	s_delay_alu instid0(VALU_DEP_4)
	v_fmac_f32_e32 v39, v43, v38
	v_fmac_f32_e32 v68, v35, v40
	;; [unrolled: 1-line block ×3, first 2 shown]
	v_add_f32_e32 v0, v32, v0
	v_fmac_f32_e32 v66, v35, v38
	v_fma_f32 v35, v42, v38, -v69
	s_delay_alu instid0(VALU_DEP_2)
	v_add_f32_e32 v32, v33, v66
	v_add_f32_e32 v33, v30, v34
	v_fma_f32 v30, v42, v40, -v70
	s_wait_dscnt 0x1
	v_mul_f32_e32 v38, v37, v59
	v_add_f32_e32 v34, v28, v35
	v_dual_add_f32 v35, v29, v39 :: v_dual_add_f32 v26, v26, v41
	v_add_f32_e32 v39, v27, v30
	ds_load_2addr_b64 v[27:30], v22 offset0:64 offset1:80
	v_fma_f32 v38, v36, v58, -v38
	v_mul_f32_e32 v42, v37, v61
	v_mul_f32_e32 v41, v36, v61
	s_delay_alu instid0(VALU_DEP_3) | instskip(SKIP_1) | instid1(VALU_DEP_3)
	v_dual_add_f32 v31, v31, v68 :: v_dual_add_f32 v0, v0, v38
	v_mul_f32_e32 v38, v45, v59
	v_dual_mul_f32 v40, v36, v59 :: v_dual_fmac_f32 v41, v37, v60
	v_fma_f32 v36, v36, v60, -v42
	s_delay_alu instid0(VALU_DEP_2) | instskip(SKIP_1) | instid1(VALU_DEP_3)
	v_fmac_f32_e32 v40, v37, v58
	v_mul_f32_e32 v37, v45, v61
	v_add_f32_e32 v36, v33, v36
	v_fma_f32 v33, v44, v58, -v38
	v_add_f32_e32 v38, v31, v41
	v_mul_f32_e32 v41, v44, v61
	v_fma_f32 v31, v44, v60, -v37
	v_add_f32_e32 v40, v32, v40
	v_mul_f32_e32 v32, v44, v59
	s_wait_dscnt 0x0
	v_dual_add_f32 v42, v34, v33 :: v_dual_mul_f32 v33, v47, v28
	v_fmac_f32_e32 v41, v45, v60
	s_delay_alu instid0(VALU_DEP_3) | instskip(SKIP_1) | instid1(VALU_DEP_4)
	v_dual_mul_f32 v37, v46, v28 :: v_dual_fmac_f32 v32, v45, v58
	v_add_f32_e32 v39, v39, v31
	v_fma_f32 v43, v46, v27, -v33
	s_delay_alu instid0(VALU_DEP_3) | instskip(NEXT) | instid1(VALU_DEP_4)
	v_fmac_f32_e32 v37, v47, v27
	v_add_f32_e32 v35, v35, v32
	ds_load_2addr_b64 v[31:34], v22 offset0:96 offset1:112
	v_mul_f32_e32 v44, v47, v30
	v_add_f32_e32 v0, v0, v43
	v_dual_add_f32 v37, v40, v37 :: v_dual_mul_f32 v40, v63, v28
	v_mul_f32_e32 v28, v62, v28
	s_delay_alu instid0(VALU_DEP_4)
	v_fma_f32 v43, v46, v29, -v44
	v_add_f32_e32 v41, v26, v41
	v_mul_f32_e32 v26, v46, v30
	v_fma_f32 v40, v62, v27, -v40
	v_fmac_f32_e32 v28, v63, v27
	v_dual_add_f32 v36, v36, v43 :: v_dual_mul_f32 v43, v63, v30
	v_mul_f32_e32 v30, v62, v30
	s_delay_alu instid0(VALU_DEP_4) | instskip(NEXT) | instid1(VALU_DEP_4)
	v_add_f32_e32 v40, v42, v40
	v_add_f32_e32 v42, v35, v28
	s_wait_dscnt 0x0
	s_delay_alu instid0(VALU_DEP_3) | instskip(NEXT) | instid1(VALU_DEP_1)
	v_dual_fmac_f32 v30, v63, v29 :: v_dual_mul_f32 v35, v49, v32
	v_add_f32_e32 v41, v41, v30
	s_delay_alu instid0(VALU_DEP_2) | instskip(NEXT) | instid1(VALU_DEP_1)
	v_fma_f32 v35, v48, v31, -v35
	v_dual_add_f32 v0, v0, v35 :: v_dual_mul_f32 v35, v65, v32
	v_dual_fmac_f32 v26, v47, v29 :: v_dual_mul_f32 v47, v65, v34
	s_delay_alu instid0(VALU_DEP_2) | instskip(NEXT) | instid1(VALU_DEP_2)
	v_fma_f32 v46, v64, v31, -v35
	v_add_f32_e32 v44, v38, v26
	v_fma_f32 v26, v62, v29, -v43
	v_dual_mul_f32 v38, v48, v32 :: v_dual_mul_f32 v43, v49, v34
	s_delay_alu instid0(VALU_DEP_2) | instskip(SKIP_3) | instid1(VALU_DEP_2)
	v_dual_mul_f32 v32, v64, v32 :: v_dual_add_f32 v39, v39, v26
	ds_load_2addr_b64 v[26:29], v22 offset0:128 offset1:144
	v_fmac_f32_e32 v38, v49, v31
	v_fma_f32 v43, v48, v33, -v43
	v_add_f32_e32 v45, v37, v38
	s_delay_alu instid0(VALU_DEP_2) | instskip(SKIP_4) | instid1(VALU_DEP_2)
	v_add_f32_e32 v43, v36, v43
	ds_load_b128 v[35:38], v23 offset:1056
	v_mul_f32_e32 v30, v48, v34
	v_fmac_f32_e32 v32, v65, v31
	s_wait_dscnt 0x1
	v_dual_fmac_f32 v30, v49, v33 :: v_dual_mul_f32 v49, v50, v27
	s_delay_alu instid0(VALU_DEP_1) | instskip(SKIP_2) | instid1(VALU_DEP_4)
	v_dual_mul_f32 v31, v51, v27 :: v_dual_add_f32 v44, v44, v30
	v_fma_f32 v30, v64, v33, -v47
	v_add_f32_e32 v47, v42, v32
	v_fmac_f32_e32 v49, v51, v26
	s_delay_alu instid0(VALU_DEP_3) | instskip(SKIP_1) | instid1(VALU_DEP_3)
	v_add_f32_e32 v48, v39, v30
	v_fma_f32 v39, v50, v26, -v31
	v_dual_add_f32 v45, v45, v49 :: v_dual_mul_f32 v34, v64, v34
	s_delay_alu instid0(VALU_DEP_2) | instskip(NEXT) | instid1(VALU_DEP_2)
	v_add_f32_e32 v0, v0, v39
	v_fmac_f32_e32 v34, v65, v33
	ds_load_2addr_b64 v[30:33], v22 offset0:160 offset1:176
	v_add_f32_e32 v46, v40, v46
	v_mul_f32_e32 v40, v51, v29
	s_delay_alu instid0(VALU_DEP_1) | instskip(NEXT) | instid1(VALU_DEP_1)
	v_fma_f32 v58, v50, v28, -v40
	v_dual_mul_f32 v50, v50, v29 :: v_dual_add_f32 v43, v43, v58
	s_delay_alu instid0(VALU_DEP_1)
	v_fmac_f32_e32 v50, v51, v28
	v_add_f32_e32 v34, v41, v34
	ds_load_b128 v[39:42], v23 offset:1072
	s_wait_dscnt 0x2
	v_mul_f32_e32 v59, v36, v27
	v_dual_mul_f32 v27, v35, v27 :: v_dual_add_f32 v44, v44, v50
	v_mul_f32_e32 v50, v35, v29
	v_mul_f32_e32 v51, v36, v29
	s_delay_alu instid0(VALU_DEP_4) | instskip(NEXT) | instid1(VALU_DEP_4)
	v_fma_f32 v49, v35, v26, -v59
	v_fmac_f32_e32 v27, v36, v26
	s_delay_alu instid0(VALU_DEP_4)
	v_fmac_f32_e32 v50, v36, v28
	s_wait_dscnt 0x1
	v_mul_f32_e32 v36, v52, v31
	v_fma_f32 v26, v35, v28, -v51
	v_add_f32_e32 v35, v47, v27
	v_mul_f32_e32 v47, v53, v31
	s_delay_alu instid0(VALU_DEP_4) | instskip(NEXT) | instid1(VALU_DEP_2)
	v_fmac_f32_e32 v36, v53, v30
	v_fma_f32 v47, v52, v30, -v47
	s_delay_alu instid0(VALU_DEP_2) | instskip(SKIP_1) | instid1(VALU_DEP_3)
	v_dual_add_f32 v45, v45, v36 :: v_dual_mul_f32 v36, v38, v31
	v_dual_mul_f32 v31, v37, v31 :: v_dual_add_f32 v46, v46, v49
	v_dual_mul_f32 v49, v53, v33 :: v_dual_add_f32 v0, v0, v47
	s_delay_alu instid0(VALU_DEP_3) | instskip(NEXT) | instid1(VALU_DEP_3)
	v_fma_f32 v36, v37, v30, -v36
	v_dual_fmac_f32 v31, v38, v30 :: v_dual_mul_f32 v30, v37, v33
	s_delay_alu instid0(VALU_DEP_3) | instskip(NEXT) | instid1(VALU_DEP_2)
	v_fma_f32 v47, v52, v32, -v49
	v_dual_add_f32 v31, v35, v31 :: v_dual_fmac_f32 v30, v38, v32
	s_delay_alu instid0(VALU_DEP_2)
	v_add_f32_e32 v43, v43, v47
	v_dual_mul_f32 v47, v38, v33 :: v_dual_add_f32 v48, v48, v26
	ds_load_2addr_b64 v[26:29], v22 offset0:192 offset1:208
	v_add_f32_e32 v50, v34, v50
	v_mul_f32_e32 v34, v52, v33
	v_fma_f32 v33, v37, v32, -v47
	s_wait_dscnt 0x0
	s_delay_alu instid0(VALU_DEP_2) | instskip(NEXT) | instid1(VALU_DEP_1)
	v_dual_fmac_f32 v34, v53, v32 :: v_dual_mul_f32 v47, v55, v29
	v_fma_f32 v47, v54, v28, -v47
	s_delay_alu instid0(VALU_DEP_1) | instskip(SKIP_3) | instid1(VALU_DEP_3)
	v_dual_add_f32 v43, v43, v47 :: v_dual_add_f32 v32, v48, v33
	v_mul_f32_e32 v33, v54, v27
	v_mul_f32_e32 v48, v40, v27
	;; [unrolled: 1-line block ×3, first 2 shown]
	v_dual_fmac_f32 v33, v55, v26 :: v_dual_add_f32 v46, v46, v36
	s_delay_alu instid0(VALU_DEP_1) | instskip(SKIP_3) | instid1(VALU_DEP_3)
	v_dual_add_f32 v33, v45, v33 :: v_dual_add_f32 v44, v44, v34
	v_mul_f32_e32 v34, v55, v27
	v_mul_f32_e32 v27, v39, v27
	v_fma_f32 v45, v39, v26, -v48
	v_fma_f32 v38, v54, v26, -v34
	ds_load_2addr_b64 v[34:37], v22 offset0:224 offset1:240
	v_fmac_f32_e32 v27, v40, v26
	s_wait_loadcnt_dscnt 0x0
	s_barrier_signal -1
	v_add_f32_e32 v0, v0, v38
	s_barrier_wait -1
	v_dual_add_f32 v27, v31, v27 :: v_dual_mul_f32 v38, v54, v29
	v_mul_f32_e32 v29, v39, v29
	v_fma_f32 v39, v39, v28, -v47
	v_add_f32_e32 v30, v50, v30
	global_inv scope:SCOPE_SE
	v_fmac_f32_e32 v38, v55, v28
	v_fmac_f32_e32 v29, v40, v28
	s_delay_alu instid0(VALU_DEP_1) | instskip(SKIP_4) | instid1(VALU_DEP_4)
	v_dual_add_f32 v39, v32, v39 :: v_dual_add_f32 v40, v30, v29
	v_mul_f32_e32 v31, v57, v35
	v_mul_f32_e32 v32, v57, v37
	;; [unrolled: 1-line block ×4, first 2 shown]
	v_fma_f32 v31, v56, v34, -v31
	s_delay_alu instid0(VALU_DEP_4) | instskip(NEXT) | instid1(VALU_DEP_4)
	v_fma_f32 v30, v56, v36, -v32
	v_fmac_f32_e32 v28, v57, v34
	s_delay_alu instid0(VALU_DEP_4) | instskip(NEXT) | instid1(VALU_DEP_4)
	v_dual_fmac_f32 v29, v57, v36 :: v_dual_add_f32 v26, v44, v38
	v_add_f32_e32 v32, v0, v31
	v_mul_f32_e32 v0, v42, v35
	v_add_f32_e32 v38, v46, v45
	v_dual_add_f32 v30, v43, v30 :: v_dual_mul_f32 v35, v41, v35
	v_mul_f32_e32 v43, v42, v37
	s_delay_alu instid0(VALU_DEP_4)
	v_fma_f32 v0, v41, v34, -v0
	v_mul_f32_e32 v37, v41, v37
	v_add_f32_e32 v33, v33, v28
	v_fmac_f32_e32 v35, v42, v34
	v_add_f32_e32 v31, v26, v29
	v_add_f32_e32 v28, v38, v0
	v_fma_f32 v0, v41, v36, -v43
	v_fmac_f32_e32 v37, v42, v36
	v_add_f32_e32 v29, v27, v35
	s_delay_alu instid0(VALU_DEP_2)
	v_dual_add_f32 v27, v39, v0 :: v_dual_add_f32 v26, v40, v37
	s_wait_alu 0xfffe
	s_cbranch_vccz .LBB221_22
.LBB221_11:                             ;   Parent Loop BB221_8 Depth=1
                                        ; =>  This Inner Loop Header: Depth=2
	s_mov_b32 s25, 0
	s_mov_b32 s33, s10
	s_and_saveexec_b32 s31, s0
	s_cbranch_execnz .LBB221_19
; %bb.12:                               ;   in Loop: Header=BB221_11 Depth=2
	s_or_b32 exec_lo, exec_lo, s31
	s_wait_alu 0xfffe
	s_and_saveexec_b32 s31, s33
	s_delay_alu instid0(SALU_CYCLE_1)
	s_xor_b32 s31, exec_lo, s31
	s_cbranch_execnz .LBB221_20
.LBB221_13:                             ;   in Loop: Header=BB221_11 Depth=2
	s_or_b32 exec_lo, exec_lo, s31
	s_and_saveexec_b32 s31, s25
	s_cbranch_execz .LBB221_15
.LBB221_14:                             ;   in Loop: Header=BB221_11 Depth=2
	v_lshlrev_b64_e32 v[34:35], 3, v[10:11]
	s_delay_alu instid0(VALU_DEP_1) | instskip(SKIP_1) | instid1(VALU_DEP_2)
	v_add_co_u32 v34, vcc_lo, v12, v34
	s_wait_alu 0xfffd
	v_add_co_ci_u32_e64 v35, null, v13, v35, vcc_lo
	global_load_b64 v[34:35], v[34:35], off
	s_wait_loadcnt 0x0
	ds_store_b64 v16, v[34:35]
.LBB221_15:                             ;   in Loop: Header=BB221_11 Depth=2
	s_or_b32 exec_lo, exec_lo, s31
	v_add_nc_u32_e32 v0, s2, v14
	s_delay_alu instid0(VALU_DEP_1) | instskip(SKIP_3) | instid1(SALU_CYCLE_1)
	v_cmp_le_u64_e32 vcc_lo, s[4:5], v[0:1]
	s_or_b32 s25, vcc_lo, s24
	s_wait_alu 0xfffe
	s_and_saveexec_b32 s31, s25
	s_xor_b32 s25, exec_lo, s31
; %bb.16:                               ;   in Loop: Header=BB221_11 Depth=2
	ds_store_b32 v17, v1
; %bb.17:                               ;   in Loop: Header=BB221_11 Depth=2
	s_wait_alu 0xfffe
	s_or_saveexec_b32 s25, s25
	v_mov_b32_e32 v34, 0
	s_wait_alu 0xfffe
	s_xor_b32 exec_lo, exec_lo, s25
	s_cbranch_execz .LBB221_10
; %bb.18:                               ;   in Loop: Header=BB221_11 Depth=2
	v_mad_co_u64_u32 v[34:35], null, s16, v0, 0
	s_delay_alu instid0(VALU_DEP_1) | instskip(NEXT) | instid1(VALU_DEP_1)
	v_mad_co_u64_u32 v[35:36], null, s17, v0, v[35:36]
	v_lshlrev_b64_e32 v[34:35], 3, v[34:35]
	s_delay_alu instid0(VALU_DEP_1) | instskip(SKIP_1) | instid1(VALU_DEP_2)
	v_add_co_u32 v34, vcc_lo, v24, v34
	s_wait_alu 0xfffd
	v_add_co_ci_u32_e64 v35, null, v25, v35, vcc_lo
	global_load_b64 v[35:36], v[34:35], off
	s_wait_loadcnt 0x0
	v_xor_b32_e32 v34, 0x80000000, v36
	ds_store_b32 v17, v35
	s_branch .LBB221_10
.LBB221_19:                             ;   in Loop: Header=BB221_11 Depth=2
	s_wait_alu 0xfffe
	v_add_nc_u32_e32 v0, s2, v15
	v_mov_b32_e32 v11, v1
	s_and_not1_b32 s33, s10, exec_lo
	s_mov_b32 s25, exec_lo
	s_delay_alu instid0(VALU_DEP_2)
	v_cmp_le_u64_e32 vcc_lo, s[4:5], v[0:1]
	v_mov_b32_e32 v10, v0
	s_and_b32 s34, vcc_lo, exec_lo
	s_wait_alu 0xfffe
	s_or_b32 s33, s33, s34
	s_or_b32 exec_lo, exec_lo, s31
	s_wait_alu 0xfffe
	s_and_saveexec_b32 s31, s33
	s_delay_alu instid0(SALU_CYCLE_1)
	s_xor_b32 s31, exec_lo, s31
	s_cbranch_execz .LBB221_13
.LBB221_20:                             ;   in Loop: Header=BB221_11 Depth=2
	v_mov_b32_e32 v0, v1
	s_and_not1_b32 s25, s25, exec_lo
	ds_store_b64 v16, v[0:1]
	s_or_b32 exec_lo, exec_lo, s31
	s_wait_alu 0xfffe
	s_and_saveexec_b32 s31, s25
	s_cbranch_execnz .LBB221_14
	s_branch .LBB221_15
.LBB221_21:                             ;   in Loop: Header=BB221_8 Depth=1
	v_dual_mov_b32 v32, v1 :: v_dual_mov_b32 v33, v1
	v_dual_mov_b32 v30, v1 :: v_dual_mov_b32 v31, v1
	;; [unrolled: 1-line block ×4, first 2 shown]
.LBB221_22:                             ;   in Loop: Header=BB221_8 Depth=1
	s_mul_u64 s[2:3], s[26:27], s[28:29]
	s_wait_alu 0xfffe
	s_lshl_b64 s[2:3], s[2:3], 3
	s_wait_alu 0xfffe
	s_add_nc_u64 s[2:3], s[22:23], s[2:3]
	s_wait_alu 0xfffe
	v_add_co_u32 v0, vcc_lo, s2, v2
	s_wait_alu 0xfffd
	v_add_co_ci_u32_e64 v24, null, s3, v3, vcc_lo
	s_and_saveexec_b32 s25, s8
	s_cbranch_execz .LBB221_27
; %bb.23:                               ;   in Loop: Header=BB221_8 Depth=1
	v_mul_f32_e32 v13, s6, v33
	v_mul_f32_e32 v12, s7, v33
	s_and_b32 vcc_lo, exec_lo, s14
	s_mov_b32 s31, -1
	s_delay_alu instid0(VALU_DEP_2) | instskip(NEXT) | instid1(VALU_DEP_2)
	v_fmac_f32_e32 v13, s7, v32
	v_fma_f32 v12, v32, s6, -v12
	s_wait_alu 0xfffe
	s_cbranch_vccz .LBB221_25
; %bb.24:                               ;   in Loop: Header=BB221_8 Depth=1
	v_add_co_u32 v32, vcc_lo, v0, v6
	s_wait_alu 0xfffd
	v_add_co_ci_u32_e64 v33, null, v24, v7, vcc_lo
	s_mov_b32 s31, 0
	global_load_b64 v[34:35], v[32:33], off
	s_wait_loadcnt 0x0
	v_mul_f32_e32 v25, s21, v35
	s_delay_alu instid0(VALU_DEP_1) | instskip(SKIP_1) | instid1(VALU_DEP_1)
	v_fma_f32 v25, v34, s20, -v25
	v_mul_f32_e32 v35, s20, v35
	v_dual_fmac_f32 v35, s21, v34 :: v_dual_add_f32 v34, v12, v25
	s_delay_alu instid0(VALU_DEP_1)
	v_add_f32_e32 v35, v13, v35
	global_store_b64 v[32:33], v[34:35], off
.LBB221_25:                             ;   in Loop: Header=BB221_8 Depth=1
	s_and_not1_b32 vcc_lo, exec_lo, s31
	s_wait_alu 0xfffe
	s_cbranch_vccnz .LBB221_27
; %bb.26:                               ;   in Loop: Header=BB221_8 Depth=1
	v_add_co_u32 v32, vcc_lo, v0, v6
	s_wait_alu 0xfffd
	v_add_co_ci_u32_e64 v33, null, v24, v7, vcc_lo
	global_store_b64 v[32:33], v[12:13], off
.LBB221_27:                             ;   in Loop: Header=BB221_8 Depth=1
	s_wait_alu 0xfffe
	s_or_b32 exec_lo, exec_lo, s25
	s_and_saveexec_b32 s25, s9
	s_cbranch_execz .LBB221_32
; %bb.28:                               ;   in Loop: Header=BB221_8 Depth=1
	v_mul_f32_e32 v13, s6, v31
	v_mul_f32_e32 v12, s7, v31
	s_and_not1_b32 vcc_lo, exec_lo, s14
	s_mov_b32 s31, -1
	s_delay_alu instid0(VALU_DEP_2) | instskip(NEXT) | instid1(VALU_DEP_2)
	v_fmac_f32_e32 v13, s7, v30
	v_fma_f32 v12, v30, s6, -v12
	s_wait_alu 0xfffe
	s_cbranch_vccnz .LBB221_30
; %bb.29:                               ;   in Loop: Header=BB221_8 Depth=1
	v_add_co_u32 v30, vcc_lo, v0, v8
	s_wait_alu 0xfffd
	v_add_co_ci_u32_e64 v31, null, v24, v9, vcc_lo
	s_mov_b32 s31, 0
	global_load_b64 v[32:33], v[30:31], off
	s_wait_loadcnt 0x0
	v_mul_f32_e32 v25, s21, v33
	v_mul_f32_e32 v33, s20, v33
	s_delay_alu instid0(VALU_DEP_2) | instskip(NEXT) | instid1(VALU_DEP_1)
	v_fma_f32 v25, v32, s20, -v25
	v_dual_fmac_f32 v33, s21, v32 :: v_dual_add_f32 v32, v12, v25
	s_delay_alu instid0(VALU_DEP_1)
	v_add_f32_e32 v33, v13, v33
	global_store_b64 v[30:31], v[32:33], off
.LBB221_30:                             ;   in Loop: Header=BB221_8 Depth=1
	s_and_not1_b32 vcc_lo, exec_lo, s31
	s_wait_alu 0xfffe
	s_cbranch_vccnz .LBB221_32
; %bb.31:                               ;   in Loop: Header=BB221_8 Depth=1
	v_add_co_u32 v30, vcc_lo, v0, v8
	s_wait_alu 0xfffd
	v_add_co_ci_u32_e64 v31, null, v24, v9, vcc_lo
	global_store_b64 v[30:31], v[12:13], off
.LBB221_32:                             ;   in Loop: Header=BB221_8 Depth=1
	s_wait_alu 0xfffe
	s_or_b32 exec_lo, exec_lo, s25
	v_add_co_u32 v0, vcc_lo, s2, v4
	s_wait_alu 0xfffd
	v_add_co_ci_u32_e64 v24, null, s3, v5, vcc_lo
	s_and_saveexec_b32 s2, s15
	s_cbranch_execz .LBB221_37
; %bb.33:                               ;   in Loop: Header=BB221_8 Depth=1
	v_mul_f32_e32 v13, s6, v29
	v_mul_f32_e32 v12, s7, v29
	s_and_not1_b32 vcc_lo, exec_lo, s14
	s_mov_b32 s3, -1
	s_delay_alu instid0(VALU_DEP_2) | instskip(NEXT) | instid1(VALU_DEP_2)
	v_fmac_f32_e32 v13, s7, v28
	v_fma_f32 v12, v28, s6, -v12
	s_wait_alu 0xfffe
	s_cbranch_vccnz .LBB221_35
; %bb.34:                               ;   in Loop: Header=BB221_8 Depth=1
	v_add_co_u32 v28, vcc_lo, v0, v6
	s_wait_alu 0xfffd
	v_add_co_ci_u32_e64 v29, null, v24, v7, vcc_lo
	s_mov_b32 s3, 0
	global_load_b64 v[30:31], v[28:29], off
	s_wait_loadcnt 0x0
	v_mul_f32_e32 v25, s21, v31
	s_delay_alu instid0(VALU_DEP_1) | instskip(SKIP_1) | instid1(VALU_DEP_1)
	v_fma_f32 v25, v30, s20, -v25
	v_mul_f32_e32 v31, s20, v31
	v_dual_fmac_f32 v31, s21, v30 :: v_dual_add_f32 v30, v12, v25
	s_delay_alu instid0(VALU_DEP_1)
	v_add_f32_e32 v31, v13, v31
	global_store_b64 v[28:29], v[30:31], off
.LBB221_35:                             ;   in Loop: Header=BB221_8 Depth=1
	s_wait_alu 0xfffe
	s_and_not1_b32 vcc_lo, exec_lo, s3
	s_wait_alu 0xfffe
	s_cbranch_vccnz .LBB221_37
; %bb.36:                               ;   in Loop: Header=BB221_8 Depth=1
	v_add_co_u32 v28, vcc_lo, v0, v6
	s_wait_alu 0xfffd
	v_add_co_ci_u32_e64 v29, null, v24, v7, vcc_lo
	global_store_b64 v[28:29], v[12:13], off
.LBB221_37:                             ;   in Loop: Header=BB221_8 Depth=1
	s_wait_alu 0xfffe
	s_or_b32 exec_lo, exec_lo, s2
	s_and_saveexec_b32 s2, s1
	s_cbranch_execz .LBB221_7
; %bb.38:                               ;   in Loop: Header=BB221_8 Depth=1
	v_mul_f32_e32 v13, s6, v26
	v_mul_f32_e32 v12, s7, v26
	s_and_not1_b32 vcc_lo, exec_lo, s14
	s_mov_b32 s3, -1
	s_delay_alu instid0(VALU_DEP_2) | instskip(NEXT) | instid1(VALU_DEP_2)
	v_fmac_f32_e32 v13, s7, v27
	v_fma_f32 v12, v27, s6, -v12
	s_wait_alu 0xfffe
	s_cbranch_vccnz .LBB221_40
; %bb.39:                               ;   in Loop: Header=BB221_8 Depth=1
	v_add_co_u32 v25, vcc_lo, v0, v8
	s_wait_alu 0xfffd
	v_add_co_ci_u32_e64 v26, null, v24, v9, vcc_lo
	s_mov_b32 s3, 0
	global_load_b64 v[27:28], v[25:26], off
	s_wait_loadcnt 0x0
	v_mul_f32_e32 v29, s21, v28
	v_mul_f32_e32 v28, s20, v28
	s_delay_alu instid0(VALU_DEP_1) | instskip(NEXT) | instid1(VALU_DEP_3)
	v_fmac_f32_e32 v28, s21, v27
	v_fma_f32 v29, v27, s20, -v29
	s_delay_alu instid0(VALU_DEP_1)
	v_dual_add_f32 v28, v13, v28 :: v_dual_add_f32 v27, v12, v29
	global_store_b64 v[25:26], v[27:28], off
.LBB221_40:                             ;   in Loop: Header=BB221_8 Depth=1
	s_wait_alu 0xfffe
	s_and_not1_b32 vcc_lo, exec_lo, s3
	s_wait_alu 0xfffe
	s_cbranch_vccnz .LBB221_7
; %bb.41:                               ;   in Loop: Header=BB221_8 Depth=1
	v_add_co_u32 v25, vcc_lo, v0, v8
	s_wait_alu 0xfffd
	v_add_co_ci_u32_e64 v26, null, v24, v9, vcc_lo
	global_store_b64 v[25:26], v[12:13], off
	s_branch .LBB221_7
.LBB221_42:
	s_endpgm
	.section	.rodata,"a",@progbits
	.p2align	6, 0x0
	.amdhsa_kernel _ZL29rocblas_internal_gemmt_kernelIlLi16ELi32ELi8ELc84ELc67ELc85ELb0ELb1E19rocblas_complex_numIfEPKS1_S3_PS1_EviT_T9_T10_S5_lS7_S5_lS6_T11_S5_li
		.amdhsa_group_segment_fixed_size 4096
		.amdhsa_private_segment_fixed_size 0
		.amdhsa_kernarg_size 108
		.amdhsa_user_sgpr_count 2
		.amdhsa_user_sgpr_dispatch_ptr 0
		.amdhsa_user_sgpr_queue_ptr 0
		.amdhsa_user_sgpr_kernarg_segment_ptr 1
		.amdhsa_user_sgpr_dispatch_id 0
		.amdhsa_user_sgpr_private_segment_size 0
		.amdhsa_wavefront_size32 1
		.amdhsa_uses_dynamic_stack 0
		.amdhsa_enable_private_segment 0
		.amdhsa_system_sgpr_workgroup_id_x 1
		.amdhsa_system_sgpr_workgroup_id_y 1
		.amdhsa_system_sgpr_workgroup_id_z 1
		.amdhsa_system_sgpr_workgroup_info 0
		.amdhsa_system_vgpr_workitem_id 1
		.amdhsa_next_free_vgpr 71
		.amdhsa_next_free_sgpr 36
		.amdhsa_reserve_vcc 1
		.amdhsa_float_round_mode_32 0
		.amdhsa_float_round_mode_16_64 0
		.amdhsa_float_denorm_mode_32 3
		.amdhsa_float_denorm_mode_16_64 3
		.amdhsa_fp16_overflow 0
		.amdhsa_workgroup_processor_mode 1
		.amdhsa_memory_ordered 1
		.amdhsa_forward_progress 1
		.amdhsa_inst_pref_size 26
		.amdhsa_round_robin_scheduling 0
		.amdhsa_exception_fp_ieee_invalid_op 0
		.amdhsa_exception_fp_denorm_src 0
		.amdhsa_exception_fp_ieee_div_zero 0
		.amdhsa_exception_fp_ieee_overflow 0
		.amdhsa_exception_fp_ieee_underflow 0
		.amdhsa_exception_fp_ieee_inexact 0
		.amdhsa_exception_int_div_zero 0
	.end_amdhsa_kernel
	.section	.text._ZL29rocblas_internal_gemmt_kernelIlLi16ELi32ELi8ELc84ELc67ELc85ELb0ELb1E19rocblas_complex_numIfEPKS1_S3_PS1_EviT_T9_T10_S5_lS7_S5_lS6_T11_S5_li,"axG",@progbits,_ZL29rocblas_internal_gemmt_kernelIlLi16ELi32ELi8ELc84ELc67ELc85ELb0ELb1E19rocblas_complex_numIfEPKS1_S3_PS1_EviT_T9_T10_S5_lS7_S5_lS6_T11_S5_li,comdat
.Lfunc_end221:
	.size	_ZL29rocblas_internal_gemmt_kernelIlLi16ELi32ELi8ELc84ELc67ELc85ELb0ELb1E19rocblas_complex_numIfEPKS1_S3_PS1_EviT_T9_T10_S5_lS7_S5_lS6_T11_S5_li, .Lfunc_end221-_ZL29rocblas_internal_gemmt_kernelIlLi16ELi32ELi8ELc84ELc67ELc85ELb0ELb1E19rocblas_complex_numIfEPKS1_S3_PS1_EviT_T9_T10_S5_lS7_S5_lS6_T11_S5_li
                                        ; -- End function
	.set _ZL29rocblas_internal_gemmt_kernelIlLi16ELi32ELi8ELc84ELc67ELc85ELb0ELb1E19rocblas_complex_numIfEPKS1_S3_PS1_EviT_T9_T10_S5_lS7_S5_lS6_T11_S5_li.num_vgpr, 71
	.set _ZL29rocblas_internal_gemmt_kernelIlLi16ELi32ELi8ELc84ELc67ELc85ELb0ELb1E19rocblas_complex_numIfEPKS1_S3_PS1_EviT_T9_T10_S5_lS7_S5_lS6_T11_S5_li.num_agpr, 0
	.set _ZL29rocblas_internal_gemmt_kernelIlLi16ELi32ELi8ELc84ELc67ELc85ELb0ELb1E19rocblas_complex_numIfEPKS1_S3_PS1_EviT_T9_T10_S5_lS7_S5_lS6_T11_S5_li.numbered_sgpr, 36
	.set _ZL29rocblas_internal_gemmt_kernelIlLi16ELi32ELi8ELc84ELc67ELc85ELb0ELb1E19rocblas_complex_numIfEPKS1_S3_PS1_EviT_T9_T10_S5_lS7_S5_lS6_T11_S5_li.num_named_barrier, 0
	.set _ZL29rocblas_internal_gemmt_kernelIlLi16ELi32ELi8ELc84ELc67ELc85ELb0ELb1E19rocblas_complex_numIfEPKS1_S3_PS1_EviT_T9_T10_S5_lS7_S5_lS6_T11_S5_li.private_seg_size, 0
	.set _ZL29rocblas_internal_gemmt_kernelIlLi16ELi32ELi8ELc84ELc67ELc85ELb0ELb1E19rocblas_complex_numIfEPKS1_S3_PS1_EviT_T9_T10_S5_lS7_S5_lS6_T11_S5_li.uses_vcc, 1
	.set _ZL29rocblas_internal_gemmt_kernelIlLi16ELi32ELi8ELc84ELc67ELc85ELb0ELb1E19rocblas_complex_numIfEPKS1_S3_PS1_EviT_T9_T10_S5_lS7_S5_lS6_T11_S5_li.uses_flat_scratch, 0
	.set _ZL29rocblas_internal_gemmt_kernelIlLi16ELi32ELi8ELc84ELc67ELc85ELb0ELb1E19rocblas_complex_numIfEPKS1_S3_PS1_EviT_T9_T10_S5_lS7_S5_lS6_T11_S5_li.has_dyn_sized_stack, 0
	.set _ZL29rocblas_internal_gemmt_kernelIlLi16ELi32ELi8ELc84ELc67ELc85ELb0ELb1E19rocblas_complex_numIfEPKS1_S3_PS1_EviT_T9_T10_S5_lS7_S5_lS6_T11_S5_li.has_recursion, 0
	.set _ZL29rocblas_internal_gemmt_kernelIlLi16ELi32ELi8ELc84ELc67ELc85ELb0ELb1E19rocblas_complex_numIfEPKS1_S3_PS1_EviT_T9_T10_S5_lS7_S5_lS6_T11_S5_li.has_indirect_call, 0
	.section	.AMDGPU.csdata,"",@progbits
; Kernel info:
; codeLenInByte = 3272
; TotalNumSgprs: 38
; NumVgprs: 71
; ScratchSize: 0
; MemoryBound: 0
; FloatMode: 240
; IeeeMode: 1
; LDSByteSize: 4096 bytes/workgroup (compile time only)
; SGPRBlocks: 0
; VGPRBlocks: 8
; NumSGPRsForWavesPerEU: 38
; NumVGPRsForWavesPerEU: 71
; Occupancy: 16
; WaveLimiterHint : 0
; COMPUTE_PGM_RSRC2:SCRATCH_EN: 0
; COMPUTE_PGM_RSRC2:USER_SGPR: 2
; COMPUTE_PGM_RSRC2:TRAP_HANDLER: 0
; COMPUTE_PGM_RSRC2:TGID_X_EN: 1
; COMPUTE_PGM_RSRC2:TGID_Y_EN: 1
; COMPUTE_PGM_RSRC2:TGID_Z_EN: 1
; COMPUTE_PGM_RSRC2:TIDIG_COMP_CNT: 1
	.section	.text._ZL29rocblas_internal_gemmt_kernelIlLi16ELi32ELi8ELc67ELc78ELc85ELb1ELb0E19rocblas_complex_numIfEPKS1_S3_PS1_EviT_T9_T10_S5_lS7_S5_lS6_T11_S5_li,"axG",@progbits,_ZL29rocblas_internal_gemmt_kernelIlLi16ELi32ELi8ELc67ELc78ELc85ELb1ELb0E19rocblas_complex_numIfEPKS1_S3_PS1_EviT_T9_T10_S5_lS7_S5_lS6_T11_S5_li,comdat
	.globl	_ZL29rocblas_internal_gemmt_kernelIlLi16ELi32ELi8ELc67ELc78ELc85ELb1ELb0E19rocblas_complex_numIfEPKS1_S3_PS1_EviT_T9_T10_S5_lS7_S5_lS6_T11_S5_li ; -- Begin function _ZL29rocblas_internal_gemmt_kernelIlLi16ELi32ELi8ELc67ELc78ELc85ELb1ELb0E19rocblas_complex_numIfEPKS1_S3_PS1_EviT_T9_T10_S5_lS7_S5_lS6_T11_S5_li
	.p2align	8
	.type	_ZL29rocblas_internal_gemmt_kernelIlLi16ELi32ELi8ELc67ELc78ELc85ELb1ELb0E19rocblas_complex_numIfEPKS1_S3_PS1_EviT_T9_T10_S5_lS7_S5_lS6_T11_S5_li,@function
_ZL29rocblas_internal_gemmt_kernelIlLi16ELi32ELi8ELc67ELc78ELc85ELb1ELb0E19rocblas_complex_numIfEPKS1_S3_PS1_EviT_T9_T10_S5_lS7_S5_lS6_T11_S5_li: ; @_ZL29rocblas_internal_gemmt_kernelIlLi16ELi32ELi8ELc67ELc78ELc85ELb1ELb0E19rocblas_complex_numIfEPKS1_S3_PS1_EviT_T9_T10_S5_lS7_S5_lS6_T11_S5_li
; %bb.0:
	s_load_b256 s[20:27], s[0:1], 0x48
	s_wait_kmcnt 0x0
	s_load_b64 s[20:21], s[20:21], 0x0
	s_load_b512 s[4:19], s[0:1], 0x8
	s_wait_kmcnt 0x0
	s_cmp_eq_f32 s20, 1.0
	s_load_b64 s[6:7], s[6:7], 0x0
	s_cselect_b32 s2, -1, 0
	s_and_b32 s3, s21, 0x7fffffff
	s_delay_alu instid0(SALU_CYCLE_1) | instskip(SKIP_1) | instid1(SALU_CYCLE_1)
	s_cmp_eq_u32 s3, 0
	s_cselect_b32 s31, -1, 0
	s_and_b32 s3, s2, s31
	s_mov_b32 s2, 0
	s_and_not1_b32 vcc_lo, exec_lo, s3
	s_mov_b32 s3, -1
	s_cbranch_vccnz .LBB222_4
; %bb.1:
	s_cmp_lg_u64 s[4:5], 0
	s_cbranch_scc0 .LBB222_3
; %bb.2:
	s_wait_kmcnt 0x0
	s_cmp_neq_f32 s6, 0
	s_cselect_b32 s2, -1, 0
	s_cmp_neq_f32 s7, 0
	s_cselect_b32 s3, -1, 0
	s_delay_alu instid0(SALU_CYCLE_1)
	s_or_b32 s2, s2, s3
.LBB222_3:
	s_delay_alu instid0(SALU_CYCLE_1)
	s_mov_b32 s3, s2
.LBB222_4:
	s_delay_alu instid0(SALU_CYCLE_1)
	s_and_b32 vcc_lo, exec_lo, s3
	s_cbranch_vccz .LBB222_42
; %bb.5:
	s_load_b32 s30, s[0:1], 0x68
	s_lshr_b32 s28, ttmp7, 16
	s_wait_kmcnt 0x0
	s_cmp_ge_u32 s28, s30
	s_cbranch_scc1 .LBB222_42
; %bb.6:
	v_and_b32_e32 v8, 0x3ff, v0
	v_bfe_u32 v9, v0, 10, 10
	s_load_b32 s33, s[0:1], 0x0
	s_lshl_b32 s2, ttmp9, 5
	s_lshl_b32 s0, ttmp7, 5
	v_cmp_gt_i64_e64 s34, s[4:5], 0
	v_lshl_add_u32 v2, v9, 4, v8
	s_and_b32 s0, s0, 0x1fffe0
	s_cmp_neq_f32 s6, 0
	v_add_nc_u32_e32 v13, s0, v9
	v_lshl_add_u32 v23, v9, 6, 0x800
	v_and_b32_e32 v16, 31, v2
	v_lshrrev_b32_e32 v10, 3, v2
	v_lshrrev_b32_e32 v15, 5, v2
	v_add_nc_u32_e32 v24, 16, v13
	v_mad_co_u64_u32 v[2:3], null, s24, v13, 0
	v_or_b32_e32 v17, s2, v16
	v_add_nc_u32_e32 v12, s0, v10
	s_cselect_b32 s0, -1, 0
	s_cmp_neq_f32 s7, 0
	s_mov_b32 s29, 0
	v_mul_lo_u32 v18, s11, v17
	v_mad_co_u64_u32 v[4:5], null, s10, v17, 0
	s_cselect_b32 s1, -1, 0
	s_ashr_i32 s3, s2, 31
	s_wait_alu 0xfffe
	s_or_b32 s11, s0, s1
	s_mul_i32 s0, s10, s3
	s_wait_kmcnt 0x0
	v_cmp_le_i32_e64 s10, s33, v17
	s_cmp_neq_f32 s20, 0
	s_wait_alu 0xfffe
	v_add3_u32 v5, v5, s0, v18
	v_cmp_gt_i32_e64 s0, s33, v17
	s_delay_alu instid0(VALU_DEP_2) | instskip(NEXT) | instid1(VALU_DEP_1)
	v_lshlrev_b64_e32 v[4:5], 3, v[4:5]
	v_add_co_u32 v18, s1, s8, v4
	s_wait_alu 0xf1ff
	s_delay_alu instid0(VALU_DEP_2) | instskip(SKIP_3) | instid1(VALU_DEP_1)
	v_add_co_ci_u32_e64 v19, null, s9, v5, s1
	v_mad_co_u64_u32 v[4:5], null, s24, v24, 0
	v_and_b32_e32 v14, 7, v0
	v_mad_co_u64_u32 v[0:1], null, s16, v12, 0
	v_mad_co_u64_u32 v[6:7], null, s17, v12, v[1:2]
	s_delay_alu instid0(VALU_DEP_1) | instskip(SKIP_1) | instid1(VALU_DEP_2)
	v_dual_mov_b32 v1, v6 :: v_dual_add_nc_u32 v6, s2, v8
	v_lshlrev_b32_e32 v22, 3, v8
	v_lshlrev_b64_e32 v[0:1], 3, v[0:1]
	s_delay_alu instid0(VALU_DEP_3) | instskip(NEXT) | instid1(VALU_DEP_2)
	v_add_nc_u32_e32 v8, 16, v6
	v_add_co_u32 v20, s1, s14, v0
	v_mov_b32_e32 v0, v3
	s_wait_alu 0xf1ff
	s_delay_alu instid0(VALU_DEP_4)
	v_add_co_ci_u32_e64 v21, null, s15, v1, s1
	v_cmp_gt_i32_e64 s1, s33, v13
	v_cmp_le_i32_e64 s2, v6, v13
	v_mad_co_u64_u32 v[0:1], null, s25, v13, v[0:1]
	v_mov_b32_e32 v1, v5
	v_lshlrev_b32_e32 v11, 3, v14
	v_cmp_le_i32_e64 s3, v8, v13
	v_ashrrev_i32_e32 v9, 31, v8
	s_cselect_b32 s14, -1, 0
	s_and_b32 s8, s1, s2
	v_lshl_or_b32 v10, v10, 6, v11
	v_mov_b32_e32 v3, v0
	v_cmp_gt_i32_e32 vcc_lo, s33, v12
	s_and_b32 s9, s1, s3
	s_xor_b32 s15, s31, -1
	v_add_nc_u32_e32 v17, 0x800, v10
	v_mad_co_u64_u32 v[10:11], null, s25, v24, v[1:2]
	v_mov_b32_e32 v1, 0
	v_cmp_gt_i32_e64 s1, s33, v24
	v_cmp_le_i32_e64 s2, v6, v24
	v_cmp_le_i32_e64 s3, v8, v24
	v_lshlrev_b64_e32 v[2:3], 3, v[2:3]
	v_lshlrev_b64_e32 v[8:9], 3, v[8:9]
	v_mov_b32_e32 v5, v10
	v_lshlrev_b32_e32 v7, 3, v16
	s_and_b32 s11, s11, s34
	s_wait_alu 0xfffe
	s_or_b32 s14, s14, s15
	s_and_b32 s15, s1, s2
	v_lshlrev_b64_e32 v[4:5], 3, v[4:5]
	v_lshl_or_b32 v16, v15, 8, v7
	v_ashrrev_i32_e32 v7, 31, v6
	s_and_b32 s1, s1, s3
	s_xor_b32 s16, vcc_lo, -1
                                        ; implicit-def: $vgpr10_vgpr11
	s_delay_alu instid0(VALU_DEP_1)
	v_lshlrev_b64_e32 v[6:7], 3, v[6:7]
	s_branch .LBB222_8
.LBB222_7:                              ;   in Loop: Header=BB222_8 Depth=1
	s_wait_alu 0xfffe
	s_or_b32 exec_lo, exec_lo, s2
	s_add_co_i32 s28, s28, 0x10000
	s_delay_alu instid0(SALU_CYCLE_1)
	s_cmp_lt_u32 s28, s30
	s_cbranch_scc0 .LBB222_42
.LBB222_8:                              ; =>This Loop Header: Depth=1
                                        ;     Child Loop BB222_11 Depth 2
	s_and_not1_b32 vcc_lo, exec_lo, s11
	s_wait_alu 0xfffe
	s_cbranch_vccnz .LBB222_21
; %bb.9:                                ;   in Loop: Header=BB222_8 Depth=1
	s_mul_u64 s[2:3], s[12:13], s[28:29]
	s_mul_u64 s[24:25], s[18:19], s[28:29]
	s_wait_alu 0xfffe
	s_lshl_b64 s[2:3], s[2:3], 3
	v_dual_mov_b32 v26, 0 :: v_dual_mov_b32 v27, 0
	s_wait_alu 0xfffe
	v_add_co_u32 v12, vcc_lo, v18, s2
	s_wait_alu 0xfffd
	v_add_co_ci_u32_e64 v13, null, s3, v19, vcc_lo
	s_lshl_b64 s[2:3], s[24:25], 3
	v_dual_mov_b32 v29, 0 :: v_dual_mov_b32 v28, 0
	s_wait_alu 0xfffe
	v_add_co_u32 v24, vcc_lo, v20, s2
	s_wait_alu 0xfffd
	v_add_co_ci_u32_e64 v25, null, s3, v21, vcc_lo
	v_dual_mov_b32 v31, 0 :: v_dual_mov_b32 v30, 0
	v_dual_mov_b32 v33, 0 :: v_dual_mov_b32 v32, 0
	s_mov_b64 s[2:3], 0
	s_branch .LBB222_11
.LBB222_10:                             ;   in Loop: Header=BB222_11 Depth=2
	s_wait_alu 0xfffe
	s_or_b32 exec_lo, exec_lo, s17
	s_wait_dscnt 0x0
	s_barrier_signal -1
	s_barrier_wait -1
	global_inv scope:SCOPE_SE
	ds_load_b128 v[34:37], v23
	ds_load_2addr_b64 v[38:41], v22 offset1:16
	ds_load_b128 v[42:45], v23 offset:1024
	ds_load_b128 v[46:49], v23 offset:16
	;; [unrolled: 1-line block ×4, first 2 shown]
	ds_load_2addr_b64 v[58:61], v22 offset0:32 offset1:48
	ds_load_b128 v[62:65], v23 offset:1040
	s_add_nc_u64 s[2:3], s[2:3], 8
	s_wait_alu 0xfffe
	v_cmp_gt_i64_e64 s17, s[4:5], s[2:3]
	s_and_b32 vcc_lo, exec_lo, s17
	s_wait_dscnt 0x6
	v_mul_f32_e32 v0, v35, v39
	v_dual_mul_f32 v66, v34, v39 :: v_dual_mul_f32 v67, v35, v41
	s_wait_dscnt 0x5
	v_dual_mul_f32 v68, v34, v41 :: v_dual_mul_f32 v69, v43, v39
	v_dual_mul_f32 v39, v42, v39 :: v_dual_mul_f32 v70, v43, v41
	v_mul_f32_e32 v41, v42, v41
	v_fma_f32 v0, v34, v38, -v0
	v_fma_f32 v34, v34, v40, -v67
	v_fmac_f32_e32 v68, v35, v40
	v_fmac_f32_e32 v39, v43, v38
	;; [unrolled: 1-line block ×3, first 2 shown]
	v_add_f32_e32 v0, v32, v0
	v_fmac_f32_e32 v66, v35, v38
	v_fma_f32 v35, v42, v38, -v69
	v_fma_f32 v38, v42, v40, -v70
	v_add_f32_e32 v26, v26, v41
	s_delay_alu instid0(VALU_DEP_4) | instskip(NEXT) | instid1(VALU_DEP_4)
	v_add_f32_e32 v32, v33, v66
	v_dual_add_f32 v33, v30, v34 :: v_dual_add_f32 v34, v28, v35
	v_add_f32_e32 v35, v29, v39
	s_wait_dscnt 0x1
	v_dual_mul_f32 v39, v37, v59 :: v_dual_add_f32 v38, v27, v38
	ds_load_2addr_b64 v[27:30], v22 offset0:64 offset1:80
	v_mul_f32_e32 v42, v37, v61
	v_mul_f32_e32 v41, v36, v61
	;; [unrolled: 1-line block ×3, first 2 shown]
	v_fma_f32 v39, v36, v58, -v39
	v_add_f32_e32 v31, v31, v68
	v_fma_f32 v36, v36, v60, -v42
	s_delay_alu instid0(VALU_DEP_3) | instskip(SKIP_1) | instid1(VALU_DEP_3)
	v_add_f32_e32 v0, v0, v39
	v_mul_f32_e32 v39, v45, v59
	v_add_f32_e32 v36, v33, v36
	v_fmac_f32_e32 v41, v37, v60
	v_fmac_f32_e32 v40, v37, v58
	v_mul_f32_e32 v37, v45, v61
	v_fma_f32 v33, v44, v58, -v39
	s_delay_alu instid0(VALU_DEP_4) | instskip(NEXT) | instid1(VALU_DEP_3)
	v_add_f32_e32 v39, v31, v41
	v_fma_f32 v31, v44, v60, -v37
	v_mul_f32_e32 v41, v44, v61
	s_wait_dscnt 0x0
	v_mul_f32_e32 v37, v46, v28
	v_add_f32_e32 v40, v32, v40
	v_add_f32_e32 v38, v38, v31
	v_dual_mul_f32 v32, v44, v59 :: v_dual_fmac_f32 v41, v45, v60
	v_mul_f32_e32 v44, v47, v30
	s_delay_alu instid0(VALU_DEP_2) | instskip(NEXT) | instid1(VALU_DEP_3)
	v_dual_fmac_f32 v37, v47, v27 :: v_dual_fmac_f32 v32, v45, v58
	v_add_f32_e32 v41, v26, v41
	v_dual_add_f32 v42, v34, v33 :: v_dual_mul_f32 v33, v47, v28
	s_delay_alu instid0(VALU_DEP_3) | instskip(NEXT) | instid1(VALU_DEP_4)
	v_dual_mul_f32 v26, v46, v30 :: v_dual_add_f32 v37, v40, v37
	v_add_f32_e32 v35, v35, v32
	s_delay_alu instid0(VALU_DEP_3) | instskip(SKIP_4) | instid1(VALU_DEP_1)
	v_fma_f32 v43, v46, v27, -v33
	ds_load_2addr_b64 v[31:34], v22 offset0:96 offset1:112
	v_fmac_f32_e32 v26, v47, v29
	v_add_f32_e32 v0, v0, v43
	v_fma_f32 v43, v46, v29, -v44
	v_dual_add_f32 v39, v39, v26 :: v_dual_add_f32 v36, v36, v43
	v_mul_f32_e32 v43, v63, v30
	v_mul_f32_e32 v30, v62, v30
	s_delay_alu instid0(VALU_DEP_2) | instskip(SKIP_1) | instid1(VALU_DEP_3)
	v_fma_f32 v26, v62, v29, -v43
	v_mul_f32_e32 v40, v63, v28
	v_fmac_f32_e32 v30, v63, v29
	s_wait_dscnt 0x0
	v_dual_mul_f32 v28, v62, v28 :: v_dual_mul_f32 v47, v65, v34
	v_add_f32_e32 v43, v38, v26
	v_fma_f32 v40, v62, v27, -v40
	v_dual_mul_f32 v38, v48, v32 :: v_dual_add_f32 v41, v41, v30
	s_delay_alu instid0(VALU_DEP_4) | instskip(SKIP_1) | instid1(VALU_DEP_3)
	v_fmac_f32_e32 v28, v63, v27
	v_mul_f32_e32 v30, v48, v34
	v_fmac_f32_e32 v38, v49, v31
	v_add_f32_e32 v40, v42, v40
	s_delay_alu instid0(VALU_DEP_4)
	v_add_f32_e32 v42, v35, v28
	ds_load_2addr_b64 v[26:29], v22 offset0:128 offset1:144
	v_mul_f32_e32 v35, v49, v32
	v_mul_f32_e32 v44, v49, v34
	v_fmac_f32_e32 v30, v49, v33
	v_mul_f32_e32 v34, v64, v34
	s_delay_alu instid0(VALU_DEP_4)
	v_fma_f32 v35, v48, v31, -v35
	s_wait_dscnt 0x0
	v_mul_f32_e32 v49, v50, v27
	v_fma_f32 v44, v48, v33, -v44
	v_add_f32_e32 v48, v39, v30
	v_fma_f32 v30, v64, v33, -v47
	s_delay_alu instid0(VALU_DEP_4) | instskip(NEXT) | instid1(VALU_DEP_4)
	v_fmac_f32_e32 v49, v51, v26
	v_dual_add_f32 v45, v37, v38 :: v_dual_add_f32 v44, v36, v44
	s_delay_alu instid0(VALU_DEP_3) | instskip(SKIP_1) | instid1(VALU_DEP_3)
	v_dual_add_f32 v43, v43, v30 :: v_dual_add_f32 v0, v0, v35
	v_mul_f32_e32 v35, v65, v32
	v_dual_mul_f32 v32, v64, v32 :: v_dual_add_f32 v45, v45, v49
	s_delay_alu instid0(VALU_DEP_2) | instskip(SKIP_3) | instid1(VALU_DEP_2)
	v_fma_f32 v46, v64, v31, -v35
	ds_load_b128 v[35:38], v23 offset:1056
	v_fmac_f32_e32 v32, v65, v31
	v_dual_mul_f32 v31, v51, v27 :: v_dual_fmac_f32 v34, v65, v33
	v_add_f32_e32 v47, v42, v32
	s_delay_alu instid0(VALU_DEP_2)
	v_fma_f32 v39, v50, v26, -v31
	ds_load_2addr_b64 v[30:33], v22 offset0:160 offset1:176
	v_add_f32_e32 v46, v40, v46
	v_mul_f32_e32 v40, v51, v29
	v_add_f32_e32 v34, v41, v34
	v_add_f32_e32 v0, v0, v39
	s_delay_alu instid0(VALU_DEP_3) | instskip(SKIP_4) | instid1(VALU_DEP_2)
	v_fma_f32 v58, v50, v28, -v40
	ds_load_b128 v[39:42], v23 offset:1072
	s_wait_dscnt 0x2
	v_dual_mul_f32 v50, v50, v29 :: v_dual_mul_f32 v59, v36, v27
	v_mul_f32_e32 v27, v35, v27
	v_dual_fmac_f32 v50, v51, v28 :: v_dual_mul_f32 v51, v36, v29
	s_delay_alu instid0(VALU_DEP_3) | instskip(NEXT) | instid1(VALU_DEP_3)
	v_fma_f32 v49, v35, v26, -v59
	v_fmac_f32_e32 v27, v36, v26
	s_delay_alu instid0(VALU_DEP_3) | instskip(SKIP_2) | instid1(VALU_DEP_4)
	v_add_f32_e32 v48, v48, v50
	v_mul_f32_e32 v50, v35, v29
	v_fma_f32 v26, v35, v28, -v51
	v_add_f32_e32 v35, v47, v27
	s_wait_dscnt 0x1
	s_delay_alu instid0(VALU_DEP_3) | instskip(NEXT) | instid1(VALU_DEP_3)
	v_dual_mul_f32 v47, v53, v31 :: v_dual_fmac_f32 v50, v36, v28
	v_add_f32_e32 v43, v43, v26
	ds_load_2addr_b64 v[26:29], v22 offset0:192 offset1:208
	v_mul_f32_e32 v36, v52, v31
	v_add_f32_e32 v46, v46, v49
	v_fma_f32 v47, v52, v30, -v47
	v_mul_f32_e32 v49, v53, v33
	s_delay_alu instid0(VALU_DEP_4) | instskip(NEXT) | instid1(VALU_DEP_3)
	v_fmac_f32_e32 v36, v53, v30
	v_add_f32_e32 v0, v0, v47
	s_delay_alu instid0(VALU_DEP_3) | instskip(NEXT) | instid1(VALU_DEP_3)
	v_fma_f32 v47, v52, v32, -v49
	v_dual_add_f32 v45, v45, v36 :: v_dual_mul_f32 v36, v38, v31
	v_mul_f32_e32 v31, v37, v31
	s_delay_alu instid0(VALU_DEP_2) | instskip(NEXT) | instid1(VALU_DEP_2)
	v_fma_f32 v36, v37, v30, -v36
	v_fmac_f32_e32 v31, v38, v30
	v_add_f32_e32 v44, v44, v58
	s_delay_alu instid0(VALU_DEP_2) | instskip(NEXT) | instid1(VALU_DEP_2)
	v_dual_mul_f32 v30, v37, v33 :: v_dual_add_f32 v31, v35, v31
	v_dual_add_f32 v44, v44, v47 :: v_dual_mul_f32 v47, v38, v33
	v_add_f32_e32 v50, v34, v50
	v_mul_f32_e32 v34, v52, v33
	s_delay_alu instid0(VALU_DEP_4) | instskip(NEXT) | instid1(VALU_DEP_4)
	v_fmac_f32_e32 v30, v38, v32
	v_fma_f32 v33, v37, v32, -v47
	s_wait_dscnt 0x0
	s_delay_alu instid0(VALU_DEP_3) | instskip(NEXT) | instid1(VALU_DEP_2)
	v_dual_mul_f32 v47, v40, v27 :: v_dual_fmac_f32 v34, v53, v32
	v_dual_add_f32 v32, v43, v33 :: v_dual_mul_f32 v33, v54, v27
	v_mul_f32_e32 v43, v55, v29
	s_delay_alu instid0(VALU_DEP_2) | instskip(NEXT) | instid1(VALU_DEP_2)
	v_dual_fmac_f32 v33, v55, v26 :: v_dual_add_f32 v46, v46, v36
	v_fma_f32 v43, v54, v28, -v43
	s_delay_alu instid0(VALU_DEP_2) | instskip(SKIP_3) | instid1(VALU_DEP_3)
	v_dual_add_f32 v33, v45, v33 :: v_dual_add_f32 v48, v48, v34
	v_mul_f32_e32 v34, v55, v27
	v_mul_f32_e32 v27, v39, v27
	;; [unrolled: 1-line block ×3, first 2 shown]
	v_fma_f32 v38, v54, v26, -v34
	ds_load_2addr_b64 v[34:37], v22 offset0:224 offset1:240
	v_fmac_f32_e32 v27, v40, v26
	v_add_f32_e32 v30, v50, v30
	s_wait_loadcnt_dscnt 0x0
	v_add_f32_e32 v0, v0, v38
	s_barrier_signal -1
	v_dual_add_f32 v27, v31, v27 :: v_dual_mul_f32 v38, v54, v29
	v_mul_f32_e32 v29, v39, v29
	s_barrier_wait -1
	global_inv scope:SCOPE_SE
	v_fmac_f32_e32 v38, v55, v28
	v_fmac_f32_e32 v29, v40, v28
	s_delay_alu instid0(VALU_DEP_1) | instskip(SKIP_2) | instid1(VALU_DEP_2)
	v_add_f32_e32 v40, v30, v29
	v_mul_f32_e32 v29, v56, v37
	v_mul_f32_e32 v31, v57, v35
	v_fmac_f32_e32 v29, v57, v36
	v_add_f32_e32 v43, v44, v43
	v_fma_f32 v44, v39, v26, -v47
	v_fma_f32 v39, v39, v28, -v45
	;; [unrolled: 1-line block ×3, first 2 shown]
	s_delay_alu instid0(VALU_DEP_2) | instskip(SKIP_1) | instid1(VALU_DEP_2)
	v_dual_add_f32 v39, v32, v39 :: v_dual_mul_f32 v32, v57, v37
	v_mul_f32_e32 v28, v56, v35
	v_fma_f32 v30, v56, v36, -v32
	s_delay_alu instid0(VALU_DEP_4) | instskip(SKIP_1) | instid1(VALU_DEP_4)
	v_add_f32_e32 v32, v0, v31
	v_mul_f32_e32 v0, v42, v35
	v_fmac_f32_e32 v28, v57, v34
	s_delay_alu instid0(VALU_DEP_4) | instskip(SKIP_1) | instid1(VALU_DEP_4)
	v_dual_mul_f32 v35, v41, v35 :: v_dual_add_f32 v30, v43, v30
	v_mul_f32_e32 v43, v42, v37
	v_fma_f32 v0, v41, v34, -v0
	v_dual_mul_f32 v37, v41, v37 :: v_dual_add_f32 v26, v48, v38
	v_add_f32_e32 v38, v46, v44
	v_add_f32_e32 v33, v33, v28
	v_fmac_f32_e32 v35, v42, v34
	s_delay_alu instid0(VALU_DEP_4) | instskip(SKIP_3) | instid1(VALU_DEP_4)
	v_fmac_f32_e32 v37, v42, v36
	v_add_f32_e32 v31, v26, v29
	v_add_f32_e32 v28, v38, v0
	v_fma_f32 v0, v41, v36, -v43
	v_dual_add_f32 v29, v27, v35 :: v_dual_add_f32 v26, v40, v37
	s_delay_alu instid0(VALU_DEP_2)
	v_add_f32_e32 v27, v39, v0
	s_wait_alu 0xfffe
	s_cbranch_vccz .LBB222_22
.LBB222_11:                             ;   Parent Loop BB222_8 Depth=1
                                        ; =>  This Inner Loop Header: Depth=2
	s_mov_b32 s17, 0
	s_mov_b32 s25, s10
	s_and_saveexec_b32 s24, s0
	s_cbranch_execnz .LBB222_19
; %bb.12:                               ;   in Loop: Header=BB222_11 Depth=2
	s_wait_alu 0xfffe
	s_or_b32 exec_lo, exec_lo, s24
	s_and_saveexec_b32 s24, s25
	s_wait_alu 0xfffe
	s_xor_b32 s24, exec_lo, s24
	s_cbranch_execnz .LBB222_20
.LBB222_13:                             ;   in Loop: Header=BB222_11 Depth=2
	s_wait_alu 0xfffe
	s_or_b32 exec_lo, exec_lo, s24
	v_mov_b32_e32 v34, 0
	s_and_saveexec_b32 s24, s17
	s_cbranch_execz .LBB222_15
.LBB222_14:                             ;   in Loop: Header=BB222_11 Depth=2
	v_lshlrev_b64_e32 v[34:35], 3, v[10:11]
	s_delay_alu instid0(VALU_DEP_1) | instskip(SKIP_1) | instid1(VALU_DEP_2)
	v_add_co_u32 v34, vcc_lo, v12, v34
	s_wait_alu 0xfffd
	v_add_co_ci_u32_e64 v35, null, v13, v35, vcc_lo
	global_load_b64 v[35:36], v[34:35], off
	s_wait_loadcnt 0x0
	v_xor_b32_e32 v34, 0x80000000, v36
	ds_store_b32 v16, v35
.LBB222_15:                             ;   in Loop: Header=BB222_11 Depth=2
	s_wait_alu 0xfffe
	s_or_b32 exec_lo, exec_lo, s24
	v_add_nc_u32_e32 v0, s2, v14
	ds_store_b32 v16, v34 offset:4
	v_cmp_le_u64_e32 vcc_lo, s[4:5], v[0:1]
	s_or_b32 s17, vcc_lo, s16
	s_wait_alu 0xfffe
	s_and_saveexec_b32 s24, s17
	s_wait_alu 0xfffe
	s_xor_b32 s17, exec_lo, s24
; %bb.16:                               ;   in Loop: Header=BB222_11 Depth=2
	v_mov_b32_e32 v0, v1
	ds_store_b64 v17, v[0:1]
; %bb.17:                               ;   in Loop: Header=BB222_11 Depth=2
	s_wait_alu 0xfffe
	s_and_not1_saveexec_b32 s17, s17
	s_cbranch_execz .LBB222_10
; %bb.18:                               ;   in Loop: Header=BB222_11 Depth=2
	v_lshlrev_b64_e32 v[34:35], 3, v[0:1]
	s_delay_alu instid0(VALU_DEP_1) | instskip(SKIP_1) | instid1(VALU_DEP_2)
	v_add_co_u32 v34, vcc_lo, v24, v34
	s_wait_alu 0xfffd
	v_add_co_ci_u32_e64 v35, null, v25, v35, vcc_lo
	global_load_b64 v[34:35], v[34:35], off
	s_wait_loadcnt 0x0
	ds_store_b64 v17, v[34:35]
	s_branch .LBB222_10
.LBB222_19:                             ;   in Loop: Header=BB222_11 Depth=2
	s_wait_alu 0xfffe
	v_add_nc_u32_e32 v0, s2, v15
	v_mov_b32_e32 v11, v1
	s_and_not1_b32 s25, s10, exec_lo
	s_mov_b32 s17, exec_lo
	s_delay_alu instid0(VALU_DEP_2)
	v_cmp_le_u64_e32 vcc_lo, s[4:5], v[0:1]
	v_mov_b32_e32 v10, v0
	s_and_b32 s31, vcc_lo, exec_lo
	s_wait_alu 0xfffe
	s_or_b32 s25, s25, s31
	s_or_b32 exec_lo, exec_lo, s24
	s_wait_alu 0xfffe
	s_and_saveexec_b32 s24, s25
	s_wait_alu 0xfffe
	s_xor_b32 s24, exec_lo, s24
	s_cbranch_execz .LBB222_13
.LBB222_20:                             ;   in Loop: Header=BB222_11 Depth=2
	s_and_not1_b32 s17, s17, exec_lo
	ds_store_b32 v16, v1
	s_wait_alu 0xfffe
	s_or_b32 exec_lo, exec_lo, s24
	v_mov_b32_e32 v34, 0
	s_and_saveexec_b32 s24, s17
	s_cbranch_execnz .LBB222_14
	s_branch .LBB222_15
.LBB222_21:                             ;   in Loop: Header=BB222_8 Depth=1
	v_dual_mov_b32 v32, v1 :: v_dual_mov_b32 v33, v1
	v_dual_mov_b32 v30, v1 :: v_dual_mov_b32 v31, v1
	;; [unrolled: 1-line block ×4, first 2 shown]
.LBB222_22:                             ;   in Loop: Header=BB222_8 Depth=1
	s_mul_u64 s[2:3], s[26:27], s[28:29]
	s_wait_alu 0xfffe
	s_lshl_b64 s[2:3], s[2:3], 3
	s_wait_alu 0xfffe
	s_add_nc_u64 s[2:3], s[22:23], s[2:3]
	s_wait_alu 0xfffe
	v_add_co_u32 v0, vcc_lo, s2, v2
	s_wait_alu 0xfffd
	v_add_co_ci_u32_e64 v24, null, s3, v3, vcc_lo
	s_and_saveexec_b32 s17, s8
	s_cbranch_execz .LBB222_27
; %bb.23:                               ;   in Loop: Header=BB222_8 Depth=1
	v_mul_f32_e32 v13, s6, v33
	v_mul_f32_e32 v12, s7, v33
	s_and_b32 vcc_lo, exec_lo, s14
	s_mov_b32 s24, -1
	s_delay_alu instid0(VALU_DEP_2) | instskip(NEXT) | instid1(VALU_DEP_2)
	v_fmac_f32_e32 v13, s7, v32
	v_fma_f32 v12, v32, s6, -v12
	s_wait_alu 0xfffe
	s_cbranch_vccz .LBB222_25
; %bb.24:                               ;   in Loop: Header=BB222_8 Depth=1
	v_add_co_u32 v32, vcc_lo, v0, v6
	s_wait_alu 0xfffd
	v_add_co_ci_u32_e64 v33, null, v24, v7, vcc_lo
	s_mov_b32 s24, 0
	global_load_b64 v[34:35], v[32:33], off
	s_wait_loadcnt 0x0
	v_mul_f32_e32 v25, s21, v35
	s_delay_alu instid0(VALU_DEP_1) | instskip(SKIP_1) | instid1(VALU_DEP_1)
	v_fma_f32 v25, v34, s20, -v25
	v_mul_f32_e32 v35, s20, v35
	v_dual_fmac_f32 v35, s21, v34 :: v_dual_add_f32 v34, v12, v25
	s_delay_alu instid0(VALU_DEP_1)
	v_add_f32_e32 v35, v13, v35
	global_store_b64 v[32:33], v[34:35], off
.LBB222_25:                             ;   in Loop: Header=BB222_8 Depth=1
	s_wait_alu 0xfffe
	s_and_not1_b32 vcc_lo, exec_lo, s24
	s_wait_alu 0xfffe
	s_cbranch_vccnz .LBB222_27
; %bb.26:                               ;   in Loop: Header=BB222_8 Depth=1
	v_add_co_u32 v32, vcc_lo, v0, v6
	s_wait_alu 0xfffd
	v_add_co_ci_u32_e64 v33, null, v24, v7, vcc_lo
	global_store_b64 v[32:33], v[12:13], off
.LBB222_27:                             ;   in Loop: Header=BB222_8 Depth=1
	s_wait_alu 0xfffe
	s_or_b32 exec_lo, exec_lo, s17
	s_and_saveexec_b32 s17, s9
	s_cbranch_execz .LBB222_32
; %bb.28:                               ;   in Loop: Header=BB222_8 Depth=1
	v_mul_f32_e32 v13, s6, v31
	v_mul_f32_e32 v12, s7, v31
	s_and_not1_b32 vcc_lo, exec_lo, s14
	s_mov_b32 s24, -1
	s_delay_alu instid0(VALU_DEP_2) | instskip(NEXT) | instid1(VALU_DEP_2)
	v_fmac_f32_e32 v13, s7, v30
	v_fma_f32 v12, v30, s6, -v12
	s_wait_alu 0xfffe
	s_cbranch_vccnz .LBB222_30
; %bb.29:                               ;   in Loop: Header=BB222_8 Depth=1
	v_add_co_u32 v30, vcc_lo, v0, v8
	s_wait_alu 0xfffd
	v_add_co_ci_u32_e64 v31, null, v24, v9, vcc_lo
	s_mov_b32 s24, 0
	global_load_b64 v[32:33], v[30:31], off
	s_wait_loadcnt 0x0
	v_mul_f32_e32 v25, s21, v33
	v_mul_f32_e32 v33, s20, v33
	s_delay_alu instid0(VALU_DEP_2) | instskip(NEXT) | instid1(VALU_DEP_1)
	v_fma_f32 v25, v32, s20, -v25
	v_dual_fmac_f32 v33, s21, v32 :: v_dual_add_f32 v32, v12, v25
	s_delay_alu instid0(VALU_DEP_1)
	v_add_f32_e32 v33, v13, v33
	global_store_b64 v[30:31], v[32:33], off
.LBB222_30:                             ;   in Loop: Header=BB222_8 Depth=1
	s_wait_alu 0xfffe
	s_and_not1_b32 vcc_lo, exec_lo, s24
	s_wait_alu 0xfffe
	s_cbranch_vccnz .LBB222_32
; %bb.31:                               ;   in Loop: Header=BB222_8 Depth=1
	v_add_co_u32 v30, vcc_lo, v0, v8
	s_wait_alu 0xfffd
	v_add_co_ci_u32_e64 v31, null, v24, v9, vcc_lo
	global_store_b64 v[30:31], v[12:13], off
.LBB222_32:                             ;   in Loop: Header=BB222_8 Depth=1
	s_wait_alu 0xfffe
	s_or_b32 exec_lo, exec_lo, s17
	v_add_co_u32 v0, vcc_lo, s2, v4
	s_wait_alu 0xfffd
	v_add_co_ci_u32_e64 v24, null, s3, v5, vcc_lo
	s_and_saveexec_b32 s2, s15
	s_cbranch_execz .LBB222_37
; %bb.33:                               ;   in Loop: Header=BB222_8 Depth=1
	v_mul_f32_e32 v13, s6, v29
	v_mul_f32_e32 v12, s7, v29
	s_and_not1_b32 vcc_lo, exec_lo, s14
	s_mov_b32 s3, -1
	s_delay_alu instid0(VALU_DEP_2) | instskip(NEXT) | instid1(VALU_DEP_2)
	v_fmac_f32_e32 v13, s7, v28
	v_fma_f32 v12, v28, s6, -v12
	s_wait_alu 0xfffe
	s_cbranch_vccnz .LBB222_35
; %bb.34:                               ;   in Loop: Header=BB222_8 Depth=1
	v_add_co_u32 v28, vcc_lo, v0, v6
	s_wait_alu 0xfffd
	v_add_co_ci_u32_e64 v29, null, v24, v7, vcc_lo
	s_mov_b32 s3, 0
	global_load_b64 v[30:31], v[28:29], off
	s_wait_loadcnt 0x0
	v_mul_f32_e32 v25, s21, v31
	s_delay_alu instid0(VALU_DEP_1) | instskip(SKIP_1) | instid1(VALU_DEP_1)
	v_fma_f32 v25, v30, s20, -v25
	v_mul_f32_e32 v31, s20, v31
	v_dual_fmac_f32 v31, s21, v30 :: v_dual_add_f32 v30, v12, v25
	s_delay_alu instid0(VALU_DEP_1)
	v_add_f32_e32 v31, v13, v31
	global_store_b64 v[28:29], v[30:31], off
.LBB222_35:                             ;   in Loop: Header=BB222_8 Depth=1
	s_wait_alu 0xfffe
	s_and_not1_b32 vcc_lo, exec_lo, s3
	s_wait_alu 0xfffe
	s_cbranch_vccnz .LBB222_37
; %bb.36:                               ;   in Loop: Header=BB222_8 Depth=1
	v_add_co_u32 v28, vcc_lo, v0, v6
	s_wait_alu 0xfffd
	v_add_co_ci_u32_e64 v29, null, v24, v7, vcc_lo
	global_store_b64 v[28:29], v[12:13], off
.LBB222_37:                             ;   in Loop: Header=BB222_8 Depth=1
	s_wait_alu 0xfffe
	s_or_b32 exec_lo, exec_lo, s2
	s_and_saveexec_b32 s2, s1
	s_cbranch_execz .LBB222_7
; %bb.38:                               ;   in Loop: Header=BB222_8 Depth=1
	v_mul_f32_e32 v13, s6, v26
	v_mul_f32_e32 v12, s7, v26
	s_and_not1_b32 vcc_lo, exec_lo, s14
	s_mov_b32 s3, -1
	s_delay_alu instid0(VALU_DEP_2) | instskip(NEXT) | instid1(VALU_DEP_2)
	v_fmac_f32_e32 v13, s7, v27
	v_fma_f32 v12, v27, s6, -v12
	s_wait_alu 0xfffe
	s_cbranch_vccnz .LBB222_40
; %bb.39:                               ;   in Loop: Header=BB222_8 Depth=1
	v_add_co_u32 v25, vcc_lo, v0, v8
	s_wait_alu 0xfffd
	v_add_co_ci_u32_e64 v26, null, v24, v9, vcc_lo
	s_mov_b32 s3, 0
	global_load_b64 v[27:28], v[25:26], off
	s_wait_loadcnt 0x0
	v_mul_f32_e32 v29, s21, v28
	v_mul_f32_e32 v28, s20, v28
	s_delay_alu instid0(VALU_DEP_1) | instskip(NEXT) | instid1(VALU_DEP_3)
	v_fmac_f32_e32 v28, s21, v27
	v_fma_f32 v29, v27, s20, -v29
	s_delay_alu instid0(VALU_DEP_1)
	v_dual_add_f32 v28, v13, v28 :: v_dual_add_f32 v27, v12, v29
	global_store_b64 v[25:26], v[27:28], off
.LBB222_40:                             ;   in Loop: Header=BB222_8 Depth=1
	s_wait_alu 0xfffe
	s_and_not1_b32 vcc_lo, exec_lo, s3
	s_wait_alu 0xfffe
	s_cbranch_vccnz .LBB222_7
; %bb.41:                               ;   in Loop: Header=BB222_8 Depth=1
	v_add_co_u32 v25, vcc_lo, v0, v8
	s_wait_alu 0xfffd
	v_add_co_ci_u32_e64 v26, null, v24, v9, vcc_lo
	global_store_b64 v[25:26], v[12:13], off
	s_branch .LBB222_7
.LBB222_42:
	s_endpgm
	.section	.rodata,"a",@progbits
	.p2align	6, 0x0
	.amdhsa_kernel _ZL29rocblas_internal_gemmt_kernelIlLi16ELi32ELi8ELc67ELc78ELc85ELb1ELb0E19rocblas_complex_numIfEPKS1_S3_PS1_EviT_T9_T10_S5_lS7_S5_lS6_T11_S5_li
		.amdhsa_group_segment_fixed_size 4096
		.amdhsa_private_segment_fixed_size 0
		.amdhsa_kernarg_size 108
		.amdhsa_user_sgpr_count 2
		.amdhsa_user_sgpr_dispatch_ptr 0
		.amdhsa_user_sgpr_queue_ptr 0
		.amdhsa_user_sgpr_kernarg_segment_ptr 1
		.amdhsa_user_sgpr_dispatch_id 0
		.amdhsa_user_sgpr_private_segment_size 0
		.amdhsa_wavefront_size32 1
		.amdhsa_uses_dynamic_stack 0
		.amdhsa_enable_private_segment 0
		.amdhsa_system_sgpr_workgroup_id_x 1
		.amdhsa_system_sgpr_workgroup_id_y 1
		.amdhsa_system_sgpr_workgroup_id_z 1
		.amdhsa_system_sgpr_workgroup_info 0
		.amdhsa_system_vgpr_workitem_id 1
		.amdhsa_next_free_vgpr 71
		.amdhsa_next_free_sgpr 35
		.amdhsa_reserve_vcc 1
		.amdhsa_float_round_mode_32 0
		.amdhsa_float_round_mode_16_64 0
		.amdhsa_float_denorm_mode_32 3
		.amdhsa_float_denorm_mode_16_64 3
		.amdhsa_fp16_overflow 0
		.amdhsa_workgroup_processor_mode 1
		.amdhsa_memory_ordered 1
		.amdhsa_forward_progress 1
		.amdhsa_inst_pref_size 26
		.amdhsa_round_robin_scheduling 0
		.amdhsa_exception_fp_ieee_invalid_op 0
		.amdhsa_exception_fp_denorm_src 0
		.amdhsa_exception_fp_ieee_div_zero 0
		.amdhsa_exception_fp_ieee_overflow 0
		.amdhsa_exception_fp_ieee_underflow 0
		.amdhsa_exception_fp_ieee_inexact 0
		.amdhsa_exception_int_div_zero 0
	.end_amdhsa_kernel
	.section	.text._ZL29rocblas_internal_gemmt_kernelIlLi16ELi32ELi8ELc67ELc78ELc85ELb1ELb0E19rocblas_complex_numIfEPKS1_S3_PS1_EviT_T9_T10_S5_lS7_S5_lS6_T11_S5_li,"axG",@progbits,_ZL29rocblas_internal_gemmt_kernelIlLi16ELi32ELi8ELc67ELc78ELc85ELb1ELb0E19rocblas_complex_numIfEPKS1_S3_PS1_EviT_T9_T10_S5_lS7_S5_lS6_T11_S5_li,comdat
.Lfunc_end222:
	.size	_ZL29rocblas_internal_gemmt_kernelIlLi16ELi32ELi8ELc67ELc78ELc85ELb1ELb0E19rocblas_complex_numIfEPKS1_S3_PS1_EviT_T9_T10_S5_lS7_S5_lS6_T11_S5_li, .Lfunc_end222-_ZL29rocblas_internal_gemmt_kernelIlLi16ELi32ELi8ELc67ELc78ELc85ELb1ELb0E19rocblas_complex_numIfEPKS1_S3_PS1_EviT_T9_T10_S5_lS7_S5_lS6_T11_S5_li
                                        ; -- End function
	.set _ZL29rocblas_internal_gemmt_kernelIlLi16ELi32ELi8ELc67ELc78ELc85ELb1ELb0E19rocblas_complex_numIfEPKS1_S3_PS1_EviT_T9_T10_S5_lS7_S5_lS6_T11_S5_li.num_vgpr, 71
	.set _ZL29rocblas_internal_gemmt_kernelIlLi16ELi32ELi8ELc67ELc78ELc85ELb1ELb0E19rocblas_complex_numIfEPKS1_S3_PS1_EviT_T9_T10_S5_lS7_S5_lS6_T11_S5_li.num_agpr, 0
	.set _ZL29rocblas_internal_gemmt_kernelIlLi16ELi32ELi8ELc67ELc78ELc85ELb1ELb0E19rocblas_complex_numIfEPKS1_S3_PS1_EviT_T9_T10_S5_lS7_S5_lS6_T11_S5_li.numbered_sgpr, 35
	.set _ZL29rocblas_internal_gemmt_kernelIlLi16ELi32ELi8ELc67ELc78ELc85ELb1ELb0E19rocblas_complex_numIfEPKS1_S3_PS1_EviT_T9_T10_S5_lS7_S5_lS6_T11_S5_li.num_named_barrier, 0
	.set _ZL29rocblas_internal_gemmt_kernelIlLi16ELi32ELi8ELc67ELc78ELc85ELb1ELb0E19rocblas_complex_numIfEPKS1_S3_PS1_EviT_T9_T10_S5_lS7_S5_lS6_T11_S5_li.private_seg_size, 0
	.set _ZL29rocblas_internal_gemmt_kernelIlLi16ELi32ELi8ELc67ELc78ELc85ELb1ELb0E19rocblas_complex_numIfEPKS1_S3_PS1_EviT_T9_T10_S5_lS7_S5_lS6_T11_S5_li.uses_vcc, 1
	.set _ZL29rocblas_internal_gemmt_kernelIlLi16ELi32ELi8ELc67ELc78ELc85ELb1ELb0E19rocblas_complex_numIfEPKS1_S3_PS1_EviT_T9_T10_S5_lS7_S5_lS6_T11_S5_li.uses_flat_scratch, 0
	.set _ZL29rocblas_internal_gemmt_kernelIlLi16ELi32ELi8ELc67ELc78ELc85ELb1ELb0E19rocblas_complex_numIfEPKS1_S3_PS1_EviT_T9_T10_S5_lS7_S5_lS6_T11_S5_li.has_dyn_sized_stack, 0
	.set _ZL29rocblas_internal_gemmt_kernelIlLi16ELi32ELi8ELc67ELc78ELc85ELb1ELb0E19rocblas_complex_numIfEPKS1_S3_PS1_EviT_T9_T10_S5_lS7_S5_lS6_T11_S5_li.has_recursion, 0
	.set _ZL29rocblas_internal_gemmt_kernelIlLi16ELi32ELi8ELc67ELc78ELc85ELb1ELb0E19rocblas_complex_numIfEPKS1_S3_PS1_EviT_T9_T10_S5_lS7_S5_lS6_T11_S5_li.has_indirect_call, 0
	.section	.AMDGPU.csdata,"",@progbits
; Kernel info:
; codeLenInByte = 3296
; TotalNumSgprs: 37
; NumVgprs: 71
; ScratchSize: 0
; MemoryBound: 0
; FloatMode: 240
; IeeeMode: 1
; LDSByteSize: 4096 bytes/workgroup (compile time only)
; SGPRBlocks: 0
; VGPRBlocks: 8
; NumSGPRsForWavesPerEU: 37
; NumVGPRsForWavesPerEU: 71
; Occupancy: 16
; WaveLimiterHint : 0
; COMPUTE_PGM_RSRC2:SCRATCH_EN: 0
; COMPUTE_PGM_RSRC2:USER_SGPR: 2
; COMPUTE_PGM_RSRC2:TRAP_HANDLER: 0
; COMPUTE_PGM_RSRC2:TGID_X_EN: 1
; COMPUTE_PGM_RSRC2:TGID_Y_EN: 1
; COMPUTE_PGM_RSRC2:TGID_Z_EN: 1
; COMPUTE_PGM_RSRC2:TIDIG_COMP_CNT: 1
	.section	.text._ZL29rocblas_internal_gemmt_kernelIlLi16ELi32ELi8ELc67ELc84ELc85ELb1ELb0E19rocblas_complex_numIfEPKS1_S3_PS1_EviT_T9_T10_S5_lS7_S5_lS6_T11_S5_li,"axG",@progbits,_ZL29rocblas_internal_gemmt_kernelIlLi16ELi32ELi8ELc67ELc84ELc85ELb1ELb0E19rocblas_complex_numIfEPKS1_S3_PS1_EviT_T9_T10_S5_lS7_S5_lS6_T11_S5_li,comdat
	.globl	_ZL29rocblas_internal_gemmt_kernelIlLi16ELi32ELi8ELc67ELc84ELc85ELb1ELb0E19rocblas_complex_numIfEPKS1_S3_PS1_EviT_T9_T10_S5_lS7_S5_lS6_T11_S5_li ; -- Begin function _ZL29rocblas_internal_gemmt_kernelIlLi16ELi32ELi8ELc67ELc84ELc85ELb1ELb0E19rocblas_complex_numIfEPKS1_S3_PS1_EviT_T9_T10_S5_lS7_S5_lS6_T11_S5_li
	.p2align	8
	.type	_ZL29rocblas_internal_gemmt_kernelIlLi16ELi32ELi8ELc67ELc84ELc85ELb1ELb0E19rocblas_complex_numIfEPKS1_S3_PS1_EviT_T9_T10_S5_lS7_S5_lS6_T11_S5_li,@function
_ZL29rocblas_internal_gemmt_kernelIlLi16ELi32ELi8ELc67ELc84ELc85ELb1ELb0E19rocblas_complex_numIfEPKS1_S3_PS1_EviT_T9_T10_S5_lS7_S5_lS6_T11_S5_li: ; @_ZL29rocblas_internal_gemmt_kernelIlLi16ELi32ELi8ELc67ELc84ELc85ELb1ELb0E19rocblas_complex_numIfEPKS1_S3_PS1_EviT_T9_T10_S5_lS7_S5_lS6_T11_S5_li
; %bb.0:
	s_load_b256 s[20:27], s[0:1], 0x48
	s_wait_kmcnt 0x0
	s_load_b64 s[20:21], s[20:21], 0x0
	s_load_b512 s[4:19], s[0:1], 0x8
	s_wait_kmcnt 0x0
	s_cmp_eq_f32 s20, 1.0
	s_load_b64 s[6:7], s[6:7], 0x0
	s_cselect_b32 s2, -1, 0
	s_and_b32 s3, s21, 0x7fffffff
	s_delay_alu instid0(SALU_CYCLE_1) | instskip(SKIP_1) | instid1(SALU_CYCLE_1)
	s_cmp_eq_u32 s3, 0
	s_cselect_b32 s31, -1, 0
	s_and_b32 s3, s2, s31
	s_mov_b32 s2, 0
	s_and_not1_b32 vcc_lo, exec_lo, s3
	s_mov_b32 s3, -1
	s_cbranch_vccnz .LBB223_4
; %bb.1:
	s_cmp_lg_u64 s[4:5], 0
	s_cbranch_scc0 .LBB223_3
; %bb.2:
	s_wait_kmcnt 0x0
	s_cmp_neq_f32 s6, 0
	s_cselect_b32 s2, -1, 0
	s_cmp_neq_f32 s7, 0
	s_cselect_b32 s3, -1, 0
	s_delay_alu instid0(SALU_CYCLE_1)
	s_or_b32 s2, s2, s3
.LBB223_3:
	s_delay_alu instid0(SALU_CYCLE_1)
	s_mov_b32 s3, s2
.LBB223_4:
	s_delay_alu instid0(SALU_CYCLE_1)
	s_and_b32 vcc_lo, exec_lo, s3
	s_cbranch_vccz .LBB223_42
; %bb.5:
	s_load_b32 s30, s[0:1], 0x68
	s_lshr_b32 s28, ttmp7, 16
	s_wait_kmcnt 0x0
	s_cmp_ge_u32 s28, s30
	s_cbranch_scc1 .LBB223_42
; %bb.6:
	v_and_b32_e32 v7, 0x3ff, v0
	v_bfe_u32 v8, v0, 10, 10
	s_load_b32 s33, s[0:1], 0x0
	s_lshl_b32 s2, ttmp9, 5
	s_lshl_b32 s0, ttmp7, 5
	v_and_b32_e32 v14, 7, v0
	v_lshl_add_u32 v2, v8, 4, v7
	s_and_b32 s0, s0, 0x1fffe0
	s_cmp_neq_f32 s6, 0
	v_add_nc_u32_e32 v11, s0, v8
	v_lshl_add_u32 v23, v8, 6, 0x800
	v_and_b32_e32 v3, 31, v2
	s_cselect_b32 s1, -1, 0
	s_cmp_neq_f32 s7, 0
	v_lshrrev_b32_e32 v9, 3, v2
	v_lshrrev_b32_e32 v15, 5, v2
	v_or_b32_e32 v4, s2, v3
	s_cselect_b32 s3, -1, 0
	v_lshlrev_b32_e32 v3, 3, v3
	v_add_nc_u32_e32 v2, s0, v9
	v_add_nc_u32_e32 v12, 16, v11
	v_mul_lo_u32 v6, s11, v4
	v_mad_co_u64_u32 v[0:1], null, s10, v4, 0
	s_ashr_i32 s11, s2, 31
	v_lshl_or_b32 v16, v15, 8, v3
	s_wait_alu 0xfffe
	s_mul_i32 s10, s10, s11
	s_or_b32 s11, s1, s3
	s_wait_kmcnt 0x0
	v_cmp_gt_i32_e32 vcc_lo, s33, v2
	v_cmp_gt_i32_e64 s0, s33, v4
	s_wait_alu 0xfffe
	v_add3_u32 v1, v1, s10, v6
	v_cmp_le_i32_e64 s10, s33, v4
	s_cmp_neq_f32 s20, 0
	v_cmp_gt_i64_e64 s34, s[4:5], 0
	s_mov_b32 s29, 0
	v_lshlrev_b64_e32 v[0:1], 3, v[0:1]
	s_delay_alu instid0(VALU_DEP_1) | instskip(SKIP_1) | instid1(VALU_DEP_2)
	v_add_co_u32 v18, s1, s8, v0
	s_wait_alu 0xf1ff
	v_add_co_ci_u32_e64 v19, null, s9, v1, s1
	v_mov_b32_e32 v1, 0
	v_lshlrev_b32_e32 v5, 3, v14
	v_lshlrev_b32_e32 v0, 3, v2
	v_mad_co_u64_u32 v[2:3], null, s24, v11, 0
	s_delay_alu instid0(VALU_DEP_3) | instskip(NEXT) | instid1(VALU_DEP_3)
	v_lshl_or_b32 v5, v9, 6, v5
	v_add_co_u32 v20, s1, s14, v0
	s_wait_alu 0xf1ff
	v_add_co_ci_u32_e64 v21, null, s15, 0, s1
	s_delay_alu instid0(VALU_DEP_3)
	v_add_nc_u32_e32 v17, 0x800, v5
	v_mad_co_u64_u32 v[4:5], null, s24, v12, 0
	v_mov_b32_e32 v0, v3
	v_add_nc_u32_e32 v6, s2, v7
	v_cmp_gt_i32_e64 s1, s33, v11
	v_lshlrev_b32_e32 v22, 3, v7
	s_cselect_b32 s14, -1, 0
	v_mad_co_u64_u32 v[9:10], null, s25, v11, v[0:1]
	v_add_nc_u32_e32 v8, 16, v6
	v_mov_b32_e32 v0, v5
	v_cmp_le_i32_e64 s2, v6, v11
	v_ashrrev_i32_e32 v7, 31, v6
	s_xor_b32 s15, s31, -1
	v_cmp_le_i32_e64 s3, v8, v11
	v_mad_co_u64_u32 v[10:11], null, s25, v12, v[0:1]
	v_mov_b32_e32 v3, v9
	v_ashrrev_i32_e32 v9, 31, v8
	s_and_b32 s8, s1, s2
	s_and_b32 s9, s1, s3
	v_cmp_gt_i32_e64 s1, s33, v12
	v_cmp_le_i32_e64 s2, v6, v12
	v_mov_b32_e32 v5, v10
	v_cmp_le_i32_e64 s3, v8, v12
	v_lshlrev_b64_e32 v[2:3], 3, v[2:3]
	v_lshlrev_b64_e32 v[6:7], 3, v[6:7]
	;; [unrolled: 1-line block ×4, first 2 shown]
	s_and_b32 s11, s11, s34
	s_wait_alu 0xfffe
	s_or_b32 s14, s14, s15
	s_and_b32 s15, s1, s2
	s_and_b32 s1, s1, s3
	s_xor_b32 s24, vcc_lo, -1
                                        ; implicit-def: $vgpr10_vgpr11
	s_branch .LBB223_8
.LBB223_7:                              ;   in Loop: Header=BB223_8 Depth=1
	s_wait_alu 0xfffe
	s_or_b32 exec_lo, exec_lo, s2
	s_add_co_i32 s28, s28, 0x10000
	s_delay_alu instid0(SALU_CYCLE_1)
	s_cmp_lt_u32 s28, s30
	s_cbranch_scc0 .LBB223_42
.LBB223_8:                              ; =>This Loop Header: Depth=1
                                        ;     Child Loop BB223_11 Depth 2
	s_and_not1_b32 vcc_lo, exec_lo, s11
	s_wait_alu 0xfffe
	s_cbranch_vccnz .LBB223_21
; %bb.9:                                ;   in Loop: Header=BB223_8 Depth=1
	s_mul_u64 s[2:3], s[12:13], s[28:29]
	s_mul_u64 s[34:35], s[18:19], s[28:29]
	s_wait_alu 0xfffe
	s_lshl_b64 s[2:3], s[2:3], 3
	v_dual_mov_b32 v26, 0 :: v_dual_mov_b32 v27, 0
	s_wait_alu 0xfffe
	v_add_co_u32 v12, vcc_lo, v18, s2
	s_wait_alu 0xfffd
	v_add_co_ci_u32_e64 v13, null, s3, v19, vcc_lo
	s_lshl_b64 s[2:3], s[34:35], 3
	v_dual_mov_b32 v29, 0 :: v_dual_mov_b32 v28, 0
	s_wait_alu 0xfffe
	v_add_co_u32 v24, vcc_lo, v20, s2
	s_wait_alu 0xfffd
	v_add_co_ci_u32_e64 v25, null, s3, v21, vcc_lo
	v_dual_mov_b32 v31, 0 :: v_dual_mov_b32 v30, 0
	v_dual_mov_b32 v33, 0 :: v_dual_mov_b32 v32, 0
	s_mov_b64 s[2:3], 0
	s_branch .LBB223_11
.LBB223_10:                             ;   in Loop: Header=BB223_11 Depth=2
	s_wait_alu 0xfffe
	s_or_b32 exec_lo, exec_lo, s25
	s_wait_dscnt 0x0
	s_barrier_signal -1
	s_barrier_wait -1
	global_inv scope:SCOPE_SE
	ds_load_b128 v[34:37], v23
	ds_load_2addr_b64 v[38:41], v22 offset1:16
	ds_load_b128 v[42:45], v23 offset:1024
	ds_load_b128 v[46:49], v23 offset:16
	;; [unrolled: 1-line block ×4, first 2 shown]
	ds_load_2addr_b64 v[58:61], v22 offset0:32 offset1:48
	ds_load_b128 v[62:65], v23 offset:1040
	s_add_nc_u64 s[2:3], s[2:3], 8
	s_wait_alu 0xfffe
	v_cmp_gt_i64_e64 s25, s[4:5], s[2:3]
	s_and_b32 vcc_lo, exec_lo, s25
	s_wait_dscnt 0x6
	v_mul_f32_e32 v0, v35, v39
	v_dual_mul_f32 v66, v34, v39 :: v_dual_mul_f32 v67, v35, v41
	s_wait_dscnt 0x5
	v_dual_mul_f32 v68, v34, v41 :: v_dual_mul_f32 v69, v43, v39
	v_dual_mul_f32 v39, v42, v39 :: v_dual_mul_f32 v70, v43, v41
	v_mul_f32_e32 v41, v42, v41
	v_fma_f32 v0, v34, v38, -v0
	v_fma_f32 v34, v34, v40, -v67
	v_fmac_f32_e32 v68, v35, v40
	v_fmac_f32_e32 v39, v43, v38
	;; [unrolled: 1-line block ×3, first 2 shown]
	v_add_f32_e32 v0, v32, v0
	v_fmac_f32_e32 v66, v35, v38
	v_fma_f32 v35, v42, v38, -v69
	v_fma_f32 v38, v42, v40, -v70
	v_add_f32_e32 v26, v26, v41
	s_delay_alu instid0(VALU_DEP_4) | instskip(NEXT) | instid1(VALU_DEP_4)
	v_add_f32_e32 v32, v33, v66
	v_dual_add_f32 v33, v30, v34 :: v_dual_add_f32 v34, v28, v35
	v_add_f32_e32 v35, v29, v39
	s_wait_dscnt 0x1
	v_dual_mul_f32 v39, v37, v59 :: v_dual_add_f32 v38, v27, v38
	ds_load_2addr_b64 v[27:30], v22 offset0:64 offset1:80
	v_mul_f32_e32 v42, v37, v61
	v_mul_f32_e32 v41, v36, v61
	;; [unrolled: 1-line block ×3, first 2 shown]
	v_fma_f32 v39, v36, v58, -v39
	v_add_f32_e32 v31, v31, v68
	v_fma_f32 v36, v36, v60, -v42
	s_delay_alu instid0(VALU_DEP_3) | instskip(SKIP_1) | instid1(VALU_DEP_3)
	v_add_f32_e32 v0, v0, v39
	v_mul_f32_e32 v39, v45, v59
	v_add_f32_e32 v36, v33, v36
	v_fmac_f32_e32 v41, v37, v60
	v_fmac_f32_e32 v40, v37, v58
	v_mul_f32_e32 v37, v45, v61
	v_fma_f32 v33, v44, v58, -v39
	s_delay_alu instid0(VALU_DEP_4) | instskip(NEXT) | instid1(VALU_DEP_3)
	v_add_f32_e32 v39, v31, v41
	v_fma_f32 v31, v44, v60, -v37
	v_mul_f32_e32 v41, v44, v61
	s_wait_dscnt 0x0
	v_mul_f32_e32 v37, v46, v28
	v_add_f32_e32 v40, v32, v40
	v_add_f32_e32 v38, v38, v31
	v_dual_mul_f32 v32, v44, v59 :: v_dual_fmac_f32 v41, v45, v60
	v_mul_f32_e32 v44, v47, v30
	s_delay_alu instid0(VALU_DEP_2) | instskip(NEXT) | instid1(VALU_DEP_3)
	v_dual_fmac_f32 v37, v47, v27 :: v_dual_fmac_f32 v32, v45, v58
	v_add_f32_e32 v41, v26, v41
	v_dual_add_f32 v42, v34, v33 :: v_dual_mul_f32 v33, v47, v28
	s_delay_alu instid0(VALU_DEP_3) | instskip(NEXT) | instid1(VALU_DEP_4)
	v_dual_mul_f32 v26, v46, v30 :: v_dual_add_f32 v37, v40, v37
	v_add_f32_e32 v35, v35, v32
	s_delay_alu instid0(VALU_DEP_3) | instskip(SKIP_4) | instid1(VALU_DEP_1)
	v_fma_f32 v43, v46, v27, -v33
	ds_load_2addr_b64 v[31:34], v22 offset0:96 offset1:112
	v_fmac_f32_e32 v26, v47, v29
	v_add_f32_e32 v0, v0, v43
	v_fma_f32 v43, v46, v29, -v44
	v_dual_add_f32 v39, v39, v26 :: v_dual_add_f32 v36, v36, v43
	v_mul_f32_e32 v43, v63, v30
	v_mul_f32_e32 v30, v62, v30
	s_delay_alu instid0(VALU_DEP_2) | instskip(SKIP_1) | instid1(VALU_DEP_3)
	v_fma_f32 v26, v62, v29, -v43
	v_mul_f32_e32 v40, v63, v28
	v_fmac_f32_e32 v30, v63, v29
	s_wait_dscnt 0x0
	v_dual_mul_f32 v28, v62, v28 :: v_dual_mul_f32 v47, v65, v34
	v_add_f32_e32 v43, v38, v26
	v_fma_f32 v40, v62, v27, -v40
	v_dual_mul_f32 v38, v48, v32 :: v_dual_add_f32 v41, v41, v30
	s_delay_alu instid0(VALU_DEP_4) | instskip(SKIP_1) | instid1(VALU_DEP_3)
	v_fmac_f32_e32 v28, v63, v27
	v_mul_f32_e32 v30, v48, v34
	v_fmac_f32_e32 v38, v49, v31
	v_add_f32_e32 v40, v42, v40
	s_delay_alu instid0(VALU_DEP_4)
	v_add_f32_e32 v42, v35, v28
	ds_load_2addr_b64 v[26:29], v22 offset0:128 offset1:144
	v_mul_f32_e32 v35, v49, v32
	v_mul_f32_e32 v44, v49, v34
	v_fmac_f32_e32 v30, v49, v33
	v_mul_f32_e32 v34, v64, v34
	s_delay_alu instid0(VALU_DEP_4)
	v_fma_f32 v35, v48, v31, -v35
	s_wait_dscnt 0x0
	v_mul_f32_e32 v49, v50, v27
	v_fma_f32 v44, v48, v33, -v44
	v_add_f32_e32 v48, v39, v30
	v_fma_f32 v30, v64, v33, -v47
	s_delay_alu instid0(VALU_DEP_4) | instskip(NEXT) | instid1(VALU_DEP_4)
	v_fmac_f32_e32 v49, v51, v26
	v_dual_add_f32 v45, v37, v38 :: v_dual_add_f32 v44, v36, v44
	s_delay_alu instid0(VALU_DEP_3) | instskip(SKIP_1) | instid1(VALU_DEP_3)
	v_dual_add_f32 v43, v43, v30 :: v_dual_add_f32 v0, v0, v35
	v_mul_f32_e32 v35, v65, v32
	v_dual_mul_f32 v32, v64, v32 :: v_dual_add_f32 v45, v45, v49
	s_delay_alu instid0(VALU_DEP_2) | instskip(SKIP_3) | instid1(VALU_DEP_2)
	v_fma_f32 v46, v64, v31, -v35
	ds_load_b128 v[35:38], v23 offset:1056
	v_fmac_f32_e32 v32, v65, v31
	v_dual_mul_f32 v31, v51, v27 :: v_dual_fmac_f32 v34, v65, v33
	v_add_f32_e32 v47, v42, v32
	s_delay_alu instid0(VALU_DEP_2)
	v_fma_f32 v39, v50, v26, -v31
	ds_load_2addr_b64 v[30:33], v22 offset0:160 offset1:176
	v_add_f32_e32 v46, v40, v46
	v_mul_f32_e32 v40, v51, v29
	v_add_f32_e32 v34, v41, v34
	v_add_f32_e32 v0, v0, v39
	s_delay_alu instid0(VALU_DEP_3) | instskip(SKIP_4) | instid1(VALU_DEP_2)
	v_fma_f32 v58, v50, v28, -v40
	ds_load_b128 v[39:42], v23 offset:1072
	s_wait_dscnt 0x2
	v_dual_mul_f32 v50, v50, v29 :: v_dual_mul_f32 v59, v36, v27
	v_mul_f32_e32 v27, v35, v27
	v_dual_fmac_f32 v50, v51, v28 :: v_dual_mul_f32 v51, v36, v29
	s_delay_alu instid0(VALU_DEP_3) | instskip(NEXT) | instid1(VALU_DEP_3)
	v_fma_f32 v49, v35, v26, -v59
	v_fmac_f32_e32 v27, v36, v26
	s_delay_alu instid0(VALU_DEP_3) | instskip(SKIP_2) | instid1(VALU_DEP_4)
	v_add_f32_e32 v48, v48, v50
	v_mul_f32_e32 v50, v35, v29
	v_fma_f32 v26, v35, v28, -v51
	v_add_f32_e32 v35, v47, v27
	s_wait_dscnt 0x1
	s_delay_alu instid0(VALU_DEP_3) | instskip(NEXT) | instid1(VALU_DEP_3)
	v_dual_mul_f32 v47, v53, v31 :: v_dual_fmac_f32 v50, v36, v28
	v_add_f32_e32 v43, v43, v26
	ds_load_2addr_b64 v[26:29], v22 offset0:192 offset1:208
	v_mul_f32_e32 v36, v52, v31
	v_add_f32_e32 v46, v46, v49
	v_fma_f32 v47, v52, v30, -v47
	v_mul_f32_e32 v49, v53, v33
	s_delay_alu instid0(VALU_DEP_4) | instskip(NEXT) | instid1(VALU_DEP_3)
	v_fmac_f32_e32 v36, v53, v30
	v_add_f32_e32 v0, v0, v47
	s_delay_alu instid0(VALU_DEP_3) | instskip(NEXT) | instid1(VALU_DEP_3)
	v_fma_f32 v47, v52, v32, -v49
	v_dual_add_f32 v45, v45, v36 :: v_dual_mul_f32 v36, v38, v31
	v_mul_f32_e32 v31, v37, v31
	s_delay_alu instid0(VALU_DEP_2) | instskip(NEXT) | instid1(VALU_DEP_2)
	v_fma_f32 v36, v37, v30, -v36
	v_fmac_f32_e32 v31, v38, v30
	v_add_f32_e32 v44, v44, v58
	s_delay_alu instid0(VALU_DEP_2) | instskip(NEXT) | instid1(VALU_DEP_2)
	v_dual_mul_f32 v30, v37, v33 :: v_dual_add_f32 v31, v35, v31
	v_dual_add_f32 v44, v44, v47 :: v_dual_mul_f32 v47, v38, v33
	v_add_f32_e32 v50, v34, v50
	v_mul_f32_e32 v34, v52, v33
	s_delay_alu instid0(VALU_DEP_4) | instskip(NEXT) | instid1(VALU_DEP_4)
	v_fmac_f32_e32 v30, v38, v32
	v_fma_f32 v33, v37, v32, -v47
	s_wait_dscnt 0x0
	s_delay_alu instid0(VALU_DEP_3) | instskip(NEXT) | instid1(VALU_DEP_2)
	v_dual_mul_f32 v47, v40, v27 :: v_dual_fmac_f32 v34, v53, v32
	v_dual_add_f32 v32, v43, v33 :: v_dual_mul_f32 v33, v54, v27
	v_mul_f32_e32 v43, v55, v29
	s_delay_alu instid0(VALU_DEP_2) | instskip(NEXT) | instid1(VALU_DEP_2)
	v_dual_fmac_f32 v33, v55, v26 :: v_dual_add_f32 v46, v46, v36
	v_fma_f32 v43, v54, v28, -v43
	s_delay_alu instid0(VALU_DEP_2) | instskip(SKIP_3) | instid1(VALU_DEP_3)
	v_dual_add_f32 v33, v45, v33 :: v_dual_add_f32 v48, v48, v34
	v_mul_f32_e32 v34, v55, v27
	v_mul_f32_e32 v27, v39, v27
	;; [unrolled: 1-line block ×3, first 2 shown]
	v_fma_f32 v38, v54, v26, -v34
	ds_load_2addr_b64 v[34:37], v22 offset0:224 offset1:240
	v_fmac_f32_e32 v27, v40, v26
	v_add_f32_e32 v30, v50, v30
	s_wait_loadcnt_dscnt 0x0
	v_add_f32_e32 v0, v0, v38
	s_barrier_signal -1
	v_dual_add_f32 v27, v31, v27 :: v_dual_mul_f32 v38, v54, v29
	v_mul_f32_e32 v29, v39, v29
	s_barrier_wait -1
	global_inv scope:SCOPE_SE
	v_fmac_f32_e32 v38, v55, v28
	v_fmac_f32_e32 v29, v40, v28
	s_delay_alu instid0(VALU_DEP_1) | instskip(SKIP_2) | instid1(VALU_DEP_2)
	v_add_f32_e32 v40, v30, v29
	v_mul_f32_e32 v29, v56, v37
	v_mul_f32_e32 v31, v57, v35
	v_fmac_f32_e32 v29, v57, v36
	v_add_f32_e32 v43, v44, v43
	v_fma_f32 v44, v39, v26, -v47
	v_fma_f32 v39, v39, v28, -v45
	;; [unrolled: 1-line block ×3, first 2 shown]
	s_delay_alu instid0(VALU_DEP_2) | instskip(SKIP_1) | instid1(VALU_DEP_2)
	v_dual_add_f32 v39, v32, v39 :: v_dual_mul_f32 v32, v57, v37
	v_mul_f32_e32 v28, v56, v35
	v_fma_f32 v30, v56, v36, -v32
	s_delay_alu instid0(VALU_DEP_4) | instskip(SKIP_1) | instid1(VALU_DEP_4)
	v_add_f32_e32 v32, v0, v31
	v_mul_f32_e32 v0, v42, v35
	v_fmac_f32_e32 v28, v57, v34
	s_delay_alu instid0(VALU_DEP_4) | instskip(SKIP_1) | instid1(VALU_DEP_4)
	v_dual_mul_f32 v35, v41, v35 :: v_dual_add_f32 v30, v43, v30
	v_mul_f32_e32 v43, v42, v37
	v_fma_f32 v0, v41, v34, -v0
	v_dual_mul_f32 v37, v41, v37 :: v_dual_add_f32 v26, v48, v38
	v_add_f32_e32 v38, v46, v44
	v_add_f32_e32 v33, v33, v28
	v_fmac_f32_e32 v35, v42, v34
	s_delay_alu instid0(VALU_DEP_4) | instskip(SKIP_3) | instid1(VALU_DEP_4)
	v_fmac_f32_e32 v37, v42, v36
	v_add_f32_e32 v31, v26, v29
	v_add_f32_e32 v28, v38, v0
	v_fma_f32 v0, v41, v36, -v43
	v_dual_add_f32 v29, v27, v35 :: v_dual_add_f32 v26, v40, v37
	s_delay_alu instid0(VALU_DEP_2)
	v_add_f32_e32 v27, v39, v0
	s_wait_alu 0xfffe
	s_cbranch_vccz .LBB223_22
.LBB223_11:                             ;   Parent Loop BB223_8 Depth=1
                                        ; =>  This Inner Loop Header: Depth=2
	s_mov_b32 s25, 0
	s_mov_b32 s33, s10
	s_and_saveexec_b32 s31, s0
	s_cbranch_execnz .LBB223_19
; %bb.12:                               ;   in Loop: Header=BB223_11 Depth=2
	s_or_b32 exec_lo, exec_lo, s31
	s_wait_alu 0xfffe
	s_and_saveexec_b32 s31, s33
	s_delay_alu instid0(SALU_CYCLE_1)
	s_xor_b32 s31, exec_lo, s31
	s_cbranch_execnz .LBB223_20
.LBB223_13:                             ;   in Loop: Header=BB223_11 Depth=2
	s_or_b32 exec_lo, exec_lo, s31
	v_mov_b32_e32 v34, 0
	s_and_saveexec_b32 s31, s25
	s_cbranch_execz .LBB223_15
.LBB223_14:                             ;   in Loop: Header=BB223_11 Depth=2
	v_lshlrev_b64_e32 v[34:35], 3, v[10:11]
	s_delay_alu instid0(VALU_DEP_1) | instskip(SKIP_1) | instid1(VALU_DEP_2)
	v_add_co_u32 v34, vcc_lo, v12, v34
	s_wait_alu 0xfffd
	v_add_co_ci_u32_e64 v35, null, v13, v35, vcc_lo
	global_load_b64 v[35:36], v[34:35], off
	s_wait_loadcnt 0x0
	v_xor_b32_e32 v34, 0x80000000, v36
	ds_store_b32 v16, v35
.LBB223_15:                             ;   in Loop: Header=BB223_11 Depth=2
	s_or_b32 exec_lo, exec_lo, s31
	v_add_nc_u32_e32 v0, s2, v14
	ds_store_b32 v16, v34 offset:4
	v_cmp_le_u64_e32 vcc_lo, s[4:5], v[0:1]
	s_or_b32 s25, vcc_lo, s24
	s_wait_alu 0xfffe
	s_and_saveexec_b32 s31, s25
	s_delay_alu instid0(SALU_CYCLE_1)
	s_xor_b32 s25, exec_lo, s31
; %bb.16:                               ;   in Loop: Header=BB223_11 Depth=2
	v_mov_b32_e32 v0, v1
	ds_store_b64 v17, v[0:1]
; %bb.17:                               ;   in Loop: Header=BB223_11 Depth=2
	s_wait_alu 0xfffe
	s_and_not1_saveexec_b32 s25, s25
	s_cbranch_execz .LBB223_10
; %bb.18:                               ;   in Loop: Header=BB223_11 Depth=2
	v_mad_co_u64_u32 v[34:35], null, s16, v0, 0
	s_delay_alu instid0(VALU_DEP_1) | instskip(NEXT) | instid1(VALU_DEP_1)
	v_mad_co_u64_u32 v[35:36], null, s17, v0, v[35:36]
	v_lshlrev_b64_e32 v[34:35], 3, v[34:35]
	s_delay_alu instid0(VALU_DEP_1) | instskip(SKIP_1) | instid1(VALU_DEP_2)
	v_add_co_u32 v34, vcc_lo, v24, v34
	s_wait_alu 0xfffd
	v_add_co_ci_u32_e64 v35, null, v25, v35, vcc_lo
	global_load_b64 v[34:35], v[34:35], off
	s_wait_loadcnt 0x0
	ds_store_b64 v17, v[34:35]
	s_branch .LBB223_10
.LBB223_19:                             ;   in Loop: Header=BB223_11 Depth=2
	s_wait_alu 0xfffe
	v_add_nc_u32_e32 v0, s2, v15
	v_mov_b32_e32 v11, v1
	s_and_not1_b32 s33, s10, exec_lo
	s_mov_b32 s25, exec_lo
	s_delay_alu instid0(VALU_DEP_2)
	v_cmp_le_u64_e32 vcc_lo, s[4:5], v[0:1]
	v_mov_b32_e32 v10, v0
	s_and_b32 s34, vcc_lo, exec_lo
	s_wait_alu 0xfffe
	s_or_b32 s33, s33, s34
	s_or_b32 exec_lo, exec_lo, s31
	s_wait_alu 0xfffe
	s_and_saveexec_b32 s31, s33
	s_delay_alu instid0(SALU_CYCLE_1)
	s_xor_b32 s31, exec_lo, s31
	s_cbranch_execz .LBB223_13
.LBB223_20:                             ;   in Loop: Header=BB223_11 Depth=2
	s_and_not1_b32 s25, s25, exec_lo
	ds_store_b32 v16, v1
	s_or_b32 exec_lo, exec_lo, s31
	v_mov_b32_e32 v34, 0
	s_wait_alu 0xfffe
	s_and_saveexec_b32 s31, s25
	s_cbranch_execnz .LBB223_14
	s_branch .LBB223_15
.LBB223_21:                             ;   in Loop: Header=BB223_8 Depth=1
	v_dual_mov_b32 v32, v1 :: v_dual_mov_b32 v33, v1
	v_dual_mov_b32 v30, v1 :: v_dual_mov_b32 v31, v1
	;; [unrolled: 1-line block ×4, first 2 shown]
.LBB223_22:                             ;   in Loop: Header=BB223_8 Depth=1
	s_mul_u64 s[2:3], s[26:27], s[28:29]
	s_wait_alu 0xfffe
	s_lshl_b64 s[2:3], s[2:3], 3
	s_wait_alu 0xfffe
	s_add_nc_u64 s[2:3], s[22:23], s[2:3]
	s_wait_alu 0xfffe
	v_add_co_u32 v0, vcc_lo, s2, v2
	s_wait_alu 0xfffd
	v_add_co_ci_u32_e64 v24, null, s3, v3, vcc_lo
	s_and_saveexec_b32 s25, s8
	s_cbranch_execz .LBB223_27
; %bb.23:                               ;   in Loop: Header=BB223_8 Depth=1
	v_mul_f32_e32 v13, s6, v33
	v_mul_f32_e32 v12, s7, v33
	s_and_b32 vcc_lo, exec_lo, s14
	s_mov_b32 s31, -1
	s_delay_alu instid0(VALU_DEP_2) | instskip(NEXT) | instid1(VALU_DEP_2)
	v_fmac_f32_e32 v13, s7, v32
	v_fma_f32 v12, v32, s6, -v12
	s_wait_alu 0xfffe
	s_cbranch_vccz .LBB223_25
; %bb.24:                               ;   in Loop: Header=BB223_8 Depth=1
	v_add_co_u32 v32, vcc_lo, v0, v6
	s_wait_alu 0xfffd
	v_add_co_ci_u32_e64 v33, null, v24, v7, vcc_lo
	s_mov_b32 s31, 0
	global_load_b64 v[34:35], v[32:33], off
	s_wait_loadcnt 0x0
	v_mul_f32_e32 v25, s21, v35
	s_delay_alu instid0(VALU_DEP_1) | instskip(SKIP_1) | instid1(VALU_DEP_1)
	v_fma_f32 v25, v34, s20, -v25
	v_mul_f32_e32 v35, s20, v35
	v_dual_fmac_f32 v35, s21, v34 :: v_dual_add_f32 v34, v12, v25
	s_delay_alu instid0(VALU_DEP_1)
	v_add_f32_e32 v35, v13, v35
	global_store_b64 v[32:33], v[34:35], off
.LBB223_25:                             ;   in Loop: Header=BB223_8 Depth=1
	s_and_not1_b32 vcc_lo, exec_lo, s31
	s_wait_alu 0xfffe
	s_cbranch_vccnz .LBB223_27
; %bb.26:                               ;   in Loop: Header=BB223_8 Depth=1
	v_add_co_u32 v32, vcc_lo, v0, v6
	s_wait_alu 0xfffd
	v_add_co_ci_u32_e64 v33, null, v24, v7, vcc_lo
	global_store_b64 v[32:33], v[12:13], off
.LBB223_27:                             ;   in Loop: Header=BB223_8 Depth=1
	s_wait_alu 0xfffe
	s_or_b32 exec_lo, exec_lo, s25
	s_and_saveexec_b32 s25, s9
	s_cbranch_execz .LBB223_32
; %bb.28:                               ;   in Loop: Header=BB223_8 Depth=1
	v_mul_f32_e32 v13, s6, v31
	v_mul_f32_e32 v12, s7, v31
	s_and_not1_b32 vcc_lo, exec_lo, s14
	s_mov_b32 s31, -1
	s_delay_alu instid0(VALU_DEP_2) | instskip(NEXT) | instid1(VALU_DEP_2)
	v_fmac_f32_e32 v13, s7, v30
	v_fma_f32 v12, v30, s6, -v12
	s_wait_alu 0xfffe
	s_cbranch_vccnz .LBB223_30
; %bb.29:                               ;   in Loop: Header=BB223_8 Depth=1
	v_add_co_u32 v30, vcc_lo, v0, v8
	s_wait_alu 0xfffd
	v_add_co_ci_u32_e64 v31, null, v24, v9, vcc_lo
	s_mov_b32 s31, 0
	global_load_b64 v[32:33], v[30:31], off
	s_wait_loadcnt 0x0
	v_mul_f32_e32 v25, s21, v33
	v_mul_f32_e32 v33, s20, v33
	s_delay_alu instid0(VALU_DEP_2) | instskip(NEXT) | instid1(VALU_DEP_1)
	v_fma_f32 v25, v32, s20, -v25
	v_dual_fmac_f32 v33, s21, v32 :: v_dual_add_f32 v32, v12, v25
	s_delay_alu instid0(VALU_DEP_1)
	v_add_f32_e32 v33, v13, v33
	global_store_b64 v[30:31], v[32:33], off
.LBB223_30:                             ;   in Loop: Header=BB223_8 Depth=1
	s_and_not1_b32 vcc_lo, exec_lo, s31
	s_wait_alu 0xfffe
	s_cbranch_vccnz .LBB223_32
; %bb.31:                               ;   in Loop: Header=BB223_8 Depth=1
	v_add_co_u32 v30, vcc_lo, v0, v8
	s_wait_alu 0xfffd
	v_add_co_ci_u32_e64 v31, null, v24, v9, vcc_lo
	global_store_b64 v[30:31], v[12:13], off
.LBB223_32:                             ;   in Loop: Header=BB223_8 Depth=1
	s_wait_alu 0xfffe
	s_or_b32 exec_lo, exec_lo, s25
	v_add_co_u32 v0, vcc_lo, s2, v4
	s_wait_alu 0xfffd
	v_add_co_ci_u32_e64 v24, null, s3, v5, vcc_lo
	s_and_saveexec_b32 s2, s15
	s_cbranch_execz .LBB223_37
; %bb.33:                               ;   in Loop: Header=BB223_8 Depth=1
	v_mul_f32_e32 v13, s6, v29
	v_mul_f32_e32 v12, s7, v29
	s_and_not1_b32 vcc_lo, exec_lo, s14
	s_mov_b32 s3, -1
	s_delay_alu instid0(VALU_DEP_2) | instskip(NEXT) | instid1(VALU_DEP_2)
	v_fmac_f32_e32 v13, s7, v28
	v_fma_f32 v12, v28, s6, -v12
	s_wait_alu 0xfffe
	s_cbranch_vccnz .LBB223_35
; %bb.34:                               ;   in Loop: Header=BB223_8 Depth=1
	v_add_co_u32 v28, vcc_lo, v0, v6
	s_wait_alu 0xfffd
	v_add_co_ci_u32_e64 v29, null, v24, v7, vcc_lo
	s_mov_b32 s3, 0
	global_load_b64 v[30:31], v[28:29], off
	s_wait_loadcnt 0x0
	v_mul_f32_e32 v25, s21, v31
	s_delay_alu instid0(VALU_DEP_1) | instskip(SKIP_1) | instid1(VALU_DEP_1)
	v_fma_f32 v25, v30, s20, -v25
	v_mul_f32_e32 v31, s20, v31
	v_dual_fmac_f32 v31, s21, v30 :: v_dual_add_f32 v30, v12, v25
	s_delay_alu instid0(VALU_DEP_1)
	v_add_f32_e32 v31, v13, v31
	global_store_b64 v[28:29], v[30:31], off
.LBB223_35:                             ;   in Loop: Header=BB223_8 Depth=1
	s_wait_alu 0xfffe
	s_and_not1_b32 vcc_lo, exec_lo, s3
	s_wait_alu 0xfffe
	s_cbranch_vccnz .LBB223_37
; %bb.36:                               ;   in Loop: Header=BB223_8 Depth=1
	v_add_co_u32 v28, vcc_lo, v0, v6
	s_wait_alu 0xfffd
	v_add_co_ci_u32_e64 v29, null, v24, v7, vcc_lo
	global_store_b64 v[28:29], v[12:13], off
.LBB223_37:                             ;   in Loop: Header=BB223_8 Depth=1
	s_wait_alu 0xfffe
	s_or_b32 exec_lo, exec_lo, s2
	s_and_saveexec_b32 s2, s1
	s_cbranch_execz .LBB223_7
; %bb.38:                               ;   in Loop: Header=BB223_8 Depth=1
	v_mul_f32_e32 v13, s6, v26
	v_mul_f32_e32 v12, s7, v26
	s_and_not1_b32 vcc_lo, exec_lo, s14
	s_mov_b32 s3, -1
	s_delay_alu instid0(VALU_DEP_2) | instskip(NEXT) | instid1(VALU_DEP_2)
	v_fmac_f32_e32 v13, s7, v27
	v_fma_f32 v12, v27, s6, -v12
	s_wait_alu 0xfffe
	s_cbranch_vccnz .LBB223_40
; %bb.39:                               ;   in Loop: Header=BB223_8 Depth=1
	v_add_co_u32 v25, vcc_lo, v0, v8
	s_wait_alu 0xfffd
	v_add_co_ci_u32_e64 v26, null, v24, v9, vcc_lo
	s_mov_b32 s3, 0
	global_load_b64 v[27:28], v[25:26], off
	s_wait_loadcnt 0x0
	v_mul_f32_e32 v29, s21, v28
	v_mul_f32_e32 v28, s20, v28
	s_delay_alu instid0(VALU_DEP_1) | instskip(NEXT) | instid1(VALU_DEP_3)
	v_fmac_f32_e32 v28, s21, v27
	v_fma_f32 v29, v27, s20, -v29
	s_delay_alu instid0(VALU_DEP_1)
	v_dual_add_f32 v28, v13, v28 :: v_dual_add_f32 v27, v12, v29
	global_store_b64 v[25:26], v[27:28], off
.LBB223_40:                             ;   in Loop: Header=BB223_8 Depth=1
	s_wait_alu 0xfffe
	s_and_not1_b32 vcc_lo, exec_lo, s3
	s_wait_alu 0xfffe
	s_cbranch_vccnz .LBB223_7
; %bb.41:                               ;   in Loop: Header=BB223_8 Depth=1
	v_add_co_u32 v25, vcc_lo, v0, v8
	s_wait_alu 0xfffd
	v_add_co_ci_u32_e64 v26, null, v24, v9, vcc_lo
	global_store_b64 v[25:26], v[12:13], off
	s_branch .LBB223_7
.LBB223_42:
	s_endpgm
	.section	.rodata,"a",@progbits
	.p2align	6, 0x0
	.amdhsa_kernel _ZL29rocblas_internal_gemmt_kernelIlLi16ELi32ELi8ELc67ELc84ELc85ELb1ELb0E19rocblas_complex_numIfEPKS1_S3_PS1_EviT_T9_T10_S5_lS7_S5_lS6_T11_S5_li
		.amdhsa_group_segment_fixed_size 4096
		.amdhsa_private_segment_fixed_size 0
		.amdhsa_kernarg_size 108
		.amdhsa_user_sgpr_count 2
		.amdhsa_user_sgpr_dispatch_ptr 0
		.amdhsa_user_sgpr_queue_ptr 0
		.amdhsa_user_sgpr_kernarg_segment_ptr 1
		.amdhsa_user_sgpr_dispatch_id 0
		.amdhsa_user_sgpr_private_segment_size 0
		.amdhsa_wavefront_size32 1
		.amdhsa_uses_dynamic_stack 0
		.amdhsa_enable_private_segment 0
		.amdhsa_system_sgpr_workgroup_id_x 1
		.amdhsa_system_sgpr_workgroup_id_y 1
		.amdhsa_system_sgpr_workgroup_id_z 1
		.amdhsa_system_sgpr_workgroup_info 0
		.amdhsa_system_vgpr_workitem_id 1
		.amdhsa_next_free_vgpr 71
		.amdhsa_next_free_sgpr 36
		.amdhsa_reserve_vcc 1
		.amdhsa_float_round_mode_32 0
		.amdhsa_float_round_mode_16_64 0
		.amdhsa_float_denorm_mode_32 3
		.amdhsa_float_denorm_mode_16_64 3
		.amdhsa_fp16_overflow 0
		.amdhsa_workgroup_processor_mode 1
		.amdhsa_memory_ordered 1
		.amdhsa_forward_progress 1
		.amdhsa_inst_pref_size 26
		.amdhsa_round_robin_scheduling 0
		.amdhsa_exception_fp_ieee_invalid_op 0
		.amdhsa_exception_fp_denorm_src 0
		.amdhsa_exception_fp_ieee_div_zero 0
		.amdhsa_exception_fp_ieee_overflow 0
		.amdhsa_exception_fp_ieee_underflow 0
		.amdhsa_exception_fp_ieee_inexact 0
		.amdhsa_exception_int_div_zero 0
	.end_amdhsa_kernel
	.section	.text._ZL29rocblas_internal_gemmt_kernelIlLi16ELi32ELi8ELc67ELc84ELc85ELb1ELb0E19rocblas_complex_numIfEPKS1_S3_PS1_EviT_T9_T10_S5_lS7_S5_lS6_T11_S5_li,"axG",@progbits,_ZL29rocblas_internal_gemmt_kernelIlLi16ELi32ELi8ELc67ELc84ELc85ELb1ELb0E19rocblas_complex_numIfEPKS1_S3_PS1_EviT_T9_T10_S5_lS7_S5_lS6_T11_S5_li,comdat
.Lfunc_end223:
	.size	_ZL29rocblas_internal_gemmt_kernelIlLi16ELi32ELi8ELc67ELc84ELc85ELb1ELb0E19rocblas_complex_numIfEPKS1_S3_PS1_EviT_T9_T10_S5_lS7_S5_lS6_T11_S5_li, .Lfunc_end223-_ZL29rocblas_internal_gemmt_kernelIlLi16ELi32ELi8ELc67ELc84ELc85ELb1ELb0E19rocblas_complex_numIfEPKS1_S3_PS1_EviT_T9_T10_S5_lS7_S5_lS6_T11_S5_li
                                        ; -- End function
	.set _ZL29rocblas_internal_gemmt_kernelIlLi16ELi32ELi8ELc67ELc84ELc85ELb1ELb0E19rocblas_complex_numIfEPKS1_S3_PS1_EviT_T9_T10_S5_lS7_S5_lS6_T11_S5_li.num_vgpr, 71
	.set _ZL29rocblas_internal_gemmt_kernelIlLi16ELi32ELi8ELc67ELc84ELc85ELb1ELb0E19rocblas_complex_numIfEPKS1_S3_PS1_EviT_T9_T10_S5_lS7_S5_lS6_T11_S5_li.num_agpr, 0
	.set _ZL29rocblas_internal_gemmt_kernelIlLi16ELi32ELi8ELc67ELc84ELc85ELb1ELb0E19rocblas_complex_numIfEPKS1_S3_PS1_EviT_T9_T10_S5_lS7_S5_lS6_T11_S5_li.numbered_sgpr, 36
	.set _ZL29rocblas_internal_gemmt_kernelIlLi16ELi32ELi8ELc67ELc84ELc85ELb1ELb0E19rocblas_complex_numIfEPKS1_S3_PS1_EviT_T9_T10_S5_lS7_S5_lS6_T11_S5_li.num_named_barrier, 0
	.set _ZL29rocblas_internal_gemmt_kernelIlLi16ELi32ELi8ELc67ELc84ELc85ELb1ELb0E19rocblas_complex_numIfEPKS1_S3_PS1_EviT_T9_T10_S5_lS7_S5_lS6_T11_S5_li.private_seg_size, 0
	.set _ZL29rocblas_internal_gemmt_kernelIlLi16ELi32ELi8ELc67ELc84ELc85ELb1ELb0E19rocblas_complex_numIfEPKS1_S3_PS1_EviT_T9_T10_S5_lS7_S5_lS6_T11_S5_li.uses_vcc, 1
	.set _ZL29rocblas_internal_gemmt_kernelIlLi16ELi32ELi8ELc67ELc84ELc85ELb1ELb0E19rocblas_complex_numIfEPKS1_S3_PS1_EviT_T9_T10_S5_lS7_S5_lS6_T11_S5_li.uses_flat_scratch, 0
	.set _ZL29rocblas_internal_gemmt_kernelIlLi16ELi32ELi8ELc67ELc84ELc85ELb1ELb0E19rocblas_complex_numIfEPKS1_S3_PS1_EviT_T9_T10_S5_lS7_S5_lS6_T11_S5_li.has_dyn_sized_stack, 0
	.set _ZL29rocblas_internal_gemmt_kernelIlLi16ELi32ELi8ELc67ELc84ELc85ELb1ELb0E19rocblas_complex_numIfEPKS1_S3_PS1_EviT_T9_T10_S5_lS7_S5_lS6_T11_S5_li.has_recursion, 0
	.set _ZL29rocblas_internal_gemmt_kernelIlLi16ELi32ELi8ELc67ELc84ELc85ELb1ELb0E19rocblas_complex_numIfEPKS1_S3_PS1_EviT_T9_T10_S5_lS7_S5_lS6_T11_S5_li.has_indirect_call, 0
	.section	.AMDGPU.csdata,"",@progbits
; Kernel info:
; codeLenInByte = 3268
; TotalNumSgprs: 38
; NumVgprs: 71
; ScratchSize: 0
; MemoryBound: 0
; FloatMode: 240
; IeeeMode: 1
; LDSByteSize: 4096 bytes/workgroup (compile time only)
; SGPRBlocks: 0
; VGPRBlocks: 8
; NumSGPRsForWavesPerEU: 38
; NumVGPRsForWavesPerEU: 71
; Occupancy: 16
; WaveLimiterHint : 0
; COMPUTE_PGM_RSRC2:SCRATCH_EN: 0
; COMPUTE_PGM_RSRC2:USER_SGPR: 2
; COMPUTE_PGM_RSRC2:TRAP_HANDLER: 0
; COMPUTE_PGM_RSRC2:TGID_X_EN: 1
; COMPUTE_PGM_RSRC2:TGID_Y_EN: 1
; COMPUTE_PGM_RSRC2:TGID_Z_EN: 1
; COMPUTE_PGM_RSRC2:TIDIG_COMP_CNT: 1
	.section	.text._ZL29rocblas_internal_gemmt_kernelIlLi16ELi32ELi8ELc67ELc67ELc85ELb1ELb1E19rocblas_complex_numIfEPKS1_S3_PS1_EviT_T9_T10_S5_lS7_S5_lS6_T11_S5_li,"axG",@progbits,_ZL29rocblas_internal_gemmt_kernelIlLi16ELi32ELi8ELc67ELc67ELc85ELb1ELb1E19rocblas_complex_numIfEPKS1_S3_PS1_EviT_T9_T10_S5_lS7_S5_lS6_T11_S5_li,comdat
	.globl	_ZL29rocblas_internal_gemmt_kernelIlLi16ELi32ELi8ELc67ELc67ELc85ELb1ELb1E19rocblas_complex_numIfEPKS1_S3_PS1_EviT_T9_T10_S5_lS7_S5_lS6_T11_S5_li ; -- Begin function _ZL29rocblas_internal_gemmt_kernelIlLi16ELi32ELi8ELc67ELc67ELc85ELb1ELb1E19rocblas_complex_numIfEPKS1_S3_PS1_EviT_T9_T10_S5_lS7_S5_lS6_T11_S5_li
	.p2align	8
	.type	_ZL29rocblas_internal_gemmt_kernelIlLi16ELi32ELi8ELc67ELc67ELc85ELb1ELb1E19rocblas_complex_numIfEPKS1_S3_PS1_EviT_T9_T10_S5_lS7_S5_lS6_T11_S5_li,@function
_ZL29rocblas_internal_gemmt_kernelIlLi16ELi32ELi8ELc67ELc67ELc85ELb1ELb1E19rocblas_complex_numIfEPKS1_S3_PS1_EviT_T9_T10_S5_lS7_S5_lS6_T11_S5_li: ; @_ZL29rocblas_internal_gemmt_kernelIlLi16ELi32ELi8ELc67ELc67ELc85ELb1ELb1E19rocblas_complex_numIfEPKS1_S3_PS1_EviT_T9_T10_S5_lS7_S5_lS6_T11_S5_li
; %bb.0:
	s_load_b256 s[20:27], s[0:1], 0x48
	s_wait_kmcnt 0x0
	s_load_b64 s[20:21], s[20:21], 0x0
	s_load_b512 s[4:19], s[0:1], 0x8
	s_wait_kmcnt 0x0
	s_cmp_eq_f32 s20, 1.0
	s_load_b64 s[6:7], s[6:7], 0x0
	s_cselect_b32 s2, -1, 0
	s_and_b32 s3, s21, 0x7fffffff
	s_delay_alu instid0(SALU_CYCLE_1) | instskip(SKIP_1) | instid1(SALU_CYCLE_1)
	s_cmp_eq_u32 s3, 0
	s_cselect_b32 s31, -1, 0
	s_and_b32 s3, s2, s31
	s_mov_b32 s2, 0
	s_and_not1_b32 vcc_lo, exec_lo, s3
	s_mov_b32 s3, -1
	s_cbranch_vccnz .LBB224_4
; %bb.1:
	s_cmp_lg_u64 s[4:5], 0
	s_cbranch_scc0 .LBB224_3
; %bb.2:
	s_wait_kmcnt 0x0
	s_cmp_neq_f32 s6, 0
	s_cselect_b32 s2, -1, 0
	s_cmp_neq_f32 s7, 0
	s_cselect_b32 s3, -1, 0
	s_delay_alu instid0(SALU_CYCLE_1)
	s_or_b32 s2, s2, s3
.LBB224_3:
	s_delay_alu instid0(SALU_CYCLE_1)
	s_mov_b32 s3, s2
.LBB224_4:
	s_delay_alu instid0(SALU_CYCLE_1)
	s_and_b32 vcc_lo, exec_lo, s3
	s_cbranch_vccz .LBB224_42
; %bb.5:
	s_load_b32 s30, s[0:1], 0x68
	s_lshr_b32 s28, ttmp7, 16
	s_wait_kmcnt 0x0
	s_cmp_ge_u32 s28, s30
	s_cbranch_scc1 .LBB224_42
; %bb.6:
	v_and_b32_e32 v7, 0x3ff, v0
	v_bfe_u32 v8, v0, 10, 10
	s_load_b32 s33, s[0:1], 0x0
	s_lshl_b32 s2, ttmp9, 5
	s_lshl_b32 s0, ttmp7, 5
	v_and_b32_e32 v14, 7, v0
	v_lshl_add_u32 v2, v8, 4, v7
	s_and_b32 s0, s0, 0x1fffe0
	s_cmp_neq_f32 s6, 0
	v_add_nc_u32_e32 v11, s0, v8
	v_lshl_add_u32 v23, v8, 6, 0x800
	v_and_b32_e32 v3, 31, v2
	s_cselect_b32 s1, -1, 0
	s_cmp_neq_f32 s7, 0
	v_lshrrev_b32_e32 v9, 3, v2
	v_lshrrev_b32_e32 v15, 5, v2
	v_or_b32_e32 v4, s2, v3
	s_cselect_b32 s3, -1, 0
	v_lshlrev_b32_e32 v3, 3, v3
	v_add_nc_u32_e32 v2, s0, v9
	v_add_nc_u32_e32 v12, 16, v11
	v_mul_lo_u32 v6, s11, v4
	v_mad_co_u64_u32 v[0:1], null, s10, v4, 0
	s_ashr_i32 s11, s2, 31
	v_lshl_or_b32 v16, v15, 8, v3
	s_wait_alu 0xfffe
	s_mul_i32 s10, s10, s11
	s_or_b32 s11, s1, s3
	s_wait_kmcnt 0x0
	v_cmp_gt_i32_e32 vcc_lo, s33, v2
	v_cmp_gt_i32_e64 s0, s33, v4
	s_wait_alu 0xfffe
	v_add3_u32 v1, v1, s10, v6
	v_cmp_le_i32_e64 s10, s33, v4
	s_cmp_neq_f32 s20, 0
	v_cmp_gt_i64_e64 s34, s[4:5], 0
	s_mov_b32 s29, 0
	v_lshlrev_b64_e32 v[0:1], 3, v[0:1]
	s_delay_alu instid0(VALU_DEP_1) | instskip(SKIP_1) | instid1(VALU_DEP_2)
	v_add_co_u32 v18, s1, s8, v0
	s_wait_alu 0xf1ff
	v_add_co_ci_u32_e64 v19, null, s9, v1, s1
	v_mov_b32_e32 v1, 0
	v_lshlrev_b32_e32 v5, 3, v14
	v_lshlrev_b32_e32 v0, 3, v2
	v_mad_co_u64_u32 v[2:3], null, s24, v11, 0
	s_delay_alu instid0(VALU_DEP_3) | instskip(NEXT) | instid1(VALU_DEP_3)
	v_lshl_or_b32 v5, v9, 6, v5
	v_add_co_u32 v20, s1, s14, v0
	s_wait_alu 0xf1ff
	v_add_co_ci_u32_e64 v21, null, s15, 0, s1
	s_delay_alu instid0(VALU_DEP_3)
	v_add_nc_u32_e32 v17, 0x800, v5
	v_mad_co_u64_u32 v[4:5], null, s24, v12, 0
	v_mov_b32_e32 v0, v3
	v_add_nc_u32_e32 v6, s2, v7
	v_cmp_gt_i32_e64 s1, s33, v11
	v_lshlrev_b32_e32 v22, 3, v7
	s_cselect_b32 s14, -1, 0
	v_mad_co_u64_u32 v[9:10], null, s25, v11, v[0:1]
	v_add_nc_u32_e32 v8, 16, v6
	v_mov_b32_e32 v0, v5
	v_cmp_le_i32_e64 s2, v6, v11
	v_ashrrev_i32_e32 v7, 31, v6
	s_xor_b32 s15, s31, -1
	v_cmp_le_i32_e64 s3, v8, v11
	v_mad_co_u64_u32 v[10:11], null, s25, v12, v[0:1]
	v_mov_b32_e32 v3, v9
	v_ashrrev_i32_e32 v9, 31, v8
	s_and_b32 s8, s1, s2
	s_and_b32 s9, s1, s3
	v_cmp_gt_i32_e64 s1, s33, v12
	v_cmp_le_i32_e64 s2, v6, v12
	v_mov_b32_e32 v5, v10
	v_cmp_le_i32_e64 s3, v8, v12
	v_lshlrev_b64_e32 v[2:3], 3, v[2:3]
	v_lshlrev_b64_e32 v[6:7], 3, v[6:7]
	;; [unrolled: 1-line block ×4, first 2 shown]
	s_and_b32 s11, s11, s34
	s_wait_alu 0xfffe
	s_or_b32 s14, s14, s15
	s_and_b32 s15, s1, s2
	s_and_b32 s1, s1, s3
	s_xor_b32 s24, vcc_lo, -1
                                        ; implicit-def: $vgpr10_vgpr11
	s_branch .LBB224_8
.LBB224_7:                              ;   in Loop: Header=BB224_8 Depth=1
	s_wait_alu 0xfffe
	s_or_b32 exec_lo, exec_lo, s2
	s_add_co_i32 s28, s28, 0x10000
	s_delay_alu instid0(SALU_CYCLE_1)
	s_cmp_lt_u32 s28, s30
	s_cbranch_scc0 .LBB224_42
.LBB224_8:                              ; =>This Loop Header: Depth=1
                                        ;     Child Loop BB224_11 Depth 2
	s_and_not1_b32 vcc_lo, exec_lo, s11
	s_wait_alu 0xfffe
	s_cbranch_vccnz .LBB224_21
; %bb.9:                                ;   in Loop: Header=BB224_8 Depth=1
	s_mul_u64 s[2:3], s[12:13], s[28:29]
	s_mul_u64 s[34:35], s[18:19], s[28:29]
	s_wait_alu 0xfffe
	s_lshl_b64 s[2:3], s[2:3], 3
	v_dual_mov_b32 v26, 0 :: v_dual_mov_b32 v27, 0
	s_wait_alu 0xfffe
	v_add_co_u32 v12, vcc_lo, v18, s2
	s_wait_alu 0xfffd
	v_add_co_ci_u32_e64 v13, null, s3, v19, vcc_lo
	s_lshl_b64 s[2:3], s[34:35], 3
	v_dual_mov_b32 v29, 0 :: v_dual_mov_b32 v28, 0
	s_wait_alu 0xfffe
	v_add_co_u32 v24, vcc_lo, v20, s2
	s_wait_alu 0xfffd
	v_add_co_ci_u32_e64 v25, null, s3, v21, vcc_lo
	v_dual_mov_b32 v31, 0 :: v_dual_mov_b32 v30, 0
	v_dual_mov_b32 v33, 0 :: v_dual_mov_b32 v32, 0
	s_mov_b64 s[2:3], 0
	s_branch .LBB224_11
.LBB224_10:                             ;   in Loop: Header=BB224_11 Depth=2
	s_or_b32 exec_lo, exec_lo, s25
	ds_store_b32 v17, v34 offset:4
	s_wait_dscnt 0x0
	s_barrier_signal -1
	s_barrier_wait -1
	global_inv scope:SCOPE_SE
	ds_load_b128 v[34:37], v23
	ds_load_2addr_b64 v[38:41], v22 offset1:16
	ds_load_b128 v[42:45], v23 offset:1024
	ds_load_b128 v[46:49], v23 offset:16
	;; [unrolled: 1-line block ×4, first 2 shown]
	ds_load_2addr_b64 v[58:61], v22 offset0:32 offset1:48
	ds_load_b128 v[62:65], v23 offset:1040
	s_add_nc_u64 s[2:3], s[2:3], 8
	s_wait_alu 0xfffe
	v_cmp_gt_i64_e64 s25, s[4:5], s[2:3]
	s_and_b32 vcc_lo, exec_lo, s25
	s_wait_dscnt 0x6
	v_mul_f32_e32 v0, v35, v39
	v_dual_mul_f32 v66, v34, v39 :: v_dual_mul_f32 v67, v35, v41
	s_wait_dscnt 0x5
	v_dual_mul_f32 v68, v34, v41 :: v_dual_mul_f32 v69, v43, v39
	v_dual_mul_f32 v39, v42, v39 :: v_dual_mul_f32 v70, v43, v41
	v_mul_f32_e32 v41, v42, v41
	v_fma_f32 v0, v34, v38, -v0
	v_fma_f32 v34, v34, v40, -v67
	s_delay_alu instid0(VALU_DEP_4)
	v_fmac_f32_e32 v39, v43, v38
	v_fmac_f32_e32 v68, v35, v40
	;; [unrolled: 1-line block ×3, first 2 shown]
	v_add_f32_e32 v0, v32, v0
	v_fmac_f32_e32 v66, v35, v38
	v_fma_f32 v35, v42, v38, -v69
	s_delay_alu instid0(VALU_DEP_2)
	v_add_f32_e32 v32, v33, v66
	v_add_f32_e32 v33, v30, v34
	v_fma_f32 v30, v42, v40, -v70
	s_wait_dscnt 0x1
	v_mul_f32_e32 v38, v37, v59
	v_add_f32_e32 v34, v28, v35
	v_dual_add_f32 v35, v29, v39 :: v_dual_add_f32 v26, v26, v41
	v_add_f32_e32 v39, v27, v30
	ds_load_2addr_b64 v[27:30], v22 offset0:64 offset1:80
	v_fma_f32 v38, v36, v58, -v38
	v_mul_f32_e32 v42, v37, v61
	v_mul_f32_e32 v41, v36, v61
	s_delay_alu instid0(VALU_DEP_3) | instskip(SKIP_1) | instid1(VALU_DEP_3)
	v_dual_add_f32 v31, v31, v68 :: v_dual_add_f32 v0, v0, v38
	v_mul_f32_e32 v38, v45, v59
	v_dual_mul_f32 v40, v36, v59 :: v_dual_fmac_f32 v41, v37, v60
	v_fma_f32 v36, v36, v60, -v42
	s_delay_alu instid0(VALU_DEP_2) | instskip(SKIP_1) | instid1(VALU_DEP_3)
	v_fmac_f32_e32 v40, v37, v58
	v_mul_f32_e32 v37, v45, v61
	v_add_f32_e32 v36, v33, v36
	v_fma_f32 v33, v44, v58, -v38
	v_add_f32_e32 v38, v31, v41
	v_mul_f32_e32 v41, v44, v61
	v_fma_f32 v31, v44, v60, -v37
	v_add_f32_e32 v40, v32, v40
	v_mul_f32_e32 v32, v44, v59
	s_wait_dscnt 0x0
	v_dual_add_f32 v42, v34, v33 :: v_dual_mul_f32 v33, v47, v28
	v_fmac_f32_e32 v41, v45, v60
	s_delay_alu instid0(VALU_DEP_3) | instskip(SKIP_1) | instid1(VALU_DEP_4)
	v_dual_mul_f32 v37, v46, v28 :: v_dual_fmac_f32 v32, v45, v58
	v_add_f32_e32 v39, v39, v31
	v_fma_f32 v43, v46, v27, -v33
	s_delay_alu instid0(VALU_DEP_3) | instskip(NEXT) | instid1(VALU_DEP_4)
	v_fmac_f32_e32 v37, v47, v27
	v_add_f32_e32 v35, v35, v32
	ds_load_2addr_b64 v[31:34], v22 offset0:96 offset1:112
	v_mul_f32_e32 v44, v47, v30
	v_add_f32_e32 v0, v0, v43
	v_dual_add_f32 v37, v40, v37 :: v_dual_mul_f32 v40, v63, v28
	v_mul_f32_e32 v28, v62, v28
	s_delay_alu instid0(VALU_DEP_4)
	v_fma_f32 v43, v46, v29, -v44
	v_add_f32_e32 v41, v26, v41
	v_mul_f32_e32 v26, v46, v30
	v_fma_f32 v40, v62, v27, -v40
	v_fmac_f32_e32 v28, v63, v27
	v_dual_add_f32 v36, v36, v43 :: v_dual_mul_f32 v43, v63, v30
	v_mul_f32_e32 v30, v62, v30
	s_delay_alu instid0(VALU_DEP_4) | instskip(NEXT) | instid1(VALU_DEP_4)
	v_add_f32_e32 v40, v42, v40
	v_add_f32_e32 v42, v35, v28
	s_wait_dscnt 0x0
	s_delay_alu instid0(VALU_DEP_3) | instskip(NEXT) | instid1(VALU_DEP_1)
	v_dual_fmac_f32 v30, v63, v29 :: v_dual_mul_f32 v35, v49, v32
	v_add_f32_e32 v41, v41, v30
	s_delay_alu instid0(VALU_DEP_2) | instskip(NEXT) | instid1(VALU_DEP_1)
	v_fma_f32 v35, v48, v31, -v35
	v_dual_add_f32 v0, v0, v35 :: v_dual_mul_f32 v35, v65, v32
	v_dual_fmac_f32 v26, v47, v29 :: v_dual_mul_f32 v47, v65, v34
	s_delay_alu instid0(VALU_DEP_2) | instskip(NEXT) | instid1(VALU_DEP_2)
	v_fma_f32 v46, v64, v31, -v35
	v_add_f32_e32 v44, v38, v26
	v_fma_f32 v26, v62, v29, -v43
	v_dual_mul_f32 v38, v48, v32 :: v_dual_mul_f32 v43, v49, v34
	s_delay_alu instid0(VALU_DEP_2) | instskip(SKIP_3) | instid1(VALU_DEP_2)
	v_dual_mul_f32 v32, v64, v32 :: v_dual_add_f32 v39, v39, v26
	ds_load_2addr_b64 v[26:29], v22 offset0:128 offset1:144
	v_fmac_f32_e32 v38, v49, v31
	v_fma_f32 v43, v48, v33, -v43
	v_add_f32_e32 v45, v37, v38
	s_delay_alu instid0(VALU_DEP_2) | instskip(SKIP_4) | instid1(VALU_DEP_2)
	v_add_f32_e32 v43, v36, v43
	ds_load_b128 v[35:38], v23 offset:1056
	v_mul_f32_e32 v30, v48, v34
	v_fmac_f32_e32 v32, v65, v31
	s_wait_dscnt 0x1
	v_dual_fmac_f32 v30, v49, v33 :: v_dual_mul_f32 v49, v50, v27
	s_delay_alu instid0(VALU_DEP_1) | instskip(SKIP_2) | instid1(VALU_DEP_4)
	v_dual_mul_f32 v31, v51, v27 :: v_dual_add_f32 v44, v44, v30
	v_fma_f32 v30, v64, v33, -v47
	v_add_f32_e32 v47, v42, v32
	v_fmac_f32_e32 v49, v51, v26
	s_delay_alu instid0(VALU_DEP_3) | instskip(SKIP_1) | instid1(VALU_DEP_3)
	v_add_f32_e32 v48, v39, v30
	v_fma_f32 v39, v50, v26, -v31
	v_dual_add_f32 v45, v45, v49 :: v_dual_mul_f32 v34, v64, v34
	s_delay_alu instid0(VALU_DEP_2) | instskip(NEXT) | instid1(VALU_DEP_2)
	v_add_f32_e32 v0, v0, v39
	v_fmac_f32_e32 v34, v65, v33
	ds_load_2addr_b64 v[30:33], v22 offset0:160 offset1:176
	v_add_f32_e32 v46, v40, v46
	v_mul_f32_e32 v40, v51, v29
	s_delay_alu instid0(VALU_DEP_1) | instskip(NEXT) | instid1(VALU_DEP_1)
	v_fma_f32 v58, v50, v28, -v40
	v_dual_mul_f32 v50, v50, v29 :: v_dual_add_f32 v43, v43, v58
	s_delay_alu instid0(VALU_DEP_1)
	v_fmac_f32_e32 v50, v51, v28
	v_add_f32_e32 v34, v41, v34
	ds_load_b128 v[39:42], v23 offset:1072
	s_wait_dscnt 0x2
	v_mul_f32_e32 v59, v36, v27
	v_dual_mul_f32 v27, v35, v27 :: v_dual_add_f32 v44, v44, v50
	v_mul_f32_e32 v50, v35, v29
	v_mul_f32_e32 v51, v36, v29
	s_delay_alu instid0(VALU_DEP_4) | instskip(NEXT) | instid1(VALU_DEP_4)
	v_fma_f32 v49, v35, v26, -v59
	v_fmac_f32_e32 v27, v36, v26
	s_delay_alu instid0(VALU_DEP_4)
	v_fmac_f32_e32 v50, v36, v28
	s_wait_dscnt 0x1
	v_mul_f32_e32 v36, v52, v31
	v_fma_f32 v26, v35, v28, -v51
	v_add_f32_e32 v35, v47, v27
	v_mul_f32_e32 v47, v53, v31
	s_delay_alu instid0(VALU_DEP_4) | instskip(NEXT) | instid1(VALU_DEP_2)
	v_fmac_f32_e32 v36, v53, v30
	v_fma_f32 v47, v52, v30, -v47
	s_delay_alu instid0(VALU_DEP_2) | instskip(SKIP_1) | instid1(VALU_DEP_3)
	v_dual_add_f32 v45, v45, v36 :: v_dual_mul_f32 v36, v38, v31
	v_dual_mul_f32 v31, v37, v31 :: v_dual_add_f32 v46, v46, v49
	v_dual_mul_f32 v49, v53, v33 :: v_dual_add_f32 v0, v0, v47
	s_delay_alu instid0(VALU_DEP_3) | instskip(NEXT) | instid1(VALU_DEP_3)
	v_fma_f32 v36, v37, v30, -v36
	v_dual_fmac_f32 v31, v38, v30 :: v_dual_mul_f32 v30, v37, v33
	s_delay_alu instid0(VALU_DEP_3) | instskip(NEXT) | instid1(VALU_DEP_2)
	v_fma_f32 v47, v52, v32, -v49
	v_dual_add_f32 v31, v35, v31 :: v_dual_fmac_f32 v30, v38, v32
	s_delay_alu instid0(VALU_DEP_2)
	v_add_f32_e32 v43, v43, v47
	v_dual_mul_f32 v47, v38, v33 :: v_dual_add_f32 v48, v48, v26
	ds_load_2addr_b64 v[26:29], v22 offset0:192 offset1:208
	v_add_f32_e32 v50, v34, v50
	v_mul_f32_e32 v34, v52, v33
	v_fma_f32 v33, v37, v32, -v47
	s_wait_dscnt 0x0
	s_delay_alu instid0(VALU_DEP_2) | instskip(NEXT) | instid1(VALU_DEP_1)
	v_dual_fmac_f32 v34, v53, v32 :: v_dual_mul_f32 v47, v55, v29
	v_fma_f32 v47, v54, v28, -v47
	s_delay_alu instid0(VALU_DEP_1) | instskip(SKIP_3) | instid1(VALU_DEP_3)
	v_dual_add_f32 v43, v43, v47 :: v_dual_add_f32 v32, v48, v33
	v_mul_f32_e32 v33, v54, v27
	v_mul_f32_e32 v48, v40, v27
	;; [unrolled: 1-line block ×3, first 2 shown]
	v_dual_fmac_f32 v33, v55, v26 :: v_dual_add_f32 v46, v46, v36
	s_delay_alu instid0(VALU_DEP_1) | instskip(SKIP_3) | instid1(VALU_DEP_3)
	v_dual_add_f32 v33, v45, v33 :: v_dual_add_f32 v44, v44, v34
	v_mul_f32_e32 v34, v55, v27
	v_mul_f32_e32 v27, v39, v27
	v_fma_f32 v45, v39, v26, -v48
	v_fma_f32 v38, v54, v26, -v34
	ds_load_2addr_b64 v[34:37], v22 offset0:224 offset1:240
	v_fmac_f32_e32 v27, v40, v26
	s_wait_loadcnt_dscnt 0x0
	s_barrier_signal -1
	v_add_f32_e32 v0, v0, v38
	s_barrier_wait -1
	v_dual_add_f32 v27, v31, v27 :: v_dual_mul_f32 v38, v54, v29
	v_mul_f32_e32 v29, v39, v29
	v_fma_f32 v39, v39, v28, -v47
	v_add_f32_e32 v30, v50, v30
	global_inv scope:SCOPE_SE
	v_fmac_f32_e32 v38, v55, v28
	v_fmac_f32_e32 v29, v40, v28
	s_delay_alu instid0(VALU_DEP_1) | instskip(SKIP_4) | instid1(VALU_DEP_4)
	v_dual_add_f32 v39, v32, v39 :: v_dual_add_f32 v40, v30, v29
	v_mul_f32_e32 v31, v57, v35
	v_mul_f32_e32 v32, v57, v37
	;; [unrolled: 1-line block ×4, first 2 shown]
	v_fma_f32 v31, v56, v34, -v31
	s_delay_alu instid0(VALU_DEP_4) | instskip(NEXT) | instid1(VALU_DEP_4)
	v_fma_f32 v30, v56, v36, -v32
	v_fmac_f32_e32 v28, v57, v34
	s_delay_alu instid0(VALU_DEP_4) | instskip(NEXT) | instid1(VALU_DEP_4)
	v_dual_fmac_f32 v29, v57, v36 :: v_dual_add_f32 v26, v44, v38
	v_add_f32_e32 v32, v0, v31
	v_mul_f32_e32 v0, v42, v35
	v_add_f32_e32 v38, v46, v45
	v_dual_add_f32 v30, v43, v30 :: v_dual_mul_f32 v35, v41, v35
	v_mul_f32_e32 v43, v42, v37
	s_delay_alu instid0(VALU_DEP_4)
	v_fma_f32 v0, v41, v34, -v0
	v_mul_f32_e32 v37, v41, v37
	v_add_f32_e32 v33, v33, v28
	v_fmac_f32_e32 v35, v42, v34
	v_add_f32_e32 v31, v26, v29
	v_add_f32_e32 v28, v38, v0
	v_fma_f32 v0, v41, v36, -v43
	v_fmac_f32_e32 v37, v42, v36
	v_add_f32_e32 v29, v27, v35
	s_delay_alu instid0(VALU_DEP_2)
	v_dual_add_f32 v27, v39, v0 :: v_dual_add_f32 v26, v40, v37
	s_wait_alu 0xfffe
	s_cbranch_vccz .LBB224_22
.LBB224_11:                             ;   Parent Loop BB224_8 Depth=1
                                        ; =>  This Inner Loop Header: Depth=2
	s_mov_b32 s25, 0
	s_mov_b32 s33, s10
	s_and_saveexec_b32 s31, s0
	s_cbranch_execnz .LBB224_19
; %bb.12:                               ;   in Loop: Header=BB224_11 Depth=2
	s_or_b32 exec_lo, exec_lo, s31
	s_wait_alu 0xfffe
	s_and_saveexec_b32 s31, s33
	s_delay_alu instid0(SALU_CYCLE_1)
	s_xor_b32 s31, exec_lo, s31
	s_cbranch_execnz .LBB224_20
.LBB224_13:                             ;   in Loop: Header=BB224_11 Depth=2
	s_or_b32 exec_lo, exec_lo, s31
	v_mov_b32_e32 v34, 0
	s_and_saveexec_b32 s31, s25
	s_cbranch_execz .LBB224_15
.LBB224_14:                             ;   in Loop: Header=BB224_11 Depth=2
	v_lshlrev_b64_e32 v[34:35], 3, v[10:11]
	s_delay_alu instid0(VALU_DEP_1) | instskip(SKIP_1) | instid1(VALU_DEP_2)
	v_add_co_u32 v34, vcc_lo, v12, v34
	s_wait_alu 0xfffd
	v_add_co_ci_u32_e64 v35, null, v13, v35, vcc_lo
	global_load_b64 v[35:36], v[34:35], off
	s_wait_loadcnt 0x0
	v_xor_b32_e32 v34, 0x80000000, v36
	ds_store_b32 v16, v35
.LBB224_15:                             ;   in Loop: Header=BB224_11 Depth=2
	s_or_b32 exec_lo, exec_lo, s31
	v_add_nc_u32_e32 v0, s2, v14
	ds_store_b32 v16, v34 offset:4
	v_cmp_le_u64_e32 vcc_lo, s[4:5], v[0:1]
	s_or_b32 s25, vcc_lo, s24
	s_wait_alu 0xfffe
	s_and_saveexec_b32 s31, s25
	s_delay_alu instid0(SALU_CYCLE_1)
	s_xor_b32 s25, exec_lo, s31
; %bb.16:                               ;   in Loop: Header=BB224_11 Depth=2
	ds_store_b32 v17, v1
; %bb.17:                               ;   in Loop: Header=BB224_11 Depth=2
	s_wait_alu 0xfffe
	s_or_saveexec_b32 s25, s25
	v_mov_b32_e32 v34, 0
	s_wait_alu 0xfffe
	s_xor_b32 exec_lo, exec_lo, s25
	s_cbranch_execz .LBB224_10
; %bb.18:                               ;   in Loop: Header=BB224_11 Depth=2
	v_mad_co_u64_u32 v[34:35], null, s16, v0, 0
	s_delay_alu instid0(VALU_DEP_1) | instskip(NEXT) | instid1(VALU_DEP_1)
	v_mad_co_u64_u32 v[35:36], null, s17, v0, v[35:36]
	v_lshlrev_b64_e32 v[34:35], 3, v[34:35]
	s_delay_alu instid0(VALU_DEP_1) | instskip(SKIP_1) | instid1(VALU_DEP_2)
	v_add_co_u32 v34, vcc_lo, v24, v34
	s_wait_alu 0xfffd
	v_add_co_ci_u32_e64 v35, null, v25, v35, vcc_lo
	global_load_b64 v[35:36], v[34:35], off
	s_wait_loadcnt 0x0
	v_xor_b32_e32 v34, 0x80000000, v36
	ds_store_b32 v17, v35
	s_branch .LBB224_10
.LBB224_19:                             ;   in Loop: Header=BB224_11 Depth=2
	s_wait_alu 0xfffe
	v_add_nc_u32_e32 v0, s2, v15
	v_mov_b32_e32 v11, v1
	s_and_not1_b32 s33, s10, exec_lo
	s_mov_b32 s25, exec_lo
	s_delay_alu instid0(VALU_DEP_2)
	v_cmp_le_u64_e32 vcc_lo, s[4:5], v[0:1]
	v_mov_b32_e32 v10, v0
	s_and_b32 s34, vcc_lo, exec_lo
	s_wait_alu 0xfffe
	s_or_b32 s33, s33, s34
	s_or_b32 exec_lo, exec_lo, s31
	s_wait_alu 0xfffe
	s_and_saveexec_b32 s31, s33
	s_delay_alu instid0(SALU_CYCLE_1)
	s_xor_b32 s31, exec_lo, s31
	s_cbranch_execz .LBB224_13
.LBB224_20:                             ;   in Loop: Header=BB224_11 Depth=2
	s_and_not1_b32 s25, s25, exec_lo
	ds_store_b32 v16, v1
	s_or_b32 exec_lo, exec_lo, s31
	v_mov_b32_e32 v34, 0
	s_wait_alu 0xfffe
	s_and_saveexec_b32 s31, s25
	s_cbranch_execnz .LBB224_14
	s_branch .LBB224_15
.LBB224_21:                             ;   in Loop: Header=BB224_8 Depth=1
	v_dual_mov_b32 v32, v1 :: v_dual_mov_b32 v33, v1
	v_dual_mov_b32 v30, v1 :: v_dual_mov_b32 v31, v1
	;; [unrolled: 1-line block ×4, first 2 shown]
.LBB224_22:                             ;   in Loop: Header=BB224_8 Depth=1
	s_mul_u64 s[2:3], s[26:27], s[28:29]
	s_wait_alu 0xfffe
	s_lshl_b64 s[2:3], s[2:3], 3
	s_wait_alu 0xfffe
	s_add_nc_u64 s[2:3], s[22:23], s[2:3]
	s_wait_alu 0xfffe
	v_add_co_u32 v0, vcc_lo, s2, v2
	s_wait_alu 0xfffd
	v_add_co_ci_u32_e64 v24, null, s3, v3, vcc_lo
	s_and_saveexec_b32 s25, s8
	s_cbranch_execz .LBB224_27
; %bb.23:                               ;   in Loop: Header=BB224_8 Depth=1
	v_mul_f32_e32 v13, s6, v33
	v_mul_f32_e32 v12, s7, v33
	s_and_b32 vcc_lo, exec_lo, s14
	s_mov_b32 s31, -1
	s_delay_alu instid0(VALU_DEP_2) | instskip(NEXT) | instid1(VALU_DEP_2)
	v_fmac_f32_e32 v13, s7, v32
	v_fma_f32 v12, v32, s6, -v12
	s_wait_alu 0xfffe
	s_cbranch_vccz .LBB224_25
; %bb.24:                               ;   in Loop: Header=BB224_8 Depth=1
	v_add_co_u32 v32, vcc_lo, v0, v6
	s_wait_alu 0xfffd
	v_add_co_ci_u32_e64 v33, null, v24, v7, vcc_lo
	s_mov_b32 s31, 0
	global_load_b64 v[34:35], v[32:33], off
	s_wait_loadcnt 0x0
	v_mul_f32_e32 v25, s21, v35
	s_delay_alu instid0(VALU_DEP_1) | instskip(SKIP_1) | instid1(VALU_DEP_1)
	v_fma_f32 v25, v34, s20, -v25
	v_mul_f32_e32 v35, s20, v35
	v_dual_fmac_f32 v35, s21, v34 :: v_dual_add_f32 v34, v12, v25
	s_delay_alu instid0(VALU_DEP_1)
	v_add_f32_e32 v35, v13, v35
	global_store_b64 v[32:33], v[34:35], off
.LBB224_25:                             ;   in Loop: Header=BB224_8 Depth=1
	s_and_not1_b32 vcc_lo, exec_lo, s31
	s_wait_alu 0xfffe
	s_cbranch_vccnz .LBB224_27
; %bb.26:                               ;   in Loop: Header=BB224_8 Depth=1
	v_add_co_u32 v32, vcc_lo, v0, v6
	s_wait_alu 0xfffd
	v_add_co_ci_u32_e64 v33, null, v24, v7, vcc_lo
	global_store_b64 v[32:33], v[12:13], off
.LBB224_27:                             ;   in Loop: Header=BB224_8 Depth=1
	s_wait_alu 0xfffe
	s_or_b32 exec_lo, exec_lo, s25
	s_and_saveexec_b32 s25, s9
	s_cbranch_execz .LBB224_32
; %bb.28:                               ;   in Loop: Header=BB224_8 Depth=1
	v_mul_f32_e32 v13, s6, v31
	v_mul_f32_e32 v12, s7, v31
	s_and_not1_b32 vcc_lo, exec_lo, s14
	s_mov_b32 s31, -1
	s_delay_alu instid0(VALU_DEP_2) | instskip(NEXT) | instid1(VALU_DEP_2)
	v_fmac_f32_e32 v13, s7, v30
	v_fma_f32 v12, v30, s6, -v12
	s_wait_alu 0xfffe
	s_cbranch_vccnz .LBB224_30
; %bb.29:                               ;   in Loop: Header=BB224_8 Depth=1
	v_add_co_u32 v30, vcc_lo, v0, v8
	s_wait_alu 0xfffd
	v_add_co_ci_u32_e64 v31, null, v24, v9, vcc_lo
	s_mov_b32 s31, 0
	global_load_b64 v[32:33], v[30:31], off
	s_wait_loadcnt 0x0
	v_mul_f32_e32 v25, s21, v33
	v_mul_f32_e32 v33, s20, v33
	s_delay_alu instid0(VALU_DEP_2) | instskip(NEXT) | instid1(VALU_DEP_1)
	v_fma_f32 v25, v32, s20, -v25
	v_dual_fmac_f32 v33, s21, v32 :: v_dual_add_f32 v32, v12, v25
	s_delay_alu instid0(VALU_DEP_1)
	v_add_f32_e32 v33, v13, v33
	global_store_b64 v[30:31], v[32:33], off
.LBB224_30:                             ;   in Loop: Header=BB224_8 Depth=1
	s_and_not1_b32 vcc_lo, exec_lo, s31
	s_wait_alu 0xfffe
	s_cbranch_vccnz .LBB224_32
; %bb.31:                               ;   in Loop: Header=BB224_8 Depth=1
	v_add_co_u32 v30, vcc_lo, v0, v8
	s_wait_alu 0xfffd
	v_add_co_ci_u32_e64 v31, null, v24, v9, vcc_lo
	global_store_b64 v[30:31], v[12:13], off
.LBB224_32:                             ;   in Loop: Header=BB224_8 Depth=1
	s_wait_alu 0xfffe
	s_or_b32 exec_lo, exec_lo, s25
	v_add_co_u32 v0, vcc_lo, s2, v4
	s_wait_alu 0xfffd
	v_add_co_ci_u32_e64 v24, null, s3, v5, vcc_lo
	s_and_saveexec_b32 s2, s15
	s_cbranch_execz .LBB224_37
; %bb.33:                               ;   in Loop: Header=BB224_8 Depth=1
	v_mul_f32_e32 v13, s6, v29
	v_mul_f32_e32 v12, s7, v29
	s_and_not1_b32 vcc_lo, exec_lo, s14
	s_mov_b32 s3, -1
	s_delay_alu instid0(VALU_DEP_2) | instskip(NEXT) | instid1(VALU_DEP_2)
	v_fmac_f32_e32 v13, s7, v28
	v_fma_f32 v12, v28, s6, -v12
	s_wait_alu 0xfffe
	s_cbranch_vccnz .LBB224_35
; %bb.34:                               ;   in Loop: Header=BB224_8 Depth=1
	v_add_co_u32 v28, vcc_lo, v0, v6
	s_wait_alu 0xfffd
	v_add_co_ci_u32_e64 v29, null, v24, v7, vcc_lo
	s_mov_b32 s3, 0
	global_load_b64 v[30:31], v[28:29], off
	s_wait_loadcnt 0x0
	v_mul_f32_e32 v25, s21, v31
	s_delay_alu instid0(VALU_DEP_1) | instskip(SKIP_1) | instid1(VALU_DEP_1)
	v_fma_f32 v25, v30, s20, -v25
	v_mul_f32_e32 v31, s20, v31
	v_dual_fmac_f32 v31, s21, v30 :: v_dual_add_f32 v30, v12, v25
	s_delay_alu instid0(VALU_DEP_1)
	v_add_f32_e32 v31, v13, v31
	global_store_b64 v[28:29], v[30:31], off
.LBB224_35:                             ;   in Loop: Header=BB224_8 Depth=1
	s_wait_alu 0xfffe
	s_and_not1_b32 vcc_lo, exec_lo, s3
	s_wait_alu 0xfffe
	s_cbranch_vccnz .LBB224_37
; %bb.36:                               ;   in Loop: Header=BB224_8 Depth=1
	v_add_co_u32 v28, vcc_lo, v0, v6
	s_wait_alu 0xfffd
	v_add_co_ci_u32_e64 v29, null, v24, v7, vcc_lo
	global_store_b64 v[28:29], v[12:13], off
.LBB224_37:                             ;   in Loop: Header=BB224_8 Depth=1
	s_wait_alu 0xfffe
	s_or_b32 exec_lo, exec_lo, s2
	s_and_saveexec_b32 s2, s1
	s_cbranch_execz .LBB224_7
; %bb.38:                               ;   in Loop: Header=BB224_8 Depth=1
	v_mul_f32_e32 v13, s6, v26
	v_mul_f32_e32 v12, s7, v26
	s_and_not1_b32 vcc_lo, exec_lo, s14
	s_mov_b32 s3, -1
	s_delay_alu instid0(VALU_DEP_2) | instskip(NEXT) | instid1(VALU_DEP_2)
	v_fmac_f32_e32 v13, s7, v27
	v_fma_f32 v12, v27, s6, -v12
	s_wait_alu 0xfffe
	s_cbranch_vccnz .LBB224_40
; %bb.39:                               ;   in Loop: Header=BB224_8 Depth=1
	v_add_co_u32 v25, vcc_lo, v0, v8
	s_wait_alu 0xfffd
	v_add_co_ci_u32_e64 v26, null, v24, v9, vcc_lo
	s_mov_b32 s3, 0
	global_load_b64 v[27:28], v[25:26], off
	s_wait_loadcnt 0x0
	v_mul_f32_e32 v29, s21, v28
	v_mul_f32_e32 v28, s20, v28
	s_delay_alu instid0(VALU_DEP_1) | instskip(NEXT) | instid1(VALU_DEP_3)
	v_fmac_f32_e32 v28, s21, v27
	v_fma_f32 v29, v27, s20, -v29
	s_delay_alu instid0(VALU_DEP_1)
	v_dual_add_f32 v28, v13, v28 :: v_dual_add_f32 v27, v12, v29
	global_store_b64 v[25:26], v[27:28], off
.LBB224_40:                             ;   in Loop: Header=BB224_8 Depth=1
	s_wait_alu 0xfffe
	s_and_not1_b32 vcc_lo, exec_lo, s3
	s_wait_alu 0xfffe
	s_cbranch_vccnz .LBB224_7
; %bb.41:                               ;   in Loop: Header=BB224_8 Depth=1
	v_add_co_u32 v25, vcc_lo, v0, v8
	s_wait_alu 0xfffd
	v_add_co_ci_u32_e64 v26, null, v24, v9, vcc_lo
	global_store_b64 v[25:26], v[12:13], off
	s_branch .LBB224_7
.LBB224_42:
	s_endpgm
	.section	.rodata,"a",@progbits
	.p2align	6, 0x0
	.amdhsa_kernel _ZL29rocblas_internal_gemmt_kernelIlLi16ELi32ELi8ELc67ELc67ELc85ELb1ELb1E19rocblas_complex_numIfEPKS1_S3_PS1_EviT_T9_T10_S5_lS7_S5_lS6_T11_S5_li
		.amdhsa_group_segment_fixed_size 4096
		.amdhsa_private_segment_fixed_size 0
		.amdhsa_kernarg_size 108
		.amdhsa_user_sgpr_count 2
		.amdhsa_user_sgpr_dispatch_ptr 0
		.amdhsa_user_sgpr_queue_ptr 0
		.amdhsa_user_sgpr_kernarg_segment_ptr 1
		.amdhsa_user_sgpr_dispatch_id 0
		.amdhsa_user_sgpr_private_segment_size 0
		.amdhsa_wavefront_size32 1
		.amdhsa_uses_dynamic_stack 0
		.amdhsa_enable_private_segment 0
		.amdhsa_system_sgpr_workgroup_id_x 1
		.amdhsa_system_sgpr_workgroup_id_y 1
		.amdhsa_system_sgpr_workgroup_id_z 1
		.amdhsa_system_sgpr_workgroup_info 0
		.amdhsa_system_vgpr_workitem_id 1
		.amdhsa_next_free_vgpr 71
		.amdhsa_next_free_sgpr 36
		.amdhsa_reserve_vcc 1
		.amdhsa_float_round_mode_32 0
		.amdhsa_float_round_mode_16_64 0
		.amdhsa_float_denorm_mode_32 3
		.amdhsa_float_denorm_mode_16_64 3
		.amdhsa_fp16_overflow 0
		.amdhsa_workgroup_processor_mode 1
		.amdhsa_memory_ordered 1
		.amdhsa_forward_progress 1
		.amdhsa_inst_pref_size 26
		.amdhsa_round_robin_scheduling 0
		.amdhsa_exception_fp_ieee_invalid_op 0
		.amdhsa_exception_fp_denorm_src 0
		.amdhsa_exception_fp_ieee_div_zero 0
		.amdhsa_exception_fp_ieee_overflow 0
		.amdhsa_exception_fp_ieee_underflow 0
		.amdhsa_exception_fp_ieee_inexact 0
		.amdhsa_exception_int_div_zero 0
	.end_amdhsa_kernel
	.section	.text._ZL29rocblas_internal_gemmt_kernelIlLi16ELi32ELi8ELc67ELc67ELc85ELb1ELb1E19rocblas_complex_numIfEPKS1_S3_PS1_EviT_T9_T10_S5_lS7_S5_lS6_T11_S5_li,"axG",@progbits,_ZL29rocblas_internal_gemmt_kernelIlLi16ELi32ELi8ELc67ELc67ELc85ELb1ELb1E19rocblas_complex_numIfEPKS1_S3_PS1_EviT_T9_T10_S5_lS7_S5_lS6_T11_S5_li,comdat
.Lfunc_end224:
	.size	_ZL29rocblas_internal_gemmt_kernelIlLi16ELi32ELi8ELc67ELc67ELc85ELb1ELb1E19rocblas_complex_numIfEPKS1_S3_PS1_EviT_T9_T10_S5_lS7_S5_lS6_T11_S5_li, .Lfunc_end224-_ZL29rocblas_internal_gemmt_kernelIlLi16ELi32ELi8ELc67ELc67ELc85ELb1ELb1E19rocblas_complex_numIfEPKS1_S3_PS1_EviT_T9_T10_S5_lS7_S5_lS6_T11_S5_li
                                        ; -- End function
	.set _ZL29rocblas_internal_gemmt_kernelIlLi16ELi32ELi8ELc67ELc67ELc85ELb1ELb1E19rocblas_complex_numIfEPKS1_S3_PS1_EviT_T9_T10_S5_lS7_S5_lS6_T11_S5_li.num_vgpr, 71
	.set _ZL29rocblas_internal_gemmt_kernelIlLi16ELi32ELi8ELc67ELc67ELc85ELb1ELb1E19rocblas_complex_numIfEPKS1_S3_PS1_EviT_T9_T10_S5_lS7_S5_lS6_T11_S5_li.num_agpr, 0
	.set _ZL29rocblas_internal_gemmt_kernelIlLi16ELi32ELi8ELc67ELc67ELc85ELb1ELb1E19rocblas_complex_numIfEPKS1_S3_PS1_EviT_T9_T10_S5_lS7_S5_lS6_T11_S5_li.numbered_sgpr, 36
	.set _ZL29rocblas_internal_gemmt_kernelIlLi16ELi32ELi8ELc67ELc67ELc85ELb1ELb1E19rocblas_complex_numIfEPKS1_S3_PS1_EviT_T9_T10_S5_lS7_S5_lS6_T11_S5_li.num_named_barrier, 0
	.set _ZL29rocblas_internal_gemmt_kernelIlLi16ELi32ELi8ELc67ELc67ELc85ELb1ELb1E19rocblas_complex_numIfEPKS1_S3_PS1_EviT_T9_T10_S5_lS7_S5_lS6_T11_S5_li.private_seg_size, 0
	.set _ZL29rocblas_internal_gemmt_kernelIlLi16ELi32ELi8ELc67ELc67ELc85ELb1ELb1E19rocblas_complex_numIfEPKS1_S3_PS1_EviT_T9_T10_S5_lS7_S5_lS6_T11_S5_li.uses_vcc, 1
	.set _ZL29rocblas_internal_gemmt_kernelIlLi16ELi32ELi8ELc67ELc67ELc85ELb1ELb1E19rocblas_complex_numIfEPKS1_S3_PS1_EviT_T9_T10_S5_lS7_S5_lS6_T11_S5_li.uses_flat_scratch, 0
	.set _ZL29rocblas_internal_gemmt_kernelIlLi16ELi32ELi8ELc67ELc67ELc85ELb1ELb1E19rocblas_complex_numIfEPKS1_S3_PS1_EviT_T9_T10_S5_lS7_S5_lS6_T11_S5_li.has_dyn_sized_stack, 0
	.set _ZL29rocblas_internal_gemmt_kernelIlLi16ELi32ELi8ELc67ELc67ELc85ELb1ELb1E19rocblas_complex_numIfEPKS1_S3_PS1_EviT_T9_T10_S5_lS7_S5_lS6_T11_S5_li.has_recursion, 0
	.set _ZL29rocblas_internal_gemmt_kernelIlLi16ELi32ELi8ELc67ELc67ELc85ELb1ELb1E19rocblas_complex_numIfEPKS1_S3_PS1_EviT_T9_T10_S5_lS7_S5_lS6_T11_S5_li.has_indirect_call, 0
	.section	.AMDGPU.csdata,"",@progbits
; Kernel info:
; codeLenInByte = 3292
; TotalNumSgprs: 38
; NumVgprs: 71
; ScratchSize: 0
; MemoryBound: 0
; FloatMode: 240
; IeeeMode: 1
; LDSByteSize: 4096 bytes/workgroup (compile time only)
; SGPRBlocks: 0
; VGPRBlocks: 8
; NumSGPRsForWavesPerEU: 38
; NumVGPRsForWavesPerEU: 71
; Occupancy: 16
; WaveLimiterHint : 0
; COMPUTE_PGM_RSRC2:SCRATCH_EN: 0
; COMPUTE_PGM_RSRC2:USER_SGPR: 2
; COMPUTE_PGM_RSRC2:TRAP_HANDLER: 0
; COMPUTE_PGM_RSRC2:TGID_X_EN: 1
; COMPUTE_PGM_RSRC2:TGID_Y_EN: 1
; COMPUTE_PGM_RSRC2:TGID_Z_EN: 1
; COMPUTE_PGM_RSRC2:TIDIG_COMP_CNT: 1
	.section	.text._ZL29rocblas_internal_gemmt_kernelIlLi16ELi32ELi8ELc78ELc78ELc76ELb0ELb0E19rocblas_complex_numIfEPKS1_S3_PS1_EviT_T9_T10_S5_lS7_S5_lS6_T11_S5_li,"axG",@progbits,_ZL29rocblas_internal_gemmt_kernelIlLi16ELi32ELi8ELc78ELc78ELc76ELb0ELb0E19rocblas_complex_numIfEPKS1_S3_PS1_EviT_T9_T10_S5_lS7_S5_lS6_T11_S5_li,comdat
	.globl	_ZL29rocblas_internal_gemmt_kernelIlLi16ELi32ELi8ELc78ELc78ELc76ELb0ELb0E19rocblas_complex_numIfEPKS1_S3_PS1_EviT_T9_T10_S5_lS7_S5_lS6_T11_S5_li ; -- Begin function _ZL29rocblas_internal_gemmt_kernelIlLi16ELi32ELi8ELc78ELc78ELc76ELb0ELb0E19rocblas_complex_numIfEPKS1_S3_PS1_EviT_T9_T10_S5_lS7_S5_lS6_T11_S5_li
	.p2align	8
	.type	_ZL29rocblas_internal_gemmt_kernelIlLi16ELi32ELi8ELc78ELc78ELc76ELb0ELb0E19rocblas_complex_numIfEPKS1_S3_PS1_EviT_T9_T10_S5_lS7_S5_lS6_T11_S5_li,@function
_ZL29rocblas_internal_gemmt_kernelIlLi16ELi32ELi8ELc78ELc78ELc76ELb0ELb0E19rocblas_complex_numIfEPKS1_S3_PS1_EviT_T9_T10_S5_lS7_S5_lS6_T11_S5_li: ; @_ZL29rocblas_internal_gemmt_kernelIlLi16ELi32ELi8ELc78ELc78ELc76ELb0ELb0E19rocblas_complex_numIfEPKS1_S3_PS1_EviT_T9_T10_S5_lS7_S5_lS6_T11_S5_li
; %bb.0:
	s_load_b256 s[24:31], s[0:1], 0x48
	s_wait_kmcnt 0x0
	s_load_b64 s[6:7], s[24:25], 0x0
	s_load_b512 s[8:23], s[0:1], 0x8
	s_wait_kmcnt 0x0
	s_cmp_eq_f32 s6, 1.0
	s_load_b64 s[10:11], s[10:11], 0x0
	s_cselect_b32 s2, -1, 0
	s_and_b32 s3, s7, 0x7fffffff
	s_delay_alu instid0(SALU_CYCLE_1) | instskip(SKIP_1) | instid1(SALU_CYCLE_1)
	s_cmp_eq_u32 s3, 0
	s_cselect_b32 s33, -1, 0
	s_and_b32 s3, s2, s33
	s_mov_b32 s2, 0
	s_and_not1_b32 vcc_lo, exec_lo, s3
	s_mov_b32 s3, -1
	s_cbranch_vccnz .LBB225_4
; %bb.1:
	s_cmp_lg_u64 s[8:9], 0
	s_cbranch_scc0 .LBB225_3
; %bb.2:
	s_wait_kmcnt 0x0
	s_cmp_neq_f32 s10, 0
	s_cselect_b32 s2, -1, 0
	s_cmp_neq_f32 s11, 0
	s_cselect_b32 s3, -1, 0
	s_delay_alu instid0(SALU_CYCLE_1)
	s_or_b32 s2, s2, s3
.LBB225_3:
	s_delay_alu instid0(SALU_CYCLE_1)
	s_mov_b32 s3, s2
.LBB225_4:
	s_delay_alu instid0(SALU_CYCLE_1)
	s_and_b32 vcc_lo, exec_lo, s3
	s_cbranch_vccz .LBB225_42
; %bb.5:
	s_load_b32 s5, s[0:1], 0x68
	s_lshr_b32 s24, ttmp7, 16
	s_wait_kmcnt 0x0
	s_cmp_ge_u32 s24, s5
	s_cbranch_scc1 .LBB225_42
; %bb.6:
	v_and_b32_e32 v10, 0x3ff, v0
	v_bfe_u32 v11, v0, 10, 10
	s_load_b32 s4, s[0:1], 0x0
	s_lshl_b32 s1, ttmp7, 5
	v_and_b32_e32 v14, 7, v0
	s_and_b32 s1, s1, 0x1fffe0
	v_lshl_add_u32 v2, v11, 4, v10
	v_add_nc_u32_e32 v13, s1, v11
	s_lshl_b32 s0, ttmp9, 5
	s_cmp_neq_f32 s10, 0
	v_lshl_add_u32 v23, v11, 6, 0x800
	v_lshrrev_b32_e32 v5, 3, v2
	v_lshrrev_b32_e32 v15, 5, v2
	v_and_b32_e32 v16, 31, v2
	v_mad_co_u64_u32 v[2:3], null, s28, v13, 0
	s_delay_alu instid0(VALU_DEP_4)
	v_add_nc_u32_e32 v12, s1, v5
	v_lshlrev_b32_e32 v9, 3, v14
	s_wait_alu 0xfffe
	v_or_b32_e32 v4, s0, v16
	s_cselect_b32 s1, -1, 0
	s_cmp_neq_f32 s11, 0
	v_mad_co_u64_u32 v[0:1], null, s20, v12, 0
	v_lshl_or_b32 v17, v5, 6, v9
	v_ashrrev_i32_e32 v5, 31, v4
	s_wait_kmcnt 0x0
	v_cmp_le_i32_e64 s20, s4, v4
	v_add_nc_u32_e32 v24, 16, v13
	s_cselect_b32 s2, -1, 0
	v_cmp_gt_i64_e64 s34, s[8:9], 0
	v_mad_co_u64_u32 v[7:8], null, s21, v12, v[1:2]
	s_wait_alu 0xfffe
	s_or_b32 s35, s1, s2
	v_mad_co_u64_u32 v[8:9], null, s28, v24, 0
	s_cmp_neq_f32 s6, 0
	v_add_nc_u32_e32 v17, 0x800, v17
	s_mov_b32 s25, 0
	v_dual_mov_b32 v1, v7 :: v_dual_add_nc_u32 v6, s0, v10
	v_cmp_gt_i32_e64 s0, s4, v4
	v_lshlrev_b64_e32 v[4:5], 3, v[4:5]
	v_lshlrev_b32_e32 v22, 3, v10
	s_delay_alu instid0(VALU_DEP_4) | instskip(NEXT) | instid1(VALU_DEP_3)
	v_lshlrev_b64_e32 v[0:1], 3, v[0:1]
	v_add_co_u32 v18, s1, s12, v4
	s_wait_alu 0xf1ff
	s_delay_alu instid0(VALU_DEP_4) | instskip(NEXT) | instid1(VALU_DEP_3)
	v_add_co_ci_u32_e64 v19, null, s13, v5, s1
	v_add_co_u32 v20, s1, s18, v0
	v_mov_b32_e32 v0, v3
	s_wait_alu 0xf1ff
	v_add_co_ci_u32_e64 v21, null, s19, v1, s1
	s_cselect_b32 s19, -1, 0
	s_xor_b32 s21, s33, -1
	v_mad_co_u64_u32 v[0:1], null, s29, v13, v[0:1]
	v_mov_b32_e32 v1, v9
	s_and_b32 s18, s35, s34
	s_wait_alu 0xfffe
	s_or_b32 s19, s19, s21
	s_delay_alu instid0(VALU_DEP_1) | instskip(NEXT) | instid1(VALU_DEP_3)
	v_mad_co_u64_u32 v[4:5], null, s29, v24, v[1:2]
	v_mov_b32_e32 v3, v0
	v_cmp_gt_i32_e32 vcc_lo, s4, v12
	v_dual_mov_b32 v1, 0 :: v_dual_lshlrev_b32 v16, 3, v16
	s_delay_alu instid0(VALU_DEP_3) | instskip(SKIP_4) | instid1(VALU_DEP_4)
	v_lshlrev_b64_e32 v[2:3], 3, v[2:3]
	v_dual_mov_b32 v9, v4 :: v_dual_add_nc_u32 v10, 16, v6
	v_cmp_le_i32_e64 s1, v13, v6
	v_cmp_gt_i32_e64 s2, s4, v6
	v_ashrrev_i32_e32 v7, 31, v6
	v_lshlrev_b64_e32 v[4:5], 3, v[8:9]
	v_cmp_le_i32_e64 s3, v13, v10
	v_cmp_gt_i32_e64 s4, s4, v10
	v_ashrrev_i32_e32 v11, 31, v10
	s_and_b32 s12, s1, s2
	v_cmp_le_i32_e64 s1, v24, v6
	v_lshlrev_b64_e32 v[6:7], 3, v[6:7]
	s_and_b32 s13, s3, s4
	v_cmp_le_i32_e64 s3, v24, v10
	v_lshlrev_b64_e32 v[8:9], 3, v[10:11]
	v_lshl_or_b32 v16, v15, 8, v16
	s_and_b32 s1, s1, s2
	s_xor_b32 s21, vcc_lo, -1
	s_and_b32 s4, s3, s4
                                        ; implicit-def: $vgpr10_vgpr11
	s_branch .LBB225_8
.LBB225_7:                              ;   in Loop: Header=BB225_8 Depth=1
	s_wait_alu 0xfffe
	s_or_b32 exec_lo, exec_lo, s2
	s_add_co_i32 s24, s24, 0x10000
	s_delay_alu instid0(SALU_CYCLE_1)
	s_cmp_lt_u32 s24, s5
	s_cbranch_scc0 .LBB225_42
.LBB225_8:                              ; =>This Loop Header: Depth=1
                                        ;     Child Loop BB225_11 Depth 2
	s_and_not1_b32 vcc_lo, exec_lo, s18
	s_wait_alu 0xfffe
	s_cbranch_vccnz .LBB225_21
; %bb.9:                                ;   in Loop: Header=BB225_8 Depth=1
	s_mul_u64 s[2:3], s[16:17], s[24:25]
	s_mul_u64 s[28:29], s[22:23], s[24:25]
	s_wait_alu 0xfffe
	s_lshl_b64 s[2:3], s[2:3], 3
	v_dual_mov_b32 v26, 0 :: v_dual_mov_b32 v27, 0
	s_wait_alu 0xfffe
	v_add_co_u32 v12, vcc_lo, v18, s2
	s_wait_alu 0xfffd
	v_add_co_ci_u32_e64 v13, null, s3, v19, vcc_lo
	s_lshl_b64 s[2:3], s[28:29], 3
	v_dual_mov_b32 v29, 0 :: v_dual_mov_b32 v28, 0
	s_wait_alu 0xfffe
	v_add_co_u32 v24, vcc_lo, v20, s2
	s_wait_alu 0xfffd
	v_add_co_ci_u32_e64 v25, null, s3, v21, vcc_lo
	v_dual_mov_b32 v31, 0 :: v_dual_mov_b32 v30, 0
	v_dual_mov_b32 v33, 0 :: v_dual_mov_b32 v32, 0
	s_mov_b64 s[2:3], 0
	s_branch .LBB225_11
.LBB225_10:                             ;   in Loop: Header=BB225_11 Depth=2
	s_wait_alu 0xfffe
	s_or_b32 exec_lo, exec_lo, s28
	s_wait_dscnt 0x0
	s_barrier_signal -1
	s_barrier_wait -1
	global_inv scope:SCOPE_SE
	ds_load_b128 v[34:37], v23
	ds_load_2addr_b64 v[38:41], v22 offset1:16
	ds_load_b128 v[42:45], v23 offset:1024
	ds_load_b128 v[46:49], v23 offset:16
	;; [unrolled: 1-line block ×4, first 2 shown]
	ds_load_2addr_b64 v[58:61], v22 offset0:32 offset1:48
	ds_load_b128 v[62:65], v23 offset:1040
	s_add_nc_u64 s[2:3], s[2:3], 8
	s_wait_alu 0xfffe
	v_cmp_gt_i64_e64 s28, s[8:9], s[2:3]
	s_and_b32 vcc_lo, exec_lo, s28
	s_wait_dscnt 0x6
	v_mul_f32_e32 v0, v35, v39
	v_dual_mul_f32 v66, v34, v39 :: v_dual_mul_f32 v67, v35, v41
	s_wait_dscnt 0x5
	v_dual_mul_f32 v68, v34, v41 :: v_dual_mul_f32 v69, v43, v39
	v_dual_mul_f32 v39, v42, v39 :: v_dual_mul_f32 v70, v43, v41
	v_mul_f32_e32 v41, v42, v41
	v_fma_f32 v0, v34, v38, -v0
	v_fma_f32 v34, v34, v40, -v67
	v_fmac_f32_e32 v68, v35, v40
	v_fmac_f32_e32 v39, v43, v38
	;; [unrolled: 1-line block ×3, first 2 shown]
	v_add_f32_e32 v0, v32, v0
	v_fmac_f32_e32 v66, v35, v38
	v_fma_f32 v35, v42, v38, -v69
	v_fma_f32 v38, v42, v40, -v70
	v_add_f32_e32 v26, v26, v41
	s_delay_alu instid0(VALU_DEP_4) | instskip(NEXT) | instid1(VALU_DEP_4)
	v_add_f32_e32 v32, v33, v66
	v_dual_add_f32 v33, v30, v34 :: v_dual_add_f32 v34, v28, v35
	v_add_f32_e32 v35, v29, v39
	s_wait_dscnt 0x1
	v_dual_mul_f32 v39, v37, v59 :: v_dual_add_f32 v38, v27, v38
	ds_load_2addr_b64 v[27:30], v22 offset0:64 offset1:80
	v_mul_f32_e32 v42, v37, v61
	v_mul_f32_e32 v41, v36, v61
	;; [unrolled: 1-line block ×3, first 2 shown]
	v_fma_f32 v39, v36, v58, -v39
	v_add_f32_e32 v31, v31, v68
	v_fma_f32 v36, v36, v60, -v42
	s_delay_alu instid0(VALU_DEP_3) | instskip(SKIP_1) | instid1(VALU_DEP_3)
	v_add_f32_e32 v0, v0, v39
	v_mul_f32_e32 v39, v45, v59
	v_add_f32_e32 v36, v33, v36
	v_fmac_f32_e32 v41, v37, v60
	v_fmac_f32_e32 v40, v37, v58
	v_mul_f32_e32 v37, v45, v61
	v_fma_f32 v33, v44, v58, -v39
	s_delay_alu instid0(VALU_DEP_4) | instskip(NEXT) | instid1(VALU_DEP_3)
	v_add_f32_e32 v39, v31, v41
	v_fma_f32 v31, v44, v60, -v37
	v_mul_f32_e32 v41, v44, v61
	s_wait_dscnt 0x0
	v_mul_f32_e32 v37, v46, v28
	v_add_f32_e32 v40, v32, v40
	v_add_f32_e32 v38, v38, v31
	v_dual_mul_f32 v32, v44, v59 :: v_dual_fmac_f32 v41, v45, v60
	v_mul_f32_e32 v44, v47, v30
	s_delay_alu instid0(VALU_DEP_2) | instskip(NEXT) | instid1(VALU_DEP_3)
	v_dual_fmac_f32 v37, v47, v27 :: v_dual_fmac_f32 v32, v45, v58
	v_add_f32_e32 v41, v26, v41
	v_dual_add_f32 v42, v34, v33 :: v_dual_mul_f32 v33, v47, v28
	s_delay_alu instid0(VALU_DEP_3) | instskip(NEXT) | instid1(VALU_DEP_4)
	v_dual_mul_f32 v26, v46, v30 :: v_dual_add_f32 v37, v40, v37
	v_add_f32_e32 v35, v35, v32
	s_delay_alu instid0(VALU_DEP_3) | instskip(SKIP_4) | instid1(VALU_DEP_1)
	v_fma_f32 v43, v46, v27, -v33
	ds_load_2addr_b64 v[31:34], v22 offset0:96 offset1:112
	v_fmac_f32_e32 v26, v47, v29
	v_add_f32_e32 v0, v0, v43
	v_fma_f32 v43, v46, v29, -v44
	v_dual_add_f32 v39, v39, v26 :: v_dual_add_f32 v36, v36, v43
	v_mul_f32_e32 v43, v63, v30
	v_mul_f32_e32 v30, v62, v30
	s_delay_alu instid0(VALU_DEP_2) | instskip(SKIP_1) | instid1(VALU_DEP_3)
	v_fma_f32 v26, v62, v29, -v43
	v_mul_f32_e32 v40, v63, v28
	v_fmac_f32_e32 v30, v63, v29
	s_wait_dscnt 0x0
	v_dual_mul_f32 v28, v62, v28 :: v_dual_mul_f32 v47, v65, v34
	v_add_f32_e32 v43, v38, v26
	v_fma_f32 v40, v62, v27, -v40
	v_dual_mul_f32 v38, v48, v32 :: v_dual_add_f32 v41, v41, v30
	s_delay_alu instid0(VALU_DEP_4) | instskip(SKIP_1) | instid1(VALU_DEP_3)
	v_fmac_f32_e32 v28, v63, v27
	v_mul_f32_e32 v30, v48, v34
	v_fmac_f32_e32 v38, v49, v31
	v_add_f32_e32 v40, v42, v40
	s_delay_alu instid0(VALU_DEP_4)
	v_add_f32_e32 v42, v35, v28
	ds_load_2addr_b64 v[26:29], v22 offset0:128 offset1:144
	v_mul_f32_e32 v35, v49, v32
	v_mul_f32_e32 v44, v49, v34
	v_fmac_f32_e32 v30, v49, v33
	v_mul_f32_e32 v34, v64, v34
	s_delay_alu instid0(VALU_DEP_4)
	v_fma_f32 v35, v48, v31, -v35
	s_wait_dscnt 0x0
	v_mul_f32_e32 v49, v50, v27
	v_fma_f32 v44, v48, v33, -v44
	v_add_f32_e32 v48, v39, v30
	v_fma_f32 v30, v64, v33, -v47
	s_delay_alu instid0(VALU_DEP_4) | instskip(NEXT) | instid1(VALU_DEP_4)
	v_fmac_f32_e32 v49, v51, v26
	v_dual_add_f32 v45, v37, v38 :: v_dual_add_f32 v44, v36, v44
	s_delay_alu instid0(VALU_DEP_3) | instskip(SKIP_1) | instid1(VALU_DEP_3)
	v_dual_add_f32 v43, v43, v30 :: v_dual_add_f32 v0, v0, v35
	v_mul_f32_e32 v35, v65, v32
	v_dual_mul_f32 v32, v64, v32 :: v_dual_add_f32 v45, v45, v49
	s_delay_alu instid0(VALU_DEP_2) | instskip(SKIP_3) | instid1(VALU_DEP_2)
	v_fma_f32 v46, v64, v31, -v35
	ds_load_b128 v[35:38], v23 offset:1056
	v_fmac_f32_e32 v32, v65, v31
	v_dual_mul_f32 v31, v51, v27 :: v_dual_fmac_f32 v34, v65, v33
	v_add_f32_e32 v47, v42, v32
	s_delay_alu instid0(VALU_DEP_2)
	v_fma_f32 v39, v50, v26, -v31
	ds_load_2addr_b64 v[30:33], v22 offset0:160 offset1:176
	v_add_f32_e32 v46, v40, v46
	v_mul_f32_e32 v40, v51, v29
	v_add_f32_e32 v34, v41, v34
	v_add_f32_e32 v0, v0, v39
	s_delay_alu instid0(VALU_DEP_3) | instskip(SKIP_4) | instid1(VALU_DEP_2)
	v_fma_f32 v58, v50, v28, -v40
	ds_load_b128 v[39:42], v23 offset:1072
	s_wait_dscnt 0x2
	v_dual_mul_f32 v50, v50, v29 :: v_dual_mul_f32 v59, v36, v27
	v_mul_f32_e32 v27, v35, v27
	v_dual_fmac_f32 v50, v51, v28 :: v_dual_mul_f32 v51, v36, v29
	s_delay_alu instid0(VALU_DEP_3) | instskip(NEXT) | instid1(VALU_DEP_3)
	v_fma_f32 v49, v35, v26, -v59
	v_fmac_f32_e32 v27, v36, v26
	s_delay_alu instid0(VALU_DEP_3) | instskip(SKIP_2) | instid1(VALU_DEP_4)
	v_add_f32_e32 v48, v48, v50
	v_mul_f32_e32 v50, v35, v29
	v_fma_f32 v26, v35, v28, -v51
	v_add_f32_e32 v35, v47, v27
	s_wait_dscnt 0x1
	s_delay_alu instid0(VALU_DEP_3) | instskip(NEXT) | instid1(VALU_DEP_3)
	v_dual_mul_f32 v47, v53, v31 :: v_dual_fmac_f32 v50, v36, v28
	v_add_f32_e32 v43, v43, v26
	ds_load_2addr_b64 v[26:29], v22 offset0:192 offset1:208
	v_mul_f32_e32 v36, v52, v31
	v_add_f32_e32 v46, v46, v49
	v_fma_f32 v47, v52, v30, -v47
	v_mul_f32_e32 v49, v53, v33
	s_delay_alu instid0(VALU_DEP_4) | instskip(NEXT) | instid1(VALU_DEP_3)
	v_fmac_f32_e32 v36, v53, v30
	v_add_f32_e32 v0, v0, v47
	s_delay_alu instid0(VALU_DEP_3) | instskip(NEXT) | instid1(VALU_DEP_3)
	v_fma_f32 v47, v52, v32, -v49
	v_dual_add_f32 v45, v45, v36 :: v_dual_mul_f32 v36, v38, v31
	v_mul_f32_e32 v31, v37, v31
	s_delay_alu instid0(VALU_DEP_2) | instskip(NEXT) | instid1(VALU_DEP_2)
	v_fma_f32 v36, v37, v30, -v36
	v_fmac_f32_e32 v31, v38, v30
	v_add_f32_e32 v44, v44, v58
	s_delay_alu instid0(VALU_DEP_2) | instskip(NEXT) | instid1(VALU_DEP_2)
	v_dual_mul_f32 v30, v37, v33 :: v_dual_add_f32 v31, v35, v31
	v_dual_add_f32 v44, v44, v47 :: v_dual_mul_f32 v47, v38, v33
	v_add_f32_e32 v50, v34, v50
	v_mul_f32_e32 v34, v52, v33
	s_delay_alu instid0(VALU_DEP_4) | instskip(NEXT) | instid1(VALU_DEP_4)
	v_fmac_f32_e32 v30, v38, v32
	v_fma_f32 v33, v37, v32, -v47
	s_wait_dscnt 0x0
	s_delay_alu instid0(VALU_DEP_3) | instskip(NEXT) | instid1(VALU_DEP_2)
	v_dual_mul_f32 v47, v40, v27 :: v_dual_fmac_f32 v34, v53, v32
	v_dual_add_f32 v32, v43, v33 :: v_dual_mul_f32 v33, v54, v27
	v_mul_f32_e32 v43, v55, v29
	s_delay_alu instid0(VALU_DEP_2) | instskip(NEXT) | instid1(VALU_DEP_2)
	v_dual_fmac_f32 v33, v55, v26 :: v_dual_add_f32 v46, v46, v36
	v_fma_f32 v43, v54, v28, -v43
	s_delay_alu instid0(VALU_DEP_2) | instskip(SKIP_3) | instid1(VALU_DEP_3)
	v_dual_add_f32 v33, v45, v33 :: v_dual_add_f32 v48, v48, v34
	v_mul_f32_e32 v34, v55, v27
	v_mul_f32_e32 v27, v39, v27
	;; [unrolled: 1-line block ×3, first 2 shown]
	v_fma_f32 v38, v54, v26, -v34
	ds_load_2addr_b64 v[34:37], v22 offset0:224 offset1:240
	v_fmac_f32_e32 v27, v40, v26
	v_add_f32_e32 v30, v50, v30
	s_wait_loadcnt_dscnt 0x0
	v_add_f32_e32 v0, v0, v38
	s_barrier_signal -1
	v_dual_add_f32 v27, v31, v27 :: v_dual_mul_f32 v38, v54, v29
	v_mul_f32_e32 v29, v39, v29
	s_barrier_wait -1
	global_inv scope:SCOPE_SE
	v_fmac_f32_e32 v38, v55, v28
	v_fmac_f32_e32 v29, v40, v28
	s_delay_alu instid0(VALU_DEP_1) | instskip(SKIP_2) | instid1(VALU_DEP_2)
	v_add_f32_e32 v40, v30, v29
	v_mul_f32_e32 v29, v56, v37
	v_mul_f32_e32 v31, v57, v35
	v_fmac_f32_e32 v29, v57, v36
	v_add_f32_e32 v43, v44, v43
	v_fma_f32 v44, v39, v26, -v47
	v_fma_f32 v39, v39, v28, -v45
	;; [unrolled: 1-line block ×3, first 2 shown]
	s_delay_alu instid0(VALU_DEP_2) | instskip(SKIP_1) | instid1(VALU_DEP_2)
	v_dual_add_f32 v39, v32, v39 :: v_dual_mul_f32 v32, v57, v37
	v_mul_f32_e32 v28, v56, v35
	v_fma_f32 v30, v56, v36, -v32
	s_delay_alu instid0(VALU_DEP_4) | instskip(SKIP_1) | instid1(VALU_DEP_4)
	v_add_f32_e32 v32, v0, v31
	v_mul_f32_e32 v0, v42, v35
	v_fmac_f32_e32 v28, v57, v34
	s_delay_alu instid0(VALU_DEP_4) | instskip(SKIP_1) | instid1(VALU_DEP_4)
	v_dual_mul_f32 v35, v41, v35 :: v_dual_add_f32 v30, v43, v30
	v_mul_f32_e32 v43, v42, v37
	v_fma_f32 v0, v41, v34, -v0
	v_dual_mul_f32 v37, v41, v37 :: v_dual_add_f32 v26, v48, v38
	v_add_f32_e32 v38, v46, v44
	v_add_f32_e32 v33, v33, v28
	v_fmac_f32_e32 v35, v42, v34
	s_delay_alu instid0(VALU_DEP_4) | instskip(SKIP_3) | instid1(VALU_DEP_4)
	v_fmac_f32_e32 v37, v42, v36
	v_add_f32_e32 v31, v26, v29
	v_add_f32_e32 v28, v38, v0
	v_fma_f32 v0, v41, v36, -v43
	v_dual_add_f32 v29, v27, v35 :: v_dual_add_f32 v26, v40, v37
	s_delay_alu instid0(VALU_DEP_2)
	v_add_f32_e32 v27, v39, v0
	s_wait_alu 0xfffe
	s_cbranch_vccz .LBB225_22
.LBB225_11:                             ;   Parent Loop BB225_8 Depth=1
                                        ; =>  This Inner Loop Header: Depth=2
	s_mov_b32 s28, 0
	s_mov_b32 s33, s20
	s_and_saveexec_b32 s29, s0
	s_cbranch_execnz .LBB225_19
; %bb.12:                               ;   in Loop: Header=BB225_11 Depth=2
	s_wait_alu 0xfffe
	s_or_b32 exec_lo, exec_lo, s29
	s_and_saveexec_b32 s29, s33
	s_wait_alu 0xfffe
	s_xor_b32 s29, exec_lo, s29
	s_cbranch_execnz .LBB225_20
.LBB225_13:                             ;   in Loop: Header=BB225_11 Depth=2
	s_wait_alu 0xfffe
	s_or_b32 exec_lo, exec_lo, s29
	s_and_saveexec_b32 s29, s28
	s_cbranch_execz .LBB225_15
.LBB225_14:                             ;   in Loop: Header=BB225_11 Depth=2
	v_mul_lo_u32 v0, s15, v10
	v_mul_lo_u32 v36, s14, v11
	v_mad_co_u64_u32 v[34:35], null, s14, v10, 0
	s_delay_alu instid0(VALU_DEP_1) | instskip(NEXT) | instid1(VALU_DEP_1)
	v_add3_u32 v35, v35, v36, v0
	v_lshlrev_b64_e32 v[34:35], 3, v[34:35]
	s_delay_alu instid0(VALU_DEP_1) | instskip(SKIP_1) | instid1(VALU_DEP_2)
	v_add_co_u32 v34, vcc_lo, v12, v34
	s_wait_alu 0xfffd
	v_add_co_ci_u32_e64 v35, null, v13, v35, vcc_lo
	global_load_b64 v[34:35], v[34:35], off
	s_wait_loadcnt 0x0
	ds_store_b64 v16, v[34:35]
.LBB225_15:                             ;   in Loop: Header=BB225_11 Depth=2
	s_wait_alu 0xfffe
	s_or_b32 exec_lo, exec_lo, s29
	v_add_nc_u32_e32 v0, s2, v14
	s_delay_alu instid0(VALU_DEP_1)
	v_cmp_le_u64_e32 vcc_lo, s[8:9], v[0:1]
	s_or_b32 s28, vcc_lo, s21
	s_wait_alu 0xfffe
	s_and_saveexec_b32 s29, s28
	s_wait_alu 0xfffe
	s_xor_b32 s28, exec_lo, s29
; %bb.16:                               ;   in Loop: Header=BB225_11 Depth=2
	v_mov_b32_e32 v0, v1
	ds_store_b64 v17, v[0:1]
; %bb.17:                               ;   in Loop: Header=BB225_11 Depth=2
	s_wait_alu 0xfffe
	s_and_not1_saveexec_b32 s28, s28
	s_cbranch_execz .LBB225_10
; %bb.18:                               ;   in Loop: Header=BB225_11 Depth=2
	v_lshlrev_b64_e32 v[34:35], 3, v[0:1]
	s_delay_alu instid0(VALU_DEP_1) | instskip(SKIP_1) | instid1(VALU_DEP_2)
	v_add_co_u32 v34, vcc_lo, v24, v34
	s_wait_alu 0xfffd
	v_add_co_ci_u32_e64 v35, null, v25, v35, vcc_lo
	global_load_b64 v[34:35], v[34:35], off
	s_wait_loadcnt 0x0
	ds_store_b64 v17, v[34:35]
	s_branch .LBB225_10
.LBB225_19:                             ;   in Loop: Header=BB225_11 Depth=2
	s_wait_alu 0xfffe
	v_add_nc_u32_e32 v0, s2, v15
	v_mov_b32_e32 v11, v1
	s_and_not1_b32 s33, s20, exec_lo
	s_mov_b32 s28, exec_lo
	s_delay_alu instid0(VALU_DEP_2) | instskip(SKIP_2) | instid1(SALU_CYCLE_1)
	v_cmp_le_u64_e32 vcc_lo, s[8:9], v[0:1]
	v_mov_b32_e32 v10, v0
	s_and_b32 s34, vcc_lo, exec_lo
	s_or_b32 s33, s33, s34
	s_or_b32 exec_lo, exec_lo, s29
	s_and_saveexec_b32 s29, s33
	s_wait_alu 0xfffe
	s_xor_b32 s29, exec_lo, s29
	s_cbranch_execz .LBB225_13
.LBB225_20:                             ;   in Loop: Header=BB225_11 Depth=2
	v_mov_b32_e32 v0, v1
	s_and_not1_b32 s28, s28, exec_lo
	ds_store_b64 v16, v[0:1]
	s_wait_alu 0xfffe
	s_or_b32 exec_lo, exec_lo, s29
	s_and_saveexec_b32 s29, s28
	s_cbranch_execnz .LBB225_14
	s_branch .LBB225_15
.LBB225_21:                             ;   in Loop: Header=BB225_8 Depth=1
	v_dual_mov_b32 v32, v1 :: v_dual_mov_b32 v33, v1
	v_dual_mov_b32 v30, v1 :: v_dual_mov_b32 v31, v1
	;; [unrolled: 1-line block ×4, first 2 shown]
.LBB225_22:                             ;   in Loop: Header=BB225_8 Depth=1
	s_mul_u64 s[2:3], s[30:31], s[24:25]
	s_wait_alu 0xfffe
	s_lshl_b64 s[2:3], s[2:3], 3
	s_wait_alu 0xfffe
	s_add_nc_u64 s[2:3], s[26:27], s[2:3]
	s_wait_alu 0xfffe
	v_add_co_u32 v0, vcc_lo, s2, v2
	s_wait_alu 0xfffd
	v_add_co_ci_u32_e64 v24, null, s3, v3, vcc_lo
	s_and_saveexec_b32 s28, s12
	s_cbranch_execz .LBB225_27
; %bb.23:                               ;   in Loop: Header=BB225_8 Depth=1
	v_mul_f32_e32 v13, s10, v33
	v_mul_f32_e32 v12, s11, v33
	s_and_b32 vcc_lo, exec_lo, s19
	s_mov_b32 s29, -1
	s_delay_alu instid0(VALU_DEP_2) | instskip(NEXT) | instid1(VALU_DEP_2)
	v_fmac_f32_e32 v13, s11, v32
	v_fma_f32 v12, v32, s10, -v12
	s_wait_alu 0xfffe
	s_cbranch_vccz .LBB225_25
; %bb.24:                               ;   in Loop: Header=BB225_8 Depth=1
	v_add_co_u32 v32, vcc_lo, v0, v6
	s_wait_alu 0xfffd
	v_add_co_ci_u32_e64 v33, null, v24, v7, vcc_lo
	s_mov_b32 s29, 0
	global_load_b64 v[34:35], v[32:33], off
	s_wait_loadcnt 0x0
	v_mul_f32_e32 v25, s7, v35
	s_delay_alu instid0(VALU_DEP_1) | instskip(SKIP_1) | instid1(VALU_DEP_1)
	v_fma_f32 v25, v34, s6, -v25
	v_mul_f32_e32 v35, s6, v35
	v_dual_fmac_f32 v35, s7, v34 :: v_dual_add_f32 v34, v12, v25
	s_delay_alu instid0(VALU_DEP_1)
	v_add_f32_e32 v35, v13, v35
	global_store_b64 v[32:33], v[34:35], off
.LBB225_25:                             ;   in Loop: Header=BB225_8 Depth=1
	s_wait_alu 0xfffe
	s_and_not1_b32 vcc_lo, exec_lo, s29
	s_wait_alu 0xfffe
	s_cbranch_vccnz .LBB225_27
; %bb.26:                               ;   in Loop: Header=BB225_8 Depth=1
	v_add_co_u32 v32, vcc_lo, v0, v6
	s_wait_alu 0xfffd
	v_add_co_ci_u32_e64 v33, null, v24, v7, vcc_lo
	global_store_b64 v[32:33], v[12:13], off
.LBB225_27:                             ;   in Loop: Header=BB225_8 Depth=1
	s_wait_alu 0xfffe
	s_or_b32 exec_lo, exec_lo, s28
	s_and_saveexec_b32 s28, s13
	s_cbranch_execz .LBB225_32
; %bb.28:                               ;   in Loop: Header=BB225_8 Depth=1
	v_mul_f32_e32 v13, s10, v31
	v_mul_f32_e32 v12, s11, v31
	s_and_not1_b32 vcc_lo, exec_lo, s19
	s_mov_b32 s29, -1
	s_delay_alu instid0(VALU_DEP_2) | instskip(NEXT) | instid1(VALU_DEP_2)
	v_fmac_f32_e32 v13, s11, v30
	v_fma_f32 v12, v30, s10, -v12
	s_wait_alu 0xfffe
	s_cbranch_vccnz .LBB225_30
; %bb.29:                               ;   in Loop: Header=BB225_8 Depth=1
	v_add_co_u32 v30, vcc_lo, v0, v8
	s_wait_alu 0xfffd
	v_add_co_ci_u32_e64 v31, null, v24, v9, vcc_lo
	s_mov_b32 s29, 0
	global_load_b64 v[32:33], v[30:31], off
	s_wait_loadcnt 0x0
	v_mul_f32_e32 v25, s7, v33
	v_mul_f32_e32 v33, s6, v33
	s_delay_alu instid0(VALU_DEP_2) | instskip(NEXT) | instid1(VALU_DEP_1)
	v_fma_f32 v25, v32, s6, -v25
	v_dual_fmac_f32 v33, s7, v32 :: v_dual_add_f32 v32, v12, v25
	s_delay_alu instid0(VALU_DEP_1)
	v_add_f32_e32 v33, v13, v33
	global_store_b64 v[30:31], v[32:33], off
.LBB225_30:                             ;   in Loop: Header=BB225_8 Depth=1
	s_wait_alu 0xfffe
	s_and_not1_b32 vcc_lo, exec_lo, s29
	s_wait_alu 0xfffe
	s_cbranch_vccnz .LBB225_32
; %bb.31:                               ;   in Loop: Header=BB225_8 Depth=1
	v_add_co_u32 v30, vcc_lo, v0, v8
	s_wait_alu 0xfffd
	v_add_co_ci_u32_e64 v31, null, v24, v9, vcc_lo
	global_store_b64 v[30:31], v[12:13], off
.LBB225_32:                             ;   in Loop: Header=BB225_8 Depth=1
	s_wait_alu 0xfffe
	s_or_b32 exec_lo, exec_lo, s28
	v_add_co_u32 v0, vcc_lo, s2, v4
	s_wait_alu 0xfffd
	v_add_co_ci_u32_e64 v24, null, s3, v5, vcc_lo
	s_and_saveexec_b32 s2, s1
	s_cbranch_execz .LBB225_37
; %bb.33:                               ;   in Loop: Header=BB225_8 Depth=1
	v_mul_f32_e32 v13, s10, v29
	v_mul_f32_e32 v12, s11, v29
	s_and_not1_b32 vcc_lo, exec_lo, s19
	s_mov_b32 s3, -1
	s_delay_alu instid0(VALU_DEP_2) | instskip(NEXT) | instid1(VALU_DEP_2)
	v_fmac_f32_e32 v13, s11, v28
	v_fma_f32 v12, v28, s10, -v12
	s_wait_alu 0xfffe
	s_cbranch_vccnz .LBB225_35
; %bb.34:                               ;   in Loop: Header=BB225_8 Depth=1
	v_add_co_u32 v28, vcc_lo, v0, v6
	s_wait_alu 0xfffd
	v_add_co_ci_u32_e64 v29, null, v24, v7, vcc_lo
	s_mov_b32 s3, 0
	global_load_b64 v[30:31], v[28:29], off
	s_wait_loadcnt 0x0
	v_mul_f32_e32 v25, s7, v31
	s_delay_alu instid0(VALU_DEP_1) | instskip(SKIP_1) | instid1(VALU_DEP_1)
	v_fma_f32 v25, v30, s6, -v25
	v_mul_f32_e32 v31, s6, v31
	v_dual_fmac_f32 v31, s7, v30 :: v_dual_add_f32 v30, v12, v25
	s_delay_alu instid0(VALU_DEP_1)
	v_add_f32_e32 v31, v13, v31
	global_store_b64 v[28:29], v[30:31], off
.LBB225_35:                             ;   in Loop: Header=BB225_8 Depth=1
	s_wait_alu 0xfffe
	s_and_not1_b32 vcc_lo, exec_lo, s3
	s_wait_alu 0xfffe
	s_cbranch_vccnz .LBB225_37
; %bb.36:                               ;   in Loop: Header=BB225_8 Depth=1
	v_add_co_u32 v28, vcc_lo, v0, v6
	s_wait_alu 0xfffd
	v_add_co_ci_u32_e64 v29, null, v24, v7, vcc_lo
	global_store_b64 v[28:29], v[12:13], off
.LBB225_37:                             ;   in Loop: Header=BB225_8 Depth=1
	s_wait_alu 0xfffe
	s_or_b32 exec_lo, exec_lo, s2
	s_and_saveexec_b32 s2, s4
	s_cbranch_execz .LBB225_7
; %bb.38:                               ;   in Loop: Header=BB225_8 Depth=1
	v_mul_f32_e32 v13, s10, v26
	v_mul_f32_e32 v12, s11, v26
	s_and_not1_b32 vcc_lo, exec_lo, s19
	s_mov_b32 s3, -1
	s_delay_alu instid0(VALU_DEP_2) | instskip(NEXT) | instid1(VALU_DEP_2)
	v_fmac_f32_e32 v13, s11, v27
	v_fma_f32 v12, v27, s10, -v12
	s_wait_alu 0xfffe
	s_cbranch_vccnz .LBB225_40
; %bb.39:                               ;   in Loop: Header=BB225_8 Depth=1
	v_add_co_u32 v25, vcc_lo, v0, v8
	s_wait_alu 0xfffd
	v_add_co_ci_u32_e64 v26, null, v24, v9, vcc_lo
	s_mov_b32 s3, 0
	global_load_b64 v[27:28], v[25:26], off
	s_wait_loadcnt 0x0
	v_mul_f32_e32 v29, s7, v28
	v_mul_f32_e32 v28, s6, v28
	s_delay_alu instid0(VALU_DEP_1) | instskip(NEXT) | instid1(VALU_DEP_3)
	v_fmac_f32_e32 v28, s7, v27
	v_fma_f32 v29, v27, s6, -v29
	s_delay_alu instid0(VALU_DEP_1)
	v_dual_add_f32 v28, v13, v28 :: v_dual_add_f32 v27, v12, v29
	global_store_b64 v[25:26], v[27:28], off
.LBB225_40:                             ;   in Loop: Header=BB225_8 Depth=1
	s_wait_alu 0xfffe
	s_and_not1_b32 vcc_lo, exec_lo, s3
	s_wait_alu 0xfffe
	s_cbranch_vccnz .LBB225_7
; %bb.41:                               ;   in Loop: Header=BB225_8 Depth=1
	v_add_co_u32 v25, vcc_lo, v0, v8
	s_wait_alu 0xfffd
	v_add_co_ci_u32_e64 v26, null, v24, v9, vcc_lo
	global_store_b64 v[25:26], v[12:13], off
	s_branch .LBB225_7
.LBB225_42:
	s_endpgm
	.section	.rodata,"a",@progbits
	.p2align	6, 0x0
	.amdhsa_kernel _ZL29rocblas_internal_gemmt_kernelIlLi16ELi32ELi8ELc78ELc78ELc76ELb0ELb0E19rocblas_complex_numIfEPKS1_S3_PS1_EviT_T9_T10_S5_lS7_S5_lS6_T11_S5_li
		.amdhsa_group_segment_fixed_size 4096
		.amdhsa_private_segment_fixed_size 0
		.amdhsa_kernarg_size 108
		.amdhsa_user_sgpr_count 2
		.amdhsa_user_sgpr_dispatch_ptr 0
		.amdhsa_user_sgpr_queue_ptr 0
		.amdhsa_user_sgpr_kernarg_segment_ptr 1
		.amdhsa_user_sgpr_dispatch_id 0
		.amdhsa_user_sgpr_private_segment_size 0
		.amdhsa_wavefront_size32 1
		.amdhsa_uses_dynamic_stack 0
		.amdhsa_enable_private_segment 0
		.amdhsa_system_sgpr_workgroup_id_x 1
		.amdhsa_system_sgpr_workgroup_id_y 1
		.amdhsa_system_sgpr_workgroup_id_z 1
		.amdhsa_system_sgpr_workgroup_info 0
		.amdhsa_system_vgpr_workitem_id 1
		.amdhsa_next_free_vgpr 71
		.amdhsa_next_free_sgpr 36
		.amdhsa_reserve_vcc 1
		.amdhsa_float_round_mode_32 0
		.amdhsa_float_round_mode_16_64 0
		.amdhsa_float_denorm_mode_32 3
		.amdhsa_float_denorm_mode_16_64 3
		.amdhsa_fp16_overflow 0
		.amdhsa_workgroup_processor_mode 1
		.amdhsa_memory_ordered 1
		.amdhsa_forward_progress 1
		.amdhsa_inst_pref_size 26
		.amdhsa_round_robin_scheduling 0
		.amdhsa_exception_fp_ieee_invalid_op 0
		.amdhsa_exception_fp_denorm_src 0
		.amdhsa_exception_fp_ieee_div_zero 0
		.amdhsa_exception_fp_ieee_overflow 0
		.amdhsa_exception_fp_ieee_underflow 0
		.amdhsa_exception_fp_ieee_inexact 0
		.amdhsa_exception_int_div_zero 0
	.end_amdhsa_kernel
	.section	.text._ZL29rocblas_internal_gemmt_kernelIlLi16ELi32ELi8ELc78ELc78ELc76ELb0ELb0E19rocblas_complex_numIfEPKS1_S3_PS1_EviT_T9_T10_S5_lS7_S5_lS6_T11_S5_li,"axG",@progbits,_ZL29rocblas_internal_gemmt_kernelIlLi16ELi32ELi8ELc78ELc78ELc76ELb0ELb0E19rocblas_complex_numIfEPKS1_S3_PS1_EviT_T9_T10_S5_lS7_S5_lS6_T11_S5_li,comdat
.Lfunc_end225:
	.size	_ZL29rocblas_internal_gemmt_kernelIlLi16ELi32ELi8ELc78ELc78ELc76ELb0ELb0E19rocblas_complex_numIfEPKS1_S3_PS1_EviT_T9_T10_S5_lS7_S5_lS6_T11_S5_li, .Lfunc_end225-_ZL29rocblas_internal_gemmt_kernelIlLi16ELi32ELi8ELc78ELc78ELc76ELb0ELb0E19rocblas_complex_numIfEPKS1_S3_PS1_EviT_T9_T10_S5_lS7_S5_lS6_T11_S5_li
                                        ; -- End function
	.set _ZL29rocblas_internal_gemmt_kernelIlLi16ELi32ELi8ELc78ELc78ELc76ELb0ELb0E19rocblas_complex_numIfEPKS1_S3_PS1_EviT_T9_T10_S5_lS7_S5_lS6_T11_S5_li.num_vgpr, 71
	.set _ZL29rocblas_internal_gemmt_kernelIlLi16ELi32ELi8ELc78ELc78ELc76ELb0ELb0E19rocblas_complex_numIfEPKS1_S3_PS1_EviT_T9_T10_S5_lS7_S5_lS6_T11_S5_li.num_agpr, 0
	.set _ZL29rocblas_internal_gemmt_kernelIlLi16ELi32ELi8ELc78ELc78ELc76ELb0ELb0E19rocblas_complex_numIfEPKS1_S3_PS1_EviT_T9_T10_S5_lS7_S5_lS6_T11_S5_li.numbered_sgpr, 36
	.set _ZL29rocblas_internal_gemmt_kernelIlLi16ELi32ELi8ELc78ELc78ELc76ELb0ELb0E19rocblas_complex_numIfEPKS1_S3_PS1_EviT_T9_T10_S5_lS7_S5_lS6_T11_S5_li.num_named_barrier, 0
	.set _ZL29rocblas_internal_gemmt_kernelIlLi16ELi32ELi8ELc78ELc78ELc76ELb0ELb0E19rocblas_complex_numIfEPKS1_S3_PS1_EviT_T9_T10_S5_lS7_S5_lS6_T11_S5_li.private_seg_size, 0
	.set _ZL29rocblas_internal_gemmt_kernelIlLi16ELi32ELi8ELc78ELc78ELc76ELb0ELb0E19rocblas_complex_numIfEPKS1_S3_PS1_EviT_T9_T10_S5_lS7_S5_lS6_T11_S5_li.uses_vcc, 1
	.set _ZL29rocblas_internal_gemmt_kernelIlLi16ELi32ELi8ELc78ELc78ELc76ELb0ELb0E19rocblas_complex_numIfEPKS1_S3_PS1_EviT_T9_T10_S5_lS7_S5_lS6_T11_S5_li.uses_flat_scratch, 0
	.set _ZL29rocblas_internal_gemmt_kernelIlLi16ELi32ELi8ELc78ELc78ELc76ELb0ELb0E19rocblas_complex_numIfEPKS1_S3_PS1_EviT_T9_T10_S5_lS7_S5_lS6_T11_S5_li.has_dyn_sized_stack, 0
	.set _ZL29rocblas_internal_gemmt_kernelIlLi16ELi32ELi8ELc78ELc78ELc76ELb0ELb0E19rocblas_complex_numIfEPKS1_S3_PS1_EviT_T9_T10_S5_lS7_S5_lS6_T11_S5_li.has_recursion, 0
	.set _ZL29rocblas_internal_gemmt_kernelIlLi16ELi32ELi8ELc78ELc78ELc76ELb0ELb0E19rocblas_complex_numIfEPKS1_S3_PS1_EviT_T9_T10_S5_lS7_S5_lS6_T11_S5_li.has_indirect_call, 0
	.section	.AMDGPU.csdata,"",@progbits
; Kernel info:
; codeLenInByte = 3276
; TotalNumSgprs: 38
; NumVgprs: 71
; ScratchSize: 0
; MemoryBound: 0
; FloatMode: 240
; IeeeMode: 1
; LDSByteSize: 4096 bytes/workgroup (compile time only)
; SGPRBlocks: 0
; VGPRBlocks: 8
; NumSGPRsForWavesPerEU: 38
; NumVGPRsForWavesPerEU: 71
; Occupancy: 16
; WaveLimiterHint : 0
; COMPUTE_PGM_RSRC2:SCRATCH_EN: 0
; COMPUTE_PGM_RSRC2:USER_SGPR: 2
; COMPUTE_PGM_RSRC2:TRAP_HANDLER: 0
; COMPUTE_PGM_RSRC2:TGID_X_EN: 1
; COMPUTE_PGM_RSRC2:TGID_Y_EN: 1
; COMPUTE_PGM_RSRC2:TGID_Z_EN: 1
; COMPUTE_PGM_RSRC2:TIDIG_COMP_CNT: 1
	.section	.text._ZL29rocblas_internal_gemmt_kernelIlLi16ELi32ELi8ELc78ELc84ELc76ELb0ELb0E19rocblas_complex_numIfEPKS1_S3_PS1_EviT_T9_T10_S5_lS7_S5_lS6_T11_S5_li,"axG",@progbits,_ZL29rocblas_internal_gemmt_kernelIlLi16ELi32ELi8ELc78ELc84ELc76ELb0ELb0E19rocblas_complex_numIfEPKS1_S3_PS1_EviT_T9_T10_S5_lS7_S5_lS6_T11_S5_li,comdat
	.globl	_ZL29rocblas_internal_gemmt_kernelIlLi16ELi32ELi8ELc78ELc84ELc76ELb0ELb0E19rocblas_complex_numIfEPKS1_S3_PS1_EviT_T9_T10_S5_lS7_S5_lS6_T11_S5_li ; -- Begin function _ZL29rocblas_internal_gemmt_kernelIlLi16ELi32ELi8ELc78ELc84ELc76ELb0ELb0E19rocblas_complex_numIfEPKS1_S3_PS1_EviT_T9_T10_S5_lS7_S5_lS6_T11_S5_li
	.p2align	8
	.type	_ZL29rocblas_internal_gemmt_kernelIlLi16ELi32ELi8ELc78ELc84ELc76ELb0ELb0E19rocblas_complex_numIfEPKS1_S3_PS1_EviT_T9_T10_S5_lS7_S5_lS6_T11_S5_li,@function
_ZL29rocblas_internal_gemmt_kernelIlLi16ELi32ELi8ELc78ELc84ELc76ELb0ELb0E19rocblas_complex_numIfEPKS1_S3_PS1_EviT_T9_T10_S5_lS7_S5_lS6_T11_S5_li: ; @_ZL29rocblas_internal_gemmt_kernelIlLi16ELi32ELi8ELc78ELc84ELc76ELb0ELb0E19rocblas_complex_numIfEPKS1_S3_PS1_EviT_T9_T10_S5_lS7_S5_lS6_T11_S5_li
; %bb.0:
	s_load_b256 s[24:31], s[0:1], 0x48
	s_wait_kmcnt 0x0
	s_load_b64 s[6:7], s[24:25], 0x0
	s_load_b512 s[8:23], s[0:1], 0x8
	s_wait_kmcnt 0x0
	s_cmp_eq_f32 s6, 1.0
	s_load_b64 s[10:11], s[10:11], 0x0
	s_cselect_b32 s2, -1, 0
	s_and_b32 s3, s7, 0x7fffffff
	s_delay_alu instid0(SALU_CYCLE_1) | instskip(SKIP_1) | instid1(SALU_CYCLE_1)
	s_cmp_eq_u32 s3, 0
	s_cselect_b32 s34, -1, 0
	s_and_b32 s3, s2, s34
	s_mov_b32 s2, 0
	s_and_not1_b32 vcc_lo, exec_lo, s3
	s_mov_b32 s3, -1
	s_cbranch_vccnz .LBB226_4
; %bb.1:
	s_cmp_lg_u64 s[8:9], 0
	s_cbranch_scc0 .LBB226_3
; %bb.2:
	s_wait_kmcnt 0x0
	s_cmp_neq_f32 s10, 0
	s_cselect_b32 s2, -1, 0
	s_cmp_neq_f32 s11, 0
	s_cselect_b32 s3, -1, 0
	s_delay_alu instid0(SALU_CYCLE_1)
	s_or_b32 s2, s2, s3
.LBB226_3:
	s_delay_alu instid0(SALU_CYCLE_1)
	s_mov_b32 s3, s2
.LBB226_4:
	s_delay_alu instid0(SALU_CYCLE_1)
	s_and_b32 vcc_lo, exec_lo, s3
	s_cbranch_vccz .LBB226_42
; %bb.5:
	s_load_b32 s5, s[0:1], 0x68
	s_lshr_b32 s24, ttmp7, 16
	s_wait_kmcnt 0x0
	s_cmp_ge_u32 s24, s5
	s_cbranch_scc1 .LBB226_42
; %bb.6:
	v_and_b32_e32 v7, 0x3ff, v0
	v_bfe_u32 v8, v0, 10, 10
	v_and_b32_e32 v14, 7, v0
	s_load_b32 s4, s[0:1], 0x0
	s_lshl_b32 s0, ttmp7, 5
	s_lshl_b32 s1, ttmp9, 5
	v_lshl_add_u32 v2, v8, 4, v7
	s_and_b32 s2, s0, 0x1fffe0
	v_lshlrev_b32_e32 v4, 3, v14
	v_add_nc_u32_e32 v11, s2, v8
	s_cmp_neq_f32 s10, 0
	v_lshrrev_b32_e32 v5, 3, v2
	v_lshrrev_b32_e32 v15, 5, v2
	v_lshl_add_u32 v23, v8, 6, 0x800
	v_add_nc_u32_e32 v12, 16, v11
	s_cselect_b32 s0, -1, 0
	v_lshl_or_b32 v4, v5, 6, v4
	v_add_nc_u32_e32 v6, s2, v5
	s_cmp_neq_f32 s11, 0
	v_cmp_gt_i64_e64 s35, s[8:9], 0
	s_mov_b32 s25, 0
	v_add_nc_u32_e32 v19, 0x800, v4
	v_mad_co_u64_u32 v[4:5], null, s28, v12, 0
	v_and_b32_e32 v3, 31, v2
	s_cselect_b32 s3, -1, 0
	s_wait_alu 0xfffe
	s_or_b32 s36, s0, s3
	s_cmp_neq_f32 s6, 0
	v_or_b32_e32 v0, s1, v3
	v_lshlrev_b32_e32 v3, 3, v3
	s_delay_alu instid0(VALU_DEP_2) | instskip(NEXT) | instid1(VALU_DEP_2)
	v_ashrrev_i32_e32 v1, 31, v0
	v_lshl_or_b32 v16, v15, 8, v3
	s_wait_kmcnt 0x0
	v_cmp_gt_i32_e64 s0, s4, v0
	v_cmp_le_i32_e64 s33, s4, v0
	v_lshlrev_b64_e32 v[1:2], 3, v[0:1]
	v_lshlrev_b32_e32 v0, 3, v6
	s_delay_alu instid0(VALU_DEP_2) | instskip(NEXT) | instid1(VALU_DEP_1)
	v_add_co_u32 v17, vcc_lo, s12, v1
	v_add_co_ci_u32_e64 v18, null, s13, v2, vcc_lo
	v_mad_co_u64_u32 v[2:3], null, s28, v11, 0
	v_cmp_gt_i32_e32 vcc_lo, s4, v6
	v_mov_b32_e32 v1, 0
	v_add_co_u32 v20, s2, s18, v0
	s_wait_alu 0xf1ff
	v_add_co_ci_u32_e64 v21, null, s19, 0, s2
	v_mov_b32_e32 v0, v3
	v_add_nc_u32_e32 v6, s1, v7
	v_lshlrev_b32_e32 v22, 3, v7
	s_cselect_b32 s19, -1, 0
	s_xor_b32 s28, s34, -1
	v_mad_co_u64_u32 v[9:10], null, s29, v11, v[0:1]
	v_add_nc_u32_e32 v8, 16, v6
	v_mov_b32_e32 v0, v5
	v_cmp_le_i32_e64 s1, v11, v6
	v_cmp_gt_i32_e64 s2, s4, v6
	v_ashrrev_i32_e32 v7, 31, v6
	v_cmp_le_i32_e64 s3, v11, v8
	v_mad_co_u64_u32 v[10:11], null, s29, v12, v[0:1]
	v_cmp_gt_i32_e64 s4, s4, v8
	v_mov_b32_e32 v3, v9
	v_ashrrev_i32_e32 v9, 31, v8
	s_and_b32 s12, s1, s2
	v_cmp_le_i32_e64 s1, v12, v6
	s_and_b32 s13, s3, s4
	v_mov_b32_e32 v5, v10
	v_cmp_le_i32_e64 s3, v12, v8
	v_lshlrev_b64_e32 v[2:3], 3, v[2:3]
	v_lshlrev_b64_e32 v[6:7], 3, v[6:7]
	;; [unrolled: 1-line block ×4, first 2 shown]
	s_and_b32 s18, s36, s35
	s_wait_alu 0xfffe
	s_or_b32 s19, s19, s28
	s_and_b32 s1, s1, s2
	s_and_b32 s4, s3, s4
	s_xor_b32 s28, vcc_lo, -1
                                        ; implicit-def: $vgpr10_vgpr11
	s_branch .LBB226_8
.LBB226_7:                              ;   in Loop: Header=BB226_8 Depth=1
	s_wait_alu 0xfffe
	s_or_b32 exec_lo, exec_lo, s2
	s_add_co_i32 s24, s24, 0x10000
	s_delay_alu instid0(SALU_CYCLE_1)
	s_cmp_lt_u32 s24, s5
	s_cbranch_scc0 .LBB226_42
.LBB226_8:                              ; =>This Loop Header: Depth=1
                                        ;     Child Loop BB226_11 Depth 2
	s_and_not1_b32 vcc_lo, exec_lo, s18
	s_wait_alu 0xfffe
	s_cbranch_vccnz .LBB226_21
; %bb.9:                                ;   in Loop: Header=BB226_8 Depth=1
	s_mul_u64 s[2:3], s[16:17], s[24:25]
	s_mul_u64 s[34:35], s[22:23], s[24:25]
	s_wait_alu 0xfffe
	s_lshl_b64 s[2:3], s[2:3], 3
	v_dual_mov_b32 v26, 0 :: v_dual_mov_b32 v27, 0
	s_wait_alu 0xfffe
	v_add_co_u32 v12, vcc_lo, v17, s2
	s_wait_alu 0xfffd
	v_add_co_ci_u32_e64 v13, null, s3, v18, vcc_lo
	s_lshl_b64 s[2:3], s[34:35], 3
	v_dual_mov_b32 v29, 0 :: v_dual_mov_b32 v28, 0
	s_wait_alu 0xfffe
	v_add_co_u32 v24, vcc_lo, v20, s2
	s_wait_alu 0xfffd
	v_add_co_ci_u32_e64 v25, null, s3, v21, vcc_lo
	v_dual_mov_b32 v31, 0 :: v_dual_mov_b32 v30, 0
	v_dual_mov_b32 v33, 0 :: v_dual_mov_b32 v32, 0
	s_mov_b64 s[2:3], 0
	s_branch .LBB226_11
.LBB226_10:                             ;   in Loop: Header=BB226_11 Depth=2
	s_wait_alu 0xfffe
	s_or_b32 exec_lo, exec_lo, s29
	s_wait_dscnt 0x0
	s_barrier_signal -1
	s_barrier_wait -1
	global_inv scope:SCOPE_SE
	ds_load_b128 v[34:37], v23
	ds_load_2addr_b64 v[38:41], v22 offset1:16
	ds_load_b128 v[42:45], v23 offset:1024
	ds_load_b128 v[46:49], v23 offset:16
	;; [unrolled: 1-line block ×4, first 2 shown]
	ds_load_2addr_b64 v[58:61], v22 offset0:32 offset1:48
	ds_load_b128 v[62:65], v23 offset:1040
	s_add_nc_u64 s[2:3], s[2:3], 8
	s_wait_alu 0xfffe
	v_cmp_gt_i64_e64 s29, s[8:9], s[2:3]
	s_and_b32 vcc_lo, exec_lo, s29
	s_wait_dscnt 0x6
	v_mul_f32_e32 v0, v35, v39
	v_dual_mul_f32 v66, v34, v39 :: v_dual_mul_f32 v67, v35, v41
	s_wait_dscnt 0x5
	v_dual_mul_f32 v68, v34, v41 :: v_dual_mul_f32 v69, v43, v39
	v_dual_mul_f32 v39, v42, v39 :: v_dual_mul_f32 v70, v43, v41
	v_mul_f32_e32 v41, v42, v41
	v_fma_f32 v0, v34, v38, -v0
	v_fma_f32 v34, v34, v40, -v67
	v_fmac_f32_e32 v68, v35, v40
	v_fmac_f32_e32 v39, v43, v38
	;; [unrolled: 1-line block ×3, first 2 shown]
	v_add_f32_e32 v0, v32, v0
	v_fmac_f32_e32 v66, v35, v38
	v_fma_f32 v35, v42, v38, -v69
	v_fma_f32 v38, v42, v40, -v70
	v_add_f32_e32 v26, v26, v41
	s_delay_alu instid0(VALU_DEP_4) | instskip(NEXT) | instid1(VALU_DEP_4)
	v_add_f32_e32 v32, v33, v66
	v_dual_add_f32 v33, v30, v34 :: v_dual_add_f32 v34, v28, v35
	v_add_f32_e32 v35, v29, v39
	s_wait_dscnt 0x1
	v_dual_mul_f32 v39, v37, v59 :: v_dual_add_f32 v38, v27, v38
	ds_load_2addr_b64 v[27:30], v22 offset0:64 offset1:80
	v_mul_f32_e32 v42, v37, v61
	v_mul_f32_e32 v41, v36, v61
	;; [unrolled: 1-line block ×3, first 2 shown]
	v_fma_f32 v39, v36, v58, -v39
	v_add_f32_e32 v31, v31, v68
	v_fma_f32 v36, v36, v60, -v42
	s_delay_alu instid0(VALU_DEP_3) | instskip(SKIP_1) | instid1(VALU_DEP_3)
	v_add_f32_e32 v0, v0, v39
	v_mul_f32_e32 v39, v45, v59
	v_add_f32_e32 v36, v33, v36
	v_fmac_f32_e32 v41, v37, v60
	v_fmac_f32_e32 v40, v37, v58
	v_mul_f32_e32 v37, v45, v61
	v_fma_f32 v33, v44, v58, -v39
	s_delay_alu instid0(VALU_DEP_4) | instskip(NEXT) | instid1(VALU_DEP_3)
	v_add_f32_e32 v39, v31, v41
	v_fma_f32 v31, v44, v60, -v37
	v_mul_f32_e32 v41, v44, v61
	s_wait_dscnt 0x0
	v_mul_f32_e32 v37, v46, v28
	v_add_f32_e32 v40, v32, v40
	v_add_f32_e32 v38, v38, v31
	v_dual_mul_f32 v32, v44, v59 :: v_dual_fmac_f32 v41, v45, v60
	v_mul_f32_e32 v44, v47, v30
	s_delay_alu instid0(VALU_DEP_2) | instskip(NEXT) | instid1(VALU_DEP_3)
	v_dual_fmac_f32 v37, v47, v27 :: v_dual_fmac_f32 v32, v45, v58
	v_add_f32_e32 v41, v26, v41
	v_dual_add_f32 v42, v34, v33 :: v_dual_mul_f32 v33, v47, v28
	s_delay_alu instid0(VALU_DEP_3) | instskip(NEXT) | instid1(VALU_DEP_4)
	v_dual_mul_f32 v26, v46, v30 :: v_dual_add_f32 v37, v40, v37
	v_add_f32_e32 v35, v35, v32
	s_delay_alu instid0(VALU_DEP_3) | instskip(SKIP_4) | instid1(VALU_DEP_1)
	v_fma_f32 v43, v46, v27, -v33
	ds_load_2addr_b64 v[31:34], v22 offset0:96 offset1:112
	v_fmac_f32_e32 v26, v47, v29
	v_add_f32_e32 v0, v0, v43
	v_fma_f32 v43, v46, v29, -v44
	v_dual_add_f32 v39, v39, v26 :: v_dual_add_f32 v36, v36, v43
	v_mul_f32_e32 v43, v63, v30
	v_mul_f32_e32 v30, v62, v30
	s_delay_alu instid0(VALU_DEP_2) | instskip(SKIP_1) | instid1(VALU_DEP_3)
	v_fma_f32 v26, v62, v29, -v43
	v_mul_f32_e32 v40, v63, v28
	v_fmac_f32_e32 v30, v63, v29
	s_wait_dscnt 0x0
	v_dual_mul_f32 v28, v62, v28 :: v_dual_mul_f32 v47, v65, v34
	v_add_f32_e32 v43, v38, v26
	v_fma_f32 v40, v62, v27, -v40
	v_dual_mul_f32 v38, v48, v32 :: v_dual_add_f32 v41, v41, v30
	s_delay_alu instid0(VALU_DEP_4) | instskip(SKIP_1) | instid1(VALU_DEP_3)
	v_fmac_f32_e32 v28, v63, v27
	v_mul_f32_e32 v30, v48, v34
	v_fmac_f32_e32 v38, v49, v31
	v_add_f32_e32 v40, v42, v40
	s_delay_alu instid0(VALU_DEP_4)
	v_add_f32_e32 v42, v35, v28
	ds_load_2addr_b64 v[26:29], v22 offset0:128 offset1:144
	v_mul_f32_e32 v35, v49, v32
	v_mul_f32_e32 v44, v49, v34
	v_fmac_f32_e32 v30, v49, v33
	v_mul_f32_e32 v34, v64, v34
	s_delay_alu instid0(VALU_DEP_4)
	v_fma_f32 v35, v48, v31, -v35
	s_wait_dscnt 0x0
	v_mul_f32_e32 v49, v50, v27
	v_fma_f32 v44, v48, v33, -v44
	v_add_f32_e32 v48, v39, v30
	v_fma_f32 v30, v64, v33, -v47
	s_delay_alu instid0(VALU_DEP_4) | instskip(NEXT) | instid1(VALU_DEP_4)
	v_fmac_f32_e32 v49, v51, v26
	v_dual_add_f32 v45, v37, v38 :: v_dual_add_f32 v44, v36, v44
	s_delay_alu instid0(VALU_DEP_3) | instskip(SKIP_1) | instid1(VALU_DEP_3)
	v_dual_add_f32 v43, v43, v30 :: v_dual_add_f32 v0, v0, v35
	v_mul_f32_e32 v35, v65, v32
	v_dual_mul_f32 v32, v64, v32 :: v_dual_add_f32 v45, v45, v49
	s_delay_alu instid0(VALU_DEP_2) | instskip(SKIP_3) | instid1(VALU_DEP_2)
	v_fma_f32 v46, v64, v31, -v35
	ds_load_b128 v[35:38], v23 offset:1056
	v_fmac_f32_e32 v32, v65, v31
	v_dual_mul_f32 v31, v51, v27 :: v_dual_fmac_f32 v34, v65, v33
	v_add_f32_e32 v47, v42, v32
	s_delay_alu instid0(VALU_DEP_2)
	v_fma_f32 v39, v50, v26, -v31
	ds_load_2addr_b64 v[30:33], v22 offset0:160 offset1:176
	v_add_f32_e32 v46, v40, v46
	v_mul_f32_e32 v40, v51, v29
	v_add_f32_e32 v34, v41, v34
	v_add_f32_e32 v0, v0, v39
	s_delay_alu instid0(VALU_DEP_3) | instskip(SKIP_4) | instid1(VALU_DEP_2)
	v_fma_f32 v58, v50, v28, -v40
	ds_load_b128 v[39:42], v23 offset:1072
	s_wait_dscnt 0x2
	v_dual_mul_f32 v50, v50, v29 :: v_dual_mul_f32 v59, v36, v27
	v_mul_f32_e32 v27, v35, v27
	v_dual_fmac_f32 v50, v51, v28 :: v_dual_mul_f32 v51, v36, v29
	s_delay_alu instid0(VALU_DEP_3) | instskip(NEXT) | instid1(VALU_DEP_3)
	v_fma_f32 v49, v35, v26, -v59
	v_fmac_f32_e32 v27, v36, v26
	s_delay_alu instid0(VALU_DEP_3) | instskip(SKIP_2) | instid1(VALU_DEP_4)
	v_add_f32_e32 v48, v48, v50
	v_mul_f32_e32 v50, v35, v29
	v_fma_f32 v26, v35, v28, -v51
	v_add_f32_e32 v35, v47, v27
	s_wait_dscnt 0x1
	s_delay_alu instid0(VALU_DEP_3) | instskip(NEXT) | instid1(VALU_DEP_3)
	v_dual_mul_f32 v47, v53, v31 :: v_dual_fmac_f32 v50, v36, v28
	v_add_f32_e32 v43, v43, v26
	ds_load_2addr_b64 v[26:29], v22 offset0:192 offset1:208
	v_mul_f32_e32 v36, v52, v31
	v_add_f32_e32 v46, v46, v49
	v_fma_f32 v47, v52, v30, -v47
	v_mul_f32_e32 v49, v53, v33
	s_delay_alu instid0(VALU_DEP_4) | instskip(NEXT) | instid1(VALU_DEP_3)
	v_fmac_f32_e32 v36, v53, v30
	v_add_f32_e32 v0, v0, v47
	s_delay_alu instid0(VALU_DEP_3) | instskip(NEXT) | instid1(VALU_DEP_3)
	v_fma_f32 v47, v52, v32, -v49
	v_dual_add_f32 v45, v45, v36 :: v_dual_mul_f32 v36, v38, v31
	v_mul_f32_e32 v31, v37, v31
	s_delay_alu instid0(VALU_DEP_2) | instskip(NEXT) | instid1(VALU_DEP_2)
	v_fma_f32 v36, v37, v30, -v36
	v_fmac_f32_e32 v31, v38, v30
	v_add_f32_e32 v44, v44, v58
	s_delay_alu instid0(VALU_DEP_2) | instskip(NEXT) | instid1(VALU_DEP_2)
	v_dual_mul_f32 v30, v37, v33 :: v_dual_add_f32 v31, v35, v31
	v_dual_add_f32 v44, v44, v47 :: v_dual_mul_f32 v47, v38, v33
	v_add_f32_e32 v50, v34, v50
	v_mul_f32_e32 v34, v52, v33
	s_delay_alu instid0(VALU_DEP_4) | instskip(NEXT) | instid1(VALU_DEP_4)
	v_fmac_f32_e32 v30, v38, v32
	v_fma_f32 v33, v37, v32, -v47
	s_wait_dscnt 0x0
	s_delay_alu instid0(VALU_DEP_3) | instskip(NEXT) | instid1(VALU_DEP_2)
	v_dual_mul_f32 v47, v40, v27 :: v_dual_fmac_f32 v34, v53, v32
	v_dual_add_f32 v32, v43, v33 :: v_dual_mul_f32 v33, v54, v27
	v_mul_f32_e32 v43, v55, v29
	s_delay_alu instid0(VALU_DEP_2) | instskip(NEXT) | instid1(VALU_DEP_2)
	v_dual_fmac_f32 v33, v55, v26 :: v_dual_add_f32 v46, v46, v36
	v_fma_f32 v43, v54, v28, -v43
	s_delay_alu instid0(VALU_DEP_2) | instskip(SKIP_3) | instid1(VALU_DEP_3)
	v_dual_add_f32 v33, v45, v33 :: v_dual_add_f32 v48, v48, v34
	v_mul_f32_e32 v34, v55, v27
	v_mul_f32_e32 v27, v39, v27
	;; [unrolled: 1-line block ×3, first 2 shown]
	v_fma_f32 v38, v54, v26, -v34
	ds_load_2addr_b64 v[34:37], v22 offset0:224 offset1:240
	v_fmac_f32_e32 v27, v40, v26
	v_add_f32_e32 v30, v50, v30
	s_wait_loadcnt_dscnt 0x0
	v_add_f32_e32 v0, v0, v38
	s_barrier_signal -1
	v_dual_add_f32 v27, v31, v27 :: v_dual_mul_f32 v38, v54, v29
	v_mul_f32_e32 v29, v39, v29
	s_barrier_wait -1
	global_inv scope:SCOPE_SE
	v_fmac_f32_e32 v38, v55, v28
	v_fmac_f32_e32 v29, v40, v28
	s_delay_alu instid0(VALU_DEP_1) | instskip(SKIP_2) | instid1(VALU_DEP_2)
	v_add_f32_e32 v40, v30, v29
	v_mul_f32_e32 v29, v56, v37
	v_mul_f32_e32 v31, v57, v35
	v_fmac_f32_e32 v29, v57, v36
	v_add_f32_e32 v43, v44, v43
	v_fma_f32 v44, v39, v26, -v47
	v_fma_f32 v39, v39, v28, -v45
	;; [unrolled: 1-line block ×3, first 2 shown]
	s_delay_alu instid0(VALU_DEP_2) | instskip(SKIP_1) | instid1(VALU_DEP_2)
	v_dual_add_f32 v39, v32, v39 :: v_dual_mul_f32 v32, v57, v37
	v_mul_f32_e32 v28, v56, v35
	v_fma_f32 v30, v56, v36, -v32
	s_delay_alu instid0(VALU_DEP_4) | instskip(SKIP_1) | instid1(VALU_DEP_4)
	v_add_f32_e32 v32, v0, v31
	v_mul_f32_e32 v0, v42, v35
	v_fmac_f32_e32 v28, v57, v34
	s_delay_alu instid0(VALU_DEP_4) | instskip(SKIP_1) | instid1(VALU_DEP_4)
	v_dual_mul_f32 v35, v41, v35 :: v_dual_add_f32 v30, v43, v30
	v_mul_f32_e32 v43, v42, v37
	v_fma_f32 v0, v41, v34, -v0
	v_dual_mul_f32 v37, v41, v37 :: v_dual_add_f32 v26, v48, v38
	v_add_f32_e32 v38, v46, v44
	v_add_f32_e32 v33, v33, v28
	v_fmac_f32_e32 v35, v42, v34
	s_delay_alu instid0(VALU_DEP_4) | instskip(SKIP_3) | instid1(VALU_DEP_4)
	v_fmac_f32_e32 v37, v42, v36
	v_add_f32_e32 v31, v26, v29
	v_add_f32_e32 v28, v38, v0
	v_fma_f32 v0, v41, v36, -v43
	v_dual_add_f32 v29, v27, v35 :: v_dual_add_f32 v26, v40, v37
	s_delay_alu instid0(VALU_DEP_2)
	v_add_f32_e32 v27, v39, v0
	s_wait_alu 0xfffe
	s_cbranch_vccz .LBB226_22
.LBB226_11:                             ;   Parent Loop BB226_8 Depth=1
                                        ; =>  This Inner Loop Header: Depth=2
	s_mov_b32 s29, 0
	s_mov_b32 s35, s33
	s_and_saveexec_b32 s34, s0
	s_cbranch_execnz .LBB226_19
; %bb.12:                               ;   in Loop: Header=BB226_11 Depth=2
	s_or_b32 exec_lo, exec_lo, s34
	s_and_saveexec_b32 s34, s35
	s_delay_alu instid0(SALU_CYCLE_1)
	s_xor_b32 s34, exec_lo, s34
	s_cbranch_execnz .LBB226_20
.LBB226_13:                             ;   in Loop: Header=BB226_11 Depth=2
	s_or_b32 exec_lo, exec_lo, s34
	s_wait_alu 0xfffe
	s_and_saveexec_b32 s34, s29
	s_cbranch_execz .LBB226_15
.LBB226_14:                             ;   in Loop: Header=BB226_11 Depth=2
	v_mul_lo_u32 v0, s15, v10
	v_mul_lo_u32 v36, s14, v11
	v_mad_co_u64_u32 v[34:35], null, s14, v10, 0
	s_delay_alu instid0(VALU_DEP_1) | instskip(NEXT) | instid1(VALU_DEP_1)
	v_add3_u32 v35, v35, v36, v0
	v_lshlrev_b64_e32 v[34:35], 3, v[34:35]
	s_delay_alu instid0(VALU_DEP_1) | instskip(SKIP_1) | instid1(VALU_DEP_2)
	v_add_co_u32 v34, vcc_lo, v12, v34
	s_wait_alu 0xfffd
	v_add_co_ci_u32_e64 v35, null, v13, v35, vcc_lo
	global_load_b64 v[34:35], v[34:35], off
	s_wait_loadcnt 0x0
	ds_store_b64 v16, v[34:35]
.LBB226_15:                             ;   in Loop: Header=BB226_11 Depth=2
	s_or_b32 exec_lo, exec_lo, s34
	v_add_nc_u32_e32 v0, s2, v14
	s_delay_alu instid0(VALU_DEP_1) | instskip(SKIP_3) | instid1(SALU_CYCLE_1)
	v_cmp_le_u64_e32 vcc_lo, s[8:9], v[0:1]
	s_or_b32 s29, vcc_lo, s28
	s_wait_alu 0xfffe
	s_and_saveexec_b32 s34, s29
	s_xor_b32 s29, exec_lo, s34
; %bb.16:                               ;   in Loop: Header=BB226_11 Depth=2
	v_mov_b32_e32 v0, v1
	ds_store_b64 v19, v[0:1]
; %bb.17:                               ;   in Loop: Header=BB226_11 Depth=2
	s_wait_alu 0xfffe
	s_and_not1_saveexec_b32 s29, s29
	s_cbranch_execz .LBB226_10
; %bb.18:                               ;   in Loop: Header=BB226_11 Depth=2
	v_mad_co_u64_u32 v[34:35], null, s20, v0, 0
	s_delay_alu instid0(VALU_DEP_1) | instskip(NEXT) | instid1(VALU_DEP_1)
	v_mad_co_u64_u32 v[35:36], null, s21, v0, v[35:36]
	v_lshlrev_b64_e32 v[34:35], 3, v[34:35]
	s_delay_alu instid0(VALU_DEP_1) | instskip(SKIP_1) | instid1(VALU_DEP_2)
	v_add_co_u32 v34, vcc_lo, v24, v34
	s_wait_alu 0xfffd
	v_add_co_ci_u32_e64 v35, null, v25, v35, vcc_lo
	global_load_b64 v[34:35], v[34:35], off
	s_wait_loadcnt 0x0
	ds_store_b64 v19, v[34:35]
	s_branch .LBB226_10
.LBB226_19:                             ;   in Loop: Header=BB226_11 Depth=2
	s_wait_alu 0xfffe
	v_add_nc_u32_e32 v0, s2, v15
	v_mov_b32_e32 v11, v1
	s_and_not1_b32 s35, s33, exec_lo
	s_mov_b32 s29, exec_lo
	s_delay_alu instid0(VALU_DEP_2) | instskip(SKIP_2) | instid1(SALU_CYCLE_1)
	v_cmp_le_u64_e32 vcc_lo, s[8:9], v[0:1]
	v_mov_b32_e32 v10, v0
	s_and_b32 s36, vcc_lo, exec_lo
	s_or_b32 s35, s35, s36
	s_or_b32 exec_lo, exec_lo, s34
	s_and_saveexec_b32 s34, s35
	s_delay_alu instid0(SALU_CYCLE_1)
	s_xor_b32 s34, exec_lo, s34
	s_cbranch_execz .LBB226_13
.LBB226_20:                             ;   in Loop: Header=BB226_11 Depth=2
	v_mov_b32_e32 v0, v1
	s_wait_alu 0xfffe
	s_and_not1_b32 s29, s29, exec_lo
	ds_store_b64 v16, v[0:1]
	s_or_b32 exec_lo, exec_lo, s34
	s_wait_alu 0xfffe
	s_and_saveexec_b32 s34, s29
	s_cbranch_execnz .LBB226_14
	s_branch .LBB226_15
.LBB226_21:                             ;   in Loop: Header=BB226_8 Depth=1
	v_dual_mov_b32 v32, v1 :: v_dual_mov_b32 v33, v1
	v_dual_mov_b32 v30, v1 :: v_dual_mov_b32 v31, v1
	v_dual_mov_b32 v28, v1 :: v_dual_mov_b32 v29, v1
	v_dual_mov_b32 v27, v1 :: v_dual_mov_b32 v26, v1
.LBB226_22:                             ;   in Loop: Header=BB226_8 Depth=1
	s_mul_u64 s[2:3], s[30:31], s[24:25]
	s_wait_alu 0xfffe
	s_lshl_b64 s[2:3], s[2:3], 3
	s_wait_alu 0xfffe
	s_add_nc_u64 s[2:3], s[26:27], s[2:3]
	s_wait_alu 0xfffe
	v_add_co_u32 v0, vcc_lo, s2, v2
	s_wait_alu 0xfffd
	v_add_co_ci_u32_e64 v24, null, s3, v3, vcc_lo
	s_and_saveexec_b32 s29, s12
	s_cbranch_execz .LBB226_27
; %bb.23:                               ;   in Loop: Header=BB226_8 Depth=1
	v_mul_f32_e32 v13, s10, v33
	v_mul_f32_e32 v12, s11, v33
	s_and_b32 vcc_lo, exec_lo, s19
	s_mov_b32 s34, -1
	s_delay_alu instid0(VALU_DEP_2) | instskip(NEXT) | instid1(VALU_DEP_2)
	v_fmac_f32_e32 v13, s11, v32
	v_fma_f32 v12, v32, s10, -v12
	s_wait_alu 0xfffe
	s_cbranch_vccz .LBB226_25
; %bb.24:                               ;   in Loop: Header=BB226_8 Depth=1
	v_add_co_u32 v32, vcc_lo, v0, v6
	s_wait_alu 0xfffd
	v_add_co_ci_u32_e64 v33, null, v24, v7, vcc_lo
	s_mov_b32 s34, 0
	global_load_b64 v[34:35], v[32:33], off
	s_wait_loadcnt 0x0
	v_mul_f32_e32 v25, s7, v35
	s_delay_alu instid0(VALU_DEP_1) | instskip(SKIP_1) | instid1(VALU_DEP_1)
	v_fma_f32 v25, v34, s6, -v25
	v_mul_f32_e32 v35, s6, v35
	v_dual_fmac_f32 v35, s7, v34 :: v_dual_add_f32 v34, v12, v25
	s_delay_alu instid0(VALU_DEP_1)
	v_add_f32_e32 v35, v13, v35
	global_store_b64 v[32:33], v[34:35], off
.LBB226_25:                             ;   in Loop: Header=BB226_8 Depth=1
	s_and_not1_b32 vcc_lo, exec_lo, s34
	s_wait_alu 0xfffe
	s_cbranch_vccnz .LBB226_27
; %bb.26:                               ;   in Loop: Header=BB226_8 Depth=1
	v_add_co_u32 v32, vcc_lo, v0, v6
	s_wait_alu 0xfffd
	v_add_co_ci_u32_e64 v33, null, v24, v7, vcc_lo
	global_store_b64 v[32:33], v[12:13], off
.LBB226_27:                             ;   in Loop: Header=BB226_8 Depth=1
	s_wait_alu 0xfffe
	s_or_b32 exec_lo, exec_lo, s29
	s_and_saveexec_b32 s29, s13
	s_cbranch_execz .LBB226_32
; %bb.28:                               ;   in Loop: Header=BB226_8 Depth=1
	v_mul_f32_e32 v13, s10, v31
	v_mul_f32_e32 v12, s11, v31
	s_and_not1_b32 vcc_lo, exec_lo, s19
	s_mov_b32 s34, -1
	s_delay_alu instid0(VALU_DEP_2) | instskip(NEXT) | instid1(VALU_DEP_2)
	v_fmac_f32_e32 v13, s11, v30
	v_fma_f32 v12, v30, s10, -v12
	s_wait_alu 0xfffe
	s_cbranch_vccnz .LBB226_30
; %bb.29:                               ;   in Loop: Header=BB226_8 Depth=1
	v_add_co_u32 v30, vcc_lo, v0, v8
	s_wait_alu 0xfffd
	v_add_co_ci_u32_e64 v31, null, v24, v9, vcc_lo
	s_mov_b32 s34, 0
	global_load_b64 v[32:33], v[30:31], off
	s_wait_loadcnt 0x0
	v_mul_f32_e32 v25, s7, v33
	v_mul_f32_e32 v33, s6, v33
	s_delay_alu instid0(VALU_DEP_2) | instskip(NEXT) | instid1(VALU_DEP_1)
	v_fma_f32 v25, v32, s6, -v25
	v_dual_fmac_f32 v33, s7, v32 :: v_dual_add_f32 v32, v12, v25
	s_delay_alu instid0(VALU_DEP_1)
	v_add_f32_e32 v33, v13, v33
	global_store_b64 v[30:31], v[32:33], off
.LBB226_30:                             ;   in Loop: Header=BB226_8 Depth=1
	s_and_not1_b32 vcc_lo, exec_lo, s34
	s_wait_alu 0xfffe
	s_cbranch_vccnz .LBB226_32
; %bb.31:                               ;   in Loop: Header=BB226_8 Depth=1
	v_add_co_u32 v30, vcc_lo, v0, v8
	s_wait_alu 0xfffd
	v_add_co_ci_u32_e64 v31, null, v24, v9, vcc_lo
	global_store_b64 v[30:31], v[12:13], off
.LBB226_32:                             ;   in Loop: Header=BB226_8 Depth=1
	s_wait_alu 0xfffe
	s_or_b32 exec_lo, exec_lo, s29
	v_add_co_u32 v0, vcc_lo, s2, v4
	s_wait_alu 0xfffd
	v_add_co_ci_u32_e64 v24, null, s3, v5, vcc_lo
	s_and_saveexec_b32 s2, s1
	s_cbranch_execz .LBB226_37
; %bb.33:                               ;   in Loop: Header=BB226_8 Depth=1
	v_mul_f32_e32 v13, s10, v29
	v_mul_f32_e32 v12, s11, v29
	s_and_not1_b32 vcc_lo, exec_lo, s19
	s_mov_b32 s3, -1
	s_delay_alu instid0(VALU_DEP_2) | instskip(NEXT) | instid1(VALU_DEP_2)
	v_fmac_f32_e32 v13, s11, v28
	v_fma_f32 v12, v28, s10, -v12
	s_wait_alu 0xfffe
	s_cbranch_vccnz .LBB226_35
; %bb.34:                               ;   in Loop: Header=BB226_8 Depth=1
	v_add_co_u32 v28, vcc_lo, v0, v6
	s_wait_alu 0xfffd
	v_add_co_ci_u32_e64 v29, null, v24, v7, vcc_lo
	s_mov_b32 s3, 0
	global_load_b64 v[30:31], v[28:29], off
	s_wait_loadcnt 0x0
	v_mul_f32_e32 v25, s7, v31
	s_delay_alu instid0(VALU_DEP_1) | instskip(SKIP_1) | instid1(VALU_DEP_1)
	v_fma_f32 v25, v30, s6, -v25
	v_mul_f32_e32 v31, s6, v31
	v_dual_fmac_f32 v31, s7, v30 :: v_dual_add_f32 v30, v12, v25
	s_delay_alu instid0(VALU_DEP_1)
	v_add_f32_e32 v31, v13, v31
	global_store_b64 v[28:29], v[30:31], off
.LBB226_35:                             ;   in Loop: Header=BB226_8 Depth=1
	s_wait_alu 0xfffe
	s_and_not1_b32 vcc_lo, exec_lo, s3
	s_wait_alu 0xfffe
	s_cbranch_vccnz .LBB226_37
; %bb.36:                               ;   in Loop: Header=BB226_8 Depth=1
	v_add_co_u32 v28, vcc_lo, v0, v6
	s_wait_alu 0xfffd
	v_add_co_ci_u32_e64 v29, null, v24, v7, vcc_lo
	global_store_b64 v[28:29], v[12:13], off
.LBB226_37:                             ;   in Loop: Header=BB226_8 Depth=1
	s_wait_alu 0xfffe
	s_or_b32 exec_lo, exec_lo, s2
	s_and_saveexec_b32 s2, s4
	s_cbranch_execz .LBB226_7
; %bb.38:                               ;   in Loop: Header=BB226_8 Depth=1
	v_mul_f32_e32 v13, s10, v26
	v_mul_f32_e32 v12, s11, v26
	s_and_not1_b32 vcc_lo, exec_lo, s19
	s_mov_b32 s3, -1
	s_delay_alu instid0(VALU_DEP_2) | instskip(NEXT) | instid1(VALU_DEP_2)
	v_fmac_f32_e32 v13, s11, v27
	v_fma_f32 v12, v27, s10, -v12
	s_wait_alu 0xfffe
	s_cbranch_vccnz .LBB226_40
; %bb.39:                               ;   in Loop: Header=BB226_8 Depth=1
	v_add_co_u32 v25, vcc_lo, v0, v8
	s_wait_alu 0xfffd
	v_add_co_ci_u32_e64 v26, null, v24, v9, vcc_lo
	s_mov_b32 s3, 0
	global_load_b64 v[27:28], v[25:26], off
	s_wait_loadcnt 0x0
	v_mul_f32_e32 v29, s7, v28
	v_mul_f32_e32 v28, s6, v28
	s_delay_alu instid0(VALU_DEP_1) | instskip(NEXT) | instid1(VALU_DEP_3)
	v_fmac_f32_e32 v28, s7, v27
	v_fma_f32 v29, v27, s6, -v29
	s_delay_alu instid0(VALU_DEP_1)
	v_dual_add_f32 v28, v13, v28 :: v_dual_add_f32 v27, v12, v29
	global_store_b64 v[25:26], v[27:28], off
.LBB226_40:                             ;   in Loop: Header=BB226_8 Depth=1
	s_wait_alu 0xfffe
	s_and_not1_b32 vcc_lo, exec_lo, s3
	s_wait_alu 0xfffe
	s_cbranch_vccnz .LBB226_7
; %bb.41:                               ;   in Loop: Header=BB226_8 Depth=1
	v_add_co_u32 v25, vcc_lo, v0, v8
	s_wait_alu 0xfffd
	v_add_co_ci_u32_e64 v26, null, v24, v9, vcc_lo
	global_store_b64 v[25:26], v[12:13], off
	s_branch .LBB226_7
.LBB226_42:
	s_endpgm
	.section	.rodata,"a",@progbits
	.p2align	6, 0x0
	.amdhsa_kernel _ZL29rocblas_internal_gemmt_kernelIlLi16ELi32ELi8ELc78ELc84ELc76ELb0ELb0E19rocblas_complex_numIfEPKS1_S3_PS1_EviT_T9_T10_S5_lS7_S5_lS6_T11_S5_li
		.amdhsa_group_segment_fixed_size 4096
		.amdhsa_private_segment_fixed_size 0
		.amdhsa_kernarg_size 108
		.amdhsa_user_sgpr_count 2
		.amdhsa_user_sgpr_dispatch_ptr 0
		.amdhsa_user_sgpr_queue_ptr 0
		.amdhsa_user_sgpr_kernarg_segment_ptr 1
		.amdhsa_user_sgpr_dispatch_id 0
		.amdhsa_user_sgpr_private_segment_size 0
		.amdhsa_wavefront_size32 1
		.amdhsa_uses_dynamic_stack 0
		.amdhsa_enable_private_segment 0
		.amdhsa_system_sgpr_workgroup_id_x 1
		.amdhsa_system_sgpr_workgroup_id_y 1
		.amdhsa_system_sgpr_workgroup_id_z 1
		.amdhsa_system_sgpr_workgroup_info 0
		.amdhsa_system_vgpr_workitem_id 1
		.amdhsa_next_free_vgpr 71
		.amdhsa_next_free_sgpr 37
		.amdhsa_reserve_vcc 1
		.amdhsa_float_round_mode_32 0
		.amdhsa_float_round_mode_16_64 0
		.amdhsa_float_denorm_mode_32 3
		.amdhsa_float_denorm_mode_16_64 3
		.amdhsa_fp16_overflow 0
		.amdhsa_workgroup_processor_mode 1
		.amdhsa_memory_ordered 1
		.amdhsa_forward_progress 1
		.amdhsa_inst_pref_size 26
		.amdhsa_round_robin_scheduling 0
		.amdhsa_exception_fp_ieee_invalid_op 0
		.amdhsa_exception_fp_denorm_src 0
		.amdhsa_exception_fp_ieee_div_zero 0
		.amdhsa_exception_fp_ieee_overflow 0
		.amdhsa_exception_fp_ieee_underflow 0
		.amdhsa_exception_fp_ieee_inexact 0
		.amdhsa_exception_int_div_zero 0
	.end_amdhsa_kernel
	.section	.text._ZL29rocblas_internal_gemmt_kernelIlLi16ELi32ELi8ELc78ELc84ELc76ELb0ELb0E19rocblas_complex_numIfEPKS1_S3_PS1_EviT_T9_T10_S5_lS7_S5_lS6_T11_S5_li,"axG",@progbits,_ZL29rocblas_internal_gemmt_kernelIlLi16ELi32ELi8ELc78ELc84ELc76ELb0ELb0E19rocblas_complex_numIfEPKS1_S3_PS1_EviT_T9_T10_S5_lS7_S5_lS6_T11_S5_li,comdat
.Lfunc_end226:
	.size	_ZL29rocblas_internal_gemmt_kernelIlLi16ELi32ELi8ELc78ELc84ELc76ELb0ELb0E19rocblas_complex_numIfEPKS1_S3_PS1_EviT_T9_T10_S5_lS7_S5_lS6_T11_S5_li, .Lfunc_end226-_ZL29rocblas_internal_gemmt_kernelIlLi16ELi32ELi8ELc78ELc84ELc76ELb0ELb0E19rocblas_complex_numIfEPKS1_S3_PS1_EviT_T9_T10_S5_lS7_S5_lS6_T11_S5_li
                                        ; -- End function
	.set _ZL29rocblas_internal_gemmt_kernelIlLi16ELi32ELi8ELc78ELc84ELc76ELb0ELb0E19rocblas_complex_numIfEPKS1_S3_PS1_EviT_T9_T10_S5_lS7_S5_lS6_T11_S5_li.num_vgpr, 71
	.set _ZL29rocblas_internal_gemmt_kernelIlLi16ELi32ELi8ELc78ELc84ELc76ELb0ELb0E19rocblas_complex_numIfEPKS1_S3_PS1_EviT_T9_T10_S5_lS7_S5_lS6_T11_S5_li.num_agpr, 0
	.set _ZL29rocblas_internal_gemmt_kernelIlLi16ELi32ELi8ELc78ELc84ELc76ELb0ELb0E19rocblas_complex_numIfEPKS1_S3_PS1_EviT_T9_T10_S5_lS7_S5_lS6_T11_S5_li.numbered_sgpr, 37
	.set _ZL29rocblas_internal_gemmt_kernelIlLi16ELi32ELi8ELc78ELc84ELc76ELb0ELb0E19rocblas_complex_numIfEPKS1_S3_PS1_EviT_T9_T10_S5_lS7_S5_lS6_T11_S5_li.num_named_barrier, 0
	.set _ZL29rocblas_internal_gemmt_kernelIlLi16ELi32ELi8ELc78ELc84ELc76ELb0ELb0E19rocblas_complex_numIfEPKS1_S3_PS1_EviT_T9_T10_S5_lS7_S5_lS6_T11_S5_li.private_seg_size, 0
	.set _ZL29rocblas_internal_gemmt_kernelIlLi16ELi32ELi8ELc78ELc84ELc76ELb0ELb0E19rocblas_complex_numIfEPKS1_S3_PS1_EviT_T9_T10_S5_lS7_S5_lS6_T11_S5_li.uses_vcc, 1
	.set _ZL29rocblas_internal_gemmt_kernelIlLi16ELi32ELi8ELc78ELc84ELc76ELb0ELb0E19rocblas_complex_numIfEPKS1_S3_PS1_EviT_T9_T10_S5_lS7_S5_lS6_T11_S5_li.uses_flat_scratch, 0
	.set _ZL29rocblas_internal_gemmt_kernelIlLi16ELi32ELi8ELc78ELc84ELc76ELb0ELb0E19rocblas_complex_numIfEPKS1_S3_PS1_EviT_T9_T10_S5_lS7_S5_lS6_T11_S5_li.has_dyn_sized_stack, 0
	.set _ZL29rocblas_internal_gemmt_kernelIlLi16ELi32ELi8ELc78ELc84ELc76ELb0ELb0E19rocblas_complex_numIfEPKS1_S3_PS1_EviT_T9_T10_S5_lS7_S5_lS6_T11_S5_li.has_recursion, 0
	.set _ZL29rocblas_internal_gemmt_kernelIlLi16ELi32ELi8ELc78ELc84ELc76ELb0ELb0E19rocblas_complex_numIfEPKS1_S3_PS1_EviT_T9_T10_S5_lS7_S5_lS6_T11_S5_li.has_indirect_call, 0
	.section	.AMDGPU.csdata,"",@progbits
; Kernel info:
; codeLenInByte = 3240
; TotalNumSgprs: 39
; NumVgprs: 71
; ScratchSize: 0
; MemoryBound: 0
; FloatMode: 240
; IeeeMode: 1
; LDSByteSize: 4096 bytes/workgroup (compile time only)
; SGPRBlocks: 0
; VGPRBlocks: 8
; NumSGPRsForWavesPerEU: 39
; NumVGPRsForWavesPerEU: 71
; Occupancy: 16
; WaveLimiterHint : 0
; COMPUTE_PGM_RSRC2:SCRATCH_EN: 0
; COMPUTE_PGM_RSRC2:USER_SGPR: 2
; COMPUTE_PGM_RSRC2:TRAP_HANDLER: 0
; COMPUTE_PGM_RSRC2:TGID_X_EN: 1
; COMPUTE_PGM_RSRC2:TGID_Y_EN: 1
; COMPUTE_PGM_RSRC2:TGID_Z_EN: 1
; COMPUTE_PGM_RSRC2:TIDIG_COMP_CNT: 1
	.section	.text._ZL29rocblas_internal_gemmt_kernelIlLi16ELi32ELi8ELc78ELc67ELc76ELb0ELb1E19rocblas_complex_numIfEPKS1_S3_PS1_EviT_T9_T10_S5_lS7_S5_lS6_T11_S5_li,"axG",@progbits,_ZL29rocblas_internal_gemmt_kernelIlLi16ELi32ELi8ELc78ELc67ELc76ELb0ELb1E19rocblas_complex_numIfEPKS1_S3_PS1_EviT_T9_T10_S5_lS7_S5_lS6_T11_S5_li,comdat
	.globl	_ZL29rocblas_internal_gemmt_kernelIlLi16ELi32ELi8ELc78ELc67ELc76ELb0ELb1E19rocblas_complex_numIfEPKS1_S3_PS1_EviT_T9_T10_S5_lS7_S5_lS6_T11_S5_li ; -- Begin function _ZL29rocblas_internal_gemmt_kernelIlLi16ELi32ELi8ELc78ELc67ELc76ELb0ELb1E19rocblas_complex_numIfEPKS1_S3_PS1_EviT_T9_T10_S5_lS7_S5_lS6_T11_S5_li
	.p2align	8
	.type	_ZL29rocblas_internal_gemmt_kernelIlLi16ELi32ELi8ELc78ELc67ELc76ELb0ELb1E19rocblas_complex_numIfEPKS1_S3_PS1_EviT_T9_T10_S5_lS7_S5_lS6_T11_S5_li,@function
_ZL29rocblas_internal_gemmt_kernelIlLi16ELi32ELi8ELc78ELc67ELc76ELb0ELb1E19rocblas_complex_numIfEPKS1_S3_PS1_EviT_T9_T10_S5_lS7_S5_lS6_T11_S5_li: ; @_ZL29rocblas_internal_gemmt_kernelIlLi16ELi32ELi8ELc78ELc67ELc76ELb0ELb1E19rocblas_complex_numIfEPKS1_S3_PS1_EviT_T9_T10_S5_lS7_S5_lS6_T11_S5_li
; %bb.0:
	s_load_b256 s[24:31], s[0:1], 0x48
	s_wait_kmcnt 0x0
	s_load_b64 s[6:7], s[24:25], 0x0
	s_load_b512 s[8:23], s[0:1], 0x8
	s_wait_kmcnt 0x0
	s_cmp_eq_f32 s6, 1.0
	s_load_b64 s[10:11], s[10:11], 0x0
	s_cselect_b32 s2, -1, 0
	s_and_b32 s3, s7, 0x7fffffff
	s_delay_alu instid0(SALU_CYCLE_1) | instskip(SKIP_1) | instid1(SALU_CYCLE_1)
	s_cmp_eq_u32 s3, 0
	s_cselect_b32 s34, -1, 0
	s_and_b32 s3, s2, s34
	s_mov_b32 s2, 0
	s_and_not1_b32 vcc_lo, exec_lo, s3
	s_mov_b32 s3, -1
	s_cbranch_vccnz .LBB227_4
; %bb.1:
	s_cmp_lg_u64 s[8:9], 0
	s_cbranch_scc0 .LBB227_3
; %bb.2:
	s_wait_kmcnt 0x0
	s_cmp_neq_f32 s10, 0
	s_cselect_b32 s2, -1, 0
	s_cmp_neq_f32 s11, 0
	s_cselect_b32 s3, -1, 0
	s_delay_alu instid0(SALU_CYCLE_1)
	s_or_b32 s2, s2, s3
.LBB227_3:
	s_delay_alu instid0(SALU_CYCLE_1)
	s_mov_b32 s3, s2
.LBB227_4:
	s_delay_alu instid0(SALU_CYCLE_1)
	s_and_b32 vcc_lo, exec_lo, s3
	s_cbranch_vccz .LBB227_42
; %bb.5:
	s_load_b32 s5, s[0:1], 0x68
	s_lshr_b32 s24, ttmp7, 16
	s_wait_kmcnt 0x0
	s_cmp_ge_u32 s24, s5
	s_cbranch_scc1 .LBB227_42
; %bb.6:
	v_and_b32_e32 v7, 0x3ff, v0
	v_bfe_u32 v8, v0, 10, 10
	v_and_b32_e32 v14, 7, v0
	s_load_b32 s4, s[0:1], 0x0
	s_lshl_b32 s0, ttmp7, 5
	s_lshl_b32 s1, ttmp9, 5
	v_lshl_add_u32 v2, v8, 4, v7
	s_and_b32 s2, s0, 0x1fffe0
	v_lshlrev_b32_e32 v4, 3, v14
	v_add_nc_u32_e32 v11, s2, v8
	s_cmp_neq_f32 s10, 0
	v_lshrrev_b32_e32 v5, 3, v2
	v_lshrrev_b32_e32 v15, 5, v2
	v_lshl_add_u32 v23, v8, 6, 0x800
	v_add_nc_u32_e32 v12, 16, v11
	s_cselect_b32 s0, -1, 0
	v_lshl_or_b32 v4, v5, 6, v4
	v_add_nc_u32_e32 v6, s2, v5
	s_cmp_neq_f32 s11, 0
	v_cmp_gt_i64_e64 s35, s[8:9], 0
	s_mov_b32 s25, 0
	v_add_nc_u32_e32 v19, 0x800, v4
	v_mad_co_u64_u32 v[4:5], null, s28, v12, 0
	v_and_b32_e32 v3, 31, v2
	s_cselect_b32 s3, -1, 0
	s_wait_alu 0xfffe
	s_or_b32 s36, s0, s3
	s_cmp_neq_f32 s6, 0
	v_or_b32_e32 v0, s1, v3
	v_lshlrev_b32_e32 v3, 3, v3
	s_delay_alu instid0(VALU_DEP_2) | instskip(NEXT) | instid1(VALU_DEP_2)
	v_ashrrev_i32_e32 v1, 31, v0
	v_lshl_or_b32 v16, v15, 8, v3
	s_wait_kmcnt 0x0
	v_cmp_gt_i32_e64 s0, s4, v0
	v_cmp_le_i32_e64 s33, s4, v0
	v_lshlrev_b64_e32 v[1:2], 3, v[0:1]
	v_lshlrev_b32_e32 v0, 3, v6
	s_delay_alu instid0(VALU_DEP_2) | instskip(NEXT) | instid1(VALU_DEP_1)
	v_add_co_u32 v17, vcc_lo, s12, v1
	v_add_co_ci_u32_e64 v18, null, s13, v2, vcc_lo
	v_mad_co_u64_u32 v[2:3], null, s28, v11, 0
	v_cmp_gt_i32_e32 vcc_lo, s4, v6
	v_mov_b32_e32 v1, 0
	v_add_co_u32 v20, s2, s18, v0
	s_wait_alu 0xf1ff
	v_add_co_ci_u32_e64 v21, null, s19, 0, s2
	v_mov_b32_e32 v0, v3
	v_add_nc_u32_e32 v6, s1, v7
	v_lshlrev_b32_e32 v22, 3, v7
	s_cselect_b32 s19, -1, 0
	s_xor_b32 s28, s34, -1
	v_mad_co_u64_u32 v[9:10], null, s29, v11, v[0:1]
	v_add_nc_u32_e32 v8, 16, v6
	v_mov_b32_e32 v0, v5
	v_cmp_le_i32_e64 s1, v11, v6
	v_cmp_gt_i32_e64 s2, s4, v6
	v_ashrrev_i32_e32 v7, 31, v6
	v_cmp_le_i32_e64 s3, v11, v8
	v_mad_co_u64_u32 v[10:11], null, s29, v12, v[0:1]
	v_cmp_gt_i32_e64 s4, s4, v8
	v_mov_b32_e32 v3, v9
	v_ashrrev_i32_e32 v9, 31, v8
	s_and_b32 s12, s1, s2
	v_cmp_le_i32_e64 s1, v12, v6
	s_and_b32 s13, s3, s4
	v_mov_b32_e32 v5, v10
	v_cmp_le_i32_e64 s3, v12, v8
	v_lshlrev_b64_e32 v[2:3], 3, v[2:3]
	v_lshlrev_b64_e32 v[6:7], 3, v[6:7]
	;; [unrolled: 1-line block ×4, first 2 shown]
	s_and_b32 s18, s36, s35
	s_wait_alu 0xfffe
	s_or_b32 s19, s19, s28
	s_and_b32 s1, s1, s2
	s_and_b32 s4, s3, s4
	s_xor_b32 s28, vcc_lo, -1
                                        ; implicit-def: $vgpr10_vgpr11
	s_branch .LBB227_8
.LBB227_7:                              ;   in Loop: Header=BB227_8 Depth=1
	s_wait_alu 0xfffe
	s_or_b32 exec_lo, exec_lo, s2
	s_add_co_i32 s24, s24, 0x10000
	s_delay_alu instid0(SALU_CYCLE_1)
	s_cmp_lt_u32 s24, s5
	s_cbranch_scc0 .LBB227_42
.LBB227_8:                              ; =>This Loop Header: Depth=1
                                        ;     Child Loop BB227_11 Depth 2
	s_and_not1_b32 vcc_lo, exec_lo, s18
	s_wait_alu 0xfffe
	s_cbranch_vccnz .LBB227_21
; %bb.9:                                ;   in Loop: Header=BB227_8 Depth=1
	s_mul_u64 s[2:3], s[16:17], s[24:25]
	s_mul_u64 s[34:35], s[22:23], s[24:25]
	s_wait_alu 0xfffe
	s_lshl_b64 s[2:3], s[2:3], 3
	v_dual_mov_b32 v26, 0 :: v_dual_mov_b32 v27, 0
	s_wait_alu 0xfffe
	v_add_co_u32 v12, vcc_lo, v17, s2
	s_wait_alu 0xfffd
	v_add_co_ci_u32_e64 v13, null, s3, v18, vcc_lo
	s_lshl_b64 s[2:3], s[34:35], 3
	v_dual_mov_b32 v29, 0 :: v_dual_mov_b32 v28, 0
	s_wait_alu 0xfffe
	v_add_co_u32 v24, vcc_lo, v20, s2
	s_wait_alu 0xfffd
	v_add_co_ci_u32_e64 v25, null, s3, v21, vcc_lo
	v_dual_mov_b32 v31, 0 :: v_dual_mov_b32 v30, 0
	v_dual_mov_b32 v33, 0 :: v_dual_mov_b32 v32, 0
	s_mov_b64 s[2:3], 0
	s_branch .LBB227_11
.LBB227_10:                             ;   in Loop: Header=BB227_11 Depth=2
	s_or_b32 exec_lo, exec_lo, s29
	ds_store_b32 v19, v34 offset:4
	s_wait_dscnt 0x0
	s_barrier_signal -1
	s_barrier_wait -1
	global_inv scope:SCOPE_SE
	ds_load_b128 v[34:37], v23
	ds_load_2addr_b64 v[38:41], v22 offset1:16
	ds_load_b128 v[42:45], v23 offset:1024
	ds_load_b128 v[46:49], v23 offset:16
	ds_load_b128 v[50:53], v23 offset:32
	ds_load_b128 v[54:57], v23 offset:48
	ds_load_2addr_b64 v[58:61], v22 offset0:32 offset1:48
	ds_load_b128 v[62:65], v23 offset:1040
	s_add_nc_u64 s[2:3], s[2:3], 8
	s_wait_alu 0xfffe
	v_cmp_gt_i64_e64 s29, s[8:9], s[2:3]
	s_and_b32 vcc_lo, exec_lo, s29
	s_wait_dscnt 0x6
	v_mul_f32_e32 v0, v35, v39
	v_dual_mul_f32 v66, v34, v39 :: v_dual_mul_f32 v67, v35, v41
	s_wait_dscnt 0x5
	v_dual_mul_f32 v68, v34, v41 :: v_dual_mul_f32 v69, v43, v39
	v_dual_mul_f32 v39, v42, v39 :: v_dual_mul_f32 v70, v43, v41
	v_mul_f32_e32 v41, v42, v41
	v_fma_f32 v0, v34, v38, -v0
	v_fma_f32 v34, v34, v40, -v67
	s_delay_alu instid0(VALU_DEP_4)
	v_fmac_f32_e32 v39, v43, v38
	v_fmac_f32_e32 v68, v35, v40
	;; [unrolled: 1-line block ×3, first 2 shown]
	v_add_f32_e32 v0, v32, v0
	v_fmac_f32_e32 v66, v35, v38
	v_fma_f32 v35, v42, v38, -v69
	s_delay_alu instid0(VALU_DEP_2)
	v_add_f32_e32 v32, v33, v66
	v_add_f32_e32 v33, v30, v34
	v_fma_f32 v30, v42, v40, -v70
	s_wait_dscnt 0x1
	v_mul_f32_e32 v38, v37, v59
	v_add_f32_e32 v34, v28, v35
	v_dual_add_f32 v35, v29, v39 :: v_dual_add_f32 v26, v26, v41
	v_add_f32_e32 v39, v27, v30
	ds_load_2addr_b64 v[27:30], v22 offset0:64 offset1:80
	v_fma_f32 v38, v36, v58, -v38
	v_mul_f32_e32 v42, v37, v61
	v_mul_f32_e32 v41, v36, v61
	s_delay_alu instid0(VALU_DEP_3) | instskip(SKIP_1) | instid1(VALU_DEP_3)
	v_dual_add_f32 v31, v31, v68 :: v_dual_add_f32 v0, v0, v38
	v_mul_f32_e32 v38, v45, v59
	v_dual_mul_f32 v40, v36, v59 :: v_dual_fmac_f32 v41, v37, v60
	v_fma_f32 v36, v36, v60, -v42
	s_delay_alu instid0(VALU_DEP_2) | instskip(SKIP_1) | instid1(VALU_DEP_3)
	v_fmac_f32_e32 v40, v37, v58
	v_mul_f32_e32 v37, v45, v61
	v_add_f32_e32 v36, v33, v36
	v_fma_f32 v33, v44, v58, -v38
	v_add_f32_e32 v38, v31, v41
	v_mul_f32_e32 v41, v44, v61
	v_fma_f32 v31, v44, v60, -v37
	v_add_f32_e32 v40, v32, v40
	v_mul_f32_e32 v32, v44, v59
	s_wait_dscnt 0x0
	v_dual_add_f32 v42, v34, v33 :: v_dual_mul_f32 v33, v47, v28
	v_fmac_f32_e32 v41, v45, v60
	s_delay_alu instid0(VALU_DEP_3) | instskip(SKIP_1) | instid1(VALU_DEP_4)
	v_dual_mul_f32 v37, v46, v28 :: v_dual_fmac_f32 v32, v45, v58
	v_add_f32_e32 v39, v39, v31
	v_fma_f32 v43, v46, v27, -v33
	s_delay_alu instid0(VALU_DEP_3) | instskip(NEXT) | instid1(VALU_DEP_4)
	v_fmac_f32_e32 v37, v47, v27
	v_add_f32_e32 v35, v35, v32
	ds_load_2addr_b64 v[31:34], v22 offset0:96 offset1:112
	v_mul_f32_e32 v44, v47, v30
	v_add_f32_e32 v0, v0, v43
	v_dual_add_f32 v37, v40, v37 :: v_dual_mul_f32 v40, v63, v28
	v_mul_f32_e32 v28, v62, v28
	s_delay_alu instid0(VALU_DEP_4)
	v_fma_f32 v43, v46, v29, -v44
	v_add_f32_e32 v41, v26, v41
	v_mul_f32_e32 v26, v46, v30
	v_fma_f32 v40, v62, v27, -v40
	v_fmac_f32_e32 v28, v63, v27
	v_dual_add_f32 v36, v36, v43 :: v_dual_mul_f32 v43, v63, v30
	v_mul_f32_e32 v30, v62, v30
	s_delay_alu instid0(VALU_DEP_4) | instskip(NEXT) | instid1(VALU_DEP_4)
	v_add_f32_e32 v40, v42, v40
	v_add_f32_e32 v42, v35, v28
	s_wait_dscnt 0x0
	s_delay_alu instid0(VALU_DEP_3) | instskip(NEXT) | instid1(VALU_DEP_1)
	v_dual_fmac_f32 v30, v63, v29 :: v_dual_mul_f32 v35, v49, v32
	v_add_f32_e32 v41, v41, v30
	s_delay_alu instid0(VALU_DEP_2) | instskip(NEXT) | instid1(VALU_DEP_1)
	v_fma_f32 v35, v48, v31, -v35
	v_dual_add_f32 v0, v0, v35 :: v_dual_mul_f32 v35, v65, v32
	v_dual_fmac_f32 v26, v47, v29 :: v_dual_mul_f32 v47, v65, v34
	s_delay_alu instid0(VALU_DEP_2) | instskip(NEXT) | instid1(VALU_DEP_2)
	v_fma_f32 v46, v64, v31, -v35
	v_add_f32_e32 v44, v38, v26
	v_fma_f32 v26, v62, v29, -v43
	v_dual_mul_f32 v38, v48, v32 :: v_dual_mul_f32 v43, v49, v34
	s_delay_alu instid0(VALU_DEP_2) | instskip(SKIP_3) | instid1(VALU_DEP_2)
	v_dual_mul_f32 v32, v64, v32 :: v_dual_add_f32 v39, v39, v26
	ds_load_2addr_b64 v[26:29], v22 offset0:128 offset1:144
	v_fmac_f32_e32 v38, v49, v31
	v_fma_f32 v43, v48, v33, -v43
	v_add_f32_e32 v45, v37, v38
	s_delay_alu instid0(VALU_DEP_2) | instskip(SKIP_4) | instid1(VALU_DEP_2)
	v_add_f32_e32 v43, v36, v43
	ds_load_b128 v[35:38], v23 offset:1056
	v_mul_f32_e32 v30, v48, v34
	v_fmac_f32_e32 v32, v65, v31
	s_wait_dscnt 0x1
	v_dual_fmac_f32 v30, v49, v33 :: v_dual_mul_f32 v49, v50, v27
	s_delay_alu instid0(VALU_DEP_1) | instskip(SKIP_2) | instid1(VALU_DEP_4)
	v_dual_mul_f32 v31, v51, v27 :: v_dual_add_f32 v44, v44, v30
	v_fma_f32 v30, v64, v33, -v47
	v_add_f32_e32 v47, v42, v32
	v_fmac_f32_e32 v49, v51, v26
	s_delay_alu instid0(VALU_DEP_3) | instskip(SKIP_1) | instid1(VALU_DEP_3)
	v_add_f32_e32 v48, v39, v30
	v_fma_f32 v39, v50, v26, -v31
	v_dual_add_f32 v45, v45, v49 :: v_dual_mul_f32 v34, v64, v34
	s_delay_alu instid0(VALU_DEP_2) | instskip(NEXT) | instid1(VALU_DEP_2)
	v_add_f32_e32 v0, v0, v39
	v_fmac_f32_e32 v34, v65, v33
	ds_load_2addr_b64 v[30:33], v22 offset0:160 offset1:176
	v_add_f32_e32 v46, v40, v46
	v_mul_f32_e32 v40, v51, v29
	s_delay_alu instid0(VALU_DEP_1) | instskip(NEXT) | instid1(VALU_DEP_1)
	v_fma_f32 v58, v50, v28, -v40
	v_dual_mul_f32 v50, v50, v29 :: v_dual_add_f32 v43, v43, v58
	s_delay_alu instid0(VALU_DEP_1)
	v_fmac_f32_e32 v50, v51, v28
	v_add_f32_e32 v34, v41, v34
	ds_load_b128 v[39:42], v23 offset:1072
	s_wait_dscnt 0x2
	v_mul_f32_e32 v59, v36, v27
	v_dual_mul_f32 v27, v35, v27 :: v_dual_add_f32 v44, v44, v50
	v_mul_f32_e32 v50, v35, v29
	v_mul_f32_e32 v51, v36, v29
	s_delay_alu instid0(VALU_DEP_4) | instskip(NEXT) | instid1(VALU_DEP_4)
	v_fma_f32 v49, v35, v26, -v59
	v_fmac_f32_e32 v27, v36, v26
	s_delay_alu instid0(VALU_DEP_4)
	v_fmac_f32_e32 v50, v36, v28
	s_wait_dscnt 0x1
	v_mul_f32_e32 v36, v52, v31
	v_fma_f32 v26, v35, v28, -v51
	v_add_f32_e32 v35, v47, v27
	v_mul_f32_e32 v47, v53, v31
	s_delay_alu instid0(VALU_DEP_4) | instskip(NEXT) | instid1(VALU_DEP_2)
	v_fmac_f32_e32 v36, v53, v30
	v_fma_f32 v47, v52, v30, -v47
	s_delay_alu instid0(VALU_DEP_2) | instskip(SKIP_1) | instid1(VALU_DEP_3)
	v_dual_add_f32 v45, v45, v36 :: v_dual_mul_f32 v36, v38, v31
	v_dual_mul_f32 v31, v37, v31 :: v_dual_add_f32 v46, v46, v49
	v_dual_mul_f32 v49, v53, v33 :: v_dual_add_f32 v0, v0, v47
	s_delay_alu instid0(VALU_DEP_3) | instskip(NEXT) | instid1(VALU_DEP_3)
	v_fma_f32 v36, v37, v30, -v36
	v_dual_fmac_f32 v31, v38, v30 :: v_dual_mul_f32 v30, v37, v33
	s_delay_alu instid0(VALU_DEP_3) | instskip(NEXT) | instid1(VALU_DEP_2)
	v_fma_f32 v47, v52, v32, -v49
	v_dual_add_f32 v31, v35, v31 :: v_dual_fmac_f32 v30, v38, v32
	s_delay_alu instid0(VALU_DEP_2)
	v_add_f32_e32 v43, v43, v47
	v_dual_mul_f32 v47, v38, v33 :: v_dual_add_f32 v48, v48, v26
	ds_load_2addr_b64 v[26:29], v22 offset0:192 offset1:208
	v_add_f32_e32 v50, v34, v50
	v_mul_f32_e32 v34, v52, v33
	v_fma_f32 v33, v37, v32, -v47
	s_wait_dscnt 0x0
	s_delay_alu instid0(VALU_DEP_2) | instskip(NEXT) | instid1(VALU_DEP_1)
	v_dual_fmac_f32 v34, v53, v32 :: v_dual_mul_f32 v47, v55, v29
	v_fma_f32 v47, v54, v28, -v47
	s_delay_alu instid0(VALU_DEP_1) | instskip(SKIP_3) | instid1(VALU_DEP_3)
	v_dual_add_f32 v43, v43, v47 :: v_dual_add_f32 v32, v48, v33
	v_mul_f32_e32 v33, v54, v27
	v_mul_f32_e32 v48, v40, v27
	;; [unrolled: 1-line block ×3, first 2 shown]
	v_dual_fmac_f32 v33, v55, v26 :: v_dual_add_f32 v46, v46, v36
	s_delay_alu instid0(VALU_DEP_1) | instskip(SKIP_3) | instid1(VALU_DEP_3)
	v_dual_add_f32 v33, v45, v33 :: v_dual_add_f32 v44, v44, v34
	v_mul_f32_e32 v34, v55, v27
	v_mul_f32_e32 v27, v39, v27
	v_fma_f32 v45, v39, v26, -v48
	v_fma_f32 v38, v54, v26, -v34
	ds_load_2addr_b64 v[34:37], v22 offset0:224 offset1:240
	v_fmac_f32_e32 v27, v40, v26
	s_wait_loadcnt_dscnt 0x0
	s_barrier_signal -1
	v_add_f32_e32 v0, v0, v38
	s_barrier_wait -1
	v_dual_add_f32 v27, v31, v27 :: v_dual_mul_f32 v38, v54, v29
	v_mul_f32_e32 v29, v39, v29
	v_fma_f32 v39, v39, v28, -v47
	v_add_f32_e32 v30, v50, v30
	global_inv scope:SCOPE_SE
	v_fmac_f32_e32 v38, v55, v28
	v_fmac_f32_e32 v29, v40, v28
	s_delay_alu instid0(VALU_DEP_1) | instskip(SKIP_4) | instid1(VALU_DEP_4)
	v_dual_add_f32 v39, v32, v39 :: v_dual_add_f32 v40, v30, v29
	v_mul_f32_e32 v31, v57, v35
	v_mul_f32_e32 v32, v57, v37
	v_mul_f32_e32 v28, v56, v35
	v_mul_f32_e32 v29, v56, v37
	v_fma_f32 v31, v56, v34, -v31
	s_delay_alu instid0(VALU_DEP_4) | instskip(NEXT) | instid1(VALU_DEP_4)
	v_fma_f32 v30, v56, v36, -v32
	v_fmac_f32_e32 v28, v57, v34
	s_delay_alu instid0(VALU_DEP_4) | instskip(NEXT) | instid1(VALU_DEP_4)
	v_dual_fmac_f32 v29, v57, v36 :: v_dual_add_f32 v26, v44, v38
	v_add_f32_e32 v32, v0, v31
	v_mul_f32_e32 v0, v42, v35
	v_add_f32_e32 v38, v46, v45
	v_dual_add_f32 v30, v43, v30 :: v_dual_mul_f32 v35, v41, v35
	v_mul_f32_e32 v43, v42, v37
	s_delay_alu instid0(VALU_DEP_4)
	v_fma_f32 v0, v41, v34, -v0
	v_mul_f32_e32 v37, v41, v37
	v_add_f32_e32 v33, v33, v28
	v_fmac_f32_e32 v35, v42, v34
	v_add_f32_e32 v31, v26, v29
	v_add_f32_e32 v28, v38, v0
	v_fma_f32 v0, v41, v36, -v43
	v_fmac_f32_e32 v37, v42, v36
	v_add_f32_e32 v29, v27, v35
	s_delay_alu instid0(VALU_DEP_2)
	v_dual_add_f32 v27, v39, v0 :: v_dual_add_f32 v26, v40, v37
	s_wait_alu 0xfffe
	s_cbranch_vccz .LBB227_22
.LBB227_11:                             ;   Parent Loop BB227_8 Depth=1
                                        ; =>  This Inner Loop Header: Depth=2
	s_mov_b32 s29, 0
	s_mov_b32 s35, s33
	s_and_saveexec_b32 s34, s0
	s_cbranch_execnz .LBB227_19
; %bb.12:                               ;   in Loop: Header=BB227_11 Depth=2
	s_or_b32 exec_lo, exec_lo, s34
	s_and_saveexec_b32 s34, s35
	s_delay_alu instid0(SALU_CYCLE_1)
	s_xor_b32 s34, exec_lo, s34
	s_cbranch_execnz .LBB227_20
.LBB227_13:                             ;   in Loop: Header=BB227_11 Depth=2
	s_or_b32 exec_lo, exec_lo, s34
	s_wait_alu 0xfffe
	s_and_saveexec_b32 s34, s29
	s_cbranch_execz .LBB227_15
.LBB227_14:                             ;   in Loop: Header=BB227_11 Depth=2
	v_mul_lo_u32 v0, s15, v10
	v_mul_lo_u32 v36, s14, v11
	v_mad_co_u64_u32 v[34:35], null, s14, v10, 0
	s_delay_alu instid0(VALU_DEP_1) | instskip(NEXT) | instid1(VALU_DEP_1)
	v_add3_u32 v35, v35, v36, v0
	v_lshlrev_b64_e32 v[34:35], 3, v[34:35]
	s_delay_alu instid0(VALU_DEP_1) | instskip(SKIP_1) | instid1(VALU_DEP_2)
	v_add_co_u32 v34, vcc_lo, v12, v34
	s_wait_alu 0xfffd
	v_add_co_ci_u32_e64 v35, null, v13, v35, vcc_lo
	global_load_b64 v[34:35], v[34:35], off
	s_wait_loadcnt 0x0
	ds_store_b64 v16, v[34:35]
.LBB227_15:                             ;   in Loop: Header=BB227_11 Depth=2
	s_or_b32 exec_lo, exec_lo, s34
	v_add_nc_u32_e32 v0, s2, v14
	s_delay_alu instid0(VALU_DEP_1) | instskip(SKIP_3) | instid1(SALU_CYCLE_1)
	v_cmp_le_u64_e32 vcc_lo, s[8:9], v[0:1]
	s_or_b32 s29, vcc_lo, s28
	s_wait_alu 0xfffe
	s_and_saveexec_b32 s34, s29
	s_xor_b32 s29, exec_lo, s34
; %bb.16:                               ;   in Loop: Header=BB227_11 Depth=2
	ds_store_b32 v19, v1
; %bb.17:                               ;   in Loop: Header=BB227_11 Depth=2
	s_wait_alu 0xfffe
	s_or_saveexec_b32 s29, s29
	v_mov_b32_e32 v34, 0
	s_wait_alu 0xfffe
	s_xor_b32 exec_lo, exec_lo, s29
	s_cbranch_execz .LBB227_10
; %bb.18:                               ;   in Loop: Header=BB227_11 Depth=2
	v_mad_co_u64_u32 v[34:35], null, s20, v0, 0
	s_delay_alu instid0(VALU_DEP_1) | instskip(NEXT) | instid1(VALU_DEP_1)
	v_mad_co_u64_u32 v[35:36], null, s21, v0, v[35:36]
	v_lshlrev_b64_e32 v[34:35], 3, v[34:35]
	s_delay_alu instid0(VALU_DEP_1) | instskip(SKIP_1) | instid1(VALU_DEP_2)
	v_add_co_u32 v34, vcc_lo, v24, v34
	s_wait_alu 0xfffd
	v_add_co_ci_u32_e64 v35, null, v25, v35, vcc_lo
	global_load_b64 v[35:36], v[34:35], off
	s_wait_loadcnt 0x0
	v_xor_b32_e32 v34, 0x80000000, v36
	ds_store_b32 v19, v35
	s_branch .LBB227_10
.LBB227_19:                             ;   in Loop: Header=BB227_11 Depth=2
	s_wait_alu 0xfffe
	v_add_nc_u32_e32 v0, s2, v15
	v_mov_b32_e32 v11, v1
	s_and_not1_b32 s35, s33, exec_lo
	s_mov_b32 s29, exec_lo
	s_delay_alu instid0(VALU_DEP_2) | instskip(SKIP_2) | instid1(SALU_CYCLE_1)
	v_cmp_le_u64_e32 vcc_lo, s[8:9], v[0:1]
	v_mov_b32_e32 v10, v0
	s_and_b32 s36, vcc_lo, exec_lo
	s_or_b32 s35, s35, s36
	s_or_b32 exec_lo, exec_lo, s34
	s_and_saveexec_b32 s34, s35
	s_delay_alu instid0(SALU_CYCLE_1)
	s_xor_b32 s34, exec_lo, s34
	s_cbranch_execz .LBB227_13
.LBB227_20:                             ;   in Loop: Header=BB227_11 Depth=2
	v_mov_b32_e32 v0, v1
	s_wait_alu 0xfffe
	s_and_not1_b32 s29, s29, exec_lo
	ds_store_b64 v16, v[0:1]
	s_or_b32 exec_lo, exec_lo, s34
	s_wait_alu 0xfffe
	s_and_saveexec_b32 s34, s29
	s_cbranch_execnz .LBB227_14
	s_branch .LBB227_15
.LBB227_21:                             ;   in Loop: Header=BB227_8 Depth=1
	v_dual_mov_b32 v32, v1 :: v_dual_mov_b32 v33, v1
	v_dual_mov_b32 v30, v1 :: v_dual_mov_b32 v31, v1
	;; [unrolled: 1-line block ×4, first 2 shown]
.LBB227_22:                             ;   in Loop: Header=BB227_8 Depth=1
	s_mul_u64 s[2:3], s[30:31], s[24:25]
	s_wait_alu 0xfffe
	s_lshl_b64 s[2:3], s[2:3], 3
	s_wait_alu 0xfffe
	s_add_nc_u64 s[2:3], s[26:27], s[2:3]
	s_wait_alu 0xfffe
	v_add_co_u32 v0, vcc_lo, s2, v2
	s_wait_alu 0xfffd
	v_add_co_ci_u32_e64 v24, null, s3, v3, vcc_lo
	s_and_saveexec_b32 s29, s12
	s_cbranch_execz .LBB227_27
; %bb.23:                               ;   in Loop: Header=BB227_8 Depth=1
	v_mul_f32_e32 v13, s10, v33
	v_mul_f32_e32 v12, s11, v33
	s_and_b32 vcc_lo, exec_lo, s19
	s_mov_b32 s34, -1
	s_delay_alu instid0(VALU_DEP_2) | instskip(NEXT) | instid1(VALU_DEP_2)
	v_fmac_f32_e32 v13, s11, v32
	v_fma_f32 v12, v32, s10, -v12
	s_wait_alu 0xfffe
	s_cbranch_vccz .LBB227_25
; %bb.24:                               ;   in Loop: Header=BB227_8 Depth=1
	v_add_co_u32 v32, vcc_lo, v0, v6
	s_wait_alu 0xfffd
	v_add_co_ci_u32_e64 v33, null, v24, v7, vcc_lo
	s_mov_b32 s34, 0
	global_load_b64 v[34:35], v[32:33], off
	s_wait_loadcnt 0x0
	v_mul_f32_e32 v25, s7, v35
	s_delay_alu instid0(VALU_DEP_1) | instskip(SKIP_1) | instid1(VALU_DEP_1)
	v_fma_f32 v25, v34, s6, -v25
	v_mul_f32_e32 v35, s6, v35
	v_dual_fmac_f32 v35, s7, v34 :: v_dual_add_f32 v34, v12, v25
	s_delay_alu instid0(VALU_DEP_1)
	v_add_f32_e32 v35, v13, v35
	global_store_b64 v[32:33], v[34:35], off
.LBB227_25:                             ;   in Loop: Header=BB227_8 Depth=1
	s_and_not1_b32 vcc_lo, exec_lo, s34
	s_wait_alu 0xfffe
	s_cbranch_vccnz .LBB227_27
; %bb.26:                               ;   in Loop: Header=BB227_8 Depth=1
	v_add_co_u32 v32, vcc_lo, v0, v6
	s_wait_alu 0xfffd
	v_add_co_ci_u32_e64 v33, null, v24, v7, vcc_lo
	global_store_b64 v[32:33], v[12:13], off
.LBB227_27:                             ;   in Loop: Header=BB227_8 Depth=1
	s_wait_alu 0xfffe
	s_or_b32 exec_lo, exec_lo, s29
	s_and_saveexec_b32 s29, s13
	s_cbranch_execz .LBB227_32
; %bb.28:                               ;   in Loop: Header=BB227_8 Depth=1
	v_mul_f32_e32 v13, s10, v31
	v_mul_f32_e32 v12, s11, v31
	s_and_not1_b32 vcc_lo, exec_lo, s19
	s_mov_b32 s34, -1
	s_delay_alu instid0(VALU_DEP_2) | instskip(NEXT) | instid1(VALU_DEP_2)
	v_fmac_f32_e32 v13, s11, v30
	v_fma_f32 v12, v30, s10, -v12
	s_wait_alu 0xfffe
	s_cbranch_vccnz .LBB227_30
; %bb.29:                               ;   in Loop: Header=BB227_8 Depth=1
	v_add_co_u32 v30, vcc_lo, v0, v8
	s_wait_alu 0xfffd
	v_add_co_ci_u32_e64 v31, null, v24, v9, vcc_lo
	s_mov_b32 s34, 0
	global_load_b64 v[32:33], v[30:31], off
	s_wait_loadcnt 0x0
	v_mul_f32_e32 v25, s7, v33
	v_mul_f32_e32 v33, s6, v33
	s_delay_alu instid0(VALU_DEP_2) | instskip(NEXT) | instid1(VALU_DEP_1)
	v_fma_f32 v25, v32, s6, -v25
	v_dual_fmac_f32 v33, s7, v32 :: v_dual_add_f32 v32, v12, v25
	s_delay_alu instid0(VALU_DEP_1)
	v_add_f32_e32 v33, v13, v33
	global_store_b64 v[30:31], v[32:33], off
.LBB227_30:                             ;   in Loop: Header=BB227_8 Depth=1
	s_and_not1_b32 vcc_lo, exec_lo, s34
	s_wait_alu 0xfffe
	s_cbranch_vccnz .LBB227_32
; %bb.31:                               ;   in Loop: Header=BB227_8 Depth=1
	v_add_co_u32 v30, vcc_lo, v0, v8
	s_wait_alu 0xfffd
	v_add_co_ci_u32_e64 v31, null, v24, v9, vcc_lo
	global_store_b64 v[30:31], v[12:13], off
.LBB227_32:                             ;   in Loop: Header=BB227_8 Depth=1
	s_wait_alu 0xfffe
	s_or_b32 exec_lo, exec_lo, s29
	v_add_co_u32 v0, vcc_lo, s2, v4
	s_wait_alu 0xfffd
	v_add_co_ci_u32_e64 v24, null, s3, v5, vcc_lo
	s_and_saveexec_b32 s2, s1
	s_cbranch_execz .LBB227_37
; %bb.33:                               ;   in Loop: Header=BB227_8 Depth=1
	v_mul_f32_e32 v13, s10, v29
	v_mul_f32_e32 v12, s11, v29
	s_and_not1_b32 vcc_lo, exec_lo, s19
	s_mov_b32 s3, -1
	s_delay_alu instid0(VALU_DEP_2) | instskip(NEXT) | instid1(VALU_DEP_2)
	v_fmac_f32_e32 v13, s11, v28
	v_fma_f32 v12, v28, s10, -v12
	s_wait_alu 0xfffe
	s_cbranch_vccnz .LBB227_35
; %bb.34:                               ;   in Loop: Header=BB227_8 Depth=1
	v_add_co_u32 v28, vcc_lo, v0, v6
	s_wait_alu 0xfffd
	v_add_co_ci_u32_e64 v29, null, v24, v7, vcc_lo
	s_mov_b32 s3, 0
	global_load_b64 v[30:31], v[28:29], off
	s_wait_loadcnt 0x0
	v_mul_f32_e32 v25, s7, v31
	s_delay_alu instid0(VALU_DEP_1) | instskip(SKIP_1) | instid1(VALU_DEP_1)
	v_fma_f32 v25, v30, s6, -v25
	v_mul_f32_e32 v31, s6, v31
	v_dual_fmac_f32 v31, s7, v30 :: v_dual_add_f32 v30, v12, v25
	s_delay_alu instid0(VALU_DEP_1)
	v_add_f32_e32 v31, v13, v31
	global_store_b64 v[28:29], v[30:31], off
.LBB227_35:                             ;   in Loop: Header=BB227_8 Depth=1
	s_wait_alu 0xfffe
	s_and_not1_b32 vcc_lo, exec_lo, s3
	s_wait_alu 0xfffe
	s_cbranch_vccnz .LBB227_37
; %bb.36:                               ;   in Loop: Header=BB227_8 Depth=1
	v_add_co_u32 v28, vcc_lo, v0, v6
	s_wait_alu 0xfffd
	v_add_co_ci_u32_e64 v29, null, v24, v7, vcc_lo
	global_store_b64 v[28:29], v[12:13], off
.LBB227_37:                             ;   in Loop: Header=BB227_8 Depth=1
	s_wait_alu 0xfffe
	s_or_b32 exec_lo, exec_lo, s2
	s_and_saveexec_b32 s2, s4
	s_cbranch_execz .LBB227_7
; %bb.38:                               ;   in Loop: Header=BB227_8 Depth=1
	v_mul_f32_e32 v13, s10, v26
	v_mul_f32_e32 v12, s11, v26
	s_and_not1_b32 vcc_lo, exec_lo, s19
	s_mov_b32 s3, -1
	s_delay_alu instid0(VALU_DEP_2) | instskip(NEXT) | instid1(VALU_DEP_2)
	v_fmac_f32_e32 v13, s11, v27
	v_fma_f32 v12, v27, s10, -v12
	s_wait_alu 0xfffe
	s_cbranch_vccnz .LBB227_40
; %bb.39:                               ;   in Loop: Header=BB227_8 Depth=1
	v_add_co_u32 v25, vcc_lo, v0, v8
	s_wait_alu 0xfffd
	v_add_co_ci_u32_e64 v26, null, v24, v9, vcc_lo
	s_mov_b32 s3, 0
	global_load_b64 v[27:28], v[25:26], off
	s_wait_loadcnt 0x0
	v_mul_f32_e32 v29, s7, v28
	v_mul_f32_e32 v28, s6, v28
	s_delay_alu instid0(VALU_DEP_1) | instskip(NEXT) | instid1(VALU_DEP_3)
	v_fmac_f32_e32 v28, s7, v27
	v_fma_f32 v29, v27, s6, -v29
	s_delay_alu instid0(VALU_DEP_1)
	v_dual_add_f32 v28, v13, v28 :: v_dual_add_f32 v27, v12, v29
	global_store_b64 v[25:26], v[27:28], off
.LBB227_40:                             ;   in Loop: Header=BB227_8 Depth=1
	s_wait_alu 0xfffe
	s_and_not1_b32 vcc_lo, exec_lo, s3
	s_wait_alu 0xfffe
	s_cbranch_vccnz .LBB227_7
; %bb.41:                               ;   in Loop: Header=BB227_8 Depth=1
	v_add_co_u32 v25, vcc_lo, v0, v8
	s_wait_alu 0xfffd
	v_add_co_ci_u32_e64 v26, null, v24, v9, vcc_lo
	global_store_b64 v[25:26], v[12:13], off
	s_branch .LBB227_7
.LBB227_42:
	s_endpgm
	.section	.rodata,"a",@progbits
	.p2align	6, 0x0
	.amdhsa_kernel _ZL29rocblas_internal_gemmt_kernelIlLi16ELi32ELi8ELc78ELc67ELc76ELb0ELb1E19rocblas_complex_numIfEPKS1_S3_PS1_EviT_T9_T10_S5_lS7_S5_lS6_T11_S5_li
		.amdhsa_group_segment_fixed_size 4096
		.amdhsa_private_segment_fixed_size 0
		.amdhsa_kernarg_size 108
		.amdhsa_user_sgpr_count 2
		.amdhsa_user_sgpr_dispatch_ptr 0
		.amdhsa_user_sgpr_queue_ptr 0
		.amdhsa_user_sgpr_kernarg_segment_ptr 1
		.amdhsa_user_sgpr_dispatch_id 0
		.amdhsa_user_sgpr_private_segment_size 0
		.amdhsa_wavefront_size32 1
		.amdhsa_uses_dynamic_stack 0
		.amdhsa_enable_private_segment 0
		.amdhsa_system_sgpr_workgroup_id_x 1
		.amdhsa_system_sgpr_workgroup_id_y 1
		.amdhsa_system_sgpr_workgroup_id_z 1
		.amdhsa_system_sgpr_workgroup_info 0
		.amdhsa_system_vgpr_workitem_id 1
		.amdhsa_next_free_vgpr 71
		.amdhsa_next_free_sgpr 37
		.amdhsa_reserve_vcc 1
		.amdhsa_float_round_mode_32 0
		.amdhsa_float_round_mode_16_64 0
		.amdhsa_float_denorm_mode_32 3
		.amdhsa_float_denorm_mode_16_64 3
		.amdhsa_fp16_overflow 0
		.amdhsa_workgroup_processor_mode 1
		.amdhsa_memory_ordered 1
		.amdhsa_forward_progress 1
		.amdhsa_inst_pref_size 26
		.amdhsa_round_robin_scheduling 0
		.amdhsa_exception_fp_ieee_invalid_op 0
		.amdhsa_exception_fp_denorm_src 0
		.amdhsa_exception_fp_ieee_div_zero 0
		.amdhsa_exception_fp_ieee_overflow 0
		.amdhsa_exception_fp_ieee_underflow 0
		.amdhsa_exception_fp_ieee_inexact 0
		.amdhsa_exception_int_div_zero 0
	.end_amdhsa_kernel
	.section	.text._ZL29rocblas_internal_gemmt_kernelIlLi16ELi32ELi8ELc78ELc67ELc76ELb0ELb1E19rocblas_complex_numIfEPKS1_S3_PS1_EviT_T9_T10_S5_lS7_S5_lS6_T11_S5_li,"axG",@progbits,_ZL29rocblas_internal_gemmt_kernelIlLi16ELi32ELi8ELc78ELc67ELc76ELb0ELb1E19rocblas_complex_numIfEPKS1_S3_PS1_EviT_T9_T10_S5_lS7_S5_lS6_T11_S5_li,comdat
.Lfunc_end227:
	.size	_ZL29rocblas_internal_gemmt_kernelIlLi16ELi32ELi8ELc78ELc67ELc76ELb0ELb1E19rocblas_complex_numIfEPKS1_S3_PS1_EviT_T9_T10_S5_lS7_S5_lS6_T11_S5_li, .Lfunc_end227-_ZL29rocblas_internal_gemmt_kernelIlLi16ELi32ELi8ELc78ELc67ELc76ELb0ELb1E19rocblas_complex_numIfEPKS1_S3_PS1_EviT_T9_T10_S5_lS7_S5_lS6_T11_S5_li
                                        ; -- End function
	.set _ZL29rocblas_internal_gemmt_kernelIlLi16ELi32ELi8ELc78ELc67ELc76ELb0ELb1E19rocblas_complex_numIfEPKS1_S3_PS1_EviT_T9_T10_S5_lS7_S5_lS6_T11_S5_li.num_vgpr, 71
	.set _ZL29rocblas_internal_gemmt_kernelIlLi16ELi32ELi8ELc78ELc67ELc76ELb0ELb1E19rocblas_complex_numIfEPKS1_S3_PS1_EviT_T9_T10_S5_lS7_S5_lS6_T11_S5_li.num_agpr, 0
	.set _ZL29rocblas_internal_gemmt_kernelIlLi16ELi32ELi8ELc78ELc67ELc76ELb0ELb1E19rocblas_complex_numIfEPKS1_S3_PS1_EviT_T9_T10_S5_lS7_S5_lS6_T11_S5_li.numbered_sgpr, 37
	.set _ZL29rocblas_internal_gemmt_kernelIlLi16ELi32ELi8ELc78ELc67ELc76ELb0ELb1E19rocblas_complex_numIfEPKS1_S3_PS1_EviT_T9_T10_S5_lS7_S5_lS6_T11_S5_li.num_named_barrier, 0
	.set _ZL29rocblas_internal_gemmt_kernelIlLi16ELi32ELi8ELc78ELc67ELc76ELb0ELb1E19rocblas_complex_numIfEPKS1_S3_PS1_EviT_T9_T10_S5_lS7_S5_lS6_T11_S5_li.private_seg_size, 0
	.set _ZL29rocblas_internal_gemmt_kernelIlLi16ELi32ELi8ELc78ELc67ELc76ELb0ELb1E19rocblas_complex_numIfEPKS1_S3_PS1_EviT_T9_T10_S5_lS7_S5_lS6_T11_S5_li.uses_vcc, 1
	.set _ZL29rocblas_internal_gemmt_kernelIlLi16ELi32ELi8ELc78ELc67ELc76ELb0ELb1E19rocblas_complex_numIfEPKS1_S3_PS1_EviT_T9_T10_S5_lS7_S5_lS6_T11_S5_li.uses_flat_scratch, 0
	.set _ZL29rocblas_internal_gemmt_kernelIlLi16ELi32ELi8ELc78ELc67ELc76ELb0ELb1E19rocblas_complex_numIfEPKS1_S3_PS1_EviT_T9_T10_S5_lS7_S5_lS6_T11_S5_li.has_dyn_sized_stack, 0
	.set _ZL29rocblas_internal_gemmt_kernelIlLi16ELi32ELi8ELc78ELc67ELc76ELb0ELb1E19rocblas_complex_numIfEPKS1_S3_PS1_EviT_T9_T10_S5_lS7_S5_lS6_T11_S5_li.has_recursion, 0
	.set _ZL29rocblas_internal_gemmt_kernelIlLi16ELi32ELi8ELc78ELc67ELc76ELb0ELb1E19rocblas_complex_numIfEPKS1_S3_PS1_EviT_T9_T10_S5_lS7_S5_lS6_T11_S5_li.has_indirect_call, 0
	.section	.AMDGPU.csdata,"",@progbits
; Kernel info:
; codeLenInByte = 3264
; TotalNumSgprs: 39
; NumVgprs: 71
; ScratchSize: 0
; MemoryBound: 0
; FloatMode: 240
; IeeeMode: 1
; LDSByteSize: 4096 bytes/workgroup (compile time only)
; SGPRBlocks: 0
; VGPRBlocks: 8
; NumSGPRsForWavesPerEU: 39
; NumVGPRsForWavesPerEU: 71
; Occupancy: 16
; WaveLimiterHint : 0
; COMPUTE_PGM_RSRC2:SCRATCH_EN: 0
; COMPUTE_PGM_RSRC2:USER_SGPR: 2
; COMPUTE_PGM_RSRC2:TRAP_HANDLER: 0
; COMPUTE_PGM_RSRC2:TGID_X_EN: 1
; COMPUTE_PGM_RSRC2:TGID_Y_EN: 1
; COMPUTE_PGM_RSRC2:TGID_Z_EN: 1
; COMPUTE_PGM_RSRC2:TIDIG_COMP_CNT: 1
	.section	.text._ZL29rocblas_internal_gemmt_kernelIlLi16ELi32ELi8ELc84ELc78ELc76ELb0ELb0E19rocblas_complex_numIfEPKS1_S3_PS1_EviT_T9_T10_S5_lS7_S5_lS6_T11_S5_li,"axG",@progbits,_ZL29rocblas_internal_gemmt_kernelIlLi16ELi32ELi8ELc84ELc78ELc76ELb0ELb0E19rocblas_complex_numIfEPKS1_S3_PS1_EviT_T9_T10_S5_lS7_S5_lS6_T11_S5_li,comdat
	.globl	_ZL29rocblas_internal_gemmt_kernelIlLi16ELi32ELi8ELc84ELc78ELc76ELb0ELb0E19rocblas_complex_numIfEPKS1_S3_PS1_EviT_T9_T10_S5_lS7_S5_lS6_T11_S5_li ; -- Begin function _ZL29rocblas_internal_gemmt_kernelIlLi16ELi32ELi8ELc84ELc78ELc76ELb0ELb0E19rocblas_complex_numIfEPKS1_S3_PS1_EviT_T9_T10_S5_lS7_S5_lS6_T11_S5_li
	.p2align	8
	.type	_ZL29rocblas_internal_gemmt_kernelIlLi16ELi32ELi8ELc84ELc78ELc76ELb0ELb0E19rocblas_complex_numIfEPKS1_S3_PS1_EviT_T9_T10_S5_lS7_S5_lS6_T11_S5_li,@function
_ZL29rocblas_internal_gemmt_kernelIlLi16ELi32ELi8ELc84ELc78ELc76ELb0ELb0E19rocblas_complex_numIfEPKS1_S3_PS1_EviT_T9_T10_S5_lS7_S5_lS6_T11_S5_li: ; @_ZL29rocblas_internal_gemmt_kernelIlLi16ELi32ELi8ELc84ELc78ELc76ELb0ELb0E19rocblas_complex_numIfEPKS1_S3_PS1_EviT_T9_T10_S5_lS7_S5_lS6_T11_S5_li
; %bb.0:
	s_load_b256 s[24:31], s[0:1], 0x48
	s_wait_kmcnt 0x0
	s_load_b64 s[6:7], s[24:25], 0x0
	s_load_b512 s[8:23], s[0:1], 0x8
	s_wait_kmcnt 0x0
	s_cmp_eq_f32 s6, 1.0
	s_load_b64 s[10:11], s[10:11], 0x0
	s_cselect_b32 s2, -1, 0
	s_and_b32 s3, s7, 0x7fffffff
	s_delay_alu instid0(SALU_CYCLE_1) | instskip(SKIP_1) | instid1(SALU_CYCLE_1)
	s_cmp_eq_u32 s3, 0
	s_cselect_b32 s33, -1, 0
	s_and_b32 s3, s2, s33
	s_mov_b32 s2, 0
	s_and_not1_b32 vcc_lo, exec_lo, s3
	s_mov_b32 s3, -1
	s_cbranch_vccnz .LBB228_4
; %bb.1:
	s_cmp_lg_u64 s[8:9], 0
	s_cbranch_scc0 .LBB228_3
; %bb.2:
	s_wait_kmcnt 0x0
	s_cmp_neq_f32 s10, 0
	s_cselect_b32 s2, -1, 0
	s_cmp_neq_f32 s11, 0
	s_cselect_b32 s3, -1, 0
	s_delay_alu instid0(SALU_CYCLE_1)
	s_or_b32 s2, s2, s3
.LBB228_3:
	s_delay_alu instid0(SALU_CYCLE_1)
	s_mov_b32 s3, s2
.LBB228_4:
	s_delay_alu instid0(SALU_CYCLE_1)
	s_and_b32 vcc_lo, exec_lo, s3
	s_cbranch_vccz .LBB228_42
; %bb.5:
	s_load_b32 s5, s[0:1], 0x68
	s_lshr_b32 s24, ttmp7, 16
	s_wait_kmcnt 0x0
	s_cmp_ge_u32 s24, s5
	s_cbranch_scc1 .LBB228_42
; %bb.6:
	v_and_b32_e32 v8, 0x3ff, v0
	v_bfe_u32 v9, v0, 10, 10
	s_load_b32 s4, s[0:1], 0x0
	s_lshl_b32 s2, ttmp9, 5
	s_lshl_b32 s0, ttmp7, 5
	v_cmp_gt_i64_e64 s34, s[8:9], 0
	v_lshl_add_u32 v2, v9, 4, v8
	s_and_b32 s0, s0, 0x1fffe0
	s_cmp_neq_f32 s10, 0
	v_add_nc_u32_e32 v13, s0, v9
	v_lshl_add_u32 v23, v9, 6, 0x800
	v_and_b32_e32 v16, 31, v2
	v_lshrrev_b32_e32 v10, 3, v2
	v_lshrrev_b32_e32 v15, 5, v2
	v_add_nc_u32_e32 v24, 16, v13
	v_mad_co_u64_u32 v[2:3], null, s28, v13, 0
	v_or_b32_e32 v17, s2, v16
	v_add_nc_u32_e32 v12, s0, v10
	s_cselect_b32 s0, -1, 0
	s_cmp_neq_f32 s11, 0
	s_mov_b32 s25, 0
	v_mul_lo_u32 v18, s15, v17
	v_mad_co_u64_u32 v[4:5], null, s14, v17, 0
	s_cselect_b32 s1, -1, 0
	s_ashr_i32 s3, s2, 31
	s_wait_alu 0xfffe
	s_or_b32 s15, s0, s1
	s_mul_i32 s0, s14, s3
	s_wait_kmcnt 0x0
	v_cmp_le_i32_e64 s14, s4, v17
	s_cmp_neq_f32 s6, 0
	s_wait_alu 0xfffe
	v_add3_u32 v5, v5, s0, v18
	v_cmp_gt_i32_e64 s0, s4, v17
	s_delay_alu instid0(VALU_DEP_2) | instskip(NEXT) | instid1(VALU_DEP_1)
	v_lshlrev_b64_e32 v[4:5], 3, v[4:5]
	v_add_co_u32 v18, s1, s12, v4
	s_wait_alu 0xf1ff
	s_delay_alu instid0(VALU_DEP_2) | instskip(SKIP_3) | instid1(VALU_DEP_1)
	v_add_co_ci_u32_e64 v19, null, s13, v5, s1
	v_mad_co_u64_u32 v[4:5], null, s28, v24, 0
	v_and_b32_e32 v14, 7, v0
	v_mad_co_u64_u32 v[0:1], null, s20, v12, 0
	v_mad_co_u64_u32 v[6:7], null, s21, v12, v[1:2]
	s_delay_alu instid0(VALU_DEP_1) | instskip(SKIP_1) | instid1(VALU_DEP_2)
	v_dual_mov_b32 v1, v6 :: v_dual_add_nc_u32 v6, s2, v8
	v_lshlrev_b32_e32 v22, 3, v8
	v_lshlrev_b64_e32 v[0:1], 3, v[0:1]
	s_delay_alu instid0(VALU_DEP_3) | instskip(SKIP_1) | instid1(VALU_DEP_3)
	v_add_nc_u32_e32 v8, 16, v6
	v_cmp_gt_i32_e64 s2, s4, v6
	v_add_co_u32 v20, s1, s18, v0
	v_mov_b32_e32 v0, v3
	s_wait_alu 0xf1ff
	v_add_co_ci_u32_e64 v21, null, s19, v1, s1
	v_cmp_le_i32_e64 s1, v13, v6
	v_cmp_le_i32_e64 s3, v13, v8
	v_mad_co_u64_u32 v[0:1], null, s29, v13, v[0:1]
	v_mov_b32_e32 v1, v5
	v_lshlrev_b32_e32 v11, 3, v14
	v_ashrrev_i32_e32 v9, 31, v8
	s_cselect_b32 s18, -1, 0
	s_and_b32 s12, s1, s2
	s_xor_b32 s19, s33, -1
	v_lshl_or_b32 v10, v10, 6, v11
	v_mov_b32_e32 v3, v0
	v_cmp_gt_i32_e32 vcc_lo, s4, v12
	v_cmp_gt_i32_e64 s4, s4, v8
	s_and_b32 s15, s15, s34
	v_add_nc_u32_e32 v17, 0x800, v10
	v_mad_co_u64_u32 v[10:11], null, s29, v24, v[1:2]
	s_and_b32 s13, s3, s4
	v_mov_b32_e32 v1, 0
	v_cmp_le_i32_e64 s1, v24, v6
	v_cmp_le_i32_e64 s3, v24, v8
	v_lshlrev_b64_e32 v[2:3], 3, v[2:3]
	v_lshlrev_b64_e32 v[8:9], 3, v[8:9]
	v_mov_b32_e32 v5, v10
	v_lshlrev_b32_e32 v7, 3, v16
	s_wait_alu 0xfffe
	s_or_b32 s18, s18, s19
	s_and_b32 s1, s1, s2
	s_and_b32 s4, s3, s4
	v_lshlrev_b64_e32 v[4:5], 3, v[4:5]
	v_lshl_or_b32 v16, v15, 8, v7
	v_ashrrev_i32_e32 v7, 31, v6
	s_xor_b32 s19, vcc_lo, -1
                                        ; implicit-def: $vgpr10_vgpr11
	s_delay_alu instid0(VALU_DEP_1)
	v_lshlrev_b64_e32 v[6:7], 3, v[6:7]
	s_branch .LBB228_8
.LBB228_7:                              ;   in Loop: Header=BB228_8 Depth=1
	s_wait_alu 0xfffe
	s_or_b32 exec_lo, exec_lo, s2
	s_add_co_i32 s24, s24, 0x10000
	s_delay_alu instid0(SALU_CYCLE_1)
	s_cmp_lt_u32 s24, s5
	s_cbranch_scc0 .LBB228_42
.LBB228_8:                              ; =>This Loop Header: Depth=1
                                        ;     Child Loop BB228_11 Depth 2
	s_and_not1_b32 vcc_lo, exec_lo, s15
	s_wait_alu 0xfffe
	s_cbranch_vccnz .LBB228_21
; %bb.9:                                ;   in Loop: Header=BB228_8 Depth=1
	s_mul_u64 s[2:3], s[16:17], s[24:25]
	s_mul_u64 s[20:21], s[22:23], s[24:25]
	s_wait_alu 0xfffe
	s_lshl_b64 s[2:3], s[2:3], 3
	v_dual_mov_b32 v26, 0 :: v_dual_mov_b32 v27, 0
	s_wait_alu 0xfffe
	v_add_co_u32 v12, vcc_lo, v18, s2
	s_wait_alu 0xfffd
	v_add_co_ci_u32_e64 v13, null, s3, v19, vcc_lo
	s_lshl_b64 s[2:3], s[20:21], 3
	v_dual_mov_b32 v29, 0 :: v_dual_mov_b32 v28, 0
	s_wait_alu 0xfffe
	v_add_co_u32 v24, vcc_lo, v20, s2
	s_wait_alu 0xfffd
	v_add_co_ci_u32_e64 v25, null, s3, v21, vcc_lo
	v_dual_mov_b32 v31, 0 :: v_dual_mov_b32 v30, 0
	v_dual_mov_b32 v33, 0 :: v_dual_mov_b32 v32, 0
	s_mov_b64 s[2:3], 0
	s_branch .LBB228_11
.LBB228_10:                             ;   in Loop: Header=BB228_11 Depth=2
	s_wait_alu 0xfffe
	s_or_b32 exec_lo, exec_lo, s20
	s_wait_dscnt 0x0
	s_barrier_signal -1
	s_barrier_wait -1
	global_inv scope:SCOPE_SE
	ds_load_b128 v[34:37], v23
	ds_load_2addr_b64 v[38:41], v22 offset1:16
	ds_load_b128 v[42:45], v23 offset:1024
	ds_load_b128 v[46:49], v23 offset:16
	;; [unrolled: 1-line block ×4, first 2 shown]
	ds_load_2addr_b64 v[58:61], v22 offset0:32 offset1:48
	ds_load_b128 v[62:65], v23 offset:1040
	s_add_nc_u64 s[2:3], s[2:3], 8
	s_wait_alu 0xfffe
	v_cmp_gt_i64_e64 s20, s[8:9], s[2:3]
	s_and_b32 vcc_lo, exec_lo, s20
	s_wait_dscnt 0x6
	v_mul_f32_e32 v0, v35, v39
	v_dual_mul_f32 v66, v34, v39 :: v_dual_mul_f32 v67, v35, v41
	s_wait_dscnt 0x5
	v_dual_mul_f32 v68, v34, v41 :: v_dual_mul_f32 v69, v43, v39
	v_dual_mul_f32 v39, v42, v39 :: v_dual_mul_f32 v70, v43, v41
	v_mul_f32_e32 v41, v42, v41
	v_fma_f32 v0, v34, v38, -v0
	v_fma_f32 v34, v34, v40, -v67
	v_fmac_f32_e32 v68, v35, v40
	v_fmac_f32_e32 v39, v43, v38
	v_fmac_f32_e32 v41, v43, v40
	v_add_f32_e32 v0, v32, v0
	v_fmac_f32_e32 v66, v35, v38
	v_fma_f32 v35, v42, v38, -v69
	v_fma_f32 v38, v42, v40, -v70
	v_add_f32_e32 v26, v26, v41
	s_delay_alu instid0(VALU_DEP_4) | instskip(NEXT) | instid1(VALU_DEP_4)
	v_add_f32_e32 v32, v33, v66
	v_dual_add_f32 v33, v30, v34 :: v_dual_add_f32 v34, v28, v35
	v_add_f32_e32 v35, v29, v39
	s_wait_dscnt 0x1
	v_dual_mul_f32 v39, v37, v59 :: v_dual_add_f32 v38, v27, v38
	ds_load_2addr_b64 v[27:30], v22 offset0:64 offset1:80
	v_mul_f32_e32 v42, v37, v61
	v_mul_f32_e32 v41, v36, v61
	;; [unrolled: 1-line block ×3, first 2 shown]
	v_fma_f32 v39, v36, v58, -v39
	v_add_f32_e32 v31, v31, v68
	v_fma_f32 v36, v36, v60, -v42
	s_delay_alu instid0(VALU_DEP_3) | instskip(SKIP_1) | instid1(VALU_DEP_3)
	v_add_f32_e32 v0, v0, v39
	v_mul_f32_e32 v39, v45, v59
	v_add_f32_e32 v36, v33, v36
	v_fmac_f32_e32 v41, v37, v60
	v_fmac_f32_e32 v40, v37, v58
	v_mul_f32_e32 v37, v45, v61
	v_fma_f32 v33, v44, v58, -v39
	s_delay_alu instid0(VALU_DEP_4) | instskip(NEXT) | instid1(VALU_DEP_3)
	v_add_f32_e32 v39, v31, v41
	v_fma_f32 v31, v44, v60, -v37
	v_mul_f32_e32 v41, v44, v61
	s_wait_dscnt 0x0
	v_mul_f32_e32 v37, v46, v28
	v_add_f32_e32 v40, v32, v40
	v_add_f32_e32 v38, v38, v31
	v_dual_mul_f32 v32, v44, v59 :: v_dual_fmac_f32 v41, v45, v60
	v_mul_f32_e32 v44, v47, v30
	s_delay_alu instid0(VALU_DEP_2) | instskip(NEXT) | instid1(VALU_DEP_3)
	v_dual_fmac_f32 v37, v47, v27 :: v_dual_fmac_f32 v32, v45, v58
	v_add_f32_e32 v41, v26, v41
	v_dual_add_f32 v42, v34, v33 :: v_dual_mul_f32 v33, v47, v28
	s_delay_alu instid0(VALU_DEP_3) | instskip(NEXT) | instid1(VALU_DEP_4)
	v_dual_mul_f32 v26, v46, v30 :: v_dual_add_f32 v37, v40, v37
	v_add_f32_e32 v35, v35, v32
	s_delay_alu instid0(VALU_DEP_3) | instskip(SKIP_4) | instid1(VALU_DEP_1)
	v_fma_f32 v43, v46, v27, -v33
	ds_load_2addr_b64 v[31:34], v22 offset0:96 offset1:112
	v_fmac_f32_e32 v26, v47, v29
	v_add_f32_e32 v0, v0, v43
	v_fma_f32 v43, v46, v29, -v44
	v_dual_add_f32 v39, v39, v26 :: v_dual_add_f32 v36, v36, v43
	v_mul_f32_e32 v43, v63, v30
	v_mul_f32_e32 v30, v62, v30
	s_delay_alu instid0(VALU_DEP_2) | instskip(SKIP_1) | instid1(VALU_DEP_3)
	v_fma_f32 v26, v62, v29, -v43
	v_mul_f32_e32 v40, v63, v28
	v_fmac_f32_e32 v30, v63, v29
	s_wait_dscnt 0x0
	v_dual_mul_f32 v28, v62, v28 :: v_dual_mul_f32 v47, v65, v34
	v_add_f32_e32 v43, v38, v26
	v_fma_f32 v40, v62, v27, -v40
	v_dual_mul_f32 v38, v48, v32 :: v_dual_add_f32 v41, v41, v30
	s_delay_alu instid0(VALU_DEP_4) | instskip(SKIP_1) | instid1(VALU_DEP_3)
	v_fmac_f32_e32 v28, v63, v27
	v_mul_f32_e32 v30, v48, v34
	v_fmac_f32_e32 v38, v49, v31
	v_add_f32_e32 v40, v42, v40
	s_delay_alu instid0(VALU_DEP_4)
	v_add_f32_e32 v42, v35, v28
	ds_load_2addr_b64 v[26:29], v22 offset0:128 offset1:144
	v_mul_f32_e32 v35, v49, v32
	v_mul_f32_e32 v44, v49, v34
	v_fmac_f32_e32 v30, v49, v33
	v_mul_f32_e32 v34, v64, v34
	s_delay_alu instid0(VALU_DEP_4)
	v_fma_f32 v35, v48, v31, -v35
	s_wait_dscnt 0x0
	v_mul_f32_e32 v49, v50, v27
	v_fma_f32 v44, v48, v33, -v44
	v_add_f32_e32 v48, v39, v30
	v_fma_f32 v30, v64, v33, -v47
	s_delay_alu instid0(VALU_DEP_4) | instskip(NEXT) | instid1(VALU_DEP_4)
	v_fmac_f32_e32 v49, v51, v26
	v_dual_add_f32 v45, v37, v38 :: v_dual_add_f32 v44, v36, v44
	s_delay_alu instid0(VALU_DEP_3) | instskip(SKIP_1) | instid1(VALU_DEP_3)
	v_dual_add_f32 v43, v43, v30 :: v_dual_add_f32 v0, v0, v35
	v_mul_f32_e32 v35, v65, v32
	v_dual_mul_f32 v32, v64, v32 :: v_dual_add_f32 v45, v45, v49
	s_delay_alu instid0(VALU_DEP_2) | instskip(SKIP_3) | instid1(VALU_DEP_2)
	v_fma_f32 v46, v64, v31, -v35
	ds_load_b128 v[35:38], v23 offset:1056
	v_fmac_f32_e32 v32, v65, v31
	v_dual_mul_f32 v31, v51, v27 :: v_dual_fmac_f32 v34, v65, v33
	v_add_f32_e32 v47, v42, v32
	s_delay_alu instid0(VALU_DEP_2)
	v_fma_f32 v39, v50, v26, -v31
	ds_load_2addr_b64 v[30:33], v22 offset0:160 offset1:176
	v_add_f32_e32 v46, v40, v46
	v_mul_f32_e32 v40, v51, v29
	v_add_f32_e32 v34, v41, v34
	v_add_f32_e32 v0, v0, v39
	s_delay_alu instid0(VALU_DEP_3) | instskip(SKIP_4) | instid1(VALU_DEP_2)
	v_fma_f32 v58, v50, v28, -v40
	ds_load_b128 v[39:42], v23 offset:1072
	s_wait_dscnt 0x2
	v_dual_mul_f32 v50, v50, v29 :: v_dual_mul_f32 v59, v36, v27
	v_mul_f32_e32 v27, v35, v27
	v_dual_fmac_f32 v50, v51, v28 :: v_dual_mul_f32 v51, v36, v29
	s_delay_alu instid0(VALU_DEP_3) | instskip(NEXT) | instid1(VALU_DEP_3)
	v_fma_f32 v49, v35, v26, -v59
	v_fmac_f32_e32 v27, v36, v26
	s_delay_alu instid0(VALU_DEP_3) | instskip(SKIP_2) | instid1(VALU_DEP_4)
	v_add_f32_e32 v48, v48, v50
	v_mul_f32_e32 v50, v35, v29
	v_fma_f32 v26, v35, v28, -v51
	v_add_f32_e32 v35, v47, v27
	s_wait_dscnt 0x1
	s_delay_alu instid0(VALU_DEP_3) | instskip(NEXT) | instid1(VALU_DEP_3)
	v_dual_mul_f32 v47, v53, v31 :: v_dual_fmac_f32 v50, v36, v28
	v_add_f32_e32 v43, v43, v26
	ds_load_2addr_b64 v[26:29], v22 offset0:192 offset1:208
	v_mul_f32_e32 v36, v52, v31
	v_add_f32_e32 v46, v46, v49
	v_fma_f32 v47, v52, v30, -v47
	v_mul_f32_e32 v49, v53, v33
	s_delay_alu instid0(VALU_DEP_4) | instskip(NEXT) | instid1(VALU_DEP_3)
	v_fmac_f32_e32 v36, v53, v30
	v_add_f32_e32 v0, v0, v47
	s_delay_alu instid0(VALU_DEP_3) | instskip(NEXT) | instid1(VALU_DEP_3)
	v_fma_f32 v47, v52, v32, -v49
	v_dual_add_f32 v45, v45, v36 :: v_dual_mul_f32 v36, v38, v31
	v_mul_f32_e32 v31, v37, v31
	s_delay_alu instid0(VALU_DEP_2) | instskip(NEXT) | instid1(VALU_DEP_2)
	v_fma_f32 v36, v37, v30, -v36
	v_fmac_f32_e32 v31, v38, v30
	v_add_f32_e32 v44, v44, v58
	s_delay_alu instid0(VALU_DEP_2) | instskip(NEXT) | instid1(VALU_DEP_2)
	v_dual_mul_f32 v30, v37, v33 :: v_dual_add_f32 v31, v35, v31
	v_dual_add_f32 v44, v44, v47 :: v_dual_mul_f32 v47, v38, v33
	v_add_f32_e32 v50, v34, v50
	v_mul_f32_e32 v34, v52, v33
	s_delay_alu instid0(VALU_DEP_4) | instskip(NEXT) | instid1(VALU_DEP_4)
	v_fmac_f32_e32 v30, v38, v32
	v_fma_f32 v33, v37, v32, -v47
	s_wait_dscnt 0x0
	s_delay_alu instid0(VALU_DEP_3) | instskip(NEXT) | instid1(VALU_DEP_2)
	v_dual_mul_f32 v47, v40, v27 :: v_dual_fmac_f32 v34, v53, v32
	v_dual_add_f32 v32, v43, v33 :: v_dual_mul_f32 v33, v54, v27
	v_mul_f32_e32 v43, v55, v29
	s_delay_alu instid0(VALU_DEP_2) | instskip(NEXT) | instid1(VALU_DEP_2)
	v_dual_fmac_f32 v33, v55, v26 :: v_dual_add_f32 v46, v46, v36
	v_fma_f32 v43, v54, v28, -v43
	s_delay_alu instid0(VALU_DEP_2) | instskip(SKIP_3) | instid1(VALU_DEP_3)
	v_dual_add_f32 v33, v45, v33 :: v_dual_add_f32 v48, v48, v34
	v_mul_f32_e32 v34, v55, v27
	v_mul_f32_e32 v27, v39, v27
	;; [unrolled: 1-line block ×3, first 2 shown]
	v_fma_f32 v38, v54, v26, -v34
	ds_load_2addr_b64 v[34:37], v22 offset0:224 offset1:240
	v_fmac_f32_e32 v27, v40, v26
	v_add_f32_e32 v30, v50, v30
	s_wait_loadcnt_dscnt 0x0
	v_add_f32_e32 v0, v0, v38
	s_barrier_signal -1
	v_dual_add_f32 v27, v31, v27 :: v_dual_mul_f32 v38, v54, v29
	v_mul_f32_e32 v29, v39, v29
	s_barrier_wait -1
	global_inv scope:SCOPE_SE
	v_fmac_f32_e32 v38, v55, v28
	v_fmac_f32_e32 v29, v40, v28
	s_delay_alu instid0(VALU_DEP_1) | instskip(SKIP_2) | instid1(VALU_DEP_2)
	v_add_f32_e32 v40, v30, v29
	v_mul_f32_e32 v29, v56, v37
	v_mul_f32_e32 v31, v57, v35
	v_fmac_f32_e32 v29, v57, v36
	v_add_f32_e32 v43, v44, v43
	v_fma_f32 v44, v39, v26, -v47
	v_fma_f32 v39, v39, v28, -v45
	;; [unrolled: 1-line block ×3, first 2 shown]
	s_delay_alu instid0(VALU_DEP_2) | instskip(SKIP_1) | instid1(VALU_DEP_2)
	v_dual_add_f32 v39, v32, v39 :: v_dual_mul_f32 v32, v57, v37
	v_mul_f32_e32 v28, v56, v35
	v_fma_f32 v30, v56, v36, -v32
	s_delay_alu instid0(VALU_DEP_4) | instskip(SKIP_1) | instid1(VALU_DEP_4)
	v_add_f32_e32 v32, v0, v31
	v_mul_f32_e32 v0, v42, v35
	v_fmac_f32_e32 v28, v57, v34
	s_delay_alu instid0(VALU_DEP_4) | instskip(SKIP_1) | instid1(VALU_DEP_4)
	v_dual_mul_f32 v35, v41, v35 :: v_dual_add_f32 v30, v43, v30
	v_mul_f32_e32 v43, v42, v37
	v_fma_f32 v0, v41, v34, -v0
	v_dual_mul_f32 v37, v41, v37 :: v_dual_add_f32 v26, v48, v38
	v_add_f32_e32 v38, v46, v44
	v_add_f32_e32 v33, v33, v28
	v_fmac_f32_e32 v35, v42, v34
	s_delay_alu instid0(VALU_DEP_4) | instskip(SKIP_3) | instid1(VALU_DEP_4)
	v_fmac_f32_e32 v37, v42, v36
	v_add_f32_e32 v31, v26, v29
	v_add_f32_e32 v28, v38, v0
	v_fma_f32 v0, v41, v36, -v43
	v_dual_add_f32 v29, v27, v35 :: v_dual_add_f32 v26, v40, v37
	s_delay_alu instid0(VALU_DEP_2)
	v_add_f32_e32 v27, v39, v0
	s_wait_alu 0xfffe
	s_cbranch_vccz .LBB228_22
.LBB228_11:                             ;   Parent Loop BB228_8 Depth=1
                                        ; =>  This Inner Loop Header: Depth=2
	s_mov_b32 s20, 0
	s_mov_b32 s28, s14
	s_and_saveexec_b32 s21, s0
	s_cbranch_execnz .LBB228_19
; %bb.12:                               ;   in Loop: Header=BB228_11 Depth=2
	s_wait_alu 0xfffe
	s_or_b32 exec_lo, exec_lo, s21
	s_and_saveexec_b32 s21, s28
	s_wait_alu 0xfffe
	s_xor_b32 s21, exec_lo, s21
	s_cbranch_execnz .LBB228_20
.LBB228_13:                             ;   in Loop: Header=BB228_11 Depth=2
	s_wait_alu 0xfffe
	s_or_b32 exec_lo, exec_lo, s21
	s_and_saveexec_b32 s21, s20
	s_cbranch_execz .LBB228_15
.LBB228_14:                             ;   in Loop: Header=BB228_11 Depth=2
	v_lshlrev_b64_e32 v[34:35], 3, v[10:11]
	s_delay_alu instid0(VALU_DEP_1) | instskip(SKIP_1) | instid1(VALU_DEP_2)
	v_add_co_u32 v34, vcc_lo, v12, v34
	s_wait_alu 0xfffd
	v_add_co_ci_u32_e64 v35, null, v13, v35, vcc_lo
	global_load_b64 v[34:35], v[34:35], off
	s_wait_loadcnt 0x0
	ds_store_b64 v16, v[34:35]
.LBB228_15:                             ;   in Loop: Header=BB228_11 Depth=2
	s_wait_alu 0xfffe
	s_or_b32 exec_lo, exec_lo, s21
	v_add_nc_u32_e32 v0, s2, v14
	s_delay_alu instid0(VALU_DEP_1)
	v_cmp_le_u64_e32 vcc_lo, s[8:9], v[0:1]
	s_or_b32 s20, vcc_lo, s19
	s_wait_alu 0xfffe
	s_and_saveexec_b32 s21, s20
	s_wait_alu 0xfffe
	s_xor_b32 s20, exec_lo, s21
; %bb.16:                               ;   in Loop: Header=BB228_11 Depth=2
	v_mov_b32_e32 v0, v1
	ds_store_b64 v17, v[0:1]
; %bb.17:                               ;   in Loop: Header=BB228_11 Depth=2
	s_wait_alu 0xfffe
	s_and_not1_saveexec_b32 s20, s20
	s_cbranch_execz .LBB228_10
; %bb.18:                               ;   in Loop: Header=BB228_11 Depth=2
	v_lshlrev_b64_e32 v[34:35], 3, v[0:1]
	s_delay_alu instid0(VALU_DEP_1) | instskip(SKIP_1) | instid1(VALU_DEP_2)
	v_add_co_u32 v34, vcc_lo, v24, v34
	s_wait_alu 0xfffd
	v_add_co_ci_u32_e64 v35, null, v25, v35, vcc_lo
	global_load_b64 v[34:35], v[34:35], off
	s_wait_loadcnt 0x0
	ds_store_b64 v17, v[34:35]
	s_branch .LBB228_10
.LBB228_19:                             ;   in Loop: Header=BB228_11 Depth=2
	s_wait_alu 0xfffe
	v_add_nc_u32_e32 v0, s2, v15
	v_mov_b32_e32 v11, v1
	s_and_not1_b32 s28, s14, exec_lo
	s_mov_b32 s20, exec_lo
	s_delay_alu instid0(VALU_DEP_2)
	v_cmp_le_u64_e32 vcc_lo, s[8:9], v[0:1]
	v_mov_b32_e32 v10, v0
	s_and_b32 s29, vcc_lo, exec_lo
	s_wait_alu 0xfffe
	s_or_b32 s28, s28, s29
	s_or_b32 exec_lo, exec_lo, s21
	s_wait_alu 0xfffe
	s_and_saveexec_b32 s21, s28
	s_wait_alu 0xfffe
	s_xor_b32 s21, exec_lo, s21
	s_cbranch_execz .LBB228_13
.LBB228_20:                             ;   in Loop: Header=BB228_11 Depth=2
	v_mov_b32_e32 v0, v1
	s_and_not1_b32 s20, s20, exec_lo
	ds_store_b64 v16, v[0:1]
	s_wait_alu 0xfffe
	s_or_b32 exec_lo, exec_lo, s21
	s_and_saveexec_b32 s21, s20
	s_cbranch_execnz .LBB228_14
	s_branch .LBB228_15
.LBB228_21:                             ;   in Loop: Header=BB228_8 Depth=1
	v_dual_mov_b32 v32, v1 :: v_dual_mov_b32 v33, v1
	v_dual_mov_b32 v30, v1 :: v_dual_mov_b32 v31, v1
	;; [unrolled: 1-line block ×4, first 2 shown]
.LBB228_22:                             ;   in Loop: Header=BB228_8 Depth=1
	s_mul_u64 s[2:3], s[30:31], s[24:25]
	s_wait_alu 0xfffe
	s_lshl_b64 s[2:3], s[2:3], 3
	s_wait_alu 0xfffe
	s_add_nc_u64 s[2:3], s[26:27], s[2:3]
	s_wait_alu 0xfffe
	v_add_co_u32 v0, vcc_lo, s2, v2
	s_wait_alu 0xfffd
	v_add_co_ci_u32_e64 v24, null, s3, v3, vcc_lo
	s_and_saveexec_b32 s20, s12
	s_cbranch_execz .LBB228_27
; %bb.23:                               ;   in Loop: Header=BB228_8 Depth=1
	v_mul_f32_e32 v13, s10, v33
	v_mul_f32_e32 v12, s11, v33
	s_and_b32 vcc_lo, exec_lo, s18
	s_mov_b32 s21, -1
	s_delay_alu instid0(VALU_DEP_2) | instskip(NEXT) | instid1(VALU_DEP_2)
	v_fmac_f32_e32 v13, s11, v32
	v_fma_f32 v12, v32, s10, -v12
	s_wait_alu 0xfffe
	s_cbranch_vccz .LBB228_25
; %bb.24:                               ;   in Loop: Header=BB228_8 Depth=1
	v_add_co_u32 v32, vcc_lo, v0, v6
	s_wait_alu 0xfffd
	v_add_co_ci_u32_e64 v33, null, v24, v7, vcc_lo
	s_mov_b32 s21, 0
	global_load_b64 v[34:35], v[32:33], off
	s_wait_loadcnt 0x0
	v_mul_f32_e32 v25, s7, v35
	s_delay_alu instid0(VALU_DEP_1) | instskip(SKIP_1) | instid1(VALU_DEP_1)
	v_fma_f32 v25, v34, s6, -v25
	v_mul_f32_e32 v35, s6, v35
	v_dual_fmac_f32 v35, s7, v34 :: v_dual_add_f32 v34, v12, v25
	s_delay_alu instid0(VALU_DEP_1)
	v_add_f32_e32 v35, v13, v35
	global_store_b64 v[32:33], v[34:35], off
.LBB228_25:                             ;   in Loop: Header=BB228_8 Depth=1
	s_wait_alu 0xfffe
	s_and_not1_b32 vcc_lo, exec_lo, s21
	s_wait_alu 0xfffe
	s_cbranch_vccnz .LBB228_27
; %bb.26:                               ;   in Loop: Header=BB228_8 Depth=1
	v_add_co_u32 v32, vcc_lo, v0, v6
	s_wait_alu 0xfffd
	v_add_co_ci_u32_e64 v33, null, v24, v7, vcc_lo
	global_store_b64 v[32:33], v[12:13], off
.LBB228_27:                             ;   in Loop: Header=BB228_8 Depth=1
	s_wait_alu 0xfffe
	s_or_b32 exec_lo, exec_lo, s20
	s_and_saveexec_b32 s20, s13
	s_cbranch_execz .LBB228_32
; %bb.28:                               ;   in Loop: Header=BB228_8 Depth=1
	v_mul_f32_e32 v13, s10, v31
	v_mul_f32_e32 v12, s11, v31
	s_and_not1_b32 vcc_lo, exec_lo, s18
	s_mov_b32 s21, -1
	s_delay_alu instid0(VALU_DEP_2) | instskip(NEXT) | instid1(VALU_DEP_2)
	v_fmac_f32_e32 v13, s11, v30
	v_fma_f32 v12, v30, s10, -v12
	s_wait_alu 0xfffe
	s_cbranch_vccnz .LBB228_30
; %bb.29:                               ;   in Loop: Header=BB228_8 Depth=1
	v_add_co_u32 v30, vcc_lo, v0, v8
	s_wait_alu 0xfffd
	v_add_co_ci_u32_e64 v31, null, v24, v9, vcc_lo
	s_mov_b32 s21, 0
	global_load_b64 v[32:33], v[30:31], off
	s_wait_loadcnt 0x0
	v_mul_f32_e32 v25, s7, v33
	v_mul_f32_e32 v33, s6, v33
	s_delay_alu instid0(VALU_DEP_2) | instskip(NEXT) | instid1(VALU_DEP_1)
	v_fma_f32 v25, v32, s6, -v25
	v_dual_fmac_f32 v33, s7, v32 :: v_dual_add_f32 v32, v12, v25
	s_delay_alu instid0(VALU_DEP_1)
	v_add_f32_e32 v33, v13, v33
	global_store_b64 v[30:31], v[32:33], off
.LBB228_30:                             ;   in Loop: Header=BB228_8 Depth=1
	s_wait_alu 0xfffe
	s_and_not1_b32 vcc_lo, exec_lo, s21
	s_wait_alu 0xfffe
	s_cbranch_vccnz .LBB228_32
; %bb.31:                               ;   in Loop: Header=BB228_8 Depth=1
	v_add_co_u32 v30, vcc_lo, v0, v8
	s_wait_alu 0xfffd
	v_add_co_ci_u32_e64 v31, null, v24, v9, vcc_lo
	global_store_b64 v[30:31], v[12:13], off
.LBB228_32:                             ;   in Loop: Header=BB228_8 Depth=1
	s_wait_alu 0xfffe
	s_or_b32 exec_lo, exec_lo, s20
	v_add_co_u32 v0, vcc_lo, s2, v4
	s_wait_alu 0xfffd
	v_add_co_ci_u32_e64 v24, null, s3, v5, vcc_lo
	s_and_saveexec_b32 s2, s1
	s_cbranch_execz .LBB228_37
; %bb.33:                               ;   in Loop: Header=BB228_8 Depth=1
	v_mul_f32_e32 v13, s10, v29
	v_mul_f32_e32 v12, s11, v29
	s_and_not1_b32 vcc_lo, exec_lo, s18
	s_mov_b32 s3, -1
	s_delay_alu instid0(VALU_DEP_2) | instskip(NEXT) | instid1(VALU_DEP_2)
	v_fmac_f32_e32 v13, s11, v28
	v_fma_f32 v12, v28, s10, -v12
	s_wait_alu 0xfffe
	s_cbranch_vccnz .LBB228_35
; %bb.34:                               ;   in Loop: Header=BB228_8 Depth=1
	v_add_co_u32 v28, vcc_lo, v0, v6
	s_wait_alu 0xfffd
	v_add_co_ci_u32_e64 v29, null, v24, v7, vcc_lo
	s_mov_b32 s3, 0
	global_load_b64 v[30:31], v[28:29], off
	s_wait_loadcnt 0x0
	v_mul_f32_e32 v25, s7, v31
	s_delay_alu instid0(VALU_DEP_1) | instskip(SKIP_1) | instid1(VALU_DEP_1)
	v_fma_f32 v25, v30, s6, -v25
	v_mul_f32_e32 v31, s6, v31
	v_dual_fmac_f32 v31, s7, v30 :: v_dual_add_f32 v30, v12, v25
	s_delay_alu instid0(VALU_DEP_1)
	v_add_f32_e32 v31, v13, v31
	global_store_b64 v[28:29], v[30:31], off
.LBB228_35:                             ;   in Loop: Header=BB228_8 Depth=1
	s_wait_alu 0xfffe
	s_and_not1_b32 vcc_lo, exec_lo, s3
	s_wait_alu 0xfffe
	s_cbranch_vccnz .LBB228_37
; %bb.36:                               ;   in Loop: Header=BB228_8 Depth=1
	v_add_co_u32 v28, vcc_lo, v0, v6
	s_wait_alu 0xfffd
	v_add_co_ci_u32_e64 v29, null, v24, v7, vcc_lo
	global_store_b64 v[28:29], v[12:13], off
.LBB228_37:                             ;   in Loop: Header=BB228_8 Depth=1
	s_wait_alu 0xfffe
	s_or_b32 exec_lo, exec_lo, s2
	s_and_saveexec_b32 s2, s4
	s_cbranch_execz .LBB228_7
; %bb.38:                               ;   in Loop: Header=BB228_8 Depth=1
	v_mul_f32_e32 v13, s10, v26
	v_mul_f32_e32 v12, s11, v26
	s_and_not1_b32 vcc_lo, exec_lo, s18
	s_mov_b32 s3, -1
	s_delay_alu instid0(VALU_DEP_2) | instskip(NEXT) | instid1(VALU_DEP_2)
	v_fmac_f32_e32 v13, s11, v27
	v_fma_f32 v12, v27, s10, -v12
	s_wait_alu 0xfffe
	s_cbranch_vccnz .LBB228_40
; %bb.39:                               ;   in Loop: Header=BB228_8 Depth=1
	v_add_co_u32 v25, vcc_lo, v0, v8
	s_wait_alu 0xfffd
	v_add_co_ci_u32_e64 v26, null, v24, v9, vcc_lo
	s_mov_b32 s3, 0
	global_load_b64 v[27:28], v[25:26], off
	s_wait_loadcnt 0x0
	v_mul_f32_e32 v29, s7, v28
	v_mul_f32_e32 v28, s6, v28
	s_delay_alu instid0(VALU_DEP_1) | instskip(NEXT) | instid1(VALU_DEP_3)
	v_fmac_f32_e32 v28, s7, v27
	v_fma_f32 v29, v27, s6, -v29
	s_delay_alu instid0(VALU_DEP_1)
	v_dual_add_f32 v28, v13, v28 :: v_dual_add_f32 v27, v12, v29
	global_store_b64 v[25:26], v[27:28], off
.LBB228_40:                             ;   in Loop: Header=BB228_8 Depth=1
	s_wait_alu 0xfffe
	s_and_not1_b32 vcc_lo, exec_lo, s3
	s_wait_alu 0xfffe
	s_cbranch_vccnz .LBB228_7
; %bb.41:                               ;   in Loop: Header=BB228_8 Depth=1
	v_add_co_u32 v25, vcc_lo, v0, v8
	s_wait_alu 0xfffd
	v_add_co_ci_u32_e64 v26, null, v24, v9, vcc_lo
	global_store_b64 v[25:26], v[12:13], off
	s_branch .LBB228_7
.LBB228_42:
	s_endpgm
	.section	.rodata,"a",@progbits
	.p2align	6, 0x0
	.amdhsa_kernel _ZL29rocblas_internal_gemmt_kernelIlLi16ELi32ELi8ELc84ELc78ELc76ELb0ELb0E19rocblas_complex_numIfEPKS1_S3_PS1_EviT_T9_T10_S5_lS7_S5_lS6_T11_S5_li
		.amdhsa_group_segment_fixed_size 4096
		.amdhsa_private_segment_fixed_size 0
		.amdhsa_kernarg_size 108
		.amdhsa_user_sgpr_count 2
		.amdhsa_user_sgpr_dispatch_ptr 0
		.amdhsa_user_sgpr_queue_ptr 0
		.amdhsa_user_sgpr_kernarg_segment_ptr 1
		.amdhsa_user_sgpr_dispatch_id 0
		.amdhsa_user_sgpr_private_segment_size 0
		.amdhsa_wavefront_size32 1
		.amdhsa_uses_dynamic_stack 0
		.amdhsa_enable_private_segment 0
		.amdhsa_system_sgpr_workgroup_id_x 1
		.amdhsa_system_sgpr_workgroup_id_y 1
		.amdhsa_system_sgpr_workgroup_id_z 1
		.amdhsa_system_sgpr_workgroup_info 0
		.amdhsa_system_vgpr_workitem_id 1
		.amdhsa_next_free_vgpr 71
		.amdhsa_next_free_sgpr 35
		.amdhsa_reserve_vcc 1
		.amdhsa_float_round_mode_32 0
		.amdhsa_float_round_mode_16_64 0
		.amdhsa_float_denorm_mode_32 3
		.amdhsa_float_denorm_mode_16_64 3
		.amdhsa_fp16_overflow 0
		.amdhsa_workgroup_processor_mode 1
		.amdhsa_memory_ordered 1
		.amdhsa_forward_progress 1
		.amdhsa_inst_pref_size 26
		.amdhsa_round_robin_scheduling 0
		.amdhsa_exception_fp_ieee_invalid_op 0
		.amdhsa_exception_fp_denorm_src 0
		.amdhsa_exception_fp_ieee_div_zero 0
		.amdhsa_exception_fp_ieee_overflow 0
		.amdhsa_exception_fp_ieee_underflow 0
		.amdhsa_exception_fp_ieee_inexact 0
		.amdhsa_exception_int_div_zero 0
	.end_amdhsa_kernel
	.section	.text._ZL29rocblas_internal_gemmt_kernelIlLi16ELi32ELi8ELc84ELc78ELc76ELb0ELb0E19rocblas_complex_numIfEPKS1_S3_PS1_EviT_T9_T10_S5_lS7_S5_lS6_T11_S5_li,"axG",@progbits,_ZL29rocblas_internal_gemmt_kernelIlLi16ELi32ELi8ELc84ELc78ELc76ELb0ELb0E19rocblas_complex_numIfEPKS1_S3_PS1_EviT_T9_T10_S5_lS7_S5_lS6_T11_S5_li,comdat
.Lfunc_end228:
	.size	_ZL29rocblas_internal_gemmt_kernelIlLi16ELi32ELi8ELc84ELc78ELc76ELb0ELb0E19rocblas_complex_numIfEPKS1_S3_PS1_EviT_T9_T10_S5_lS7_S5_lS6_T11_S5_li, .Lfunc_end228-_ZL29rocblas_internal_gemmt_kernelIlLi16ELi32ELi8ELc84ELc78ELc76ELb0ELb0E19rocblas_complex_numIfEPKS1_S3_PS1_EviT_T9_T10_S5_lS7_S5_lS6_T11_S5_li
                                        ; -- End function
	.set _ZL29rocblas_internal_gemmt_kernelIlLi16ELi32ELi8ELc84ELc78ELc76ELb0ELb0E19rocblas_complex_numIfEPKS1_S3_PS1_EviT_T9_T10_S5_lS7_S5_lS6_T11_S5_li.num_vgpr, 71
	.set _ZL29rocblas_internal_gemmt_kernelIlLi16ELi32ELi8ELc84ELc78ELc76ELb0ELb0E19rocblas_complex_numIfEPKS1_S3_PS1_EviT_T9_T10_S5_lS7_S5_lS6_T11_S5_li.num_agpr, 0
	.set _ZL29rocblas_internal_gemmt_kernelIlLi16ELi32ELi8ELc84ELc78ELc76ELb0ELb0E19rocblas_complex_numIfEPKS1_S3_PS1_EviT_T9_T10_S5_lS7_S5_lS6_T11_S5_li.numbered_sgpr, 35
	.set _ZL29rocblas_internal_gemmt_kernelIlLi16ELi32ELi8ELc84ELc78ELc76ELb0ELb0E19rocblas_complex_numIfEPKS1_S3_PS1_EviT_T9_T10_S5_lS7_S5_lS6_T11_S5_li.num_named_barrier, 0
	.set _ZL29rocblas_internal_gemmt_kernelIlLi16ELi32ELi8ELc84ELc78ELc76ELb0ELb0E19rocblas_complex_numIfEPKS1_S3_PS1_EviT_T9_T10_S5_lS7_S5_lS6_T11_S5_li.private_seg_size, 0
	.set _ZL29rocblas_internal_gemmt_kernelIlLi16ELi32ELi8ELc84ELc78ELc76ELb0ELb0E19rocblas_complex_numIfEPKS1_S3_PS1_EviT_T9_T10_S5_lS7_S5_lS6_T11_S5_li.uses_vcc, 1
	.set _ZL29rocblas_internal_gemmt_kernelIlLi16ELi32ELi8ELc84ELc78ELc76ELb0ELb0E19rocblas_complex_numIfEPKS1_S3_PS1_EviT_T9_T10_S5_lS7_S5_lS6_T11_S5_li.uses_flat_scratch, 0
	.set _ZL29rocblas_internal_gemmt_kernelIlLi16ELi32ELi8ELc84ELc78ELc76ELb0ELb0E19rocblas_complex_numIfEPKS1_S3_PS1_EviT_T9_T10_S5_lS7_S5_lS6_T11_S5_li.has_dyn_sized_stack, 0
	.set _ZL29rocblas_internal_gemmt_kernelIlLi16ELi32ELi8ELc84ELc78ELc76ELb0ELb0E19rocblas_complex_numIfEPKS1_S3_PS1_EviT_T9_T10_S5_lS7_S5_lS6_T11_S5_li.has_recursion, 0
	.set _ZL29rocblas_internal_gemmt_kernelIlLi16ELi32ELi8ELc84ELc78ELc76ELb0ELb0E19rocblas_complex_numIfEPKS1_S3_PS1_EviT_T9_T10_S5_lS7_S5_lS6_T11_S5_li.has_indirect_call, 0
	.section	.AMDGPU.csdata,"",@progbits
; Kernel info:
; codeLenInByte = 3276
; TotalNumSgprs: 37
; NumVgprs: 71
; ScratchSize: 0
; MemoryBound: 0
; FloatMode: 240
; IeeeMode: 1
; LDSByteSize: 4096 bytes/workgroup (compile time only)
; SGPRBlocks: 0
; VGPRBlocks: 8
; NumSGPRsForWavesPerEU: 37
; NumVGPRsForWavesPerEU: 71
; Occupancy: 16
; WaveLimiterHint : 0
; COMPUTE_PGM_RSRC2:SCRATCH_EN: 0
; COMPUTE_PGM_RSRC2:USER_SGPR: 2
; COMPUTE_PGM_RSRC2:TRAP_HANDLER: 0
; COMPUTE_PGM_RSRC2:TGID_X_EN: 1
; COMPUTE_PGM_RSRC2:TGID_Y_EN: 1
; COMPUTE_PGM_RSRC2:TGID_Z_EN: 1
; COMPUTE_PGM_RSRC2:TIDIG_COMP_CNT: 1
	.section	.text._ZL29rocblas_internal_gemmt_kernelIlLi16ELi32ELi8ELc84ELc84ELc76ELb0ELb0E19rocblas_complex_numIfEPKS1_S3_PS1_EviT_T9_T10_S5_lS7_S5_lS6_T11_S5_li,"axG",@progbits,_ZL29rocblas_internal_gemmt_kernelIlLi16ELi32ELi8ELc84ELc84ELc76ELb0ELb0E19rocblas_complex_numIfEPKS1_S3_PS1_EviT_T9_T10_S5_lS7_S5_lS6_T11_S5_li,comdat
	.globl	_ZL29rocblas_internal_gemmt_kernelIlLi16ELi32ELi8ELc84ELc84ELc76ELb0ELb0E19rocblas_complex_numIfEPKS1_S3_PS1_EviT_T9_T10_S5_lS7_S5_lS6_T11_S5_li ; -- Begin function _ZL29rocblas_internal_gemmt_kernelIlLi16ELi32ELi8ELc84ELc84ELc76ELb0ELb0E19rocblas_complex_numIfEPKS1_S3_PS1_EviT_T9_T10_S5_lS7_S5_lS6_T11_S5_li
	.p2align	8
	.type	_ZL29rocblas_internal_gemmt_kernelIlLi16ELi32ELi8ELc84ELc84ELc76ELb0ELb0E19rocblas_complex_numIfEPKS1_S3_PS1_EviT_T9_T10_S5_lS7_S5_lS6_T11_S5_li,@function
_ZL29rocblas_internal_gemmt_kernelIlLi16ELi32ELi8ELc84ELc84ELc76ELb0ELb0E19rocblas_complex_numIfEPKS1_S3_PS1_EviT_T9_T10_S5_lS7_S5_lS6_T11_S5_li: ; @_ZL29rocblas_internal_gemmt_kernelIlLi16ELi32ELi8ELc84ELc84ELc76ELb0ELb0E19rocblas_complex_numIfEPKS1_S3_PS1_EviT_T9_T10_S5_lS7_S5_lS6_T11_S5_li
; %bb.0:
	s_load_b256 s[24:31], s[0:1], 0x48
	s_wait_kmcnt 0x0
	s_load_b64 s[6:7], s[24:25], 0x0
	s_load_b512 s[8:23], s[0:1], 0x8
	s_wait_kmcnt 0x0
	s_cmp_eq_f32 s6, 1.0
	s_load_b64 s[10:11], s[10:11], 0x0
	s_cselect_b32 s2, -1, 0
	s_and_b32 s3, s7, 0x7fffffff
	s_delay_alu instid0(SALU_CYCLE_1) | instskip(SKIP_1) | instid1(SALU_CYCLE_1)
	s_cmp_eq_u32 s3, 0
	s_cselect_b32 s33, -1, 0
	s_and_b32 s3, s2, s33
	s_mov_b32 s2, 0
	s_and_not1_b32 vcc_lo, exec_lo, s3
	s_mov_b32 s3, -1
	s_cbranch_vccnz .LBB229_4
; %bb.1:
	s_cmp_lg_u64 s[8:9], 0
	s_cbranch_scc0 .LBB229_3
; %bb.2:
	s_wait_kmcnt 0x0
	s_cmp_neq_f32 s10, 0
	s_cselect_b32 s2, -1, 0
	s_cmp_neq_f32 s11, 0
	s_cselect_b32 s3, -1, 0
	s_delay_alu instid0(SALU_CYCLE_1)
	s_or_b32 s2, s2, s3
.LBB229_3:
	s_delay_alu instid0(SALU_CYCLE_1)
	s_mov_b32 s3, s2
.LBB229_4:
	s_delay_alu instid0(SALU_CYCLE_1)
	s_and_b32 vcc_lo, exec_lo, s3
	s_cbranch_vccz .LBB229_42
; %bb.5:
	s_load_b32 s5, s[0:1], 0x68
	s_lshr_b32 s24, ttmp7, 16
	s_wait_kmcnt 0x0
	s_cmp_ge_u32 s24, s5
	s_cbranch_scc1 .LBB229_42
; %bb.6:
	v_and_b32_e32 v7, 0x3ff, v0
	v_bfe_u32 v8, v0, 10, 10
	s_load_b32 s4, s[0:1], 0x0
	s_lshl_b32 s2, ttmp9, 5
	s_lshl_b32 s0, ttmp7, 5
	v_and_b32_e32 v14, 7, v0
	v_lshl_add_u32 v2, v8, 4, v7
	s_and_b32 s0, s0, 0x1fffe0
	s_cmp_neq_f32 s10, 0
	v_add_nc_u32_e32 v11, s0, v8
	v_lshl_add_u32 v23, v8, 6, 0x800
	v_and_b32_e32 v3, 31, v2
	s_cselect_b32 s1, -1, 0
	s_cmp_neq_f32 s11, 0
	v_lshrrev_b32_e32 v9, 3, v2
	v_lshrrev_b32_e32 v15, 5, v2
	v_or_b32_e32 v4, s2, v3
	s_cselect_b32 s3, -1, 0
	v_lshlrev_b32_e32 v3, 3, v3
	v_add_nc_u32_e32 v2, s0, v9
	v_add_nc_u32_e32 v12, 16, v11
	v_mul_lo_u32 v6, s15, v4
	v_mad_co_u64_u32 v[0:1], null, s14, v4, 0
	s_ashr_i32 s15, s2, 31
	v_lshl_or_b32 v16, v15, 8, v3
	s_wait_alu 0xfffe
	s_mul_i32 s14, s14, s15
	s_or_b32 s15, s1, s3
	s_wait_kmcnt 0x0
	v_cmp_gt_i32_e32 vcc_lo, s4, v2
	v_cmp_gt_i32_e64 s0, s4, v4
	s_wait_alu 0xfffe
	v_add3_u32 v1, v1, s14, v6
	v_cmp_le_i32_e64 s14, s4, v4
	s_cmp_neq_f32 s6, 0
	v_cmp_gt_i64_e64 s34, s[8:9], 0
	s_mov_b32 s25, 0
	v_lshlrev_b64_e32 v[0:1], 3, v[0:1]
	s_delay_alu instid0(VALU_DEP_1) | instskip(SKIP_1) | instid1(VALU_DEP_2)
	v_add_co_u32 v18, s1, s12, v0
	s_wait_alu 0xf1ff
	v_add_co_ci_u32_e64 v19, null, s13, v1, s1
	v_mov_b32_e32 v1, 0
	v_lshlrev_b32_e32 v5, 3, v14
	v_lshlrev_b32_e32 v0, 3, v2
	v_mad_co_u64_u32 v[2:3], null, s28, v11, 0
	s_delay_alu instid0(VALU_DEP_3) | instskip(NEXT) | instid1(VALU_DEP_3)
	v_lshl_or_b32 v5, v9, 6, v5
	v_add_co_u32 v20, s1, s18, v0
	s_wait_alu 0xf1ff
	v_add_co_ci_u32_e64 v21, null, s19, 0, s1
	s_delay_alu instid0(VALU_DEP_3)
	v_add_nc_u32_e32 v17, 0x800, v5
	v_mad_co_u64_u32 v[4:5], null, s28, v12, 0
	v_mov_b32_e32 v0, v3
	v_add_nc_u32_e32 v6, s2, v7
	v_lshlrev_b32_e32 v22, 3, v7
	s_cselect_b32 s18, -1, 0
	s_xor_b32 s19, s33, -1
	v_mad_co_u64_u32 v[9:10], null, s29, v11, v[0:1]
	v_add_nc_u32_e32 v8, 16, v6
	v_mov_b32_e32 v0, v5
	v_cmp_le_i32_e64 s1, v11, v6
	v_cmp_gt_i32_e64 s2, s4, v6
	v_ashrrev_i32_e32 v7, 31, v6
	v_cmp_le_i32_e64 s3, v11, v8
	v_mad_co_u64_u32 v[10:11], null, s29, v12, v[0:1]
	v_cmp_gt_i32_e64 s4, s4, v8
	v_mov_b32_e32 v3, v9
	v_ashrrev_i32_e32 v9, 31, v8
	s_and_b32 s12, s1, s2
	v_cmp_le_i32_e64 s1, v12, v6
	s_and_b32 s13, s3, s4
	v_mov_b32_e32 v5, v10
	v_cmp_le_i32_e64 s3, v12, v8
	v_lshlrev_b64_e32 v[2:3], 3, v[2:3]
	v_lshlrev_b64_e32 v[6:7], 3, v[6:7]
	v_lshlrev_b64_e32 v[8:9], 3, v[8:9]
	v_lshlrev_b64_e32 v[4:5], 3, v[4:5]
	s_and_b32 s15, s15, s34
	s_wait_alu 0xfffe
	s_or_b32 s18, s18, s19
	s_and_b32 s1, s1, s2
	s_and_b32 s4, s3, s4
	s_xor_b32 s19, vcc_lo, -1
                                        ; implicit-def: $vgpr10_vgpr11
	s_branch .LBB229_8
.LBB229_7:                              ;   in Loop: Header=BB229_8 Depth=1
	s_wait_alu 0xfffe
	s_or_b32 exec_lo, exec_lo, s2
	s_add_co_i32 s24, s24, 0x10000
	s_delay_alu instid0(SALU_CYCLE_1)
	s_cmp_lt_u32 s24, s5
	s_cbranch_scc0 .LBB229_42
.LBB229_8:                              ; =>This Loop Header: Depth=1
                                        ;     Child Loop BB229_11 Depth 2
	s_and_not1_b32 vcc_lo, exec_lo, s15
	s_wait_alu 0xfffe
	s_cbranch_vccnz .LBB229_21
; %bb.9:                                ;   in Loop: Header=BB229_8 Depth=1
	s_mul_u64 s[2:3], s[16:17], s[24:25]
	s_mul_u64 s[28:29], s[22:23], s[24:25]
	s_wait_alu 0xfffe
	s_lshl_b64 s[2:3], s[2:3], 3
	v_dual_mov_b32 v26, 0 :: v_dual_mov_b32 v27, 0
	s_wait_alu 0xfffe
	v_add_co_u32 v12, vcc_lo, v18, s2
	s_wait_alu 0xfffd
	v_add_co_ci_u32_e64 v13, null, s3, v19, vcc_lo
	s_lshl_b64 s[2:3], s[28:29], 3
	v_dual_mov_b32 v29, 0 :: v_dual_mov_b32 v28, 0
	s_wait_alu 0xfffe
	v_add_co_u32 v24, vcc_lo, v20, s2
	s_wait_alu 0xfffd
	v_add_co_ci_u32_e64 v25, null, s3, v21, vcc_lo
	v_dual_mov_b32 v31, 0 :: v_dual_mov_b32 v30, 0
	v_dual_mov_b32 v33, 0 :: v_dual_mov_b32 v32, 0
	s_mov_b64 s[2:3], 0
	s_branch .LBB229_11
.LBB229_10:                             ;   in Loop: Header=BB229_11 Depth=2
	s_wait_alu 0xfffe
	s_or_b32 exec_lo, exec_lo, s28
	s_wait_dscnt 0x0
	s_barrier_signal -1
	s_barrier_wait -1
	global_inv scope:SCOPE_SE
	ds_load_b128 v[34:37], v23
	ds_load_2addr_b64 v[38:41], v22 offset1:16
	ds_load_b128 v[42:45], v23 offset:1024
	ds_load_b128 v[46:49], v23 offset:16
	;; [unrolled: 1-line block ×4, first 2 shown]
	ds_load_2addr_b64 v[58:61], v22 offset0:32 offset1:48
	ds_load_b128 v[62:65], v23 offset:1040
	s_add_nc_u64 s[2:3], s[2:3], 8
	s_wait_alu 0xfffe
	v_cmp_gt_i64_e64 s28, s[8:9], s[2:3]
	s_and_b32 vcc_lo, exec_lo, s28
	s_wait_dscnt 0x6
	v_mul_f32_e32 v0, v35, v39
	v_dual_mul_f32 v66, v34, v39 :: v_dual_mul_f32 v67, v35, v41
	s_wait_dscnt 0x5
	v_dual_mul_f32 v68, v34, v41 :: v_dual_mul_f32 v69, v43, v39
	v_dual_mul_f32 v39, v42, v39 :: v_dual_mul_f32 v70, v43, v41
	v_mul_f32_e32 v41, v42, v41
	v_fma_f32 v0, v34, v38, -v0
	v_fma_f32 v34, v34, v40, -v67
	v_fmac_f32_e32 v68, v35, v40
	v_fmac_f32_e32 v39, v43, v38
	;; [unrolled: 1-line block ×3, first 2 shown]
	v_add_f32_e32 v0, v32, v0
	v_fmac_f32_e32 v66, v35, v38
	v_fma_f32 v35, v42, v38, -v69
	v_fma_f32 v38, v42, v40, -v70
	v_add_f32_e32 v26, v26, v41
	s_delay_alu instid0(VALU_DEP_4) | instskip(NEXT) | instid1(VALU_DEP_4)
	v_add_f32_e32 v32, v33, v66
	v_dual_add_f32 v33, v30, v34 :: v_dual_add_f32 v34, v28, v35
	v_add_f32_e32 v35, v29, v39
	s_wait_dscnt 0x1
	v_dual_mul_f32 v39, v37, v59 :: v_dual_add_f32 v38, v27, v38
	ds_load_2addr_b64 v[27:30], v22 offset0:64 offset1:80
	v_mul_f32_e32 v42, v37, v61
	v_mul_f32_e32 v41, v36, v61
	;; [unrolled: 1-line block ×3, first 2 shown]
	v_fma_f32 v39, v36, v58, -v39
	v_add_f32_e32 v31, v31, v68
	v_fma_f32 v36, v36, v60, -v42
	s_delay_alu instid0(VALU_DEP_3) | instskip(SKIP_1) | instid1(VALU_DEP_3)
	v_add_f32_e32 v0, v0, v39
	v_mul_f32_e32 v39, v45, v59
	v_add_f32_e32 v36, v33, v36
	v_fmac_f32_e32 v41, v37, v60
	v_fmac_f32_e32 v40, v37, v58
	v_mul_f32_e32 v37, v45, v61
	v_fma_f32 v33, v44, v58, -v39
	s_delay_alu instid0(VALU_DEP_4) | instskip(NEXT) | instid1(VALU_DEP_3)
	v_add_f32_e32 v39, v31, v41
	v_fma_f32 v31, v44, v60, -v37
	v_mul_f32_e32 v41, v44, v61
	s_wait_dscnt 0x0
	v_mul_f32_e32 v37, v46, v28
	v_add_f32_e32 v40, v32, v40
	v_add_f32_e32 v38, v38, v31
	v_dual_mul_f32 v32, v44, v59 :: v_dual_fmac_f32 v41, v45, v60
	v_mul_f32_e32 v44, v47, v30
	s_delay_alu instid0(VALU_DEP_2) | instskip(NEXT) | instid1(VALU_DEP_3)
	v_dual_fmac_f32 v37, v47, v27 :: v_dual_fmac_f32 v32, v45, v58
	v_add_f32_e32 v41, v26, v41
	v_dual_add_f32 v42, v34, v33 :: v_dual_mul_f32 v33, v47, v28
	s_delay_alu instid0(VALU_DEP_3) | instskip(NEXT) | instid1(VALU_DEP_4)
	v_dual_mul_f32 v26, v46, v30 :: v_dual_add_f32 v37, v40, v37
	v_add_f32_e32 v35, v35, v32
	s_delay_alu instid0(VALU_DEP_3) | instskip(SKIP_4) | instid1(VALU_DEP_1)
	v_fma_f32 v43, v46, v27, -v33
	ds_load_2addr_b64 v[31:34], v22 offset0:96 offset1:112
	v_fmac_f32_e32 v26, v47, v29
	v_add_f32_e32 v0, v0, v43
	v_fma_f32 v43, v46, v29, -v44
	v_dual_add_f32 v39, v39, v26 :: v_dual_add_f32 v36, v36, v43
	v_mul_f32_e32 v43, v63, v30
	v_mul_f32_e32 v30, v62, v30
	s_delay_alu instid0(VALU_DEP_2) | instskip(SKIP_1) | instid1(VALU_DEP_3)
	v_fma_f32 v26, v62, v29, -v43
	v_mul_f32_e32 v40, v63, v28
	v_fmac_f32_e32 v30, v63, v29
	s_wait_dscnt 0x0
	v_dual_mul_f32 v28, v62, v28 :: v_dual_mul_f32 v47, v65, v34
	v_add_f32_e32 v43, v38, v26
	v_fma_f32 v40, v62, v27, -v40
	v_dual_mul_f32 v38, v48, v32 :: v_dual_add_f32 v41, v41, v30
	s_delay_alu instid0(VALU_DEP_4) | instskip(SKIP_1) | instid1(VALU_DEP_3)
	v_fmac_f32_e32 v28, v63, v27
	v_mul_f32_e32 v30, v48, v34
	v_fmac_f32_e32 v38, v49, v31
	v_add_f32_e32 v40, v42, v40
	s_delay_alu instid0(VALU_DEP_4)
	v_add_f32_e32 v42, v35, v28
	ds_load_2addr_b64 v[26:29], v22 offset0:128 offset1:144
	v_mul_f32_e32 v35, v49, v32
	v_mul_f32_e32 v44, v49, v34
	v_fmac_f32_e32 v30, v49, v33
	v_mul_f32_e32 v34, v64, v34
	s_delay_alu instid0(VALU_DEP_4)
	v_fma_f32 v35, v48, v31, -v35
	s_wait_dscnt 0x0
	v_mul_f32_e32 v49, v50, v27
	v_fma_f32 v44, v48, v33, -v44
	v_add_f32_e32 v48, v39, v30
	v_fma_f32 v30, v64, v33, -v47
	s_delay_alu instid0(VALU_DEP_4) | instskip(NEXT) | instid1(VALU_DEP_4)
	v_fmac_f32_e32 v49, v51, v26
	v_dual_add_f32 v45, v37, v38 :: v_dual_add_f32 v44, v36, v44
	s_delay_alu instid0(VALU_DEP_3) | instskip(SKIP_1) | instid1(VALU_DEP_3)
	v_dual_add_f32 v43, v43, v30 :: v_dual_add_f32 v0, v0, v35
	v_mul_f32_e32 v35, v65, v32
	v_dual_mul_f32 v32, v64, v32 :: v_dual_add_f32 v45, v45, v49
	s_delay_alu instid0(VALU_DEP_2) | instskip(SKIP_3) | instid1(VALU_DEP_2)
	v_fma_f32 v46, v64, v31, -v35
	ds_load_b128 v[35:38], v23 offset:1056
	v_fmac_f32_e32 v32, v65, v31
	v_dual_mul_f32 v31, v51, v27 :: v_dual_fmac_f32 v34, v65, v33
	v_add_f32_e32 v47, v42, v32
	s_delay_alu instid0(VALU_DEP_2)
	v_fma_f32 v39, v50, v26, -v31
	ds_load_2addr_b64 v[30:33], v22 offset0:160 offset1:176
	v_add_f32_e32 v46, v40, v46
	v_mul_f32_e32 v40, v51, v29
	v_add_f32_e32 v34, v41, v34
	v_add_f32_e32 v0, v0, v39
	s_delay_alu instid0(VALU_DEP_3) | instskip(SKIP_4) | instid1(VALU_DEP_2)
	v_fma_f32 v58, v50, v28, -v40
	ds_load_b128 v[39:42], v23 offset:1072
	s_wait_dscnt 0x2
	v_dual_mul_f32 v50, v50, v29 :: v_dual_mul_f32 v59, v36, v27
	v_mul_f32_e32 v27, v35, v27
	v_dual_fmac_f32 v50, v51, v28 :: v_dual_mul_f32 v51, v36, v29
	s_delay_alu instid0(VALU_DEP_3) | instskip(NEXT) | instid1(VALU_DEP_3)
	v_fma_f32 v49, v35, v26, -v59
	v_fmac_f32_e32 v27, v36, v26
	s_delay_alu instid0(VALU_DEP_3) | instskip(SKIP_2) | instid1(VALU_DEP_4)
	v_add_f32_e32 v48, v48, v50
	v_mul_f32_e32 v50, v35, v29
	v_fma_f32 v26, v35, v28, -v51
	v_add_f32_e32 v35, v47, v27
	s_wait_dscnt 0x1
	s_delay_alu instid0(VALU_DEP_3) | instskip(NEXT) | instid1(VALU_DEP_3)
	v_dual_mul_f32 v47, v53, v31 :: v_dual_fmac_f32 v50, v36, v28
	v_add_f32_e32 v43, v43, v26
	ds_load_2addr_b64 v[26:29], v22 offset0:192 offset1:208
	v_mul_f32_e32 v36, v52, v31
	v_add_f32_e32 v46, v46, v49
	v_fma_f32 v47, v52, v30, -v47
	v_mul_f32_e32 v49, v53, v33
	s_delay_alu instid0(VALU_DEP_4) | instskip(NEXT) | instid1(VALU_DEP_3)
	v_fmac_f32_e32 v36, v53, v30
	v_add_f32_e32 v0, v0, v47
	s_delay_alu instid0(VALU_DEP_3) | instskip(NEXT) | instid1(VALU_DEP_3)
	v_fma_f32 v47, v52, v32, -v49
	v_dual_add_f32 v45, v45, v36 :: v_dual_mul_f32 v36, v38, v31
	v_mul_f32_e32 v31, v37, v31
	s_delay_alu instid0(VALU_DEP_2) | instskip(NEXT) | instid1(VALU_DEP_2)
	v_fma_f32 v36, v37, v30, -v36
	v_fmac_f32_e32 v31, v38, v30
	v_add_f32_e32 v44, v44, v58
	s_delay_alu instid0(VALU_DEP_2) | instskip(NEXT) | instid1(VALU_DEP_2)
	v_dual_mul_f32 v30, v37, v33 :: v_dual_add_f32 v31, v35, v31
	v_dual_add_f32 v44, v44, v47 :: v_dual_mul_f32 v47, v38, v33
	v_add_f32_e32 v50, v34, v50
	v_mul_f32_e32 v34, v52, v33
	s_delay_alu instid0(VALU_DEP_4) | instskip(NEXT) | instid1(VALU_DEP_4)
	v_fmac_f32_e32 v30, v38, v32
	v_fma_f32 v33, v37, v32, -v47
	s_wait_dscnt 0x0
	s_delay_alu instid0(VALU_DEP_3) | instskip(NEXT) | instid1(VALU_DEP_2)
	v_dual_mul_f32 v47, v40, v27 :: v_dual_fmac_f32 v34, v53, v32
	v_dual_add_f32 v32, v43, v33 :: v_dual_mul_f32 v33, v54, v27
	v_mul_f32_e32 v43, v55, v29
	s_delay_alu instid0(VALU_DEP_2) | instskip(NEXT) | instid1(VALU_DEP_2)
	v_dual_fmac_f32 v33, v55, v26 :: v_dual_add_f32 v46, v46, v36
	v_fma_f32 v43, v54, v28, -v43
	s_delay_alu instid0(VALU_DEP_2) | instskip(SKIP_3) | instid1(VALU_DEP_3)
	v_dual_add_f32 v33, v45, v33 :: v_dual_add_f32 v48, v48, v34
	v_mul_f32_e32 v34, v55, v27
	v_mul_f32_e32 v27, v39, v27
	;; [unrolled: 1-line block ×3, first 2 shown]
	v_fma_f32 v38, v54, v26, -v34
	ds_load_2addr_b64 v[34:37], v22 offset0:224 offset1:240
	v_fmac_f32_e32 v27, v40, v26
	v_add_f32_e32 v30, v50, v30
	s_wait_loadcnt_dscnt 0x0
	v_add_f32_e32 v0, v0, v38
	s_barrier_signal -1
	v_dual_add_f32 v27, v31, v27 :: v_dual_mul_f32 v38, v54, v29
	v_mul_f32_e32 v29, v39, v29
	s_barrier_wait -1
	global_inv scope:SCOPE_SE
	v_fmac_f32_e32 v38, v55, v28
	v_fmac_f32_e32 v29, v40, v28
	s_delay_alu instid0(VALU_DEP_1) | instskip(SKIP_2) | instid1(VALU_DEP_2)
	v_add_f32_e32 v40, v30, v29
	v_mul_f32_e32 v29, v56, v37
	v_mul_f32_e32 v31, v57, v35
	v_fmac_f32_e32 v29, v57, v36
	v_add_f32_e32 v43, v44, v43
	v_fma_f32 v44, v39, v26, -v47
	v_fma_f32 v39, v39, v28, -v45
	;; [unrolled: 1-line block ×3, first 2 shown]
	s_delay_alu instid0(VALU_DEP_2) | instskip(SKIP_1) | instid1(VALU_DEP_2)
	v_dual_add_f32 v39, v32, v39 :: v_dual_mul_f32 v32, v57, v37
	v_mul_f32_e32 v28, v56, v35
	v_fma_f32 v30, v56, v36, -v32
	s_delay_alu instid0(VALU_DEP_4) | instskip(SKIP_1) | instid1(VALU_DEP_4)
	v_add_f32_e32 v32, v0, v31
	v_mul_f32_e32 v0, v42, v35
	v_fmac_f32_e32 v28, v57, v34
	s_delay_alu instid0(VALU_DEP_4) | instskip(SKIP_1) | instid1(VALU_DEP_4)
	v_dual_mul_f32 v35, v41, v35 :: v_dual_add_f32 v30, v43, v30
	v_mul_f32_e32 v43, v42, v37
	v_fma_f32 v0, v41, v34, -v0
	v_dual_mul_f32 v37, v41, v37 :: v_dual_add_f32 v26, v48, v38
	v_add_f32_e32 v38, v46, v44
	v_add_f32_e32 v33, v33, v28
	v_fmac_f32_e32 v35, v42, v34
	s_delay_alu instid0(VALU_DEP_4) | instskip(SKIP_3) | instid1(VALU_DEP_4)
	v_fmac_f32_e32 v37, v42, v36
	v_add_f32_e32 v31, v26, v29
	v_add_f32_e32 v28, v38, v0
	v_fma_f32 v0, v41, v36, -v43
	v_dual_add_f32 v29, v27, v35 :: v_dual_add_f32 v26, v40, v37
	s_delay_alu instid0(VALU_DEP_2)
	v_add_f32_e32 v27, v39, v0
	s_wait_alu 0xfffe
	s_cbranch_vccz .LBB229_22
.LBB229_11:                             ;   Parent Loop BB229_8 Depth=1
                                        ; =>  This Inner Loop Header: Depth=2
	s_mov_b32 s28, 0
	s_mov_b32 s33, s14
	s_and_saveexec_b32 s29, s0
	s_cbranch_execnz .LBB229_19
; %bb.12:                               ;   in Loop: Header=BB229_11 Depth=2
	s_wait_alu 0xfffe
	s_or_b32 exec_lo, exec_lo, s29
	s_and_saveexec_b32 s29, s33
	s_wait_alu 0xfffe
	s_xor_b32 s29, exec_lo, s29
	s_cbranch_execnz .LBB229_20
.LBB229_13:                             ;   in Loop: Header=BB229_11 Depth=2
	s_wait_alu 0xfffe
	s_or_b32 exec_lo, exec_lo, s29
	s_and_saveexec_b32 s29, s28
	s_cbranch_execz .LBB229_15
.LBB229_14:                             ;   in Loop: Header=BB229_11 Depth=2
	v_lshlrev_b64_e32 v[34:35], 3, v[10:11]
	s_delay_alu instid0(VALU_DEP_1) | instskip(SKIP_1) | instid1(VALU_DEP_2)
	v_add_co_u32 v34, vcc_lo, v12, v34
	s_wait_alu 0xfffd
	v_add_co_ci_u32_e64 v35, null, v13, v35, vcc_lo
	global_load_b64 v[34:35], v[34:35], off
	s_wait_loadcnt 0x0
	ds_store_b64 v16, v[34:35]
.LBB229_15:                             ;   in Loop: Header=BB229_11 Depth=2
	s_wait_alu 0xfffe
	s_or_b32 exec_lo, exec_lo, s29
	v_add_nc_u32_e32 v0, s2, v14
	s_delay_alu instid0(VALU_DEP_1)
	v_cmp_le_u64_e32 vcc_lo, s[8:9], v[0:1]
	s_or_b32 s28, vcc_lo, s19
	s_wait_alu 0xfffe
	s_and_saveexec_b32 s29, s28
	s_wait_alu 0xfffe
	s_xor_b32 s28, exec_lo, s29
; %bb.16:                               ;   in Loop: Header=BB229_11 Depth=2
	v_mov_b32_e32 v0, v1
	ds_store_b64 v17, v[0:1]
; %bb.17:                               ;   in Loop: Header=BB229_11 Depth=2
	s_wait_alu 0xfffe
	s_and_not1_saveexec_b32 s28, s28
	s_cbranch_execz .LBB229_10
; %bb.18:                               ;   in Loop: Header=BB229_11 Depth=2
	v_mad_co_u64_u32 v[34:35], null, s20, v0, 0
	s_delay_alu instid0(VALU_DEP_1) | instskip(NEXT) | instid1(VALU_DEP_1)
	v_mad_co_u64_u32 v[35:36], null, s21, v0, v[35:36]
	v_lshlrev_b64_e32 v[34:35], 3, v[34:35]
	s_delay_alu instid0(VALU_DEP_1) | instskip(SKIP_1) | instid1(VALU_DEP_2)
	v_add_co_u32 v34, vcc_lo, v24, v34
	s_wait_alu 0xfffd
	v_add_co_ci_u32_e64 v35, null, v25, v35, vcc_lo
	global_load_b64 v[34:35], v[34:35], off
	s_wait_loadcnt 0x0
	ds_store_b64 v17, v[34:35]
	s_branch .LBB229_10
.LBB229_19:                             ;   in Loop: Header=BB229_11 Depth=2
	s_wait_alu 0xfffe
	v_add_nc_u32_e32 v0, s2, v15
	v_mov_b32_e32 v11, v1
	s_and_not1_b32 s33, s14, exec_lo
	s_mov_b32 s28, exec_lo
	s_delay_alu instid0(VALU_DEP_2) | instskip(SKIP_2) | instid1(SALU_CYCLE_1)
	v_cmp_le_u64_e32 vcc_lo, s[8:9], v[0:1]
	v_mov_b32_e32 v10, v0
	s_and_b32 s34, vcc_lo, exec_lo
	s_or_b32 s33, s33, s34
	s_or_b32 exec_lo, exec_lo, s29
	s_and_saveexec_b32 s29, s33
	s_wait_alu 0xfffe
	s_xor_b32 s29, exec_lo, s29
	s_cbranch_execz .LBB229_13
.LBB229_20:                             ;   in Loop: Header=BB229_11 Depth=2
	v_mov_b32_e32 v0, v1
	s_and_not1_b32 s28, s28, exec_lo
	ds_store_b64 v16, v[0:1]
	s_wait_alu 0xfffe
	s_or_b32 exec_lo, exec_lo, s29
	s_and_saveexec_b32 s29, s28
	s_cbranch_execnz .LBB229_14
	s_branch .LBB229_15
.LBB229_21:                             ;   in Loop: Header=BB229_8 Depth=1
	v_dual_mov_b32 v32, v1 :: v_dual_mov_b32 v33, v1
	v_dual_mov_b32 v30, v1 :: v_dual_mov_b32 v31, v1
	;; [unrolled: 1-line block ×4, first 2 shown]
.LBB229_22:                             ;   in Loop: Header=BB229_8 Depth=1
	s_mul_u64 s[2:3], s[30:31], s[24:25]
	s_wait_alu 0xfffe
	s_lshl_b64 s[2:3], s[2:3], 3
	s_wait_alu 0xfffe
	s_add_nc_u64 s[2:3], s[26:27], s[2:3]
	s_wait_alu 0xfffe
	v_add_co_u32 v0, vcc_lo, s2, v2
	s_wait_alu 0xfffd
	v_add_co_ci_u32_e64 v24, null, s3, v3, vcc_lo
	s_and_saveexec_b32 s28, s12
	s_cbranch_execz .LBB229_27
; %bb.23:                               ;   in Loop: Header=BB229_8 Depth=1
	v_mul_f32_e32 v13, s10, v33
	v_mul_f32_e32 v12, s11, v33
	s_and_b32 vcc_lo, exec_lo, s18
	s_mov_b32 s29, -1
	s_delay_alu instid0(VALU_DEP_2) | instskip(NEXT) | instid1(VALU_DEP_2)
	v_fmac_f32_e32 v13, s11, v32
	v_fma_f32 v12, v32, s10, -v12
	s_wait_alu 0xfffe
	s_cbranch_vccz .LBB229_25
; %bb.24:                               ;   in Loop: Header=BB229_8 Depth=1
	v_add_co_u32 v32, vcc_lo, v0, v6
	s_wait_alu 0xfffd
	v_add_co_ci_u32_e64 v33, null, v24, v7, vcc_lo
	s_mov_b32 s29, 0
	global_load_b64 v[34:35], v[32:33], off
	s_wait_loadcnt 0x0
	v_mul_f32_e32 v25, s7, v35
	s_delay_alu instid0(VALU_DEP_1) | instskip(SKIP_1) | instid1(VALU_DEP_1)
	v_fma_f32 v25, v34, s6, -v25
	v_mul_f32_e32 v35, s6, v35
	v_dual_fmac_f32 v35, s7, v34 :: v_dual_add_f32 v34, v12, v25
	s_delay_alu instid0(VALU_DEP_1)
	v_add_f32_e32 v35, v13, v35
	global_store_b64 v[32:33], v[34:35], off
.LBB229_25:                             ;   in Loop: Header=BB229_8 Depth=1
	s_wait_alu 0xfffe
	s_and_not1_b32 vcc_lo, exec_lo, s29
	s_wait_alu 0xfffe
	s_cbranch_vccnz .LBB229_27
; %bb.26:                               ;   in Loop: Header=BB229_8 Depth=1
	v_add_co_u32 v32, vcc_lo, v0, v6
	s_wait_alu 0xfffd
	v_add_co_ci_u32_e64 v33, null, v24, v7, vcc_lo
	global_store_b64 v[32:33], v[12:13], off
.LBB229_27:                             ;   in Loop: Header=BB229_8 Depth=1
	s_wait_alu 0xfffe
	s_or_b32 exec_lo, exec_lo, s28
	s_and_saveexec_b32 s28, s13
	s_cbranch_execz .LBB229_32
; %bb.28:                               ;   in Loop: Header=BB229_8 Depth=1
	v_mul_f32_e32 v13, s10, v31
	v_mul_f32_e32 v12, s11, v31
	s_and_not1_b32 vcc_lo, exec_lo, s18
	s_mov_b32 s29, -1
	s_delay_alu instid0(VALU_DEP_2) | instskip(NEXT) | instid1(VALU_DEP_2)
	v_fmac_f32_e32 v13, s11, v30
	v_fma_f32 v12, v30, s10, -v12
	s_wait_alu 0xfffe
	s_cbranch_vccnz .LBB229_30
; %bb.29:                               ;   in Loop: Header=BB229_8 Depth=1
	v_add_co_u32 v30, vcc_lo, v0, v8
	s_wait_alu 0xfffd
	v_add_co_ci_u32_e64 v31, null, v24, v9, vcc_lo
	s_mov_b32 s29, 0
	global_load_b64 v[32:33], v[30:31], off
	s_wait_loadcnt 0x0
	v_mul_f32_e32 v25, s7, v33
	v_mul_f32_e32 v33, s6, v33
	s_delay_alu instid0(VALU_DEP_2) | instskip(NEXT) | instid1(VALU_DEP_1)
	v_fma_f32 v25, v32, s6, -v25
	v_dual_fmac_f32 v33, s7, v32 :: v_dual_add_f32 v32, v12, v25
	s_delay_alu instid0(VALU_DEP_1)
	v_add_f32_e32 v33, v13, v33
	global_store_b64 v[30:31], v[32:33], off
.LBB229_30:                             ;   in Loop: Header=BB229_8 Depth=1
	s_wait_alu 0xfffe
	s_and_not1_b32 vcc_lo, exec_lo, s29
	s_wait_alu 0xfffe
	s_cbranch_vccnz .LBB229_32
; %bb.31:                               ;   in Loop: Header=BB229_8 Depth=1
	v_add_co_u32 v30, vcc_lo, v0, v8
	s_wait_alu 0xfffd
	v_add_co_ci_u32_e64 v31, null, v24, v9, vcc_lo
	global_store_b64 v[30:31], v[12:13], off
.LBB229_32:                             ;   in Loop: Header=BB229_8 Depth=1
	s_wait_alu 0xfffe
	s_or_b32 exec_lo, exec_lo, s28
	v_add_co_u32 v0, vcc_lo, s2, v4
	s_wait_alu 0xfffd
	v_add_co_ci_u32_e64 v24, null, s3, v5, vcc_lo
	s_and_saveexec_b32 s2, s1
	s_cbranch_execz .LBB229_37
; %bb.33:                               ;   in Loop: Header=BB229_8 Depth=1
	v_mul_f32_e32 v13, s10, v29
	v_mul_f32_e32 v12, s11, v29
	s_and_not1_b32 vcc_lo, exec_lo, s18
	s_mov_b32 s3, -1
	s_delay_alu instid0(VALU_DEP_2) | instskip(NEXT) | instid1(VALU_DEP_2)
	v_fmac_f32_e32 v13, s11, v28
	v_fma_f32 v12, v28, s10, -v12
	s_wait_alu 0xfffe
	s_cbranch_vccnz .LBB229_35
; %bb.34:                               ;   in Loop: Header=BB229_8 Depth=1
	v_add_co_u32 v28, vcc_lo, v0, v6
	s_wait_alu 0xfffd
	v_add_co_ci_u32_e64 v29, null, v24, v7, vcc_lo
	s_mov_b32 s3, 0
	global_load_b64 v[30:31], v[28:29], off
	s_wait_loadcnt 0x0
	v_mul_f32_e32 v25, s7, v31
	s_delay_alu instid0(VALU_DEP_1) | instskip(SKIP_1) | instid1(VALU_DEP_1)
	v_fma_f32 v25, v30, s6, -v25
	v_mul_f32_e32 v31, s6, v31
	v_dual_fmac_f32 v31, s7, v30 :: v_dual_add_f32 v30, v12, v25
	s_delay_alu instid0(VALU_DEP_1)
	v_add_f32_e32 v31, v13, v31
	global_store_b64 v[28:29], v[30:31], off
.LBB229_35:                             ;   in Loop: Header=BB229_8 Depth=1
	s_wait_alu 0xfffe
	s_and_not1_b32 vcc_lo, exec_lo, s3
	s_wait_alu 0xfffe
	s_cbranch_vccnz .LBB229_37
; %bb.36:                               ;   in Loop: Header=BB229_8 Depth=1
	v_add_co_u32 v28, vcc_lo, v0, v6
	s_wait_alu 0xfffd
	v_add_co_ci_u32_e64 v29, null, v24, v7, vcc_lo
	global_store_b64 v[28:29], v[12:13], off
.LBB229_37:                             ;   in Loop: Header=BB229_8 Depth=1
	s_wait_alu 0xfffe
	s_or_b32 exec_lo, exec_lo, s2
	s_and_saveexec_b32 s2, s4
	s_cbranch_execz .LBB229_7
; %bb.38:                               ;   in Loop: Header=BB229_8 Depth=1
	v_mul_f32_e32 v13, s10, v26
	v_mul_f32_e32 v12, s11, v26
	s_and_not1_b32 vcc_lo, exec_lo, s18
	s_mov_b32 s3, -1
	s_delay_alu instid0(VALU_DEP_2) | instskip(NEXT) | instid1(VALU_DEP_2)
	v_fmac_f32_e32 v13, s11, v27
	v_fma_f32 v12, v27, s10, -v12
	s_wait_alu 0xfffe
	s_cbranch_vccnz .LBB229_40
; %bb.39:                               ;   in Loop: Header=BB229_8 Depth=1
	v_add_co_u32 v25, vcc_lo, v0, v8
	s_wait_alu 0xfffd
	v_add_co_ci_u32_e64 v26, null, v24, v9, vcc_lo
	s_mov_b32 s3, 0
	global_load_b64 v[27:28], v[25:26], off
	s_wait_loadcnt 0x0
	v_mul_f32_e32 v29, s7, v28
	v_mul_f32_e32 v28, s6, v28
	s_delay_alu instid0(VALU_DEP_1) | instskip(NEXT) | instid1(VALU_DEP_3)
	v_fmac_f32_e32 v28, s7, v27
	v_fma_f32 v29, v27, s6, -v29
	s_delay_alu instid0(VALU_DEP_1)
	v_dual_add_f32 v28, v13, v28 :: v_dual_add_f32 v27, v12, v29
	global_store_b64 v[25:26], v[27:28], off
.LBB229_40:                             ;   in Loop: Header=BB229_8 Depth=1
	s_wait_alu 0xfffe
	s_and_not1_b32 vcc_lo, exec_lo, s3
	s_wait_alu 0xfffe
	s_cbranch_vccnz .LBB229_7
; %bb.41:                               ;   in Loop: Header=BB229_8 Depth=1
	v_add_co_u32 v25, vcc_lo, v0, v8
	s_wait_alu 0xfffd
	v_add_co_ci_u32_e64 v26, null, v24, v9, vcc_lo
	global_store_b64 v[25:26], v[12:13], off
	s_branch .LBB229_7
.LBB229_42:
	s_endpgm
	.section	.rodata,"a",@progbits
	.p2align	6, 0x0
	.amdhsa_kernel _ZL29rocblas_internal_gemmt_kernelIlLi16ELi32ELi8ELc84ELc84ELc76ELb0ELb0E19rocblas_complex_numIfEPKS1_S3_PS1_EviT_T9_T10_S5_lS7_S5_lS6_T11_S5_li
		.amdhsa_group_segment_fixed_size 4096
		.amdhsa_private_segment_fixed_size 0
		.amdhsa_kernarg_size 108
		.amdhsa_user_sgpr_count 2
		.amdhsa_user_sgpr_dispatch_ptr 0
		.amdhsa_user_sgpr_queue_ptr 0
		.amdhsa_user_sgpr_kernarg_segment_ptr 1
		.amdhsa_user_sgpr_dispatch_id 0
		.amdhsa_user_sgpr_private_segment_size 0
		.amdhsa_wavefront_size32 1
		.amdhsa_uses_dynamic_stack 0
		.amdhsa_enable_private_segment 0
		.amdhsa_system_sgpr_workgroup_id_x 1
		.amdhsa_system_sgpr_workgroup_id_y 1
		.amdhsa_system_sgpr_workgroup_id_z 1
		.amdhsa_system_sgpr_workgroup_info 0
		.amdhsa_system_vgpr_workitem_id 1
		.amdhsa_next_free_vgpr 71
		.amdhsa_next_free_sgpr 35
		.amdhsa_reserve_vcc 1
		.amdhsa_float_round_mode_32 0
		.amdhsa_float_round_mode_16_64 0
		.amdhsa_float_denorm_mode_32 3
		.amdhsa_float_denorm_mode_16_64 3
		.amdhsa_fp16_overflow 0
		.amdhsa_workgroup_processor_mode 1
		.amdhsa_memory_ordered 1
		.amdhsa_forward_progress 1
		.amdhsa_inst_pref_size 26
		.amdhsa_round_robin_scheduling 0
		.amdhsa_exception_fp_ieee_invalid_op 0
		.amdhsa_exception_fp_denorm_src 0
		.amdhsa_exception_fp_ieee_div_zero 0
		.amdhsa_exception_fp_ieee_overflow 0
		.amdhsa_exception_fp_ieee_underflow 0
		.amdhsa_exception_fp_ieee_inexact 0
		.amdhsa_exception_int_div_zero 0
	.end_amdhsa_kernel
	.section	.text._ZL29rocblas_internal_gemmt_kernelIlLi16ELi32ELi8ELc84ELc84ELc76ELb0ELb0E19rocblas_complex_numIfEPKS1_S3_PS1_EviT_T9_T10_S5_lS7_S5_lS6_T11_S5_li,"axG",@progbits,_ZL29rocblas_internal_gemmt_kernelIlLi16ELi32ELi8ELc84ELc84ELc76ELb0ELb0E19rocblas_complex_numIfEPKS1_S3_PS1_EviT_T9_T10_S5_lS7_S5_lS6_T11_S5_li,comdat
.Lfunc_end229:
	.size	_ZL29rocblas_internal_gemmt_kernelIlLi16ELi32ELi8ELc84ELc84ELc76ELb0ELb0E19rocblas_complex_numIfEPKS1_S3_PS1_EviT_T9_T10_S5_lS7_S5_lS6_T11_S5_li, .Lfunc_end229-_ZL29rocblas_internal_gemmt_kernelIlLi16ELi32ELi8ELc84ELc84ELc76ELb0ELb0E19rocblas_complex_numIfEPKS1_S3_PS1_EviT_T9_T10_S5_lS7_S5_lS6_T11_S5_li
                                        ; -- End function
	.set _ZL29rocblas_internal_gemmt_kernelIlLi16ELi32ELi8ELc84ELc84ELc76ELb0ELb0E19rocblas_complex_numIfEPKS1_S3_PS1_EviT_T9_T10_S5_lS7_S5_lS6_T11_S5_li.num_vgpr, 71
	.set _ZL29rocblas_internal_gemmt_kernelIlLi16ELi32ELi8ELc84ELc84ELc76ELb0ELb0E19rocblas_complex_numIfEPKS1_S3_PS1_EviT_T9_T10_S5_lS7_S5_lS6_T11_S5_li.num_agpr, 0
	.set _ZL29rocblas_internal_gemmt_kernelIlLi16ELi32ELi8ELc84ELc84ELc76ELb0ELb0E19rocblas_complex_numIfEPKS1_S3_PS1_EviT_T9_T10_S5_lS7_S5_lS6_T11_S5_li.numbered_sgpr, 35
	.set _ZL29rocblas_internal_gemmt_kernelIlLi16ELi32ELi8ELc84ELc84ELc76ELb0ELb0E19rocblas_complex_numIfEPKS1_S3_PS1_EviT_T9_T10_S5_lS7_S5_lS6_T11_S5_li.num_named_barrier, 0
	.set _ZL29rocblas_internal_gemmt_kernelIlLi16ELi32ELi8ELc84ELc84ELc76ELb0ELb0E19rocblas_complex_numIfEPKS1_S3_PS1_EviT_T9_T10_S5_lS7_S5_lS6_T11_S5_li.private_seg_size, 0
	.set _ZL29rocblas_internal_gemmt_kernelIlLi16ELi32ELi8ELc84ELc84ELc76ELb0ELb0E19rocblas_complex_numIfEPKS1_S3_PS1_EviT_T9_T10_S5_lS7_S5_lS6_T11_S5_li.uses_vcc, 1
	.set _ZL29rocblas_internal_gemmt_kernelIlLi16ELi32ELi8ELc84ELc84ELc76ELb0ELb0E19rocblas_complex_numIfEPKS1_S3_PS1_EviT_T9_T10_S5_lS7_S5_lS6_T11_S5_li.uses_flat_scratch, 0
	.set _ZL29rocblas_internal_gemmt_kernelIlLi16ELi32ELi8ELc84ELc84ELc76ELb0ELb0E19rocblas_complex_numIfEPKS1_S3_PS1_EviT_T9_T10_S5_lS7_S5_lS6_T11_S5_li.has_dyn_sized_stack, 0
	.set _ZL29rocblas_internal_gemmt_kernelIlLi16ELi32ELi8ELc84ELc84ELc76ELb0ELb0E19rocblas_complex_numIfEPKS1_S3_PS1_EviT_T9_T10_S5_lS7_S5_lS6_T11_S5_li.has_recursion, 0
	.set _ZL29rocblas_internal_gemmt_kernelIlLi16ELi32ELi8ELc84ELc84ELc76ELb0ELb0E19rocblas_complex_numIfEPKS1_S3_PS1_EviT_T9_T10_S5_lS7_S5_lS6_T11_S5_li.has_indirect_call, 0
	.section	.AMDGPU.csdata,"",@progbits
; Kernel info:
; codeLenInByte = 3260
; TotalNumSgprs: 37
; NumVgprs: 71
; ScratchSize: 0
; MemoryBound: 0
; FloatMode: 240
; IeeeMode: 1
; LDSByteSize: 4096 bytes/workgroup (compile time only)
; SGPRBlocks: 0
; VGPRBlocks: 8
; NumSGPRsForWavesPerEU: 37
; NumVGPRsForWavesPerEU: 71
; Occupancy: 16
; WaveLimiterHint : 0
; COMPUTE_PGM_RSRC2:SCRATCH_EN: 0
; COMPUTE_PGM_RSRC2:USER_SGPR: 2
; COMPUTE_PGM_RSRC2:TRAP_HANDLER: 0
; COMPUTE_PGM_RSRC2:TGID_X_EN: 1
; COMPUTE_PGM_RSRC2:TGID_Y_EN: 1
; COMPUTE_PGM_RSRC2:TGID_Z_EN: 1
; COMPUTE_PGM_RSRC2:TIDIG_COMP_CNT: 1
	.section	.text._ZL29rocblas_internal_gemmt_kernelIlLi16ELi32ELi8ELc84ELc67ELc76ELb0ELb1E19rocblas_complex_numIfEPKS1_S3_PS1_EviT_T9_T10_S5_lS7_S5_lS6_T11_S5_li,"axG",@progbits,_ZL29rocblas_internal_gemmt_kernelIlLi16ELi32ELi8ELc84ELc67ELc76ELb0ELb1E19rocblas_complex_numIfEPKS1_S3_PS1_EviT_T9_T10_S5_lS7_S5_lS6_T11_S5_li,comdat
	.globl	_ZL29rocblas_internal_gemmt_kernelIlLi16ELi32ELi8ELc84ELc67ELc76ELb0ELb1E19rocblas_complex_numIfEPKS1_S3_PS1_EviT_T9_T10_S5_lS7_S5_lS6_T11_S5_li ; -- Begin function _ZL29rocblas_internal_gemmt_kernelIlLi16ELi32ELi8ELc84ELc67ELc76ELb0ELb1E19rocblas_complex_numIfEPKS1_S3_PS1_EviT_T9_T10_S5_lS7_S5_lS6_T11_S5_li
	.p2align	8
	.type	_ZL29rocblas_internal_gemmt_kernelIlLi16ELi32ELi8ELc84ELc67ELc76ELb0ELb1E19rocblas_complex_numIfEPKS1_S3_PS1_EviT_T9_T10_S5_lS7_S5_lS6_T11_S5_li,@function
_ZL29rocblas_internal_gemmt_kernelIlLi16ELi32ELi8ELc84ELc67ELc76ELb0ELb1E19rocblas_complex_numIfEPKS1_S3_PS1_EviT_T9_T10_S5_lS7_S5_lS6_T11_S5_li: ; @_ZL29rocblas_internal_gemmt_kernelIlLi16ELi32ELi8ELc84ELc67ELc76ELb0ELb1E19rocblas_complex_numIfEPKS1_S3_PS1_EviT_T9_T10_S5_lS7_S5_lS6_T11_S5_li
; %bb.0:
	s_load_b256 s[24:31], s[0:1], 0x48
	s_wait_kmcnt 0x0
	s_load_b64 s[6:7], s[24:25], 0x0
	s_load_b512 s[8:23], s[0:1], 0x8
	s_wait_kmcnt 0x0
	s_cmp_eq_f32 s6, 1.0
	s_load_b64 s[10:11], s[10:11], 0x0
	s_cselect_b32 s2, -1, 0
	s_and_b32 s3, s7, 0x7fffffff
	s_delay_alu instid0(SALU_CYCLE_1) | instskip(SKIP_1) | instid1(SALU_CYCLE_1)
	s_cmp_eq_u32 s3, 0
	s_cselect_b32 s33, -1, 0
	s_and_b32 s3, s2, s33
	s_mov_b32 s2, 0
	s_and_not1_b32 vcc_lo, exec_lo, s3
	s_mov_b32 s3, -1
	s_cbranch_vccnz .LBB230_4
; %bb.1:
	s_cmp_lg_u64 s[8:9], 0
	s_cbranch_scc0 .LBB230_3
; %bb.2:
	s_wait_kmcnt 0x0
	s_cmp_neq_f32 s10, 0
	s_cselect_b32 s2, -1, 0
	s_cmp_neq_f32 s11, 0
	s_cselect_b32 s3, -1, 0
	s_delay_alu instid0(SALU_CYCLE_1)
	s_or_b32 s2, s2, s3
.LBB230_3:
	s_delay_alu instid0(SALU_CYCLE_1)
	s_mov_b32 s3, s2
.LBB230_4:
	s_delay_alu instid0(SALU_CYCLE_1)
	s_and_b32 vcc_lo, exec_lo, s3
	s_cbranch_vccz .LBB230_42
; %bb.5:
	s_load_b32 s5, s[0:1], 0x68
	s_lshr_b32 s24, ttmp7, 16
	s_wait_kmcnt 0x0
	s_cmp_ge_u32 s24, s5
	s_cbranch_scc1 .LBB230_42
; %bb.6:
	v_and_b32_e32 v7, 0x3ff, v0
	v_bfe_u32 v8, v0, 10, 10
	s_load_b32 s4, s[0:1], 0x0
	s_lshl_b32 s2, ttmp9, 5
	s_lshl_b32 s0, ttmp7, 5
	v_and_b32_e32 v14, 7, v0
	v_lshl_add_u32 v2, v8, 4, v7
	s_and_b32 s0, s0, 0x1fffe0
	s_cmp_neq_f32 s10, 0
	v_add_nc_u32_e32 v11, s0, v8
	v_lshl_add_u32 v23, v8, 6, 0x800
	v_and_b32_e32 v3, 31, v2
	s_cselect_b32 s1, -1, 0
	s_cmp_neq_f32 s11, 0
	v_lshrrev_b32_e32 v9, 3, v2
	v_lshrrev_b32_e32 v15, 5, v2
	v_or_b32_e32 v4, s2, v3
	s_cselect_b32 s3, -1, 0
	v_lshlrev_b32_e32 v3, 3, v3
	v_add_nc_u32_e32 v2, s0, v9
	v_add_nc_u32_e32 v12, 16, v11
	v_mul_lo_u32 v6, s15, v4
	v_mad_co_u64_u32 v[0:1], null, s14, v4, 0
	s_ashr_i32 s15, s2, 31
	v_lshl_or_b32 v16, v15, 8, v3
	s_wait_alu 0xfffe
	s_mul_i32 s14, s14, s15
	s_or_b32 s15, s1, s3
	s_wait_kmcnt 0x0
	v_cmp_gt_i32_e32 vcc_lo, s4, v2
	v_cmp_gt_i32_e64 s0, s4, v4
	s_wait_alu 0xfffe
	v_add3_u32 v1, v1, s14, v6
	v_cmp_le_i32_e64 s14, s4, v4
	s_cmp_neq_f32 s6, 0
	v_cmp_gt_i64_e64 s34, s[8:9], 0
	s_mov_b32 s25, 0
	v_lshlrev_b64_e32 v[0:1], 3, v[0:1]
	s_delay_alu instid0(VALU_DEP_1) | instskip(SKIP_1) | instid1(VALU_DEP_2)
	v_add_co_u32 v18, s1, s12, v0
	s_wait_alu 0xf1ff
	v_add_co_ci_u32_e64 v19, null, s13, v1, s1
	v_mov_b32_e32 v1, 0
	v_lshlrev_b32_e32 v5, 3, v14
	v_lshlrev_b32_e32 v0, 3, v2
	v_mad_co_u64_u32 v[2:3], null, s28, v11, 0
	s_delay_alu instid0(VALU_DEP_3) | instskip(NEXT) | instid1(VALU_DEP_3)
	v_lshl_or_b32 v5, v9, 6, v5
	v_add_co_u32 v20, s1, s18, v0
	s_wait_alu 0xf1ff
	v_add_co_ci_u32_e64 v21, null, s19, 0, s1
	s_delay_alu instid0(VALU_DEP_3)
	v_add_nc_u32_e32 v17, 0x800, v5
	v_mad_co_u64_u32 v[4:5], null, s28, v12, 0
	v_mov_b32_e32 v0, v3
	v_add_nc_u32_e32 v6, s2, v7
	v_lshlrev_b32_e32 v22, 3, v7
	s_cselect_b32 s18, -1, 0
	s_xor_b32 s19, s33, -1
	v_mad_co_u64_u32 v[9:10], null, s29, v11, v[0:1]
	v_add_nc_u32_e32 v8, 16, v6
	v_mov_b32_e32 v0, v5
	v_cmp_le_i32_e64 s1, v11, v6
	v_cmp_gt_i32_e64 s2, s4, v6
	v_ashrrev_i32_e32 v7, 31, v6
	v_cmp_le_i32_e64 s3, v11, v8
	v_mad_co_u64_u32 v[10:11], null, s29, v12, v[0:1]
	v_cmp_gt_i32_e64 s4, s4, v8
	v_mov_b32_e32 v3, v9
	v_ashrrev_i32_e32 v9, 31, v8
	s_and_b32 s12, s1, s2
	v_cmp_le_i32_e64 s1, v12, v6
	s_and_b32 s13, s3, s4
	v_mov_b32_e32 v5, v10
	v_cmp_le_i32_e64 s3, v12, v8
	v_lshlrev_b64_e32 v[2:3], 3, v[2:3]
	v_lshlrev_b64_e32 v[6:7], 3, v[6:7]
	;; [unrolled: 1-line block ×4, first 2 shown]
	s_and_b32 s15, s15, s34
	s_wait_alu 0xfffe
	s_or_b32 s18, s18, s19
	s_and_b32 s1, s1, s2
	s_and_b32 s4, s3, s4
	s_xor_b32 s19, vcc_lo, -1
                                        ; implicit-def: $vgpr10_vgpr11
	s_branch .LBB230_8
.LBB230_7:                              ;   in Loop: Header=BB230_8 Depth=1
	s_wait_alu 0xfffe
	s_or_b32 exec_lo, exec_lo, s2
	s_add_co_i32 s24, s24, 0x10000
	s_delay_alu instid0(SALU_CYCLE_1)
	s_cmp_lt_u32 s24, s5
	s_cbranch_scc0 .LBB230_42
.LBB230_8:                              ; =>This Loop Header: Depth=1
                                        ;     Child Loop BB230_11 Depth 2
	s_and_not1_b32 vcc_lo, exec_lo, s15
	s_wait_alu 0xfffe
	s_cbranch_vccnz .LBB230_21
; %bb.9:                                ;   in Loop: Header=BB230_8 Depth=1
	s_mul_u64 s[2:3], s[16:17], s[24:25]
	s_mul_u64 s[28:29], s[22:23], s[24:25]
	s_wait_alu 0xfffe
	s_lshl_b64 s[2:3], s[2:3], 3
	v_dual_mov_b32 v26, 0 :: v_dual_mov_b32 v27, 0
	s_wait_alu 0xfffe
	v_add_co_u32 v12, vcc_lo, v18, s2
	s_wait_alu 0xfffd
	v_add_co_ci_u32_e64 v13, null, s3, v19, vcc_lo
	s_lshl_b64 s[2:3], s[28:29], 3
	v_dual_mov_b32 v29, 0 :: v_dual_mov_b32 v28, 0
	s_wait_alu 0xfffe
	v_add_co_u32 v24, vcc_lo, v20, s2
	s_wait_alu 0xfffd
	v_add_co_ci_u32_e64 v25, null, s3, v21, vcc_lo
	v_dual_mov_b32 v31, 0 :: v_dual_mov_b32 v30, 0
	v_dual_mov_b32 v33, 0 :: v_dual_mov_b32 v32, 0
	s_mov_b64 s[2:3], 0
	s_branch .LBB230_11
.LBB230_10:                             ;   in Loop: Header=BB230_11 Depth=2
	s_or_b32 exec_lo, exec_lo, s28
	ds_store_b32 v17, v34 offset:4
	s_wait_dscnt 0x0
	s_barrier_signal -1
	s_barrier_wait -1
	global_inv scope:SCOPE_SE
	ds_load_b128 v[34:37], v23
	ds_load_2addr_b64 v[38:41], v22 offset1:16
	ds_load_b128 v[42:45], v23 offset:1024
	ds_load_b128 v[46:49], v23 offset:16
	;; [unrolled: 1-line block ×4, first 2 shown]
	ds_load_2addr_b64 v[58:61], v22 offset0:32 offset1:48
	ds_load_b128 v[62:65], v23 offset:1040
	s_add_nc_u64 s[2:3], s[2:3], 8
	s_wait_alu 0xfffe
	v_cmp_gt_i64_e64 s28, s[8:9], s[2:3]
	s_and_b32 vcc_lo, exec_lo, s28
	s_wait_dscnt 0x6
	v_mul_f32_e32 v0, v35, v39
	v_dual_mul_f32 v66, v34, v39 :: v_dual_mul_f32 v67, v35, v41
	s_wait_dscnt 0x5
	v_dual_mul_f32 v68, v34, v41 :: v_dual_mul_f32 v69, v43, v39
	v_dual_mul_f32 v39, v42, v39 :: v_dual_mul_f32 v70, v43, v41
	v_mul_f32_e32 v41, v42, v41
	v_fma_f32 v0, v34, v38, -v0
	v_fma_f32 v34, v34, v40, -v67
	s_delay_alu instid0(VALU_DEP_4)
	v_fmac_f32_e32 v39, v43, v38
	v_fmac_f32_e32 v68, v35, v40
	;; [unrolled: 1-line block ×3, first 2 shown]
	v_add_f32_e32 v0, v32, v0
	v_fmac_f32_e32 v66, v35, v38
	v_fma_f32 v35, v42, v38, -v69
	s_delay_alu instid0(VALU_DEP_2)
	v_add_f32_e32 v32, v33, v66
	v_add_f32_e32 v33, v30, v34
	v_fma_f32 v30, v42, v40, -v70
	s_wait_dscnt 0x1
	v_mul_f32_e32 v38, v37, v59
	v_add_f32_e32 v34, v28, v35
	v_dual_add_f32 v35, v29, v39 :: v_dual_add_f32 v26, v26, v41
	v_add_f32_e32 v39, v27, v30
	ds_load_2addr_b64 v[27:30], v22 offset0:64 offset1:80
	v_fma_f32 v38, v36, v58, -v38
	v_mul_f32_e32 v42, v37, v61
	v_mul_f32_e32 v41, v36, v61
	s_delay_alu instid0(VALU_DEP_3) | instskip(SKIP_1) | instid1(VALU_DEP_3)
	v_dual_add_f32 v31, v31, v68 :: v_dual_add_f32 v0, v0, v38
	v_mul_f32_e32 v38, v45, v59
	v_dual_mul_f32 v40, v36, v59 :: v_dual_fmac_f32 v41, v37, v60
	v_fma_f32 v36, v36, v60, -v42
	s_delay_alu instid0(VALU_DEP_2) | instskip(SKIP_1) | instid1(VALU_DEP_3)
	v_fmac_f32_e32 v40, v37, v58
	v_mul_f32_e32 v37, v45, v61
	v_add_f32_e32 v36, v33, v36
	v_fma_f32 v33, v44, v58, -v38
	v_add_f32_e32 v38, v31, v41
	v_mul_f32_e32 v41, v44, v61
	v_fma_f32 v31, v44, v60, -v37
	v_add_f32_e32 v40, v32, v40
	v_mul_f32_e32 v32, v44, v59
	s_wait_dscnt 0x0
	v_dual_add_f32 v42, v34, v33 :: v_dual_mul_f32 v33, v47, v28
	v_fmac_f32_e32 v41, v45, v60
	s_delay_alu instid0(VALU_DEP_3) | instskip(SKIP_1) | instid1(VALU_DEP_4)
	v_dual_mul_f32 v37, v46, v28 :: v_dual_fmac_f32 v32, v45, v58
	v_add_f32_e32 v39, v39, v31
	v_fma_f32 v43, v46, v27, -v33
	s_delay_alu instid0(VALU_DEP_3) | instskip(NEXT) | instid1(VALU_DEP_4)
	v_fmac_f32_e32 v37, v47, v27
	v_add_f32_e32 v35, v35, v32
	ds_load_2addr_b64 v[31:34], v22 offset0:96 offset1:112
	v_mul_f32_e32 v44, v47, v30
	v_add_f32_e32 v0, v0, v43
	v_dual_add_f32 v37, v40, v37 :: v_dual_mul_f32 v40, v63, v28
	v_mul_f32_e32 v28, v62, v28
	s_delay_alu instid0(VALU_DEP_4)
	v_fma_f32 v43, v46, v29, -v44
	v_add_f32_e32 v41, v26, v41
	v_mul_f32_e32 v26, v46, v30
	v_fma_f32 v40, v62, v27, -v40
	v_fmac_f32_e32 v28, v63, v27
	v_dual_add_f32 v36, v36, v43 :: v_dual_mul_f32 v43, v63, v30
	v_mul_f32_e32 v30, v62, v30
	s_delay_alu instid0(VALU_DEP_4) | instskip(NEXT) | instid1(VALU_DEP_4)
	v_add_f32_e32 v40, v42, v40
	v_add_f32_e32 v42, v35, v28
	s_wait_dscnt 0x0
	s_delay_alu instid0(VALU_DEP_3) | instskip(NEXT) | instid1(VALU_DEP_1)
	v_dual_fmac_f32 v30, v63, v29 :: v_dual_mul_f32 v35, v49, v32
	v_add_f32_e32 v41, v41, v30
	s_delay_alu instid0(VALU_DEP_2) | instskip(NEXT) | instid1(VALU_DEP_1)
	v_fma_f32 v35, v48, v31, -v35
	v_dual_add_f32 v0, v0, v35 :: v_dual_mul_f32 v35, v65, v32
	v_dual_fmac_f32 v26, v47, v29 :: v_dual_mul_f32 v47, v65, v34
	s_delay_alu instid0(VALU_DEP_2) | instskip(NEXT) | instid1(VALU_DEP_2)
	v_fma_f32 v46, v64, v31, -v35
	v_add_f32_e32 v44, v38, v26
	v_fma_f32 v26, v62, v29, -v43
	v_dual_mul_f32 v38, v48, v32 :: v_dual_mul_f32 v43, v49, v34
	s_delay_alu instid0(VALU_DEP_2) | instskip(SKIP_3) | instid1(VALU_DEP_2)
	v_dual_mul_f32 v32, v64, v32 :: v_dual_add_f32 v39, v39, v26
	ds_load_2addr_b64 v[26:29], v22 offset0:128 offset1:144
	v_fmac_f32_e32 v38, v49, v31
	v_fma_f32 v43, v48, v33, -v43
	v_add_f32_e32 v45, v37, v38
	s_delay_alu instid0(VALU_DEP_2) | instskip(SKIP_4) | instid1(VALU_DEP_2)
	v_add_f32_e32 v43, v36, v43
	ds_load_b128 v[35:38], v23 offset:1056
	v_mul_f32_e32 v30, v48, v34
	v_fmac_f32_e32 v32, v65, v31
	s_wait_dscnt 0x1
	v_dual_fmac_f32 v30, v49, v33 :: v_dual_mul_f32 v49, v50, v27
	s_delay_alu instid0(VALU_DEP_1) | instskip(SKIP_2) | instid1(VALU_DEP_4)
	v_dual_mul_f32 v31, v51, v27 :: v_dual_add_f32 v44, v44, v30
	v_fma_f32 v30, v64, v33, -v47
	v_add_f32_e32 v47, v42, v32
	v_fmac_f32_e32 v49, v51, v26
	s_delay_alu instid0(VALU_DEP_3) | instskip(SKIP_1) | instid1(VALU_DEP_3)
	v_add_f32_e32 v48, v39, v30
	v_fma_f32 v39, v50, v26, -v31
	v_dual_add_f32 v45, v45, v49 :: v_dual_mul_f32 v34, v64, v34
	s_delay_alu instid0(VALU_DEP_2) | instskip(NEXT) | instid1(VALU_DEP_2)
	v_add_f32_e32 v0, v0, v39
	v_fmac_f32_e32 v34, v65, v33
	ds_load_2addr_b64 v[30:33], v22 offset0:160 offset1:176
	v_add_f32_e32 v46, v40, v46
	v_mul_f32_e32 v40, v51, v29
	s_delay_alu instid0(VALU_DEP_1) | instskip(NEXT) | instid1(VALU_DEP_1)
	v_fma_f32 v58, v50, v28, -v40
	v_dual_mul_f32 v50, v50, v29 :: v_dual_add_f32 v43, v43, v58
	s_delay_alu instid0(VALU_DEP_1)
	v_fmac_f32_e32 v50, v51, v28
	v_add_f32_e32 v34, v41, v34
	ds_load_b128 v[39:42], v23 offset:1072
	s_wait_dscnt 0x2
	v_mul_f32_e32 v59, v36, v27
	v_dual_mul_f32 v27, v35, v27 :: v_dual_add_f32 v44, v44, v50
	v_mul_f32_e32 v50, v35, v29
	v_mul_f32_e32 v51, v36, v29
	s_delay_alu instid0(VALU_DEP_4) | instskip(NEXT) | instid1(VALU_DEP_4)
	v_fma_f32 v49, v35, v26, -v59
	v_fmac_f32_e32 v27, v36, v26
	s_delay_alu instid0(VALU_DEP_4)
	v_fmac_f32_e32 v50, v36, v28
	s_wait_dscnt 0x1
	v_mul_f32_e32 v36, v52, v31
	v_fma_f32 v26, v35, v28, -v51
	v_add_f32_e32 v35, v47, v27
	v_mul_f32_e32 v47, v53, v31
	s_delay_alu instid0(VALU_DEP_4) | instskip(NEXT) | instid1(VALU_DEP_2)
	v_fmac_f32_e32 v36, v53, v30
	v_fma_f32 v47, v52, v30, -v47
	s_delay_alu instid0(VALU_DEP_2) | instskip(SKIP_1) | instid1(VALU_DEP_3)
	v_dual_add_f32 v45, v45, v36 :: v_dual_mul_f32 v36, v38, v31
	v_dual_mul_f32 v31, v37, v31 :: v_dual_add_f32 v46, v46, v49
	v_dual_mul_f32 v49, v53, v33 :: v_dual_add_f32 v0, v0, v47
	s_delay_alu instid0(VALU_DEP_3) | instskip(NEXT) | instid1(VALU_DEP_3)
	v_fma_f32 v36, v37, v30, -v36
	v_dual_fmac_f32 v31, v38, v30 :: v_dual_mul_f32 v30, v37, v33
	s_delay_alu instid0(VALU_DEP_3) | instskip(NEXT) | instid1(VALU_DEP_2)
	v_fma_f32 v47, v52, v32, -v49
	v_dual_add_f32 v31, v35, v31 :: v_dual_fmac_f32 v30, v38, v32
	s_delay_alu instid0(VALU_DEP_2)
	v_add_f32_e32 v43, v43, v47
	v_dual_mul_f32 v47, v38, v33 :: v_dual_add_f32 v48, v48, v26
	ds_load_2addr_b64 v[26:29], v22 offset0:192 offset1:208
	v_add_f32_e32 v50, v34, v50
	v_mul_f32_e32 v34, v52, v33
	v_fma_f32 v33, v37, v32, -v47
	s_wait_dscnt 0x0
	s_delay_alu instid0(VALU_DEP_2) | instskip(NEXT) | instid1(VALU_DEP_1)
	v_dual_fmac_f32 v34, v53, v32 :: v_dual_mul_f32 v47, v55, v29
	v_fma_f32 v47, v54, v28, -v47
	s_delay_alu instid0(VALU_DEP_1) | instskip(SKIP_3) | instid1(VALU_DEP_3)
	v_dual_add_f32 v43, v43, v47 :: v_dual_add_f32 v32, v48, v33
	v_mul_f32_e32 v33, v54, v27
	v_mul_f32_e32 v48, v40, v27
	;; [unrolled: 1-line block ×3, first 2 shown]
	v_dual_fmac_f32 v33, v55, v26 :: v_dual_add_f32 v46, v46, v36
	s_delay_alu instid0(VALU_DEP_1) | instskip(SKIP_3) | instid1(VALU_DEP_3)
	v_dual_add_f32 v33, v45, v33 :: v_dual_add_f32 v44, v44, v34
	v_mul_f32_e32 v34, v55, v27
	v_mul_f32_e32 v27, v39, v27
	v_fma_f32 v45, v39, v26, -v48
	v_fma_f32 v38, v54, v26, -v34
	ds_load_2addr_b64 v[34:37], v22 offset0:224 offset1:240
	v_fmac_f32_e32 v27, v40, v26
	s_wait_loadcnt_dscnt 0x0
	s_barrier_signal -1
	v_add_f32_e32 v0, v0, v38
	s_barrier_wait -1
	v_dual_add_f32 v27, v31, v27 :: v_dual_mul_f32 v38, v54, v29
	v_mul_f32_e32 v29, v39, v29
	v_fma_f32 v39, v39, v28, -v47
	v_add_f32_e32 v30, v50, v30
	global_inv scope:SCOPE_SE
	v_fmac_f32_e32 v38, v55, v28
	v_fmac_f32_e32 v29, v40, v28
	s_delay_alu instid0(VALU_DEP_1) | instskip(SKIP_4) | instid1(VALU_DEP_4)
	v_dual_add_f32 v39, v32, v39 :: v_dual_add_f32 v40, v30, v29
	v_mul_f32_e32 v31, v57, v35
	v_mul_f32_e32 v32, v57, v37
	;; [unrolled: 1-line block ×4, first 2 shown]
	v_fma_f32 v31, v56, v34, -v31
	s_delay_alu instid0(VALU_DEP_4) | instskip(NEXT) | instid1(VALU_DEP_4)
	v_fma_f32 v30, v56, v36, -v32
	v_fmac_f32_e32 v28, v57, v34
	s_delay_alu instid0(VALU_DEP_4) | instskip(NEXT) | instid1(VALU_DEP_4)
	v_dual_fmac_f32 v29, v57, v36 :: v_dual_add_f32 v26, v44, v38
	v_add_f32_e32 v32, v0, v31
	v_mul_f32_e32 v0, v42, v35
	v_add_f32_e32 v38, v46, v45
	v_dual_add_f32 v30, v43, v30 :: v_dual_mul_f32 v35, v41, v35
	v_mul_f32_e32 v43, v42, v37
	s_delay_alu instid0(VALU_DEP_4)
	v_fma_f32 v0, v41, v34, -v0
	v_mul_f32_e32 v37, v41, v37
	v_add_f32_e32 v33, v33, v28
	v_fmac_f32_e32 v35, v42, v34
	v_add_f32_e32 v31, v26, v29
	v_add_f32_e32 v28, v38, v0
	v_fma_f32 v0, v41, v36, -v43
	v_fmac_f32_e32 v37, v42, v36
	v_add_f32_e32 v29, v27, v35
	s_delay_alu instid0(VALU_DEP_2)
	v_dual_add_f32 v27, v39, v0 :: v_dual_add_f32 v26, v40, v37
	s_wait_alu 0xfffe
	s_cbranch_vccz .LBB230_22
.LBB230_11:                             ;   Parent Loop BB230_8 Depth=1
                                        ; =>  This Inner Loop Header: Depth=2
	s_mov_b32 s28, 0
	s_mov_b32 s33, s14
	s_and_saveexec_b32 s29, s0
	s_cbranch_execnz .LBB230_19
; %bb.12:                               ;   in Loop: Header=BB230_11 Depth=2
	s_wait_alu 0xfffe
	s_or_b32 exec_lo, exec_lo, s29
	s_and_saveexec_b32 s29, s33
	s_wait_alu 0xfffe
	s_xor_b32 s29, exec_lo, s29
	s_cbranch_execnz .LBB230_20
.LBB230_13:                             ;   in Loop: Header=BB230_11 Depth=2
	s_wait_alu 0xfffe
	s_or_b32 exec_lo, exec_lo, s29
	s_and_saveexec_b32 s29, s28
	s_cbranch_execz .LBB230_15
.LBB230_14:                             ;   in Loop: Header=BB230_11 Depth=2
	v_lshlrev_b64_e32 v[34:35], 3, v[10:11]
	s_delay_alu instid0(VALU_DEP_1) | instskip(SKIP_1) | instid1(VALU_DEP_2)
	v_add_co_u32 v34, vcc_lo, v12, v34
	s_wait_alu 0xfffd
	v_add_co_ci_u32_e64 v35, null, v13, v35, vcc_lo
	global_load_b64 v[34:35], v[34:35], off
	s_wait_loadcnt 0x0
	ds_store_b64 v16, v[34:35]
.LBB230_15:                             ;   in Loop: Header=BB230_11 Depth=2
	s_wait_alu 0xfffe
	s_or_b32 exec_lo, exec_lo, s29
	v_add_nc_u32_e32 v0, s2, v14
	s_delay_alu instid0(VALU_DEP_1)
	v_cmp_le_u64_e32 vcc_lo, s[8:9], v[0:1]
	s_or_b32 s28, vcc_lo, s19
	s_wait_alu 0xfffe
	s_and_saveexec_b32 s29, s28
	s_wait_alu 0xfffe
	s_xor_b32 s28, exec_lo, s29
; %bb.16:                               ;   in Loop: Header=BB230_11 Depth=2
	ds_store_b32 v17, v1
; %bb.17:                               ;   in Loop: Header=BB230_11 Depth=2
	s_wait_alu 0xfffe
	s_or_saveexec_b32 s28, s28
	v_mov_b32_e32 v34, 0
	s_wait_alu 0xfffe
	s_xor_b32 exec_lo, exec_lo, s28
	s_cbranch_execz .LBB230_10
; %bb.18:                               ;   in Loop: Header=BB230_11 Depth=2
	v_mad_co_u64_u32 v[34:35], null, s20, v0, 0
	s_delay_alu instid0(VALU_DEP_1) | instskip(NEXT) | instid1(VALU_DEP_1)
	v_mad_co_u64_u32 v[35:36], null, s21, v0, v[35:36]
	v_lshlrev_b64_e32 v[34:35], 3, v[34:35]
	s_delay_alu instid0(VALU_DEP_1) | instskip(SKIP_1) | instid1(VALU_DEP_2)
	v_add_co_u32 v34, vcc_lo, v24, v34
	s_wait_alu 0xfffd
	v_add_co_ci_u32_e64 v35, null, v25, v35, vcc_lo
	global_load_b64 v[35:36], v[34:35], off
	s_wait_loadcnt 0x0
	v_xor_b32_e32 v34, 0x80000000, v36
	ds_store_b32 v17, v35
	s_branch .LBB230_10
.LBB230_19:                             ;   in Loop: Header=BB230_11 Depth=2
	s_wait_alu 0xfffe
	v_add_nc_u32_e32 v0, s2, v15
	v_mov_b32_e32 v11, v1
	s_and_not1_b32 s33, s14, exec_lo
	s_mov_b32 s28, exec_lo
	s_delay_alu instid0(VALU_DEP_2) | instskip(SKIP_2) | instid1(SALU_CYCLE_1)
	v_cmp_le_u64_e32 vcc_lo, s[8:9], v[0:1]
	v_mov_b32_e32 v10, v0
	s_and_b32 s34, vcc_lo, exec_lo
	s_or_b32 s33, s33, s34
	s_or_b32 exec_lo, exec_lo, s29
	s_and_saveexec_b32 s29, s33
	s_wait_alu 0xfffe
	s_xor_b32 s29, exec_lo, s29
	s_cbranch_execz .LBB230_13
.LBB230_20:                             ;   in Loop: Header=BB230_11 Depth=2
	v_mov_b32_e32 v0, v1
	s_and_not1_b32 s28, s28, exec_lo
	ds_store_b64 v16, v[0:1]
	s_wait_alu 0xfffe
	s_or_b32 exec_lo, exec_lo, s29
	s_and_saveexec_b32 s29, s28
	s_cbranch_execnz .LBB230_14
	s_branch .LBB230_15
.LBB230_21:                             ;   in Loop: Header=BB230_8 Depth=1
	v_dual_mov_b32 v32, v1 :: v_dual_mov_b32 v33, v1
	v_dual_mov_b32 v30, v1 :: v_dual_mov_b32 v31, v1
	;; [unrolled: 1-line block ×4, first 2 shown]
.LBB230_22:                             ;   in Loop: Header=BB230_8 Depth=1
	s_mul_u64 s[2:3], s[30:31], s[24:25]
	s_wait_alu 0xfffe
	s_lshl_b64 s[2:3], s[2:3], 3
	s_wait_alu 0xfffe
	s_add_nc_u64 s[2:3], s[26:27], s[2:3]
	s_wait_alu 0xfffe
	v_add_co_u32 v0, vcc_lo, s2, v2
	s_wait_alu 0xfffd
	v_add_co_ci_u32_e64 v24, null, s3, v3, vcc_lo
	s_and_saveexec_b32 s28, s12
	s_cbranch_execz .LBB230_27
; %bb.23:                               ;   in Loop: Header=BB230_8 Depth=1
	v_mul_f32_e32 v13, s10, v33
	v_mul_f32_e32 v12, s11, v33
	s_and_b32 vcc_lo, exec_lo, s18
	s_mov_b32 s29, -1
	s_delay_alu instid0(VALU_DEP_2) | instskip(NEXT) | instid1(VALU_DEP_2)
	v_fmac_f32_e32 v13, s11, v32
	v_fma_f32 v12, v32, s10, -v12
	s_wait_alu 0xfffe
	s_cbranch_vccz .LBB230_25
; %bb.24:                               ;   in Loop: Header=BB230_8 Depth=1
	v_add_co_u32 v32, vcc_lo, v0, v6
	s_wait_alu 0xfffd
	v_add_co_ci_u32_e64 v33, null, v24, v7, vcc_lo
	s_mov_b32 s29, 0
	global_load_b64 v[34:35], v[32:33], off
	s_wait_loadcnt 0x0
	v_mul_f32_e32 v25, s7, v35
	s_delay_alu instid0(VALU_DEP_1) | instskip(SKIP_1) | instid1(VALU_DEP_1)
	v_fma_f32 v25, v34, s6, -v25
	v_mul_f32_e32 v35, s6, v35
	v_dual_fmac_f32 v35, s7, v34 :: v_dual_add_f32 v34, v12, v25
	s_delay_alu instid0(VALU_DEP_1)
	v_add_f32_e32 v35, v13, v35
	global_store_b64 v[32:33], v[34:35], off
.LBB230_25:                             ;   in Loop: Header=BB230_8 Depth=1
	s_wait_alu 0xfffe
	s_and_not1_b32 vcc_lo, exec_lo, s29
	s_wait_alu 0xfffe
	s_cbranch_vccnz .LBB230_27
; %bb.26:                               ;   in Loop: Header=BB230_8 Depth=1
	v_add_co_u32 v32, vcc_lo, v0, v6
	s_wait_alu 0xfffd
	v_add_co_ci_u32_e64 v33, null, v24, v7, vcc_lo
	global_store_b64 v[32:33], v[12:13], off
.LBB230_27:                             ;   in Loop: Header=BB230_8 Depth=1
	s_wait_alu 0xfffe
	s_or_b32 exec_lo, exec_lo, s28
	s_and_saveexec_b32 s28, s13
	s_cbranch_execz .LBB230_32
; %bb.28:                               ;   in Loop: Header=BB230_8 Depth=1
	v_mul_f32_e32 v13, s10, v31
	v_mul_f32_e32 v12, s11, v31
	s_and_not1_b32 vcc_lo, exec_lo, s18
	s_mov_b32 s29, -1
	s_delay_alu instid0(VALU_DEP_2) | instskip(NEXT) | instid1(VALU_DEP_2)
	v_fmac_f32_e32 v13, s11, v30
	v_fma_f32 v12, v30, s10, -v12
	s_wait_alu 0xfffe
	s_cbranch_vccnz .LBB230_30
; %bb.29:                               ;   in Loop: Header=BB230_8 Depth=1
	v_add_co_u32 v30, vcc_lo, v0, v8
	s_wait_alu 0xfffd
	v_add_co_ci_u32_e64 v31, null, v24, v9, vcc_lo
	s_mov_b32 s29, 0
	global_load_b64 v[32:33], v[30:31], off
	s_wait_loadcnt 0x0
	v_mul_f32_e32 v25, s7, v33
	v_mul_f32_e32 v33, s6, v33
	s_delay_alu instid0(VALU_DEP_2) | instskip(NEXT) | instid1(VALU_DEP_1)
	v_fma_f32 v25, v32, s6, -v25
	v_dual_fmac_f32 v33, s7, v32 :: v_dual_add_f32 v32, v12, v25
	s_delay_alu instid0(VALU_DEP_1)
	v_add_f32_e32 v33, v13, v33
	global_store_b64 v[30:31], v[32:33], off
.LBB230_30:                             ;   in Loop: Header=BB230_8 Depth=1
	s_wait_alu 0xfffe
	s_and_not1_b32 vcc_lo, exec_lo, s29
	s_wait_alu 0xfffe
	s_cbranch_vccnz .LBB230_32
; %bb.31:                               ;   in Loop: Header=BB230_8 Depth=1
	v_add_co_u32 v30, vcc_lo, v0, v8
	s_wait_alu 0xfffd
	v_add_co_ci_u32_e64 v31, null, v24, v9, vcc_lo
	global_store_b64 v[30:31], v[12:13], off
.LBB230_32:                             ;   in Loop: Header=BB230_8 Depth=1
	s_wait_alu 0xfffe
	s_or_b32 exec_lo, exec_lo, s28
	v_add_co_u32 v0, vcc_lo, s2, v4
	s_wait_alu 0xfffd
	v_add_co_ci_u32_e64 v24, null, s3, v5, vcc_lo
	s_and_saveexec_b32 s2, s1
	s_cbranch_execz .LBB230_37
; %bb.33:                               ;   in Loop: Header=BB230_8 Depth=1
	v_mul_f32_e32 v13, s10, v29
	v_mul_f32_e32 v12, s11, v29
	s_and_not1_b32 vcc_lo, exec_lo, s18
	s_mov_b32 s3, -1
	s_delay_alu instid0(VALU_DEP_2) | instskip(NEXT) | instid1(VALU_DEP_2)
	v_fmac_f32_e32 v13, s11, v28
	v_fma_f32 v12, v28, s10, -v12
	s_wait_alu 0xfffe
	s_cbranch_vccnz .LBB230_35
; %bb.34:                               ;   in Loop: Header=BB230_8 Depth=1
	v_add_co_u32 v28, vcc_lo, v0, v6
	s_wait_alu 0xfffd
	v_add_co_ci_u32_e64 v29, null, v24, v7, vcc_lo
	s_mov_b32 s3, 0
	global_load_b64 v[30:31], v[28:29], off
	s_wait_loadcnt 0x0
	v_mul_f32_e32 v25, s7, v31
	s_delay_alu instid0(VALU_DEP_1) | instskip(SKIP_1) | instid1(VALU_DEP_1)
	v_fma_f32 v25, v30, s6, -v25
	v_mul_f32_e32 v31, s6, v31
	v_dual_fmac_f32 v31, s7, v30 :: v_dual_add_f32 v30, v12, v25
	s_delay_alu instid0(VALU_DEP_1)
	v_add_f32_e32 v31, v13, v31
	global_store_b64 v[28:29], v[30:31], off
.LBB230_35:                             ;   in Loop: Header=BB230_8 Depth=1
	s_wait_alu 0xfffe
	s_and_not1_b32 vcc_lo, exec_lo, s3
	s_wait_alu 0xfffe
	s_cbranch_vccnz .LBB230_37
; %bb.36:                               ;   in Loop: Header=BB230_8 Depth=1
	v_add_co_u32 v28, vcc_lo, v0, v6
	s_wait_alu 0xfffd
	v_add_co_ci_u32_e64 v29, null, v24, v7, vcc_lo
	global_store_b64 v[28:29], v[12:13], off
.LBB230_37:                             ;   in Loop: Header=BB230_8 Depth=1
	s_wait_alu 0xfffe
	s_or_b32 exec_lo, exec_lo, s2
	s_and_saveexec_b32 s2, s4
	s_cbranch_execz .LBB230_7
; %bb.38:                               ;   in Loop: Header=BB230_8 Depth=1
	v_mul_f32_e32 v13, s10, v26
	v_mul_f32_e32 v12, s11, v26
	s_and_not1_b32 vcc_lo, exec_lo, s18
	s_mov_b32 s3, -1
	s_delay_alu instid0(VALU_DEP_2) | instskip(NEXT) | instid1(VALU_DEP_2)
	v_fmac_f32_e32 v13, s11, v27
	v_fma_f32 v12, v27, s10, -v12
	s_wait_alu 0xfffe
	s_cbranch_vccnz .LBB230_40
; %bb.39:                               ;   in Loop: Header=BB230_8 Depth=1
	v_add_co_u32 v25, vcc_lo, v0, v8
	s_wait_alu 0xfffd
	v_add_co_ci_u32_e64 v26, null, v24, v9, vcc_lo
	s_mov_b32 s3, 0
	global_load_b64 v[27:28], v[25:26], off
	s_wait_loadcnt 0x0
	v_mul_f32_e32 v29, s7, v28
	v_mul_f32_e32 v28, s6, v28
	s_delay_alu instid0(VALU_DEP_1) | instskip(NEXT) | instid1(VALU_DEP_3)
	v_fmac_f32_e32 v28, s7, v27
	v_fma_f32 v29, v27, s6, -v29
	s_delay_alu instid0(VALU_DEP_1)
	v_dual_add_f32 v28, v13, v28 :: v_dual_add_f32 v27, v12, v29
	global_store_b64 v[25:26], v[27:28], off
.LBB230_40:                             ;   in Loop: Header=BB230_8 Depth=1
	s_wait_alu 0xfffe
	s_and_not1_b32 vcc_lo, exec_lo, s3
	s_wait_alu 0xfffe
	s_cbranch_vccnz .LBB230_7
; %bb.41:                               ;   in Loop: Header=BB230_8 Depth=1
	v_add_co_u32 v25, vcc_lo, v0, v8
	s_wait_alu 0xfffd
	v_add_co_ci_u32_e64 v26, null, v24, v9, vcc_lo
	global_store_b64 v[25:26], v[12:13], off
	s_branch .LBB230_7
.LBB230_42:
	s_endpgm
	.section	.rodata,"a",@progbits
	.p2align	6, 0x0
	.amdhsa_kernel _ZL29rocblas_internal_gemmt_kernelIlLi16ELi32ELi8ELc84ELc67ELc76ELb0ELb1E19rocblas_complex_numIfEPKS1_S3_PS1_EviT_T9_T10_S5_lS7_S5_lS6_T11_S5_li
		.amdhsa_group_segment_fixed_size 4096
		.amdhsa_private_segment_fixed_size 0
		.amdhsa_kernarg_size 108
		.amdhsa_user_sgpr_count 2
		.amdhsa_user_sgpr_dispatch_ptr 0
		.amdhsa_user_sgpr_queue_ptr 0
		.amdhsa_user_sgpr_kernarg_segment_ptr 1
		.amdhsa_user_sgpr_dispatch_id 0
		.amdhsa_user_sgpr_private_segment_size 0
		.amdhsa_wavefront_size32 1
		.amdhsa_uses_dynamic_stack 0
		.amdhsa_enable_private_segment 0
		.amdhsa_system_sgpr_workgroup_id_x 1
		.amdhsa_system_sgpr_workgroup_id_y 1
		.amdhsa_system_sgpr_workgroup_id_z 1
		.amdhsa_system_sgpr_workgroup_info 0
		.amdhsa_system_vgpr_workitem_id 1
		.amdhsa_next_free_vgpr 71
		.amdhsa_next_free_sgpr 35
		.amdhsa_reserve_vcc 1
		.amdhsa_float_round_mode_32 0
		.amdhsa_float_round_mode_16_64 0
		.amdhsa_float_denorm_mode_32 3
		.amdhsa_float_denorm_mode_16_64 3
		.amdhsa_fp16_overflow 0
		.amdhsa_workgroup_processor_mode 1
		.amdhsa_memory_ordered 1
		.amdhsa_forward_progress 1
		.amdhsa_inst_pref_size 26
		.amdhsa_round_robin_scheduling 0
		.amdhsa_exception_fp_ieee_invalid_op 0
		.amdhsa_exception_fp_denorm_src 0
		.amdhsa_exception_fp_ieee_div_zero 0
		.amdhsa_exception_fp_ieee_overflow 0
		.amdhsa_exception_fp_ieee_underflow 0
		.amdhsa_exception_fp_ieee_inexact 0
		.amdhsa_exception_int_div_zero 0
	.end_amdhsa_kernel
	.section	.text._ZL29rocblas_internal_gemmt_kernelIlLi16ELi32ELi8ELc84ELc67ELc76ELb0ELb1E19rocblas_complex_numIfEPKS1_S3_PS1_EviT_T9_T10_S5_lS7_S5_lS6_T11_S5_li,"axG",@progbits,_ZL29rocblas_internal_gemmt_kernelIlLi16ELi32ELi8ELc84ELc67ELc76ELb0ELb1E19rocblas_complex_numIfEPKS1_S3_PS1_EviT_T9_T10_S5_lS7_S5_lS6_T11_S5_li,comdat
.Lfunc_end230:
	.size	_ZL29rocblas_internal_gemmt_kernelIlLi16ELi32ELi8ELc84ELc67ELc76ELb0ELb1E19rocblas_complex_numIfEPKS1_S3_PS1_EviT_T9_T10_S5_lS7_S5_lS6_T11_S5_li, .Lfunc_end230-_ZL29rocblas_internal_gemmt_kernelIlLi16ELi32ELi8ELc84ELc67ELc76ELb0ELb1E19rocblas_complex_numIfEPKS1_S3_PS1_EviT_T9_T10_S5_lS7_S5_lS6_T11_S5_li
                                        ; -- End function
	.set _ZL29rocblas_internal_gemmt_kernelIlLi16ELi32ELi8ELc84ELc67ELc76ELb0ELb1E19rocblas_complex_numIfEPKS1_S3_PS1_EviT_T9_T10_S5_lS7_S5_lS6_T11_S5_li.num_vgpr, 71
	.set _ZL29rocblas_internal_gemmt_kernelIlLi16ELi32ELi8ELc84ELc67ELc76ELb0ELb1E19rocblas_complex_numIfEPKS1_S3_PS1_EviT_T9_T10_S5_lS7_S5_lS6_T11_S5_li.num_agpr, 0
	.set _ZL29rocblas_internal_gemmt_kernelIlLi16ELi32ELi8ELc84ELc67ELc76ELb0ELb1E19rocblas_complex_numIfEPKS1_S3_PS1_EviT_T9_T10_S5_lS7_S5_lS6_T11_S5_li.numbered_sgpr, 35
	.set _ZL29rocblas_internal_gemmt_kernelIlLi16ELi32ELi8ELc84ELc67ELc76ELb0ELb1E19rocblas_complex_numIfEPKS1_S3_PS1_EviT_T9_T10_S5_lS7_S5_lS6_T11_S5_li.num_named_barrier, 0
	.set _ZL29rocblas_internal_gemmt_kernelIlLi16ELi32ELi8ELc84ELc67ELc76ELb0ELb1E19rocblas_complex_numIfEPKS1_S3_PS1_EviT_T9_T10_S5_lS7_S5_lS6_T11_S5_li.private_seg_size, 0
	.set _ZL29rocblas_internal_gemmt_kernelIlLi16ELi32ELi8ELc84ELc67ELc76ELb0ELb1E19rocblas_complex_numIfEPKS1_S3_PS1_EviT_T9_T10_S5_lS7_S5_lS6_T11_S5_li.uses_vcc, 1
	.set _ZL29rocblas_internal_gemmt_kernelIlLi16ELi32ELi8ELc84ELc67ELc76ELb0ELb1E19rocblas_complex_numIfEPKS1_S3_PS1_EviT_T9_T10_S5_lS7_S5_lS6_T11_S5_li.uses_flat_scratch, 0
	.set _ZL29rocblas_internal_gemmt_kernelIlLi16ELi32ELi8ELc84ELc67ELc76ELb0ELb1E19rocblas_complex_numIfEPKS1_S3_PS1_EviT_T9_T10_S5_lS7_S5_lS6_T11_S5_li.has_dyn_sized_stack, 0
	.set _ZL29rocblas_internal_gemmt_kernelIlLi16ELi32ELi8ELc84ELc67ELc76ELb0ELb1E19rocblas_complex_numIfEPKS1_S3_PS1_EviT_T9_T10_S5_lS7_S5_lS6_T11_S5_li.has_recursion, 0
	.set _ZL29rocblas_internal_gemmt_kernelIlLi16ELi32ELi8ELc84ELc67ELc76ELb0ELb1E19rocblas_complex_numIfEPKS1_S3_PS1_EviT_T9_T10_S5_lS7_S5_lS6_T11_S5_li.has_indirect_call, 0
	.section	.AMDGPU.csdata,"",@progbits
; Kernel info:
; codeLenInByte = 3284
; TotalNumSgprs: 37
; NumVgprs: 71
; ScratchSize: 0
; MemoryBound: 0
; FloatMode: 240
; IeeeMode: 1
; LDSByteSize: 4096 bytes/workgroup (compile time only)
; SGPRBlocks: 0
; VGPRBlocks: 8
; NumSGPRsForWavesPerEU: 37
; NumVGPRsForWavesPerEU: 71
; Occupancy: 16
; WaveLimiterHint : 0
; COMPUTE_PGM_RSRC2:SCRATCH_EN: 0
; COMPUTE_PGM_RSRC2:USER_SGPR: 2
; COMPUTE_PGM_RSRC2:TRAP_HANDLER: 0
; COMPUTE_PGM_RSRC2:TGID_X_EN: 1
; COMPUTE_PGM_RSRC2:TGID_Y_EN: 1
; COMPUTE_PGM_RSRC2:TGID_Z_EN: 1
; COMPUTE_PGM_RSRC2:TIDIG_COMP_CNT: 1
	.section	.text._ZL29rocblas_internal_gemmt_kernelIlLi16ELi32ELi8ELc67ELc78ELc76ELb1ELb0E19rocblas_complex_numIfEPKS1_S3_PS1_EviT_T9_T10_S5_lS7_S5_lS6_T11_S5_li,"axG",@progbits,_ZL29rocblas_internal_gemmt_kernelIlLi16ELi32ELi8ELc67ELc78ELc76ELb1ELb0E19rocblas_complex_numIfEPKS1_S3_PS1_EviT_T9_T10_S5_lS7_S5_lS6_T11_S5_li,comdat
	.globl	_ZL29rocblas_internal_gemmt_kernelIlLi16ELi32ELi8ELc67ELc78ELc76ELb1ELb0E19rocblas_complex_numIfEPKS1_S3_PS1_EviT_T9_T10_S5_lS7_S5_lS6_T11_S5_li ; -- Begin function _ZL29rocblas_internal_gemmt_kernelIlLi16ELi32ELi8ELc67ELc78ELc76ELb1ELb0E19rocblas_complex_numIfEPKS1_S3_PS1_EviT_T9_T10_S5_lS7_S5_lS6_T11_S5_li
	.p2align	8
	.type	_ZL29rocblas_internal_gemmt_kernelIlLi16ELi32ELi8ELc67ELc78ELc76ELb1ELb0E19rocblas_complex_numIfEPKS1_S3_PS1_EviT_T9_T10_S5_lS7_S5_lS6_T11_S5_li,@function
_ZL29rocblas_internal_gemmt_kernelIlLi16ELi32ELi8ELc67ELc78ELc76ELb1ELb0E19rocblas_complex_numIfEPKS1_S3_PS1_EviT_T9_T10_S5_lS7_S5_lS6_T11_S5_li: ; @_ZL29rocblas_internal_gemmt_kernelIlLi16ELi32ELi8ELc67ELc78ELc76ELb1ELb0E19rocblas_complex_numIfEPKS1_S3_PS1_EviT_T9_T10_S5_lS7_S5_lS6_T11_S5_li
; %bb.0:
	s_load_b256 s[24:31], s[0:1], 0x48
	s_wait_kmcnt 0x0
	s_load_b64 s[6:7], s[24:25], 0x0
	s_load_b512 s[8:23], s[0:1], 0x8
	s_wait_kmcnt 0x0
	s_cmp_eq_f32 s6, 1.0
	s_load_b64 s[10:11], s[10:11], 0x0
	s_cselect_b32 s2, -1, 0
	s_and_b32 s3, s7, 0x7fffffff
	s_delay_alu instid0(SALU_CYCLE_1) | instskip(SKIP_1) | instid1(SALU_CYCLE_1)
	s_cmp_eq_u32 s3, 0
	s_cselect_b32 s33, -1, 0
	s_and_b32 s3, s2, s33
	s_mov_b32 s2, 0
	s_and_not1_b32 vcc_lo, exec_lo, s3
	s_mov_b32 s3, -1
	s_cbranch_vccnz .LBB231_4
; %bb.1:
	s_cmp_lg_u64 s[8:9], 0
	s_cbranch_scc0 .LBB231_3
; %bb.2:
	s_wait_kmcnt 0x0
	s_cmp_neq_f32 s10, 0
	s_cselect_b32 s2, -1, 0
	s_cmp_neq_f32 s11, 0
	s_cselect_b32 s3, -1, 0
	s_delay_alu instid0(SALU_CYCLE_1)
	s_or_b32 s2, s2, s3
.LBB231_3:
	s_delay_alu instid0(SALU_CYCLE_1)
	s_mov_b32 s3, s2
.LBB231_4:
	s_delay_alu instid0(SALU_CYCLE_1)
	s_and_b32 vcc_lo, exec_lo, s3
	s_cbranch_vccz .LBB231_42
; %bb.5:
	s_load_b32 s5, s[0:1], 0x68
	s_lshr_b32 s24, ttmp7, 16
	s_wait_kmcnt 0x0
	s_cmp_ge_u32 s24, s5
	s_cbranch_scc1 .LBB231_42
; %bb.6:
	v_and_b32_e32 v8, 0x3ff, v0
	v_bfe_u32 v9, v0, 10, 10
	s_load_b32 s4, s[0:1], 0x0
	s_lshl_b32 s2, ttmp9, 5
	s_lshl_b32 s0, ttmp7, 5
	v_cmp_gt_i64_e64 s34, s[8:9], 0
	v_lshl_add_u32 v2, v9, 4, v8
	s_and_b32 s0, s0, 0x1fffe0
	s_cmp_neq_f32 s10, 0
	v_add_nc_u32_e32 v13, s0, v9
	v_lshl_add_u32 v23, v9, 6, 0x800
	v_and_b32_e32 v16, 31, v2
	v_lshrrev_b32_e32 v10, 3, v2
	v_lshrrev_b32_e32 v15, 5, v2
	v_add_nc_u32_e32 v24, 16, v13
	v_mad_co_u64_u32 v[2:3], null, s28, v13, 0
	v_or_b32_e32 v17, s2, v16
	v_add_nc_u32_e32 v12, s0, v10
	s_cselect_b32 s0, -1, 0
	s_cmp_neq_f32 s11, 0
	s_mov_b32 s25, 0
	v_mul_lo_u32 v18, s15, v17
	v_mad_co_u64_u32 v[4:5], null, s14, v17, 0
	s_cselect_b32 s1, -1, 0
	s_ashr_i32 s3, s2, 31
	s_wait_alu 0xfffe
	s_or_b32 s15, s0, s1
	s_mul_i32 s0, s14, s3
	s_wait_kmcnt 0x0
	v_cmp_le_i32_e64 s14, s4, v17
	s_cmp_neq_f32 s6, 0
	s_wait_alu 0xfffe
	v_add3_u32 v5, v5, s0, v18
	v_cmp_gt_i32_e64 s0, s4, v17
	s_delay_alu instid0(VALU_DEP_2) | instskip(NEXT) | instid1(VALU_DEP_1)
	v_lshlrev_b64_e32 v[4:5], 3, v[4:5]
	v_add_co_u32 v18, s1, s12, v4
	s_wait_alu 0xf1ff
	s_delay_alu instid0(VALU_DEP_2) | instskip(SKIP_3) | instid1(VALU_DEP_1)
	v_add_co_ci_u32_e64 v19, null, s13, v5, s1
	v_mad_co_u64_u32 v[4:5], null, s28, v24, 0
	v_and_b32_e32 v14, 7, v0
	v_mad_co_u64_u32 v[0:1], null, s20, v12, 0
	v_mad_co_u64_u32 v[6:7], null, s21, v12, v[1:2]
	s_delay_alu instid0(VALU_DEP_1) | instskip(SKIP_1) | instid1(VALU_DEP_2)
	v_dual_mov_b32 v1, v6 :: v_dual_add_nc_u32 v6, s2, v8
	v_lshlrev_b32_e32 v22, 3, v8
	v_lshlrev_b64_e32 v[0:1], 3, v[0:1]
	s_delay_alu instid0(VALU_DEP_3) | instskip(SKIP_1) | instid1(VALU_DEP_3)
	v_add_nc_u32_e32 v8, 16, v6
	v_cmp_gt_i32_e64 s2, s4, v6
	v_add_co_u32 v20, s1, s18, v0
	v_mov_b32_e32 v0, v3
	s_wait_alu 0xf1ff
	v_add_co_ci_u32_e64 v21, null, s19, v1, s1
	v_cmp_le_i32_e64 s1, v13, v6
	v_cmp_le_i32_e64 s3, v13, v8
	v_mad_co_u64_u32 v[0:1], null, s29, v13, v[0:1]
	v_mov_b32_e32 v1, v5
	v_lshlrev_b32_e32 v11, 3, v14
	v_ashrrev_i32_e32 v9, 31, v8
	s_cselect_b32 s18, -1, 0
	s_and_b32 s12, s1, s2
	s_xor_b32 s19, s33, -1
	v_lshl_or_b32 v10, v10, 6, v11
	v_mov_b32_e32 v3, v0
	v_cmp_gt_i32_e32 vcc_lo, s4, v12
	v_cmp_gt_i32_e64 s4, s4, v8
	s_and_b32 s15, s15, s34
	v_add_nc_u32_e32 v17, 0x800, v10
	v_mad_co_u64_u32 v[10:11], null, s29, v24, v[1:2]
	s_and_b32 s13, s3, s4
	v_mov_b32_e32 v1, 0
	v_cmp_le_i32_e64 s1, v24, v6
	v_cmp_le_i32_e64 s3, v24, v8
	v_lshlrev_b64_e32 v[2:3], 3, v[2:3]
	v_lshlrev_b64_e32 v[8:9], 3, v[8:9]
	v_mov_b32_e32 v5, v10
	v_lshlrev_b32_e32 v7, 3, v16
	s_wait_alu 0xfffe
	s_or_b32 s18, s18, s19
	s_and_b32 s1, s1, s2
	s_and_b32 s4, s3, s4
	v_lshlrev_b64_e32 v[4:5], 3, v[4:5]
	v_lshl_or_b32 v16, v15, 8, v7
	v_ashrrev_i32_e32 v7, 31, v6
	s_xor_b32 s19, vcc_lo, -1
                                        ; implicit-def: $vgpr10_vgpr11
	s_delay_alu instid0(VALU_DEP_1)
	v_lshlrev_b64_e32 v[6:7], 3, v[6:7]
	s_branch .LBB231_8
.LBB231_7:                              ;   in Loop: Header=BB231_8 Depth=1
	s_wait_alu 0xfffe
	s_or_b32 exec_lo, exec_lo, s2
	s_add_co_i32 s24, s24, 0x10000
	s_delay_alu instid0(SALU_CYCLE_1)
	s_cmp_lt_u32 s24, s5
	s_cbranch_scc0 .LBB231_42
.LBB231_8:                              ; =>This Loop Header: Depth=1
                                        ;     Child Loop BB231_11 Depth 2
	s_and_not1_b32 vcc_lo, exec_lo, s15
	s_wait_alu 0xfffe
	s_cbranch_vccnz .LBB231_21
; %bb.9:                                ;   in Loop: Header=BB231_8 Depth=1
	s_mul_u64 s[2:3], s[16:17], s[24:25]
	s_mul_u64 s[20:21], s[22:23], s[24:25]
	s_wait_alu 0xfffe
	s_lshl_b64 s[2:3], s[2:3], 3
	v_dual_mov_b32 v26, 0 :: v_dual_mov_b32 v27, 0
	s_wait_alu 0xfffe
	v_add_co_u32 v12, vcc_lo, v18, s2
	s_wait_alu 0xfffd
	v_add_co_ci_u32_e64 v13, null, s3, v19, vcc_lo
	s_lshl_b64 s[2:3], s[20:21], 3
	v_dual_mov_b32 v29, 0 :: v_dual_mov_b32 v28, 0
	s_wait_alu 0xfffe
	v_add_co_u32 v24, vcc_lo, v20, s2
	s_wait_alu 0xfffd
	v_add_co_ci_u32_e64 v25, null, s3, v21, vcc_lo
	v_dual_mov_b32 v31, 0 :: v_dual_mov_b32 v30, 0
	v_dual_mov_b32 v33, 0 :: v_dual_mov_b32 v32, 0
	s_mov_b64 s[2:3], 0
	s_branch .LBB231_11
.LBB231_10:                             ;   in Loop: Header=BB231_11 Depth=2
	s_wait_alu 0xfffe
	s_or_b32 exec_lo, exec_lo, s20
	s_wait_dscnt 0x0
	s_barrier_signal -1
	s_barrier_wait -1
	global_inv scope:SCOPE_SE
	ds_load_b128 v[34:37], v23
	ds_load_2addr_b64 v[38:41], v22 offset1:16
	ds_load_b128 v[42:45], v23 offset:1024
	ds_load_b128 v[46:49], v23 offset:16
	;; [unrolled: 1-line block ×4, first 2 shown]
	ds_load_2addr_b64 v[58:61], v22 offset0:32 offset1:48
	ds_load_b128 v[62:65], v23 offset:1040
	s_add_nc_u64 s[2:3], s[2:3], 8
	s_wait_alu 0xfffe
	v_cmp_gt_i64_e64 s20, s[8:9], s[2:3]
	s_and_b32 vcc_lo, exec_lo, s20
	s_wait_dscnt 0x6
	v_mul_f32_e32 v0, v35, v39
	v_dual_mul_f32 v66, v34, v39 :: v_dual_mul_f32 v67, v35, v41
	s_wait_dscnt 0x5
	v_dual_mul_f32 v68, v34, v41 :: v_dual_mul_f32 v69, v43, v39
	v_dual_mul_f32 v39, v42, v39 :: v_dual_mul_f32 v70, v43, v41
	v_mul_f32_e32 v41, v42, v41
	v_fma_f32 v0, v34, v38, -v0
	v_fma_f32 v34, v34, v40, -v67
	v_fmac_f32_e32 v68, v35, v40
	v_fmac_f32_e32 v39, v43, v38
	;; [unrolled: 1-line block ×3, first 2 shown]
	v_add_f32_e32 v0, v32, v0
	v_fmac_f32_e32 v66, v35, v38
	v_fma_f32 v35, v42, v38, -v69
	v_fma_f32 v38, v42, v40, -v70
	v_add_f32_e32 v26, v26, v41
	s_delay_alu instid0(VALU_DEP_4) | instskip(NEXT) | instid1(VALU_DEP_4)
	v_add_f32_e32 v32, v33, v66
	v_dual_add_f32 v33, v30, v34 :: v_dual_add_f32 v34, v28, v35
	v_add_f32_e32 v35, v29, v39
	s_wait_dscnt 0x1
	v_dual_mul_f32 v39, v37, v59 :: v_dual_add_f32 v38, v27, v38
	ds_load_2addr_b64 v[27:30], v22 offset0:64 offset1:80
	v_mul_f32_e32 v42, v37, v61
	v_mul_f32_e32 v41, v36, v61
	;; [unrolled: 1-line block ×3, first 2 shown]
	v_fma_f32 v39, v36, v58, -v39
	v_add_f32_e32 v31, v31, v68
	v_fma_f32 v36, v36, v60, -v42
	s_delay_alu instid0(VALU_DEP_3) | instskip(SKIP_1) | instid1(VALU_DEP_3)
	v_add_f32_e32 v0, v0, v39
	v_mul_f32_e32 v39, v45, v59
	v_add_f32_e32 v36, v33, v36
	v_fmac_f32_e32 v41, v37, v60
	v_fmac_f32_e32 v40, v37, v58
	v_mul_f32_e32 v37, v45, v61
	v_fma_f32 v33, v44, v58, -v39
	s_delay_alu instid0(VALU_DEP_4) | instskip(NEXT) | instid1(VALU_DEP_3)
	v_add_f32_e32 v39, v31, v41
	v_fma_f32 v31, v44, v60, -v37
	v_mul_f32_e32 v41, v44, v61
	s_wait_dscnt 0x0
	v_mul_f32_e32 v37, v46, v28
	v_add_f32_e32 v40, v32, v40
	v_add_f32_e32 v38, v38, v31
	v_dual_mul_f32 v32, v44, v59 :: v_dual_fmac_f32 v41, v45, v60
	v_mul_f32_e32 v44, v47, v30
	s_delay_alu instid0(VALU_DEP_2) | instskip(NEXT) | instid1(VALU_DEP_3)
	v_dual_fmac_f32 v37, v47, v27 :: v_dual_fmac_f32 v32, v45, v58
	v_add_f32_e32 v41, v26, v41
	v_dual_add_f32 v42, v34, v33 :: v_dual_mul_f32 v33, v47, v28
	s_delay_alu instid0(VALU_DEP_3) | instskip(NEXT) | instid1(VALU_DEP_4)
	v_dual_mul_f32 v26, v46, v30 :: v_dual_add_f32 v37, v40, v37
	v_add_f32_e32 v35, v35, v32
	s_delay_alu instid0(VALU_DEP_3) | instskip(SKIP_4) | instid1(VALU_DEP_1)
	v_fma_f32 v43, v46, v27, -v33
	ds_load_2addr_b64 v[31:34], v22 offset0:96 offset1:112
	v_fmac_f32_e32 v26, v47, v29
	v_add_f32_e32 v0, v0, v43
	v_fma_f32 v43, v46, v29, -v44
	v_dual_add_f32 v39, v39, v26 :: v_dual_add_f32 v36, v36, v43
	v_mul_f32_e32 v43, v63, v30
	v_mul_f32_e32 v30, v62, v30
	s_delay_alu instid0(VALU_DEP_2) | instskip(SKIP_1) | instid1(VALU_DEP_3)
	v_fma_f32 v26, v62, v29, -v43
	v_mul_f32_e32 v40, v63, v28
	v_fmac_f32_e32 v30, v63, v29
	s_wait_dscnt 0x0
	v_dual_mul_f32 v28, v62, v28 :: v_dual_mul_f32 v47, v65, v34
	v_add_f32_e32 v43, v38, v26
	v_fma_f32 v40, v62, v27, -v40
	v_dual_mul_f32 v38, v48, v32 :: v_dual_add_f32 v41, v41, v30
	s_delay_alu instid0(VALU_DEP_4) | instskip(SKIP_1) | instid1(VALU_DEP_3)
	v_fmac_f32_e32 v28, v63, v27
	v_mul_f32_e32 v30, v48, v34
	v_fmac_f32_e32 v38, v49, v31
	v_add_f32_e32 v40, v42, v40
	s_delay_alu instid0(VALU_DEP_4)
	v_add_f32_e32 v42, v35, v28
	ds_load_2addr_b64 v[26:29], v22 offset0:128 offset1:144
	v_mul_f32_e32 v35, v49, v32
	v_mul_f32_e32 v44, v49, v34
	v_fmac_f32_e32 v30, v49, v33
	v_mul_f32_e32 v34, v64, v34
	s_delay_alu instid0(VALU_DEP_4)
	v_fma_f32 v35, v48, v31, -v35
	s_wait_dscnt 0x0
	v_mul_f32_e32 v49, v50, v27
	v_fma_f32 v44, v48, v33, -v44
	v_add_f32_e32 v48, v39, v30
	v_fma_f32 v30, v64, v33, -v47
	s_delay_alu instid0(VALU_DEP_4) | instskip(NEXT) | instid1(VALU_DEP_4)
	v_fmac_f32_e32 v49, v51, v26
	v_dual_add_f32 v45, v37, v38 :: v_dual_add_f32 v44, v36, v44
	s_delay_alu instid0(VALU_DEP_3) | instskip(SKIP_1) | instid1(VALU_DEP_3)
	v_dual_add_f32 v43, v43, v30 :: v_dual_add_f32 v0, v0, v35
	v_mul_f32_e32 v35, v65, v32
	v_dual_mul_f32 v32, v64, v32 :: v_dual_add_f32 v45, v45, v49
	s_delay_alu instid0(VALU_DEP_2) | instskip(SKIP_3) | instid1(VALU_DEP_2)
	v_fma_f32 v46, v64, v31, -v35
	ds_load_b128 v[35:38], v23 offset:1056
	v_fmac_f32_e32 v32, v65, v31
	v_dual_mul_f32 v31, v51, v27 :: v_dual_fmac_f32 v34, v65, v33
	v_add_f32_e32 v47, v42, v32
	s_delay_alu instid0(VALU_DEP_2)
	v_fma_f32 v39, v50, v26, -v31
	ds_load_2addr_b64 v[30:33], v22 offset0:160 offset1:176
	v_add_f32_e32 v46, v40, v46
	v_mul_f32_e32 v40, v51, v29
	v_add_f32_e32 v34, v41, v34
	v_add_f32_e32 v0, v0, v39
	s_delay_alu instid0(VALU_DEP_3) | instskip(SKIP_4) | instid1(VALU_DEP_2)
	v_fma_f32 v58, v50, v28, -v40
	ds_load_b128 v[39:42], v23 offset:1072
	s_wait_dscnt 0x2
	v_dual_mul_f32 v50, v50, v29 :: v_dual_mul_f32 v59, v36, v27
	v_mul_f32_e32 v27, v35, v27
	v_dual_fmac_f32 v50, v51, v28 :: v_dual_mul_f32 v51, v36, v29
	s_delay_alu instid0(VALU_DEP_3) | instskip(NEXT) | instid1(VALU_DEP_3)
	v_fma_f32 v49, v35, v26, -v59
	v_fmac_f32_e32 v27, v36, v26
	s_delay_alu instid0(VALU_DEP_3) | instskip(SKIP_2) | instid1(VALU_DEP_4)
	v_add_f32_e32 v48, v48, v50
	v_mul_f32_e32 v50, v35, v29
	v_fma_f32 v26, v35, v28, -v51
	v_add_f32_e32 v35, v47, v27
	s_wait_dscnt 0x1
	s_delay_alu instid0(VALU_DEP_3) | instskip(NEXT) | instid1(VALU_DEP_3)
	v_dual_mul_f32 v47, v53, v31 :: v_dual_fmac_f32 v50, v36, v28
	v_add_f32_e32 v43, v43, v26
	ds_load_2addr_b64 v[26:29], v22 offset0:192 offset1:208
	v_mul_f32_e32 v36, v52, v31
	v_add_f32_e32 v46, v46, v49
	v_fma_f32 v47, v52, v30, -v47
	v_mul_f32_e32 v49, v53, v33
	s_delay_alu instid0(VALU_DEP_4) | instskip(NEXT) | instid1(VALU_DEP_3)
	v_fmac_f32_e32 v36, v53, v30
	v_add_f32_e32 v0, v0, v47
	s_delay_alu instid0(VALU_DEP_3) | instskip(NEXT) | instid1(VALU_DEP_3)
	v_fma_f32 v47, v52, v32, -v49
	v_dual_add_f32 v45, v45, v36 :: v_dual_mul_f32 v36, v38, v31
	v_mul_f32_e32 v31, v37, v31
	s_delay_alu instid0(VALU_DEP_2) | instskip(NEXT) | instid1(VALU_DEP_2)
	v_fma_f32 v36, v37, v30, -v36
	v_fmac_f32_e32 v31, v38, v30
	v_add_f32_e32 v44, v44, v58
	s_delay_alu instid0(VALU_DEP_2) | instskip(NEXT) | instid1(VALU_DEP_2)
	v_dual_mul_f32 v30, v37, v33 :: v_dual_add_f32 v31, v35, v31
	v_dual_add_f32 v44, v44, v47 :: v_dual_mul_f32 v47, v38, v33
	v_add_f32_e32 v50, v34, v50
	v_mul_f32_e32 v34, v52, v33
	s_delay_alu instid0(VALU_DEP_4) | instskip(NEXT) | instid1(VALU_DEP_4)
	v_fmac_f32_e32 v30, v38, v32
	v_fma_f32 v33, v37, v32, -v47
	s_wait_dscnt 0x0
	s_delay_alu instid0(VALU_DEP_3) | instskip(NEXT) | instid1(VALU_DEP_2)
	v_dual_mul_f32 v47, v40, v27 :: v_dual_fmac_f32 v34, v53, v32
	v_dual_add_f32 v32, v43, v33 :: v_dual_mul_f32 v33, v54, v27
	v_mul_f32_e32 v43, v55, v29
	s_delay_alu instid0(VALU_DEP_2) | instskip(NEXT) | instid1(VALU_DEP_2)
	v_dual_fmac_f32 v33, v55, v26 :: v_dual_add_f32 v46, v46, v36
	v_fma_f32 v43, v54, v28, -v43
	s_delay_alu instid0(VALU_DEP_2) | instskip(SKIP_3) | instid1(VALU_DEP_3)
	v_dual_add_f32 v33, v45, v33 :: v_dual_add_f32 v48, v48, v34
	v_mul_f32_e32 v34, v55, v27
	v_mul_f32_e32 v27, v39, v27
	;; [unrolled: 1-line block ×3, first 2 shown]
	v_fma_f32 v38, v54, v26, -v34
	ds_load_2addr_b64 v[34:37], v22 offset0:224 offset1:240
	v_fmac_f32_e32 v27, v40, v26
	v_add_f32_e32 v30, v50, v30
	s_wait_loadcnt_dscnt 0x0
	v_add_f32_e32 v0, v0, v38
	s_barrier_signal -1
	v_dual_add_f32 v27, v31, v27 :: v_dual_mul_f32 v38, v54, v29
	v_mul_f32_e32 v29, v39, v29
	s_barrier_wait -1
	global_inv scope:SCOPE_SE
	v_fmac_f32_e32 v38, v55, v28
	v_fmac_f32_e32 v29, v40, v28
	s_delay_alu instid0(VALU_DEP_1) | instskip(SKIP_2) | instid1(VALU_DEP_2)
	v_add_f32_e32 v40, v30, v29
	v_mul_f32_e32 v29, v56, v37
	v_mul_f32_e32 v31, v57, v35
	v_fmac_f32_e32 v29, v57, v36
	v_add_f32_e32 v43, v44, v43
	v_fma_f32 v44, v39, v26, -v47
	v_fma_f32 v39, v39, v28, -v45
	;; [unrolled: 1-line block ×3, first 2 shown]
	s_delay_alu instid0(VALU_DEP_2) | instskip(SKIP_1) | instid1(VALU_DEP_2)
	v_dual_add_f32 v39, v32, v39 :: v_dual_mul_f32 v32, v57, v37
	v_mul_f32_e32 v28, v56, v35
	v_fma_f32 v30, v56, v36, -v32
	s_delay_alu instid0(VALU_DEP_4) | instskip(SKIP_1) | instid1(VALU_DEP_4)
	v_add_f32_e32 v32, v0, v31
	v_mul_f32_e32 v0, v42, v35
	v_fmac_f32_e32 v28, v57, v34
	s_delay_alu instid0(VALU_DEP_4) | instskip(SKIP_1) | instid1(VALU_DEP_4)
	v_dual_mul_f32 v35, v41, v35 :: v_dual_add_f32 v30, v43, v30
	v_mul_f32_e32 v43, v42, v37
	v_fma_f32 v0, v41, v34, -v0
	v_dual_mul_f32 v37, v41, v37 :: v_dual_add_f32 v26, v48, v38
	v_add_f32_e32 v38, v46, v44
	v_add_f32_e32 v33, v33, v28
	v_fmac_f32_e32 v35, v42, v34
	s_delay_alu instid0(VALU_DEP_4) | instskip(SKIP_3) | instid1(VALU_DEP_4)
	v_fmac_f32_e32 v37, v42, v36
	v_add_f32_e32 v31, v26, v29
	v_add_f32_e32 v28, v38, v0
	v_fma_f32 v0, v41, v36, -v43
	v_dual_add_f32 v29, v27, v35 :: v_dual_add_f32 v26, v40, v37
	s_delay_alu instid0(VALU_DEP_2)
	v_add_f32_e32 v27, v39, v0
	s_wait_alu 0xfffe
	s_cbranch_vccz .LBB231_22
.LBB231_11:                             ;   Parent Loop BB231_8 Depth=1
                                        ; =>  This Inner Loop Header: Depth=2
	s_mov_b32 s20, 0
	s_mov_b32 s28, s14
	s_and_saveexec_b32 s21, s0
	s_cbranch_execnz .LBB231_19
; %bb.12:                               ;   in Loop: Header=BB231_11 Depth=2
	s_wait_alu 0xfffe
	s_or_b32 exec_lo, exec_lo, s21
	s_and_saveexec_b32 s21, s28
	s_wait_alu 0xfffe
	s_xor_b32 s21, exec_lo, s21
	s_cbranch_execnz .LBB231_20
.LBB231_13:                             ;   in Loop: Header=BB231_11 Depth=2
	s_wait_alu 0xfffe
	s_or_b32 exec_lo, exec_lo, s21
	v_mov_b32_e32 v34, 0
	s_and_saveexec_b32 s21, s20
	s_cbranch_execz .LBB231_15
.LBB231_14:                             ;   in Loop: Header=BB231_11 Depth=2
	v_lshlrev_b64_e32 v[34:35], 3, v[10:11]
	s_delay_alu instid0(VALU_DEP_1) | instskip(SKIP_1) | instid1(VALU_DEP_2)
	v_add_co_u32 v34, vcc_lo, v12, v34
	s_wait_alu 0xfffd
	v_add_co_ci_u32_e64 v35, null, v13, v35, vcc_lo
	global_load_b64 v[35:36], v[34:35], off
	s_wait_loadcnt 0x0
	v_xor_b32_e32 v34, 0x80000000, v36
	ds_store_b32 v16, v35
.LBB231_15:                             ;   in Loop: Header=BB231_11 Depth=2
	s_wait_alu 0xfffe
	s_or_b32 exec_lo, exec_lo, s21
	v_add_nc_u32_e32 v0, s2, v14
	ds_store_b32 v16, v34 offset:4
	v_cmp_le_u64_e32 vcc_lo, s[8:9], v[0:1]
	s_or_b32 s20, vcc_lo, s19
	s_wait_alu 0xfffe
	s_and_saveexec_b32 s21, s20
	s_wait_alu 0xfffe
	s_xor_b32 s20, exec_lo, s21
; %bb.16:                               ;   in Loop: Header=BB231_11 Depth=2
	v_mov_b32_e32 v0, v1
	ds_store_b64 v17, v[0:1]
; %bb.17:                               ;   in Loop: Header=BB231_11 Depth=2
	s_wait_alu 0xfffe
	s_and_not1_saveexec_b32 s20, s20
	s_cbranch_execz .LBB231_10
; %bb.18:                               ;   in Loop: Header=BB231_11 Depth=2
	v_lshlrev_b64_e32 v[34:35], 3, v[0:1]
	s_delay_alu instid0(VALU_DEP_1) | instskip(SKIP_1) | instid1(VALU_DEP_2)
	v_add_co_u32 v34, vcc_lo, v24, v34
	s_wait_alu 0xfffd
	v_add_co_ci_u32_e64 v35, null, v25, v35, vcc_lo
	global_load_b64 v[34:35], v[34:35], off
	s_wait_loadcnt 0x0
	ds_store_b64 v17, v[34:35]
	s_branch .LBB231_10
.LBB231_19:                             ;   in Loop: Header=BB231_11 Depth=2
	s_wait_alu 0xfffe
	v_add_nc_u32_e32 v0, s2, v15
	v_mov_b32_e32 v11, v1
	s_and_not1_b32 s28, s14, exec_lo
	s_mov_b32 s20, exec_lo
	s_delay_alu instid0(VALU_DEP_2)
	v_cmp_le_u64_e32 vcc_lo, s[8:9], v[0:1]
	v_mov_b32_e32 v10, v0
	s_and_b32 s29, vcc_lo, exec_lo
	s_wait_alu 0xfffe
	s_or_b32 s28, s28, s29
	s_or_b32 exec_lo, exec_lo, s21
	s_wait_alu 0xfffe
	s_and_saveexec_b32 s21, s28
	s_wait_alu 0xfffe
	s_xor_b32 s21, exec_lo, s21
	s_cbranch_execz .LBB231_13
.LBB231_20:                             ;   in Loop: Header=BB231_11 Depth=2
	s_and_not1_b32 s20, s20, exec_lo
	ds_store_b32 v16, v1
	s_wait_alu 0xfffe
	s_or_b32 exec_lo, exec_lo, s21
	v_mov_b32_e32 v34, 0
	s_and_saveexec_b32 s21, s20
	s_cbranch_execnz .LBB231_14
	s_branch .LBB231_15
.LBB231_21:                             ;   in Loop: Header=BB231_8 Depth=1
	v_dual_mov_b32 v32, v1 :: v_dual_mov_b32 v33, v1
	v_dual_mov_b32 v30, v1 :: v_dual_mov_b32 v31, v1
	;; [unrolled: 1-line block ×4, first 2 shown]
.LBB231_22:                             ;   in Loop: Header=BB231_8 Depth=1
	s_mul_u64 s[2:3], s[30:31], s[24:25]
	s_wait_alu 0xfffe
	s_lshl_b64 s[2:3], s[2:3], 3
	s_wait_alu 0xfffe
	s_add_nc_u64 s[2:3], s[26:27], s[2:3]
	s_wait_alu 0xfffe
	v_add_co_u32 v0, vcc_lo, s2, v2
	s_wait_alu 0xfffd
	v_add_co_ci_u32_e64 v24, null, s3, v3, vcc_lo
	s_and_saveexec_b32 s20, s12
	s_cbranch_execz .LBB231_27
; %bb.23:                               ;   in Loop: Header=BB231_8 Depth=1
	v_mul_f32_e32 v13, s10, v33
	v_mul_f32_e32 v12, s11, v33
	s_and_b32 vcc_lo, exec_lo, s18
	s_mov_b32 s21, -1
	s_delay_alu instid0(VALU_DEP_2) | instskip(NEXT) | instid1(VALU_DEP_2)
	v_fmac_f32_e32 v13, s11, v32
	v_fma_f32 v12, v32, s10, -v12
	s_wait_alu 0xfffe
	s_cbranch_vccz .LBB231_25
; %bb.24:                               ;   in Loop: Header=BB231_8 Depth=1
	v_add_co_u32 v32, vcc_lo, v0, v6
	s_wait_alu 0xfffd
	v_add_co_ci_u32_e64 v33, null, v24, v7, vcc_lo
	s_mov_b32 s21, 0
	global_load_b64 v[34:35], v[32:33], off
	s_wait_loadcnt 0x0
	v_mul_f32_e32 v25, s7, v35
	s_delay_alu instid0(VALU_DEP_1) | instskip(SKIP_1) | instid1(VALU_DEP_1)
	v_fma_f32 v25, v34, s6, -v25
	v_mul_f32_e32 v35, s6, v35
	v_dual_fmac_f32 v35, s7, v34 :: v_dual_add_f32 v34, v12, v25
	s_delay_alu instid0(VALU_DEP_1)
	v_add_f32_e32 v35, v13, v35
	global_store_b64 v[32:33], v[34:35], off
.LBB231_25:                             ;   in Loop: Header=BB231_8 Depth=1
	s_wait_alu 0xfffe
	s_and_not1_b32 vcc_lo, exec_lo, s21
	s_wait_alu 0xfffe
	s_cbranch_vccnz .LBB231_27
; %bb.26:                               ;   in Loop: Header=BB231_8 Depth=1
	v_add_co_u32 v32, vcc_lo, v0, v6
	s_wait_alu 0xfffd
	v_add_co_ci_u32_e64 v33, null, v24, v7, vcc_lo
	global_store_b64 v[32:33], v[12:13], off
.LBB231_27:                             ;   in Loop: Header=BB231_8 Depth=1
	s_wait_alu 0xfffe
	s_or_b32 exec_lo, exec_lo, s20
	s_and_saveexec_b32 s20, s13
	s_cbranch_execz .LBB231_32
; %bb.28:                               ;   in Loop: Header=BB231_8 Depth=1
	v_mul_f32_e32 v13, s10, v31
	v_mul_f32_e32 v12, s11, v31
	s_and_not1_b32 vcc_lo, exec_lo, s18
	s_mov_b32 s21, -1
	s_delay_alu instid0(VALU_DEP_2) | instskip(NEXT) | instid1(VALU_DEP_2)
	v_fmac_f32_e32 v13, s11, v30
	v_fma_f32 v12, v30, s10, -v12
	s_wait_alu 0xfffe
	s_cbranch_vccnz .LBB231_30
; %bb.29:                               ;   in Loop: Header=BB231_8 Depth=1
	v_add_co_u32 v30, vcc_lo, v0, v8
	s_wait_alu 0xfffd
	v_add_co_ci_u32_e64 v31, null, v24, v9, vcc_lo
	s_mov_b32 s21, 0
	global_load_b64 v[32:33], v[30:31], off
	s_wait_loadcnt 0x0
	v_mul_f32_e32 v25, s7, v33
	v_mul_f32_e32 v33, s6, v33
	s_delay_alu instid0(VALU_DEP_2) | instskip(NEXT) | instid1(VALU_DEP_1)
	v_fma_f32 v25, v32, s6, -v25
	v_dual_fmac_f32 v33, s7, v32 :: v_dual_add_f32 v32, v12, v25
	s_delay_alu instid0(VALU_DEP_1)
	v_add_f32_e32 v33, v13, v33
	global_store_b64 v[30:31], v[32:33], off
.LBB231_30:                             ;   in Loop: Header=BB231_8 Depth=1
	s_wait_alu 0xfffe
	s_and_not1_b32 vcc_lo, exec_lo, s21
	s_wait_alu 0xfffe
	s_cbranch_vccnz .LBB231_32
; %bb.31:                               ;   in Loop: Header=BB231_8 Depth=1
	v_add_co_u32 v30, vcc_lo, v0, v8
	s_wait_alu 0xfffd
	v_add_co_ci_u32_e64 v31, null, v24, v9, vcc_lo
	global_store_b64 v[30:31], v[12:13], off
.LBB231_32:                             ;   in Loop: Header=BB231_8 Depth=1
	s_wait_alu 0xfffe
	s_or_b32 exec_lo, exec_lo, s20
	v_add_co_u32 v0, vcc_lo, s2, v4
	s_wait_alu 0xfffd
	v_add_co_ci_u32_e64 v24, null, s3, v5, vcc_lo
	s_and_saveexec_b32 s2, s1
	s_cbranch_execz .LBB231_37
; %bb.33:                               ;   in Loop: Header=BB231_8 Depth=1
	v_mul_f32_e32 v13, s10, v29
	v_mul_f32_e32 v12, s11, v29
	s_and_not1_b32 vcc_lo, exec_lo, s18
	s_mov_b32 s3, -1
	s_delay_alu instid0(VALU_DEP_2) | instskip(NEXT) | instid1(VALU_DEP_2)
	v_fmac_f32_e32 v13, s11, v28
	v_fma_f32 v12, v28, s10, -v12
	s_wait_alu 0xfffe
	s_cbranch_vccnz .LBB231_35
; %bb.34:                               ;   in Loop: Header=BB231_8 Depth=1
	v_add_co_u32 v28, vcc_lo, v0, v6
	s_wait_alu 0xfffd
	v_add_co_ci_u32_e64 v29, null, v24, v7, vcc_lo
	s_mov_b32 s3, 0
	global_load_b64 v[30:31], v[28:29], off
	s_wait_loadcnt 0x0
	v_mul_f32_e32 v25, s7, v31
	s_delay_alu instid0(VALU_DEP_1) | instskip(SKIP_1) | instid1(VALU_DEP_1)
	v_fma_f32 v25, v30, s6, -v25
	v_mul_f32_e32 v31, s6, v31
	v_dual_fmac_f32 v31, s7, v30 :: v_dual_add_f32 v30, v12, v25
	s_delay_alu instid0(VALU_DEP_1)
	v_add_f32_e32 v31, v13, v31
	global_store_b64 v[28:29], v[30:31], off
.LBB231_35:                             ;   in Loop: Header=BB231_8 Depth=1
	s_wait_alu 0xfffe
	s_and_not1_b32 vcc_lo, exec_lo, s3
	s_wait_alu 0xfffe
	s_cbranch_vccnz .LBB231_37
; %bb.36:                               ;   in Loop: Header=BB231_8 Depth=1
	v_add_co_u32 v28, vcc_lo, v0, v6
	s_wait_alu 0xfffd
	v_add_co_ci_u32_e64 v29, null, v24, v7, vcc_lo
	global_store_b64 v[28:29], v[12:13], off
.LBB231_37:                             ;   in Loop: Header=BB231_8 Depth=1
	s_wait_alu 0xfffe
	s_or_b32 exec_lo, exec_lo, s2
	s_and_saveexec_b32 s2, s4
	s_cbranch_execz .LBB231_7
; %bb.38:                               ;   in Loop: Header=BB231_8 Depth=1
	v_mul_f32_e32 v13, s10, v26
	v_mul_f32_e32 v12, s11, v26
	s_and_not1_b32 vcc_lo, exec_lo, s18
	s_mov_b32 s3, -1
	s_delay_alu instid0(VALU_DEP_2) | instskip(NEXT) | instid1(VALU_DEP_2)
	v_fmac_f32_e32 v13, s11, v27
	v_fma_f32 v12, v27, s10, -v12
	s_wait_alu 0xfffe
	s_cbranch_vccnz .LBB231_40
; %bb.39:                               ;   in Loop: Header=BB231_8 Depth=1
	v_add_co_u32 v25, vcc_lo, v0, v8
	s_wait_alu 0xfffd
	v_add_co_ci_u32_e64 v26, null, v24, v9, vcc_lo
	s_mov_b32 s3, 0
	global_load_b64 v[27:28], v[25:26], off
	s_wait_loadcnt 0x0
	v_mul_f32_e32 v29, s7, v28
	v_mul_f32_e32 v28, s6, v28
	s_delay_alu instid0(VALU_DEP_1) | instskip(NEXT) | instid1(VALU_DEP_3)
	v_fmac_f32_e32 v28, s7, v27
	v_fma_f32 v29, v27, s6, -v29
	s_delay_alu instid0(VALU_DEP_1)
	v_dual_add_f32 v28, v13, v28 :: v_dual_add_f32 v27, v12, v29
	global_store_b64 v[25:26], v[27:28], off
.LBB231_40:                             ;   in Loop: Header=BB231_8 Depth=1
	s_wait_alu 0xfffe
	s_and_not1_b32 vcc_lo, exec_lo, s3
	s_wait_alu 0xfffe
	s_cbranch_vccnz .LBB231_7
; %bb.41:                               ;   in Loop: Header=BB231_8 Depth=1
	v_add_co_u32 v25, vcc_lo, v0, v8
	s_wait_alu 0xfffd
	v_add_co_ci_u32_e64 v26, null, v24, v9, vcc_lo
	global_store_b64 v[25:26], v[12:13], off
	s_branch .LBB231_7
.LBB231_42:
	s_endpgm
	.section	.rodata,"a",@progbits
	.p2align	6, 0x0
	.amdhsa_kernel _ZL29rocblas_internal_gemmt_kernelIlLi16ELi32ELi8ELc67ELc78ELc76ELb1ELb0E19rocblas_complex_numIfEPKS1_S3_PS1_EviT_T9_T10_S5_lS7_S5_lS6_T11_S5_li
		.amdhsa_group_segment_fixed_size 4096
		.amdhsa_private_segment_fixed_size 0
		.amdhsa_kernarg_size 108
		.amdhsa_user_sgpr_count 2
		.amdhsa_user_sgpr_dispatch_ptr 0
		.amdhsa_user_sgpr_queue_ptr 0
		.amdhsa_user_sgpr_kernarg_segment_ptr 1
		.amdhsa_user_sgpr_dispatch_id 0
		.amdhsa_user_sgpr_private_segment_size 0
		.amdhsa_wavefront_size32 1
		.amdhsa_uses_dynamic_stack 0
		.amdhsa_enable_private_segment 0
		.amdhsa_system_sgpr_workgroup_id_x 1
		.amdhsa_system_sgpr_workgroup_id_y 1
		.amdhsa_system_sgpr_workgroup_id_z 1
		.amdhsa_system_sgpr_workgroup_info 0
		.amdhsa_system_vgpr_workitem_id 1
		.amdhsa_next_free_vgpr 71
		.amdhsa_next_free_sgpr 35
		.amdhsa_reserve_vcc 1
		.amdhsa_float_round_mode_32 0
		.amdhsa_float_round_mode_16_64 0
		.amdhsa_float_denorm_mode_32 3
		.amdhsa_float_denorm_mode_16_64 3
		.amdhsa_fp16_overflow 0
		.amdhsa_workgroup_processor_mode 1
		.amdhsa_memory_ordered 1
		.amdhsa_forward_progress 1
		.amdhsa_inst_pref_size 26
		.amdhsa_round_robin_scheduling 0
		.amdhsa_exception_fp_ieee_invalid_op 0
		.amdhsa_exception_fp_denorm_src 0
		.amdhsa_exception_fp_ieee_div_zero 0
		.amdhsa_exception_fp_ieee_overflow 0
		.amdhsa_exception_fp_ieee_underflow 0
		.amdhsa_exception_fp_ieee_inexact 0
		.amdhsa_exception_int_div_zero 0
	.end_amdhsa_kernel
	.section	.text._ZL29rocblas_internal_gemmt_kernelIlLi16ELi32ELi8ELc67ELc78ELc76ELb1ELb0E19rocblas_complex_numIfEPKS1_S3_PS1_EviT_T9_T10_S5_lS7_S5_lS6_T11_S5_li,"axG",@progbits,_ZL29rocblas_internal_gemmt_kernelIlLi16ELi32ELi8ELc67ELc78ELc76ELb1ELb0E19rocblas_complex_numIfEPKS1_S3_PS1_EviT_T9_T10_S5_lS7_S5_lS6_T11_S5_li,comdat
.Lfunc_end231:
	.size	_ZL29rocblas_internal_gemmt_kernelIlLi16ELi32ELi8ELc67ELc78ELc76ELb1ELb0E19rocblas_complex_numIfEPKS1_S3_PS1_EviT_T9_T10_S5_lS7_S5_lS6_T11_S5_li, .Lfunc_end231-_ZL29rocblas_internal_gemmt_kernelIlLi16ELi32ELi8ELc67ELc78ELc76ELb1ELb0E19rocblas_complex_numIfEPKS1_S3_PS1_EviT_T9_T10_S5_lS7_S5_lS6_T11_S5_li
                                        ; -- End function
	.set _ZL29rocblas_internal_gemmt_kernelIlLi16ELi32ELi8ELc67ELc78ELc76ELb1ELb0E19rocblas_complex_numIfEPKS1_S3_PS1_EviT_T9_T10_S5_lS7_S5_lS6_T11_S5_li.num_vgpr, 71
	.set _ZL29rocblas_internal_gemmt_kernelIlLi16ELi32ELi8ELc67ELc78ELc76ELb1ELb0E19rocblas_complex_numIfEPKS1_S3_PS1_EviT_T9_T10_S5_lS7_S5_lS6_T11_S5_li.num_agpr, 0
	.set _ZL29rocblas_internal_gemmt_kernelIlLi16ELi32ELi8ELc67ELc78ELc76ELb1ELb0E19rocblas_complex_numIfEPKS1_S3_PS1_EviT_T9_T10_S5_lS7_S5_lS6_T11_S5_li.numbered_sgpr, 35
	.set _ZL29rocblas_internal_gemmt_kernelIlLi16ELi32ELi8ELc67ELc78ELc76ELb1ELb0E19rocblas_complex_numIfEPKS1_S3_PS1_EviT_T9_T10_S5_lS7_S5_lS6_T11_S5_li.num_named_barrier, 0
	.set _ZL29rocblas_internal_gemmt_kernelIlLi16ELi32ELi8ELc67ELc78ELc76ELb1ELb0E19rocblas_complex_numIfEPKS1_S3_PS1_EviT_T9_T10_S5_lS7_S5_lS6_T11_S5_li.private_seg_size, 0
	.set _ZL29rocblas_internal_gemmt_kernelIlLi16ELi32ELi8ELc67ELc78ELc76ELb1ELb0E19rocblas_complex_numIfEPKS1_S3_PS1_EviT_T9_T10_S5_lS7_S5_lS6_T11_S5_li.uses_vcc, 1
	.set _ZL29rocblas_internal_gemmt_kernelIlLi16ELi32ELi8ELc67ELc78ELc76ELb1ELb0E19rocblas_complex_numIfEPKS1_S3_PS1_EviT_T9_T10_S5_lS7_S5_lS6_T11_S5_li.uses_flat_scratch, 0
	.set _ZL29rocblas_internal_gemmt_kernelIlLi16ELi32ELi8ELc67ELc78ELc76ELb1ELb0E19rocblas_complex_numIfEPKS1_S3_PS1_EviT_T9_T10_S5_lS7_S5_lS6_T11_S5_li.has_dyn_sized_stack, 0
	.set _ZL29rocblas_internal_gemmt_kernelIlLi16ELi32ELi8ELc67ELc78ELc76ELb1ELb0E19rocblas_complex_numIfEPKS1_S3_PS1_EviT_T9_T10_S5_lS7_S5_lS6_T11_S5_li.has_recursion, 0
	.set _ZL29rocblas_internal_gemmt_kernelIlLi16ELi32ELi8ELc67ELc78ELc76ELb1ELb0E19rocblas_complex_numIfEPKS1_S3_PS1_EviT_T9_T10_S5_lS7_S5_lS6_T11_S5_li.has_indirect_call, 0
	.section	.AMDGPU.csdata,"",@progbits
; Kernel info:
; codeLenInByte = 3292
; TotalNumSgprs: 37
; NumVgprs: 71
; ScratchSize: 0
; MemoryBound: 0
; FloatMode: 240
; IeeeMode: 1
; LDSByteSize: 4096 bytes/workgroup (compile time only)
; SGPRBlocks: 0
; VGPRBlocks: 8
; NumSGPRsForWavesPerEU: 37
; NumVGPRsForWavesPerEU: 71
; Occupancy: 16
; WaveLimiterHint : 0
; COMPUTE_PGM_RSRC2:SCRATCH_EN: 0
; COMPUTE_PGM_RSRC2:USER_SGPR: 2
; COMPUTE_PGM_RSRC2:TRAP_HANDLER: 0
; COMPUTE_PGM_RSRC2:TGID_X_EN: 1
; COMPUTE_PGM_RSRC2:TGID_Y_EN: 1
; COMPUTE_PGM_RSRC2:TGID_Z_EN: 1
; COMPUTE_PGM_RSRC2:TIDIG_COMP_CNT: 1
	.section	.text._ZL29rocblas_internal_gemmt_kernelIlLi16ELi32ELi8ELc67ELc84ELc76ELb1ELb0E19rocblas_complex_numIfEPKS1_S3_PS1_EviT_T9_T10_S5_lS7_S5_lS6_T11_S5_li,"axG",@progbits,_ZL29rocblas_internal_gemmt_kernelIlLi16ELi32ELi8ELc67ELc84ELc76ELb1ELb0E19rocblas_complex_numIfEPKS1_S3_PS1_EviT_T9_T10_S5_lS7_S5_lS6_T11_S5_li,comdat
	.globl	_ZL29rocblas_internal_gemmt_kernelIlLi16ELi32ELi8ELc67ELc84ELc76ELb1ELb0E19rocblas_complex_numIfEPKS1_S3_PS1_EviT_T9_T10_S5_lS7_S5_lS6_T11_S5_li ; -- Begin function _ZL29rocblas_internal_gemmt_kernelIlLi16ELi32ELi8ELc67ELc84ELc76ELb1ELb0E19rocblas_complex_numIfEPKS1_S3_PS1_EviT_T9_T10_S5_lS7_S5_lS6_T11_S5_li
	.p2align	8
	.type	_ZL29rocblas_internal_gemmt_kernelIlLi16ELi32ELi8ELc67ELc84ELc76ELb1ELb0E19rocblas_complex_numIfEPKS1_S3_PS1_EviT_T9_T10_S5_lS7_S5_lS6_T11_S5_li,@function
_ZL29rocblas_internal_gemmt_kernelIlLi16ELi32ELi8ELc67ELc84ELc76ELb1ELb0E19rocblas_complex_numIfEPKS1_S3_PS1_EviT_T9_T10_S5_lS7_S5_lS6_T11_S5_li: ; @_ZL29rocblas_internal_gemmt_kernelIlLi16ELi32ELi8ELc67ELc84ELc76ELb1ELb0E19rocblas_complex_numIfEPKS1_S3_PS1_EviT_T9_T10_S5_lS7_S5_lS6_T11_S5_li
; %bb.0:
	s_load_b256 s[24:31], s[0:1], 0x48
	s_wait_kmcnt 0x0
	s_load_b64 s[6:7], s[24:25], 0x0
	s_load_b512 s[8:23], s[0:1], 0x8
	s_wait_kmcnt 0x0
	s_cmp_eq_f32 s6, 1.0
	s_load_b64 s[10:11], s[10:11], 0x0
	s_cselect_b32 s2, -1, 0
	s_and_b32 s3, s7, 0x7fffffff
	s_delay_alu instid0(SALU_CYCLE_1) | instskip(SKIP_1) | instid1(SALU_CYCLE_1)
	s_cmp_eq_u32 s3, 0
	s_cselect_b32 s33, -1, 0
	s_and_b32 s3, s2, s33
	s_mov_b32 s2, 0
	s_and_not1_b32 vcc_lo, exec_lo, s3
	s_mov_b32 s3, -1
	s_cbranch_vccnz .LBB232_4
; %bb.1:
	s_cmp_lg_u64 s[8:9], 0
	s_cbranch_scc0 .LBB232_3
; %bb.2:
	s_wait_kmcnt 0x0
	s_cmp_neq_f32 s10, 0
	s_cselect_b32 s2, -1, 0
	s_cmp_neq_f32 s11, 0
	s_cselect_b32 s3, -1, 0
	s_delay_alu instid0(SALU_CYCLE_1)
	s_or_b32 s2, s2, s3
.LBB232_3:
	s_delay_alu instid0(SALU_CYCLE_1)
	s_mov_b32 s3, s2
.LBB232_4:
	s_delay_alu instid0(SALU_CYCLE_1)
	s_and_b32 vcc_lo, exec_lo, s3
	s_cbranch_vccz .LBB232_42
; %bb.5:
	s_load_b32 s5, s[0:1], 0x68
	s_lshr_b32 s24, ttmp7, 16
	s_wait_kmcnt 0x0
	s_cmp_ge_u32 s24, s5
	s_cbranch_scc1 .LBB232_42
; %bb.6:
	v_and_b32_e32 v7, 0x3ff, v0
	v_bfe_u32 v8, v0, 10, 10
	s_load_b32 s4, s[0:1], 0x0
	s_lshl_b32 s2, ttmp9, 5
	s_lshl_b32 s0, ttmp7, 5
	v_and_b32_e32 v14, 7, v0
	v_lshl_add_u32 v2, v8, 4, v7
	s_and_b32 s0, s0, 0x1fffe0
	s_cmp_neq_f32 s10, 0
	v_add_nc_u32_e32 v11, s0, v8
	v_lshl_add_u32 v23, v8, 6, 0x800
	v_and_b32_e32 v3, 31, v2
	s_cselect_b32 s1, -1, 0
	s_cmp_neq_f32 s11, 0
	v_lshrrev_b32_e32 v9, 3, v2
	v_lshrrev_b32_e32 v15, 5, v2
	v_or_b32_e32 v4, s2, v3
	s_cselect_b32 s3, -1, 0
	v_lshlrev_b32_e32 v3, 3, v3
	v_add_nc_u32_e32 v2, s0, v9
	v_add_nc_u32_e32 v12, 16, v11
	v_mul_lo_u32 v6, s15, v4
	v_mad_co_u64_u32 v[0:1], null, s14, v4, 0
	s_ashr_i32 s15, s2, 31
	v_lshl_or_b32 v16, v15, 8, v3
	s_wait_alu 0xfffe
	s_mul_i32 s14, s14, s15
	s_or_b32 s15, s1, s3
	s_wait_kmcnt 0x0
	v_cmp_gt_i32_e32 vcc_lo, s4, v2
	v_cmp_gt_i32_e64 s0, s4, v4
	s_wait_alu 0xfffe
	v_add3_u32 v1, v1, s14, v6
	v_cmp_le_i32_e64 s14, s4, v4
	s_cmp_neq_f32 s6, 0
	v_cmp_gt_i64_e64 s34, s[8:9], 0
	s_mov_b32 s25, 0
	v_lshlrev_b64_e32 v[0:1], 3, v[0:1]
	s_delay_alu instid0(VALU_DEP_1) | instskip(SKIP_1) | instid1(VALU_DEP_2)
	v_add_co_u32 v18, s1, s12, v0
	s_wait_alu 0xf1ff
	v_add_co_ci_u32_e64 v19, null, s13, v1, s1
	v_mov_b32_e32 v1, 0
	v_lshlrev_b32_e32 v5, 3, v14
	v_lshlrev_b32_e32 v0, 3, v2
	v_mad_co_u64_u32 v[2:3], null, s28, v11, 0
	s_delay_alu instid0(VALU_DEP_3) | instskip(NEXT) | instid1(VALU_DEP_3)
	v_lshl_or_b32 v5, v9, 6, v5
	v_add_co_u32 v20, s1, s18, v0
	s_wait_alu 0xf1ff
	v_add_co_ci_u32_e64 v21, null, s19, 0, s1
	s_delay_alu instid0(VALU_DEP_3)
	v_add_nc_u32_e32 v17, 0x800, v5
	v_mad_co_u64_u32 v[4:5], null, s28, v12, 0
	v_mov_b32_e32 v0, v3
	v_add_nc_u32_e32 v6, s2, v7
	v_lshlrev_b32_e32 v22, 3, v7
	s_cselect_b32 s18, -1, 0
	s_xor_b32 s19, s33, -1
	v_mad_co_u64_u32 v[9:10], null, s29, v11, v[0:1]
	v_add_nc_u32_e32 v8, 16, v6
	v_mov_b32_e32 v0, v5
	v_cmp_le_i32_e64 s1, v11, v6
	v_cmp_gt_i32_e64 s2, s4, v6
	v_ashrrev_i32_e32 v7, 31, v6
	v_cmp_le_i32_e64 s3, v11, v8
	v_mad_co_u64_u32 v[10:11], null, s29, v12, v[0:1]
	v_cmp_gt_i32_e64 s4, s4, v8
	v_mov_b32_e32 v3, v9
	v_ashrrev_i32_e32 v9, 31, v8
	s_and_b32 s12, s1, s2
	v_cmp_le_i32_e64 s1, v12, v6
	s_and_b32 s13, s3, s4
	v_mov_b32_e32 v5, v10
	v_cmp_le_i32_e64 s3, v12, v8
	v_lshlrev_b64_e32 v[2:3], 3, v[2:3]
	v_lshlrev_b64_e32 v[6:7], 3, v[6:7]
	;; [unrolled: 1-line block ×4, first 2 shown]
	s_and_b32 s15, s15, s34
	s_wait_alu 0xfffe
	s_or_b32 s18, s18, s19
	s_and_b32 s1, s1, s2
	s_and_b32 s4, s3, s4
	s_xor_b32 s19, vcc_lo, -1
                                        ; implicit-def: $vgpr10_vgpr11
	s_branch .LBB232_8
.LBB232_7:                              ;   in Loop: Header=BB232_8 Depth=1
	s_wait_alu 0xfffe
	s_or_b32 exec_lo, exec_lo, s2
	s_add_co_i32 s24, s24, 0x10000
	s_delay_alu instid0(SALU_CYCLE_1)
	s_cmp_lt_u32 s24, s5
	s_cbranch_scc0 .LBB232_42
.LBB232_8:                              ; =>This Loop Header: Depth=1
                                        ;     Child Loop BB232_11 Depth 2
	s_and_not1_b32 vcc_lo, exec_lo, s15
	s_wait_alu 0xfffe
	s_cbranch_vccnz .LBB232_21
; %bb.9:                                ;   in Loop: Header=BB232_8 Depth=1
	s_mul_u64 s[2:3], s[16:17], s[24:25]
	s_mul_u64 s[28:29], s[22:23], s[24:25]
	s_wait_alu 0xfffe
	s_lshl_b64 s[2:3], s[2:3], 3
	v_dual_mov_b32 v26, 0 :: v_dual_mov_b32 v27, 0
	s_wait_alu 0xfffe
	v_add_co_u32 v12, vcc_lo, v18, s2
	s_wait_alu 0xfffd
	v_add_co_ci_u32_e64 v13, null, s3, v19, vcc_lo
	s_lshl_b64 s[2:3], s[28:29], 3
	v_dual_mov_b32 v29, 0 :: v_dual_mov_b32 v28, 0
	s_wait_alu 0xfffe
	v_add_co_u32 v24, vcc_lo, v20, s2
	s_wait_alu 0xfffd
	v_add_co_ci_u32_e64 v25, null, s3, v21, vcc_lo
	v_dual_mov_b32 v31, 0 :: v_dual_mov_b32 v30, 0
	v_dual_mov_b32 v33, 0 :: v_dual_mov_b32 v32, 0
	s_mov_b64 s[2:3], 0
	s_branch .LBB232_11
.LBB232_10:                             ;   in Loop: Header=BB232_11 Depth=2
	s_wait_alu 0xfffe
	s_or_b32 exec_lo, exec_lo, s28
	s_wait_dscnt 0x0
	s_barrier_signal -1
	s_barrier_wait -1
	global_inv scope:SCOPE_SE
	ds_load_b128 v[34:37], v23
	ds_load_2addr_b64 v[38:41], v22 offset1:16
	ds_load_b128 v[42:45], v23 offset:1024
	ds_load_b128 v[46:49], v23 offset:16
	ds_load_b128 v[50:53], v23 offset:32
	ds_load_b128 v[54:57], v23 offset:48
	ds_load_2addr_b64 v[58:61], v22 offset0:32 offset1:48
	ds_load_b128 v[62:65], v23 offset:1040
	s_add_nc_u64 s[2:3], s[2:3], 8
	s_wait_alu 0xfffe
	v_cmp_gt_i64_e64 s28, s[8:9], s[2:3]
	s_and_b32 vcc_lo, exec_lo, s28
	s_wait_dscnt 0x6
	v_mul_f32_e32 v0, v35, v39
	v_dual_mul_f32 v66, v34, v39 :: v_dual_mul_f32 v67, v35, v41
	s_wait_dscnt 0x5
	v_dual_mul_f32 v68, v34, v41 :: v_dual_mul_f32 v69, v43, v39
	v_dual_mul_f32 v39, v42, v39 :: v_dual_mul_f32 v70, v43, v41
	v_mul_f32_e32 v41, v42, v41
	v_fma_f32 v0, v34, v38, -v0
	v_fma_f32 v34, v34, v40, -v67
	v_fmac_f32_e32 v68, v35, v40
	v_fmac_f32_e32 v39, v43, v38
	;; [unrolled: 1-line block ×3, first 2 shown]
	v_add_f32_e32 v0, v32, v0
	v_fmac_f32_e32 v66, v35, v38
	v_fma_f32 v35, v42, v38, -v69
	v_fma_f32 v38, v42, v40, -v70
	v_add_f32_e32 v26, v26, v41
	s_delay_alu instid0(VALU_DEP_4) | instskip(NEXT) | instid1(VALU_DEP_4)
	v_add_f32_e32 v32, v33, v66
	v_dual_add_f32 v33, v30, v34 :: v_dual_add_f32 v34, v28, v35
	v_add_f32_e32 v35, v29, v39
	s_wait_dscnt 0x1
	v_dual_mul_f32 v39, v37, v59 :: v_dual_add_f32 v38, v27, v38
	ds_load_2addr_b64 v[27:30], v22 offset0:64 offset1:80
	v_mul_f32_e32 v42, v37, v61
	v_mul_f32_e32 v41, v36, v61
	;; [unrolled: 1-line block ×3, first 2 shown]
	v_fma_f32 v39, v36, v58, -v39
	v_add_f32_e32 v31, v31, v68
	v_fma_f32 v36, v36, v60, -v42
	s_delay_alu instid0(VALU_DEP_3) | instskip(SKIP_1) | instid1(VALU_DEP_3)
	v_add_f32_e32 v0, v0, v39
	v_mul_f32_e32 v39, v45, v59
	v_add_f32_e32 v36, v33, v36
	v_fmac_f32_e32 v41, v37, v60
	v_fmac_f32_e32 v40, v37, v58
	v_mul_f32_e32 v37, v45, v61
	v_fma_f32 v33, v44, v58, -v39
	s_delay_alu instid0(VALU_DEP_4) | instskip(NEXT) | instid1(VALU_DEP_3)
	v_add_f32_e32 v39, v31, v41
	v_fma_f32 v31, v44, v60, -v37
	v_mul_f32_e32 v41, v44, v61
	s_wait_dscnt 0x0
	v_mul_f32_e32 v37, v46, v28
	v_add_f32_e32 v40, v32, v40
	v_add_f32_e32 v38, v38, v31
	v_dual_mul_f32 v32, v44, v59 :: v_dual_fmac_f32 v41, v45, v60
	v_mul_f32_e32 v44, v47, v30
	s_delay_alu instid0(VALU_DEP_2) | instskip(NEXT) | instid1(VALU_DEP_3)
	v_dual_fmac_f32 v37, v47, v27 :: v_dual_fmac_f32 v32, v45, v58
	v_add_f32_e32 v41, v26, v41
	v_dual_add_f32 v42, v34, v33 :: v_dual_mul_f32 v33, v47, v28
	s_delay_alu instid0(VALU_DEP_3) | instskip(NEXT) | instid1(VALU_DEP_4)
	v_dual_mul_f32 v26, v46, v30 :: v_dual_add_f32 v37, v40, v37
	v_add_f32_e32 v35, v35, v32
	s_delay_alu instid0(VALU_DEP_3) | instskip(SKIP_4) | instid1(VALU_DEP_1)
	v_fma_f32 v43, v46, v27, -v33
	ds_load_2addr_b64 v[31:34], v22 offset0:96 offset1:112
	v_fmac_f32_e32 v26, v47, v29
	v_add_f32_e32 v0, v0, v43
	v_fma_f32 v43, v46, v29, -v44
	v_dual_add_f32 v39, v39, v26 :: v_dual_add_f32 v36, v36, v43
	v_mul_f32_e32 v43, v63, v30
	v_mul_f32_e32 v30, v62, v30
	s_delay_alu instid0(VALU_DEP_2) | instskip(SKIP_1) | instid1(VALU_DEP_3)
	v_fma_f32 v26, v62, v29, -v43
	v_mul_f32_e32 v40, v63, v28
	v_fmac_f32_e32 v30, v63, v29
	s_wait_dscnt 0x0
	v_dual_mul_f32 v28, v62, v28 :: v_dual_mul_f32 v47, v65, v34
	v_add_f32_e32 v43, v38, v26
	v_fma_f32 v40, v62, v27, -v40
	v_dual_mul_f32 v38, v48, v32 :: v_dual_add_f32 v41, v41, v30
	s_delay_alu instid0(VALU_DEP_4) | instskip(SKIP_1) | instid1(VALU_DEP_3)
	v_fmac_f32_e32 v28, v63, v27
	v_mul_f32_e32 v30, v48, v34
	v_fmac_f32_e32 v38, v49, v31
	v_add_f32_e32 v40, v42, v40
	s_delay_alu instid0(VALU_DEP_4)
	v_add_f32_e32 v42, v35, v28
	ds_load_2addr_b64 v[26:29], v22 offset0:128 offset1:144
	v_mul_f32_e32 v35, v49, v32
	v_mul_f32_e32 v44, v49, v34
	v_fmac_f32_e32 v30, v49, v33
	v_mul_f32_e32 v34, v64, v34
	s_delay_alu instid0(VALU_DEP_4)
	v_fma_f32 v35, v48, v31, -v35
	s_wait_dscnt 0x0
	v_mul_f32_e32 v49, v50, v27
	v_fma_f32 v44, v48, v33, -v44
	v_add_f32_e32 v48, v39, v30
	v_fma_f32 v30, v64, v33, -v47
	s_delay_alu instid0(VALU_DEP_4) | instskip(NEXT) | instid1(VALU_DEP_4)
	v_fmac_f32_e32 v49, v51, v26
	v_dual_add_f32 v45, v37, v38 :: v_dual_add_f32 v44, v36, v44
	s_delay_alu instid0(VALU_DEP_3) | instskip(SKIP_1) | instid1(VALU_DEP_3)
	v_dual_add_f32 v43, v43, v30 :: v_dual_add_f32 v0, v0, v35
	v_mul_f32_e32 v35, v65, v32
	v_dual_mul_f32 v32, v64, v32 :: v_dual_add_f32 v45, v45, v49
	s_delay_alu instid0(VALU_DEP_2) | instskip(SKIP_3) | instid1(VALU_DEP_2)
	v_fma_f32 v46, v64, v31, -v35
	ds_load_b128 v[35:38], v23 offset:1056
	v_fmac_f32_e32 v32, v65, v31
	v_dual_mul_f32 v31, v51, v27 :: v_dual_fmac_f32 v34, v65, v33
	v_add_f32_e32 v47, v42, v32
	s_delay_alu instid0(VALU_DEP_2)
	v_fma_f32 v39, v50, v26, -v31
	ds_load_2addr_b64 v[30:33], v22 offset0:160 offset1:176
	v_add_f32_e32 v46, v40, v46
	v_mul_f32_e32 v40, v51, v29
	v_add_f32_e32 v34, v41, v34
	v_add_f32_e32 v0, v0, v39
	s_delay_alu instid0(VALU_DEP_3) | instskip(SKIP_4) | instid1(VALU_DEP_2)
	v_fma_f32 v58, v50, v28, -v40
	ds_load_b128 v[39:42], v23 offset:1072
	s_wait_dscnt 0x2
	v_dual_mul_f32 v50, v50, v29 :: v_dual_mul_f32 v59, v36, v27
	v_mul_f32_e32 v27, v35, v27
	v_dual_fmac_f32 v50, v51, v28 :: v_dual_mul_f32 v51, v36, v29
	s_delay_alu instid0(VALU_DEP_3) | instskip(NEXT) | instid1(VALU_DEP_3)
	v_fma_f32 v49, v35, v26, -v59
	v_fmac_f32_e32 v27, v36, v26
	s_delay_alu instid0(VALU_DEP_3) | instskip(SKIP_2) | instid1(VALU_DEP_4)
	v_add_f32_e32 v48, v48, v50
	v_mul_f32_e32 v50, v35, v29
	v_fma_f32 v26, v35, v28, -v51
	v_add_f32_e32 v35, v47, v27
	s_wait_dscnt 0x1
	s_delay_alu instid0(VALU_DEP_3) | instskip(NEXT) | instid1(VALU_DEP_3)
	v_dual_mul_f32 v47, v53, v31 :: v_dual_fmac_f32 v50, v36, v28
	v_add_f32_e32 v43, v43, v26
	ds_load_2addr_b64 v[26:29], v22 offset0:192 offset1:208
	v_mul_f32_e32 v36, v52, v31
	v_add_f32_e32 v46, v46, v49
	v_fma_f32 v47, v52, v30, -v47
	v_mul_f32_e32 v49, v53, v33
	s_delay_alu instid0(VALU_DEP_4) | instskip(NEXT) | instid1(VALU_DEP_3)
	v_fmac_f32_e32 v36, v53, v30
	v_add_f32_e32 v0, v0, v47
	s_delay_alu instid0(VALU_DEP_3) | instskip(NEXT) | instid1(VALU_DEP_3)
	v_fma_f32 v47, v52, v32, -v49
	v_dual_add_f32 v45, v45, v36 :: v_dual_mul_f32 v36, v38, v31
	v_mul_f32_e32 v31, v37, v31
	s_delay_alu instid0(VALU_DEP_2) | instskip(NEXT) | instid1(VALU_DEP_2)
	v_fma_f32 v36, v37, v30, -v36
	v_fmac_f32_e32 v31, v38, v30
	v_add_f32_e32 v44, v44, v58
	s_delay_alu instid0(VALU_DEP_2) | instskip(NEXT) | instid1(VALU_DEP_2)
	v_dual_mul_f32 v30, v37, v33 :: v_dual_add_f32 v31, v35, v31
	v_dual_add_f32 v44, v44, v47 :: v_dual_mul_f32 v47, v38, v33
	v_add_f32_e32 v50, v34, v50
	v_mul_f32_e32 v34, v52, v33
	s_delay_alu instid0(VALU_DEP_4) | instskip(NEXT) | instid1(VALU_DEP_4)
	v_fmac_f32_e32 v30, v38, v32
	v_fma_f32 v33, v37, v32, -v47
	s_wait_dscnt 0x0
	s_delay_alu instid0(VALU_DEP_3) | instskip(NEXT) | instid1(VALU_DEP_2)
	v_dual_mul_f32 v47, v40, v27 :: v_dual_fmac_f32 v34, v53, v32
	v_dual_add_f32 v32, v43, v33 :: v_dual_mul_f32 v33, v54, v27
	v_mul_f32_e32 v43, v55, v29
	s_delay_alu instid0(VALU_DEP_2) | instskip(NEXT) | instid1(VALU_DEP_2)
	v_dual_fmac_f32 v33, v55, v26 :: v_dual_add_f32 v46, v46, v36
	v_fma_f32 v43, v54, v28, -v43
	s_delay_alu instid0(VALU_DEP_2) | instskip(SKIP_3) | instid1(VALU_DEP_3)
	v_dual_add_f32 v33, v45, v33 :: v_dual_add_f32 v48, v48, v34
	v_mul_f32_e32 v34, v55, v27
	v_mul_f32_e32 v27, v39, v27
	;; [unrolled: 1-line block ×3, first 2 shown]
	v_fma_f32 v38, v54, v26, -v34
	ds_load_2addr_b64 v[34:37], v22 offset0:224 offset1:240
	v_fmac_f32_e32 v27, v40, v26
	v_add_f32_e32 v30, v50, v30
	s_wait_loadcnt_dscnt 0x0
	v_add_f32_e32 v0, v0, v38
	s_barrier_signal -1
	v_dual_add_f32 v27, v31, v27 :: v_dual_mul_f32 v38, v54, v29
	v_mul_f32_e32 v29, v39, v29
	s_barrier_wait -1
	global_inv scope:SCOPE_SE
	v_fmac_f32_e32 v38, v55, v28
	v_fmac_f32_e32 v29, v40, v28
	s_delay_alu instid0(VALU_DEP_1) | instskip(SKIP_2) | instid1(VALU_DEP_2)
	v_add_f32_e32 v40, v30, v29
	v_mul_f32_e32 v29, v56, v37
	v_mul_f32_e32 v31, v57, v35
	v_fmac_f32_e32 v29, v57, v36
	v_add_f32_e32 v43, v44, v43
	v_fma_f32 v44, v39, v26, -v47
	v_fma_f32 v39, v39, v28, -v45
	;; [unrolled: 1-line block ×3, first 2 shown]
	s_delay_alu instid0(VALU_DEP_2) | instskip(SKIP_1) | instid1(VALU_DEP_2)
	v_dual_add_f32 v39, v32, v39 :: v_dual_mul_f32 v32, v57, v37
	v_mul_f32_e32 v28, v56, v35
	v_fma_f32 v30, v56, v36, -v32
	s_delay_alu instid0(VALU_DEP_4) | instskip(SKIP_1) | instid1(VALU_DEP_4)
	v_add_f32_e32 v32, v0, v31
	v_mul_f32_e32 v0, v42, v35
	v_fmac_f32_e32 v28, v57, v34
	s_delay_alu instid0(VALU_DEP_4) | instskip(SKIP_1) | instid1(VALU_DEP_4)
	v_dual_mul_f32 v35, v41, v35 :: v_dual_add_f32 v30, v43, v30
	v_mul_f32_e32 v43, v42, v37
	v_fma_f32 v0, v41, v34, -v0
	v_dual_mul_f32 v37, v41, v37 :: v_dual_add_f32 v26, v48, v38
	v_add_f32_e32 v38, v46, v44
	v_add_f32_e32 v33, v33, v28
	v_fmac_f32_e32 v35, v42, v34
	s_delay_alu instid0(VALU_DEP_4) | instskip(SKIP_3) | instid1(VALU_DEP_4)
	v_fmac_f32_e32 v37, v42, v36
	v_add_f32_e32 v31, v26, v29
	v_add_f32_e32 v28, v38, v0
	v_fma_f32 v0, v41, v36, -v43
	v_dual_add_f32 v29, v27, v35 :: v_dual_add_f32 v26, v40, v37
	s_delay_alu instid0(VALU_DEP_2)
	v_add_f32_e32 v27, v39, v0
	s_wait_alu 0xfffe
	s_cbranch_vccz .LBB232_22
.LBB232_11:                             ;   Parent Loop BB232_8 Depth=1
                                        ; =>  This Inner Loop Header: Depth=2
	s_mov_b32 s28, 0
	s_mov_b32 s33, s14
	s_and_saveexec_b32 s29, s0
	s_cbranch_execnz .LBB232_19
; %bb.12:                               ;   in Loop: Header=BB232_11 Depth=2
	s_wait_alu 0xfffe
	s_or_b32 exec_lo, exec_lo, s29
	s_and_saveexec_b32 s29, s33
	s_wait_alu 0xfffe
	s_xor_b32 s29, exec_lo, s29
	s_cbranch_execnz .LBB232_20
.LBB232_13:                             ;   in Loop: Header=BB232_11 Depth=2
	s_wait_alu 0xfffe
	s_or_b32 exec_lo, exec_lo, s29
	v_mov_b32_e32 v34, 0
	s_and_saveexec_b32 s29, s28
	s_cbranch_execz .LBB232_15
.LBB232_14:                             ;   in Loop: Header=BB232_11 Depth=2
	v_lshlrev_b64_e32 v[34:35], 3, v[10:11]
	s_delay_alu instid0(VALU_DEP_1) | instskip(SKIP_1) | instid1(VALU_DEP_2)
	v_add_co_u32 v34, vcc_lo, v12, v34
	s_wait_alu 0xfffd
	v_add_co_ci_u32_e64 v35, null, v13, v35, vcc_lo
	global_load_b64 v[35:36], v[34:35], off
	s_wait_loadcnt 0x0
	v_xor_b32_e32 v34, 0x80000000, v36
	ds_store_b32 v16, v35
.LBB232_15:                             ;   in Loop: Header=BB232_11 Depth=2
	s_wait_alu 0xfffe
	s_or_b32 exec_lo, exec_lo, s29
	v_add_nc_u32_e32 v0, s2, v14
	ds_store_b32 v16, v34 offset:4
	v_cmp_le_u64_e32 vcc_lo, s[8:9], v[0:1]
	s_or_b32 s28, vcc_lo, s19
	s_wait_alu 0xfffe
	s_and_saveexec_b32 s29, s28
	s_wait_alu 0xfffe
	s_xor_b32 s28, exec_lo, s29
; %bb.16:                               ;   in Loop: Header=BB232_11 Depth=2
	v_mov_b32_e32 v0, v1
	ds_store_b64 v17, v[0:1]
; %bb.17:                               ;   in Loop: Header=BB232_11 Depth=2
	s_wait_alu 0xfffe
	s_and_not1_saveexec_b32 s28, s28
	s_cbranch_execz .LBB232_10
; %bb.18:                               ;   in Loop: Header=BB232_11 Depth=2
	v_mad_co_u64_u32 v[34:35], null, s20, v0, 0
	s_delay_alu instid0(VALU_DEP_1) | instskip(NEXT) | instid1(VALU_DEP_1)
	v_mad_co_u64_u32 v[35:36], null, s21, v0, v[35:36]
	v_lshlrev_b64_e32 v[34:35], 3, v[34:35]
	s_delay_alu instid0(VALU_DEP_1) | instskip(SKIP_1) | instid1(VALU_DEP_2)
	v_add_co_u32 v34, vcc_lo, v24, v34
	s_wait_alu 0xfffd
	v_add_co_ci_u32_e64 v35, null, v25, v35, vcc_lo
	global_load_b64 v[34:35], v[34:35], off
	s_wait_loadcnt 0x0
	ds_store_b64 v17, v[34:35]
	s_branch .LBB232_10
.LBB232_19:                             ;   in Loop: Header=BB232_11 Depth=2
	s_wait_alu 0xfffe
	v_add_nc_u32_e32 v0, s2, v15
	v_mov_b32_e32 v11, v1
	s_and_not1_b32 s33, s14, exec_lo
	s_mov_b32 s28, exec_lo
	s_delay_alu instid0(VALU_DEP_2) | instskip(SKIP_2) | instid1(SALU_CYCLE_1)
	v_cmp_le_u64_e32 vcc_lo, s[8:9], v[0:1]
	v_mov_b32_e32 v10, v0
	s_and_b32 s34, vcc_lo, exec_lo
	s_or_b32 s33, s33, s34
	s_or_b32 exec_lo, exec_lo, s29
	s_and_saveexec_b32 s29, s33
	s_wait_alu 0xfffe
	s_xor_b32 s29, exec_lo, s29
	s_cbranch_execz .LBB232_13
.LBB232_20:                             ;   in Loop: Header=BB232_11 Depth=2
	s_and_not1_b32 s28, s28, exec_lo
	ds_store_b32 v16, v1
	s_wait_alu 0xfffe
	s_or_b32 exec_lo, exec_lo, s29
	v_mov_b32_e32 v34, 0
	s_and_saveexec_b32 s29, s28
	s_cbranch_execnz .LBB232_14
	s_branch .LBB232_15
.LBB232_21:                             ;   in Loop: Header=BB232_8 Depth=1
	v_dual_mov_b32 v32, v1 :: v_dual_mov_b32 v33, v1
	v_dual_mov_b32 v30, v1 :: v_dual_mov_b32 v31, v1
	;; [unrolled: 1-line block ×4, first 2 shown]
.LBB232_22:                             ;   in Loop: Header=BB232_8 Depth=1
	s_mul_u64 s[2:3], s[30:31], s[24:25]
	s_wait_alu 0xfffe
	s_lshl_b64 s[2:3], s[2:3], 3
	s_wait_alu 0xfffe
	s_add_nc_u64 s[2:3], s[26:27], s[2:3]
	s_wait_alu 0xfffe
	v_add_co_u32 v0, vcc_lo, s2, v2
	s_wait_alu 0xfffd
	v_add_co_ci_u32_e64 v24, null, s3, v3, vcc_lo
	s_and_saveexec_b32 s28, s12
	s_cbranch_execz .LBB232_27
; %bb.23:                               ;   in Loop: Header=BB232_8 Depth=1
	v_mul_f32_e32 v13, s10, v33
	v_mul_f32_e32 v12, s11, v33
	s_and_b32 vcc_lo, exec_lo, s18
	s_mov_b32 s29, -1
	s_delay_alu instid0(VALU_DEP_2) | instskip(NEXT) | instid1(VALU_DEP_2)
	v_fmac_f32_e32 v13, s11, v32
	v_fma_f32 v12, v32, s10, -v12
	s_wait_alu 0xfffe
	s_cbranch_vccz .LBB232_25
; %bb.24:                               ;   in Loop: Header=BB232_8 Depth=1
	v_add_co_u32 v32, vcc_lo, v0, v6
	s_wait_alu 0xfffd
	v_add_co_ci_u32_e64 v33, null, v24, v7, vcc_lo
	s_mov_b32 s29, 0
	global_load_b64 v[34:35], v[32:33], off
	s_wait_loadcnt 0x0
	v_mul_f32_e32 v25, s7, v35
	s_delay_alu instid0(VALU_DEP_1) | instskip(SKIP_1) | instid1(VALU_DEP_1)
	v_fma_f32 v25, v34, s6, -v25
	v_mul_f32_e32 v35, s6, v35
	v_dual_fmac_f32 v35, s7, v34 :: v_dual_add_f32 v34, v12, v25
	s_delay_alu instid0(VALU_DEP_1)
	v_add_f32_e32 v35, v13, v35
	global_store_b64 v[32:33], v[34:35], off
.LBB232_25:                             ;   in Loop: Header=BB232_8 Depth=1
	s_wait_alu 0xfffe
	s_and_not1_b32 vcc_lo, exec_lo, s29
	s_wait_alu 0xfffe
	s_cbranch_vccnz .LBB232_27
; %bb.26:                               ;   in Loop: Header=BB232_8 Depth=1
	v_add_co_u32 v32, vcc_lo, v0, v6
	s_wait_alu 0xfffd
	v_add_co_ci_u32_e64 v33, null, v24, v7, vcc_lo
	global_store_b64 v[32:33], v[12:13], off
.LBB232_27:                             ;   in Loop: Header=BB232_8 Depth=1
	s_wait_alu 0xfffe
	s_or_b32 exec_lo, exec_lo, s28
	s_and_saveexec_b32 s28, s13
	s_cbranch_execz .LBB232_32
; %bb.28:                               ;   in Loop: Header=BB232_8 Depth=1
	v_mul_f32_e32 v13, s10, v31
	v_mul_f32_e32 v12, s11, v31
	s_and_not1_b32 vcc_lo, exec_lo, s18
	s_mov_b32 s29, -1
	s_delay_alu instid0(VALU_DEP_2) | instskip(NEXT) | instid1(VALU_DEP_2)
	v_fmac_f32_e32 v13, s11, v30
	v_fma_f32 v12, v30, s10, -v12
	s_wait_alu 0xfffe
	s_cbranch_vccnz .LBB232_30
; %bb.29:                               ;   in Loop: Header=BB232_8 Depth=1
	v_add_co_u32 v30, vcc_lo, v0, v8
	s_wait_alu 0xfffd
	v_add_co_ci_u32_e64 v31, null, v24, v9, vcc_lo
	s_mov_b32 s29, 0
	global_load_b64 v[32:33], v[30:31], off
	s_wait_loadcnt 0x0
	v_mul_f32_e32 v25, s7, v33
	v_mul_f32_e32 v33, s6, v33
	s_delay_alu instid0(VALU_DEP_2) | instskip(NEXT) | instid1(VALU_DEP_1)
	v_fma_f32 v25, v32, s6, -v25
	v_dual_fmac_f32 v33, s7, v32 :: v_dual_add_f32 v32, v12, v25
	s_delay_alu instid0(VALU_DEP_1)
	v_add_f32_e32 v33, v13, v33
	global_store_b64 v[30:31], v[32:33], off
.LBB232_30:                             ;   in Loop: Header=BB232_8 Depth=1
	s_wait_alu 0xfffe
	s_and_not1_b32 vcc_lo, exec_lo, s29
	s_wait_alu 0xfffe
	s_cbranch_vccnz .LBB232_32
; %bb.31:                               ;   in Loop: Header=BB232_8 Depth=1
	v_add_co_u32 v30, vcc_lo, v0, v8
	s_wait_alu 0xfffd
	v_add_co_ci_u32_e64 v31, null, v24, v9, vcc_lo
	global_store_b64 v[30:31], v[12:13], off
.LBB232_32:                             ;   in Loop: Header=BB232_8 Depth=1
	s_wait_alu 0xfffe
	s_or_b32 exec_lo, exec_lo, s28
	v_add_co_u32 v0, vcc_lo, s2, v4
	s_wait_alu 0xfffd
	v_add_co_ci_u32_e64 v24, null, s3, v5, vcc_lo
	s_and_saveexec_b32 s2, s1
	s_cbranch_execz .LBB232_37
; %bb.33:                               ;   in Loop: Header=BB232_8 Depth=1
	v_mul_f32_e32 v13, s10, v29
	v_mul_f32_e32 v12, s11, v29
	s_and_not1_b32 vcc_lo, exec_lo, s18
	s_mov_b32 s3, -1
	s_delay_alu instid0(VALU_DEP_2) | instskip(NEXT) | instid1(VALU_DEP_2)
	v_fmac_f32_e32 v13, s11, v28
	v_fma_f32 v12, v28, s10, -v12
	s_wait_alu 0xfffe
	s_cbranch_vccnz .LBB232_35
; %bb.34:                               ;   in Loop: Header=BB232_8 Depth=1
	v_add_co_u32 v28, vcc_lo, v0, v6
	s_wait_alu 0xfffd
	v_add_co_ci_u32_e64 v29, null, v24, v7, vcc_lo
	s_mov_b32 s3, 0
	global_load_b64 v[30:31], v[28:29], off
	s_wait_loadcnt 0x0
	v_mul_f32_e32 v25, s7, v31
	s_delay_alu instid0(VALU_DEP_1) | instskip(SKIP_1) | instid1(VALU_DEP_1)
	v_fma_f32 v25, v30, s6, -v25
	v_mul_f32_e32 v31, s6, v31
	v_dual_fmac_f32 v31, s7, v30 :: v_dual_add_f32 v30, v12, v25
	s_delay_alu instid0(VALU_DEP_1)
	v_add_f32_e32 v31, v13, v31
	global_store_b64 v[28:29], v[30:31], off
.LBB232_35:                             ;   in Loop: Header=BB232_8 Depth=1
	s_wait_alu 0xfffe
	s_and_not1_b32 vcc_lo, exec_lo, s3
	s_wait_alu 0xfffe
	s_cbranch_vccnz .LBB232_37
; %bb.36:                               ;   in Loop: Header=BB232_8 Depth=1
	v_add_co_u32 v28, vcc_lo, v0, v6
	s_wait_alu 0xfffd
	v_add_co_ci_u32_e64 v29, null, v24, v7, vcc_lo
	global_store_b64 v[28:29], v[12:13], off
.LBB232_37:                             ;   in Loop: Header=BB232_8 Depth=1
	s_wait_alu 0xfffe
	s_or_b32 exec_lo, exec_lo, s2
	s_and_saveexec_b32 s2, s4
	s_cbranch_execz .LBB232_7
; %bb.38:                               ;   in Loop: Header=BB232_8 Depth=1
	v_mul_f32_e32 v13, s10, v26
	v_mul_f32_e32 v12, s11, v26
	s_and_not1_b32 vcc_lo, exec_lo, s18
	s_mov_b32 s3, -1
	s_delay_alu instid0(VALU_DEP_2) | instskip(NEXT) | instid1(VALU_DEP_2)
	v_fmac_f32_e32 v13, s11, v27
	v_fma_f32 v12, v27, s10, -v12
	s_wait_alu 0xfffe
	s_cbranch_vccnz .LBB232_40
; %bb.39:                               ;   in Loop: Header=BB232_8 Depth=1
	v_add_co_u32 v25, vcc_lo, v0, v8
	s_wait_alu 0xfffd
	v_add_co_ci_u32_e64 v26, null, v24, v9, vcc_lo
	s_mov_b32 s3, 0
	global_load_b64 v[27:28], v[25:26], off
	s_wait_loadcnt 0x0
	v_mul_f32_e32 v29, s7, v28
	v_mul_f32_e32 v28, s6, v28
	s_delay_alu instid0(VALU_DEP_1) | instskip(NEXT) | instid1(VALU_DEP_3)
	v_fmac_f32_e32 v28, s7, v27
	v_fma_f32 v29, v27, s6, -v29
	s_delay_alu instid0(VALU_DEP_1)
	v_dual_add_f32 v28, v13, v28 :: v_dual_add_f32 v27, v12, v29
	global_store_b64 v[25:26], v[27:28], off
.LBB232_40:                             ;   in Loop: Header=BB232_8 Depth=1
	s_wait_alu 0xfffe
	s_and_not1_b32 vcc_lo, exec_lo, s3
	s_wait_alu 0xfffe
	s_cbranch_vccnz .LBB232_7
; %bb.41:                               ;   in Loop: Header=BB232_8 Depth=1
	v_add_co_u32 v25, vcc_lo, v0, v8
	s_wait_alu 0xfffd
	v_add_co_ci_u32_e64 v26, null, v24, v9, vcc_lo
	global_store_b64 v[25:26], v[12:13], off
	s_branch .LBB232_7
.LBB232_42:
	s_endpgm
	.section	.rodata,"a",@progbits
	.p2align	6, 0x0
	.amdhsa_kernel _ZL29rocblas_internal_gemmt_kernelIlLi16ELi32ELi8ELc67ELc84ELc76ELb1ELb0E19rocblas_complex_numIfEPKS1_S3_PS1_EviT_T9_T10_S5_lS7_S5_lS6_T11_S5_li
		.amdhsa_group_segment_fixed_size 4096
		.amdhsa_private_segment_fixed_size 0
		.amdhsa_kernarg_size 108
		.amdhsa_user_sgpr_count 2
		.amdhsa_user_sgpr_dispatch_ptr 0
		.amdhsa_user_sgpr_queue_ptr 0
		.amdhsa_user_sgpr_kernarg_segment_ptr 1
		.amdhsa_user_sgpr_dispatch_id 0
		.amdhsa_user_sgpr_private_segment_size 0
		.amdhsa_wavefront_size32 1
		.amdhsa_uses_dynamic_stack 0
		.amdhsa_enable_private_segment 0
		.amdhsa_system_sgpr_workgroup_id_x 1
		.amdhsa_system_sgpr_workgroup_id_y 1
		.amdhsa_system_sgpr_workgroup_id_z 1
		.amdhsa_system_sgpr_workgroup_info 0
		.amdhsa_system_vgpr_workitem_id 1
		.amdhsa_next_free_vgpr 71
		.amdhsa_next_free_sgpr 35
		.amdhsa_reserve_vcc 1
		.amdhsa_float_round_mode_32 0
		.amdhsa_float_round_mode_16_64 0
		.amdhsa_float_denorm_mode_32 3
		.amdhsa_float_denorm_mode_16_64 3
		.amdhsa_fp16_overflow 0
		.amdhsa_workgroup_processor_mode 1
		.amdhsa_memory_ordered 1
		.amdhsa_forward_progress 1
		.amdhsa_inst_pref_size 26
		.amdhsa_round_robin_scheduling 0
		.amdhsa_exception_fp_ieee_invalid_op 0
		.amdhsa_exception_fp_denorm_src 0
		.amdhsa_exception_fp_ieee_div_zero 0
		.amdhsa_exception_fp_ieee_overflow 0
		.amdhsa_exception_fp_ieee_underflow 0
		.amdhsa_exception_fp_ieee_inexact 0
		.amdhsa_exception_int_div_zero 0
	.end_amdhsa_kernel
	.section	.text._ZL29rocblas_internal_gemmt_kernelIlLi16ELi32ELi8ELc67ELc84ELc76ELb1ELb0E19rocblas_complex_numIfEPKS1_S3_PS1_EviT_T9_T10_S5_lS7_S5_lS6_T11_S5_li,"axG",@progbits,_ZL29rocblas_internal_gemmt_kernelIlLi16ELi32ELi8ELc67ELc84ELc76ELb1ELb0E19rocblas_complex_numIfEPKS1_S3_PS1_EviT_T9_T10_S5_lS7_S5_lS6_T11_S5_li,comdat
.Lfunc_end232:
	.size	_ZL29rocblas_internal_gemmt_kernelIlLi16ELi32ELi8ELc67ELc84ELc76ELb1ELb0E19rocblas_complex_numIfEPKS1_S3_PS1_EviT_T9_T10_S5_lS7_S5_lS6_T11_S5_li, .Lfunc_end232-_ZL29rocblas_internal_gemmt_kernelIlLi16ELi32ELi8ELc67ELc84ELc76ELb1ELb0E19rocblas_complex_numIfEPKS1_S3_PS1_EviT_T9_T10_S5_lS7_S5_lS6_T11_S5_li
                                        ; -- End function
	.set _ZL29rocblas_internal_gemmt_kernelIlLi16ELi32ELi8ELc67ELc84ELc76ELb1ELb0E19rocblas_complex_numIfEPKS1_S3_PS1_EviT_T9_T10_S5_lS7_S5_lS6_T11_S5_li.num_vgpr, 71
	.set _ZL29rocblas_internal_gemmt_kernelIlLi16ELi32ELi8ELc67ELc84ELc76ELb1ELb0E19rocblas_complex_numIfEPKS1_S3_PS1_EviT_T9_T10_S5_lS7_S5_lS6_T11_S5_li.num_agpr, 0
	.set _ZL29rocblas_internal_gemmt_kernelIlLi16ELi32ELi8ELc67ELc84ELc76ELb1ELb0E19rocblas_complex_numIfEPKS1_S3_PS1_EviT_T9_T10_S5_lS7_S5_lS6_T11_S5_li.numbered_sgpr, 35
	.set _ZL29rocblas_internal_gemmt_kernelIlLi16ELi32ELi8ELc67ELc84ELc76ELb1ELb0E19rocblas_complex_numIfEPKS1_S3_PS1_EviT_T9_T10_S5_lS7_S5_lS6_T11_S5_li.num_named_barrier, 0
	.set _ZL29rocblas_internal_gemmt_kernelIlLi16ELi32ELi8ELc67ELc84ELc76ELb1ELb0E19rocblas_complex_numIfEPKS1_S3_PS1_EviT_T9_T10_S5_lS7_S5_lS6_T11_S5_li.private_seg_size, 0
	.set _ZL29rocblas_internal_gemmt_kernelIlLi16ELi32ELi8ELc67ELc84ELc76ELb1ELb0E19rocblas_complex_numIfEPKS1_S3_PS1_EviT_T9_T10_S5_lS7_S5_lS6_T11_S5_li.uses_vcc, 1
	.set _ZL29rocblas_internal_gemmt_kernelIlLi16ELi32ELi8ELc67ELc84ELc76ELb1ELb0E19rocblas_complex_numIfEPKS1_S3_PS1_EviT_T9_T10_S5_lS7_S5_lS6_T11_S5_li.uses_flat_scratch, 0
	.set _ZL29rocblas_internal_gemmt_kernelIlLi16ELi32ELi8ELc67ELc84ELc76ELb1ELb0E19rocblas_complex_numIfEPKS1_S3_PS1_EviT_T9_T10_S5_lS7_S5_lS6_T11_S5_li.has_dyn_sized_stack, 0
	.set _ZL29rocblas_internal_gemmt_kernelIlLi16ELi32ELi8ELc67ELc84ELc76ELb1ELb0E19rocblas_complex_numIfEPKS1_S3_PS1_EviT_T9_T10_S5_lS7_S5_lS6_T11_S5_li.has_recursion, 0
	.set _ZL29rocblas_internal_gemmt_kernelIlLi16ELi32ELi8ELc67ELc84ELc76ELb1ELb0E19rocblas_complex_numIfEPKS1_S3_PS1_EviT_T9_T10_S5_lS7_S5_lS6_T11_S5_li.has_indirect_call, 0
	.section	.AMDGPU.csdata,"",@progbits
; Kernel info:
; codeLenInByte = 3276
; TotalNumSgprs: 37
; NumVgprs: 71
; ScratchSize: 0
; MemoryBound: 0
; FloatMode: 240
; IeeeMode: 1
; LDSByteSize: 4096 bytes/workgroup (compile time only)
; SGPRBlocks: 0
; VGPRBlocks: 8
; NumSGPRsForWavesPerEU: 37
; NumVGPRsForWavesPerEU: 71
; Occupancy: 16
; WaveLimiterHint : 0
; COMPUTE_PGM_RSRC2:SCRATCH_EN: 0
; COMPUTE_PGM_RSRC2:USER_SGPR: 2
; COMPUTE_PGM_RSRC2:TRAP_HANDLER: 0
; COMPUTE_PGM_RSRC2:TGID_X_EN: 1
; COMPUTE_PGM_RSRC2:TGID_Y_EN: 1
; COMPUTE_PGM_RSRC2:TGID_Z_EN: 1
; COMPUTE_PGM_RSRC2:TIDIG_COMP_CNT: 1
	.section	.text._ZL29rocblas_internal_gemmt_kernelIlLi16ELi32ELi8ELc67ELc67ELc76ELb1ELb1E19rocblas_complex_numIfEPKS1_S3_PS1_EviT_T9_T10_S5_lS7_S5_lS6_T11_S5_li,"axG",@progbits,_ZL29rocblas_internal_gemmt_kernelIlLi16ELi32ELi8ELc67ELc67ELc76ELb1ELb1E19rocblas_complex_numIfEPKS1_S3_PS1_EviT_T9_T10_S5_lS7_S5_lS6_T11_S5_li,comdat
	.globl	_ZL29rocblas_internal_gemmt_kernelIlLi16ELi32ELi8ELc67ELc67ELc76ELb1ELb1E19rocblas_complex_numIfEPKS1_S3_PS1_EviT_T9_T10_S5_lS7_S5_lS6_T11_S5_li ; -- Begin function _ZL29rocblas_internal_gemmt_kernelIlLi16ELi32ELi8ELc67ELc67ELc76ELb1ELb1E19rocblas_complex_numIfEPKS1_S3_PS1_EviT_T9_T10_S5_lS7_S5_lS6_T11_S5_li
	.p2align	8
	.type	_ZL29rocblas_internal_gemmt_kernelIlLi16ELi32ELi8ELc67ELc67ELc76ELb1ELb1E19rocblas_complex_numIfEPKS1_S3_PS1_EviT_T9_T10_S5_lS7_S5_lS6_T11_S5_li,@function
_ZL29rocblas_internal_gemmt_kernelIlLi16ELi32ELi8ELc67ELc67ELc76ELb1ELb1E19rocblas_complex_numIfEPKS1_S3_PS1_EviT_T9_T10_S5_lS7_S5_lS6_T11_S5_li: ; @_ZL29rocblas_internal_gemmt_kernelIlLi16ELi32ELi8ELc67ELc67ELc76ELb1ELb1E19rocblas_complex_numIfEPKS1_S3_PS1_EviT_T9_T10_S5_lS7_S5_lS6_T11_S5_li
; %bb.0:
	s_load_b256 s[24:31], s[0:1], 0x48
	s_wait_kmcnt 0x0
	s_load_b64 s[6:7], s[24:25], 0x0
	s_load_b512 s[8:23], s[0:1], 0x8
	s_wait_kmcnt 0x0
	s_cmp_eq_f32 s6, 1.0
	s_load_b64 s[10:11], s[10:11], 0x0
	s_cselect_b32 s2, -1, 0
	s_and_b32 s3, s7, 0x7fffffff
	s_delay_alu instid0(SALU_CYCLE_1) | instskip(SKIP_1) | instid1(SALU_CYCLE_1)
	s_cmp_eq_u32 s3, 0
	s_cselect_b32 s33, -1, 0
	s_and_b32 s3, s2, s33
	s_mov_b32 s2, 0
	s_and_not1_b32 vcc_lo, exec_lo, s3
	s_mov_b32 s3, -1
	s_cbranch_vccnz .LBB233_4
; %bb.1:
	s_cmp_lg_u64 s[8:9], 0
	s_cbranch_scc0 .LBB233_3
; %bb.2:
	s_wait_kmcnt 0x0
	s_cmp_neq_f32 s10, 0
	s_cselect_b32 s2, -1, 0
	s_cmp_neq_f32 s11, 0
	s_cselect_b32 s3, -1, 0
	s_delay_alu instid0(SALU_CYCLE_1)
	s_or_b32 s2, s2, s3
.LBB233_3:
	s_delay_alu instid0(SALU_CYCLE_1)
	s_mov_b32 s3, s2
.LBB233_4:
	s_delay_alu instid0(SALU_CYCLE_1)
	s_and_b32 vcc_lo, exec_lo, s3
	s_cbranch_vccz .LBB233_42
; %bb.5:
	s_load_b32 s5, s[0:1], 0x68
	s_lshr_b32 s24, ttmp7, 16
	s_wait_kmcnt 0x0
	s_cmp_ge_u32 s24, s5
	s_cbranch_scc1 .LBB233_42
; %bb.6:
	v_and_b32_e32 v7, 0x3ff, v0
	v_bfe_u32 v8, v0, 10, 10
	s_load_b32 s4, s[0:1], 0x0
	s_lshl_b32 s2, ttmp9, 5
	s_lshl_b32 s0, ttmp7, 5
	v_and_b32_e32 v14, 7, v0
	v_lshl_add_u32 v2, v8, 4, v7
	s_and_b32 s0, s0, 0x1fffe0
	s_cmp_neq_f32 s10, 0
	v_add_nc_u32_e32 v11, s0, v8
	v_lshl_add_u32 v23, v8, 6, 0x800
	v_and_b32_e32 v3, 31, v2
	s_cselect_b32 s1, -1, 0
	s_cmp_neq_f32 s11, 0
	v_lshrrev_b32_e32 v9, 3, v2
	v_lshrrev_b32_e32 v15, 5, v2
	v_or_b32_e32 v4, s2, v3
	s_cselect_b32 s3, -1, 0
	v_lshlrev_b32_e32 v3, 3, v3
	v_add_nc_u32_e32 v2, s0, v9
	v_add_nc_u32_e32 v12, 16, v11
	v_mul_lo_u32 v6, s15, v4
	v_mad_co_u64_u32 v[0:1], null, s14, v4, 0
	s_ashr_i32 s15, s2, 31
	v_lshl_or_b32 v16, v15, 8, v3
	s_wait_alu 0xfffe
	s_mul_i32 s14, s14, s15
	s_or_b32 s15, s1, s3
	s_wait_kmcnt 0x0
	v_cmp_gt_i32_e32 vcc_lo, s4, v2
	v_cmp_gt_i32_e64 s0, s4, v4
	s_wait_alu 0xfffe
	v_add3_u32 v1, v1, s14, v6
	v_cmp_le_i32_e64 s14, s4, v4
	s_cmp_neq_f32 s6, 0
	v_cmp_gt_i64_e64 s34, s[8:9], 0
	s_mov_b32 s25, 0
	v_lshlrev_b64_e32 v[0:1], 3, v[0:1]
	s_delay_alu instid0(VALU_DEP_1) | instskip(SKIP_1) | instid1(VALU_DEP_2)
	v_add_co_u32 v18, s1, s12, v0
	s_wait_alu 0xf1ff
	v_add_co_ci_u32_e64 v19, null, s13, v1, s1
	v_mov_b32_e32 v1, 0
	v_lshlrev_b32_e32 v5, 3, v14
	v_lshlrev_b32_e32 v0, 3, v2
	v_mad_co_u64_u32 v[2:3], null, s28, v11, 0
	s_delay_alu instid0(VALU_DEP_3) | instskip(NEXT) | instid1(VALU_DEP_3)
	v_lshl_or_b32 v5, v9, 6, v5
	v_add_co_u32 v20, s1, s18, v0
	s_wait_alu 0xf1ff
	v_add_co_ci_u32_e64 v21, null, s19, 0, s1
	s_delay_alu instid0(VALU_DEP_3)
	v_add_nc_u32_e32 v17, 0x800, v5
	v_mad_co_u64_u32 v[4:5], null, s28, v12, 0
	v_mov_b32_e32 v0, v3
	v_add_nc_u32_e32 v6, s2, v7
	v_lshlrev_b32_e32 v22, 3, v7
	s_cselect_b32 s18, -1, 0
	s_xor_b32 s19, s33, -1
	v_mad_co_u64_u32 v[9:10], null, s29, v11, v[0:1]
	v_add_nc_u32_e32 v8, 16, v6
	v_mov_b32_e32 v0, v5
	v_cmp_le_i32_e64 s1, v11, v6
	v_cmp_gt_i32_e64 s2, s4, v6
	v_ashrrev_i32_e32 v7, 31, v6
	v_cmp_le_i32_e64 s3, v11, v8
	v_mad_co_u64_u32 v[10:11], null, s29, v12, v[0:1]
	v_cmp_gt_i32_e64 s4, s4, v8
	v_mov_b32_e32 v3, v9
	v_ashrrev_i32_e32 v9, 31, v8
	s_and_b32 s12, s1, s2
	v_cmp_le_i32_e64 s1, v12, v6
	s_and_b32 s13, s3, s4
	v_mov_b32_e32 v5, v10
	v_cmp_le_i32_e64 s3, v12, v8
	v_lshlrev_b64_e32 v[2:3], 3, v[2:3]
	v_lshlrev_b64_e32 v[6:7], 3, v[6:7]
	;; [unrolled: 1-line block ×4, first 2 shown]
	s_and_b32 s15, s15, s34
	s_wait_alu 0xfffe
	s_or_b32 s18, s18, s19
	s_and_b32 s1, s1, s2
	s_and_b32 s4, s3, s4
	s_xor_b32 s19, vcc_lo, -1
                                        ; implicit-def: $vgpr10_vgpr11
	s_branch .LBB233_8
.LBB233_7:                              ;   in Loop: Header=BB233_8 Depth=1
	s_wait_alu 0xfffe
	s_or_b32 exec_lo, exec_lo, s2
	s_add_co_i32 s24, s24, 0x10000
	s_delay_alu instid0(SALU_CYCLE_1)
	s_cmp_lt_u32 s24, s5
	s_cbranch_scc0 .LBB233_42
.LBB233_8:                              ; =>This Loop Header: Depth=1
                                        ;     Child Loop BB233_11 Depth 2
	s_and_not1_b32 vcc_lo, exec_lo, s15
	s_wait_alu 0xfffe
	s_cbranch_vccnz .LBB233_21
; %bb.9:                                ;   in Loop: Header=BB233_8 Depth=1
	s_mul_u64 s[2:3], s[16:17], s[24:25]
	s_mul_u64 s[28:29], s[22:23], s[24:25]
	s_wait_alu 0xfffe
	s_lshl_b64 s[2:3], s[2:3], 3
	v_dual_mov_b32 v26, 0 :: v_dual_mov_b32 v27, 0
	s_wait_alu 0xfffe
	v_add_co_u32 v12, vcc_lo, v18, s2
	s_wait_alu 0xfffd
	v_add_co_ci_u32_e64 v13, null, s3, v19, vcc_lo
	s_lshl_b64 s[2:3], s[28:29], 3
	v_dual_mov_b32 v29, 0 :: v_dual_mov_b32 v28, 0
	s_wait_alu 0xfffe
	v_add_co_u32 v24, vcc_lo, v20, s2
	s_wait_alu 0xfffd
	v_add_co_ci_u32_e64 v25, null, s3, v21, vcc_lo
	v_dual_mov_b32 v31, 0 :: v_dual_mov_b32 v30, 0
	v_dual_mov_b32 v33, 0 :: v_dual_mov_b32 v32, 0
	s_mov_b64 s[2:3], 0
	s_branch .LBB233_11
.LBB233_10:                             ;   in Loop: Header=BB233_11 Depth=2
	s_or_b32 exec_lo, exec_lo, s28
	ds_store_b32 v17, v34 offset:4
	s_wait_dscnt 0x0
	s_barrier_signal -1
	s_barrier_wait -1
	global_inv scope:SCOPE_SE
	ds_load_b128 v[34:37], v23
	ds_load_2addr_b64 v[38:41], v22 offset1:16
	ds_load_b128 v[42:45], v23 offset:1024
	ds_load_b128 v[46:49], v23 offset:16
	;; [unrolled: 1-line block ×4, first 2 shown]
	ds_load_2addr_b64 v[58:61], v22 offset0:32 offset1:48
	ds_load_b128 v[62:65], v23 offset:1040
	s_add_nc_u64 s[2:3], s[2:3], 8
	s_wait_alu 0xfffe
	v_cmp_gt_i64_e64 s28, s[8:9], s[2:3]
	s_and_b32 vcc_lo, exec_lo, s28
	s_wait_dscnt 0x6
	v_mul_f32_e32 v0, v35, v39
	v_dual_mul_f32 v66, v34, v39 :: v_dual_mul_f32 v67, v35, v41
	s_wait_dscnt 0x5
	v_dual_mul_f32 v68, v34, v41 :: v_dual_mul_f32 v69, v43, v39
	v_dual_mul_f32 v39, v42, v39 :: v_dual_mul_f32 v70, v43, v41
	v_mul_f32_e32 v41, v42, v41
	v_fma_f32 v0, v34, v38, -v0
	v_fma_f32 v34, v34, v40, -v67
	s_delay_alu instid0(VALU_DEP_4)
	v_fmac_f32_e32 v39, v43, v38
	v_fmac_f32_e32 v68, v35, v40
	;; [unrolled: 1-line block ×3, first 2 shown]
	v_add_f32_e32 v0, v32, v0
	v_fmac_f32_e32 v66, v35, v38
	v_fma_f32 v35, v42, v38, -v69
	s_delay_alu instid0(VALU_DEP_2)
	v_add_f32_e32 v32, v33, v66
	v_add_f32_e32 v33, v30, v34
	v_fma_f32 v30, v42, v40, -v70
	s_wait_dscnt 0x1
	v_mul_f32_e32 v38, v37, v59
	v_add_f32_e32 v34, v28, v35
	v_dual_add_f32 v35, v29, v39 :: v_dual_add_f32 v26, v26, v41
	v_add_f32_e32 v39, v27, v30
	ds_load_2addr_b64 v[27:30], v22 offset0:64 offset1:80
	v_fma_f32 v38, v36, v58, -v38
	v_mul_f32_e32 v42, v37, v61
	v_mul_f32_e32 v41, v36, v61
	s_delay_alu instid0(VALU_DEP_3) | instskip(SKIP_1) | instid1(VALU_DEP_3)
	v_dual_add_f32 v31, v31, v68 :: v_dual_add_f32 v0, v0, v38
	v_mul_f32_e32 v38, v45, v59
	v_dual_mul_f32 v40, v36, v59 :: v_dual_fmac_f32 v41, v37, v60
	v_fma_f32 v36, v36, v60, -v42
	s_delay_alu instid0(VALU_DEP_2) | instskip(SKIP_1) | instid1(VALU_DEP_3)
	v_fmac_f32_e32 v40, v37, v58
	v_mul_f32_e32 v37, v45, v61
	v_add_f32_e32 v36, v33, v36
	v_fma_f32 v33, v44, v58, -v38
	v_add_f32_e32 v38, v31, v41
	v_mul_f32_e32 v41, v44, v61
	v_fma_f32 v31, v44, v60, -v37
	v_add_f32_e32 v40, v32, v40
	v_mul_f32_e32 v32, v44, v59
	s_wait_dscnt 0x0
	v_dual_add_f32 v42, v34, v33 :: v_dual_mul_f32 v33, v47, v28
	v_fmac_f32_e32 v41, v45, v60
	s_delay_alu instid0(VALU_DEP_3) | instskip(SKIP_1) | instid1(VALU_DEP_4)
	v_dual_mul_f32 v37, v46, v28 :: v_dual_fmac_f32 v32, v45, v58
	v_add_f32_e32 v39, v39, v31
	v_fma_f32 v43, v46, v27, -v33
	s_delay_alu instid0(VALU_DEP_3) | instskip(NEXT) | instid1(VALU_DEP_4)
	v_fmac_f32_e32 v37, v47, v27
	v_add_f32_e32 v35, v35, v32
	ds_load_2addr_b64 v[31:34], v22 offset0:96 offset1:112
	v_mul_f32_e32 v44, v47, v30
	v_add_f32_e32 v0, v0, v43
	v_dual_add_f32 v37, v40, v37 :: v_dual_mul_f32 v40, v63, v28
	v_mul_f32_e32 v28, v62, v28
	s_delay_alu instid0(VALU_DEP_4)
	v_fma_f32 v43, v46, v29, -v44
	v_add_f32_e32 v41, v26, v41
	v_mul_f32_e32 v26, v46, v30
	v_fma_f32 v40, v62, v27, -v40
	v_fmac_f32_e32 v28, v63, v27
	v_dual_add_f32 v36, v36, v43 :: v_dual_mul_f32 v43, v63, v30
	v_mul_f32_e32 v30, v62, v30
	s_delay_alu instid0(VALU_DEP_4) | instskip(NEXT) | instid1(VALU_DEP_4)
	v_add_f32_e32 v40, v42, v40
	v_add_f32_e32 v42, v35, v28
	s_wait_dscnt 0x0
	s_delay_alu instid0(VALU_DEP_3) | instskip(NEXT) | instid1(VALU_DEP_1)
	v_dual_fmac_f32 v30, v63, v29 :: v_dual_mul_f32 v35, v49, v32
	v_add_f32_e32 v41, v41, v30
	s_delay_alu instid0(VALU_DEP_2) | instskip(NEXT) | instid1(VALU_DEP_1)
	v_fma_f32 v35, v48, v31, -v35
	v_dual_add_f32 v0, v0, v35 :: v_dual_mul_f32 v35, v65, v32
	v_dual_fmac_f32 v26, v47, v29 :: v_dual_mul_f32 v47, v65, v34
	s_delay_alu instid0(VALU_DEP_2) | instskip(NEXT) | instid1(VALU_DEP_2)
	v_fma_f32 v46, v64, v31, -v35
	v_add_f32_e32 v44, v38, v26
	v_fma_f32 v26, v62, v29, -v43
	v_dual_mul_f32 v38, v48, v32 :: v_dual_mul_f32 v43, v49, v34
	s_delay_alu instid0(VALU_DEP_2) | instskip(SKIP_3) | instid1(VALU_DEP_2)
	v_dual_mul_f32 v32, v64, v32 :: v_dual_add_f32 v39, v39, v26
	ds_load_2addr_b64 v[26:29], v22 offset0:128 offset1:144
	v_fmac_f32_e32 v38, v49, v31
	v_fma_f32 v43, v48, v33, -v43
	v_add_f32_e32 v45, v37, v38
	s_delay_alu instid0(VALU_DEP_2) | instskip(SKIP_4) | instid1(VALU_DEP_2)
	v_add_f32_e32 v43, v36, v43
	ds_load_b128 v[35:38], v23 offset:1056
	v_mul_f32_e32 v30, v48, v34
	v_fmac_f32_e32 v32, v65, v31
	s_wait_dscnt 0x1
	v_dual_fmac_f32 v30, v49, v33 :: v_dual_mul_f32 v49, v50, v27
	s_delay_alu instid0(VALU_DEP_1) | instskip(SKIP_2) | instid1(VALU_DEP_4)
	v_dual_mul_f32 v31, v51, v27 :: v_dual_add_f32 v44, v44, v30
	v_fma_f32 v30, v64, v33, -v47
	v_add_f32_e32 v47, v42, v32
	v_fmac_f32_e32 v49, v51, v26
	s_delay_alu instid0(VALU_DEP_3) | instskip(SKIP_1) | instid1(VALU_DEP_3)
	v_add_f32_e32 v48, v39, v30
	v_fma_f32 v39, v50, v26, -v31
	v_dual_add_f32 v45, v45, v49 :: v_dual_mul_f32 v34, v64, v34
	s_delay_alu instid0(VALU_DEP_2) | instskip(NEXT) | instid1(VALU_DEP_2)
	v_add_f32_e32 v0, v0, v39
	v_fmac_f32_e32 v34, v65, v33
	ds_load_2addr_b64 v[30:33], v22 offset0:160 offset1:176
	v_add_f32_e32 v46, v40, v46
	v_mul_f32_e32 v40, v51, v29
	s_delay_alu instid0(VALU_DEP_1) | instskip(NEXT) | instid1(VALU_DEP_1)
	v_fma_f32 v58, v50, v28, -v40
	v_dual_mul_f32 v50, v50, v29 :: v_dual_add_f32 v43, v43, v58
	s_delay_alu instid0(VALU_DEP_1)
	v_fmac_f32_e32 v50, v51, v28
	v_add_f32_e32 v34, v41, v34
	ds_load_b128 v[39:42], v23 offset:1072
	s_wait_dscnt 0x2
	v_mul_f32_e32 v59, v36, v27
	v_dual_mul_f32 v27, v35, v27 :: v_dual_add_f32 v44, v44, v50
	v_mul_f32_e32 v50, v35, v29
	v_mul_f32_e32 v51, v36, v29
	s_delay_alu instid0(VALU_DEP_4) | instskip(NEXT) | instid1(VALU_DEP_4)
	v_fma_f32 v49, v35, v26, -v59
	v_fmac_f32_e32 v27, v36, v26
	s_delay_alu instid0(VALU_DEP_4)
	v_fmac_f32_e32 v50, v36, v28
	s_wait_dscnt 0x1
	v_mul_f32_e32 v36, v52, v31
	v_fma_f32 v26, v35, v28, -v51
	v_add_f32_e32 v35, v47, v27
	v_mul_f32_e32 v47, v53, v31
	s_delay_alu instid0(VALU_DEP_4) | instskip(NEXT) | instid1(VALU_DEP_2)
	v_fmac_f32_e32 v36, v53, v30
	v_fma_f32 v47, v52, v30, -v47
	s_delay_alu instid0(VALU_DEP_2) | instskip(SKIP_1) | instid1(VALU_DEP_3)
	v_dual_add_f32 v45, v45, v36 :: v_dual_mul_f32 v36, v38, v31
	v_dual_mul_f32 v31, v37, v31 :: v_dual_add_f32 v46, v46, v49
	v_dual_mul_f32 v49, v53, v33 :: v_dual_add_f32 v0, v0, v47
	s_delay_alu instid0(VALU_DEP_3) | instskip(NEXT) | instid1(VALU_DEP_3)
	v_fma_f32 v36, v37, v30, -v36
	v_dual_fmac_f32 v31, v38, v30 :: v_dual_mul_f32 v30, v37, v33
	s_delay_alu instid0(VALU_DEP_3) | instskip(NEXT) | instid1(VALU_DEP_2)
	v_fma_f32 v47, v52, v32, -v49
	v_dual_add_f32 v31, v35, v31 :: v_dual_fmac_f32 v30, v38, v32
	s_delay_alu instid0(VALU_DEP_2)
	v_add_f32_e32 v43, v43, v47
	v_dual_mul_f32 v47, v38, v33 :: v_dual_add_f32 v48, v48, v26
	ds_load_2addr_b64 v[26:29], v22 offset0:192 offset1:208
	v_add_f32_e32 v50, v34, v50
	v_mul_f32_e32 v34, v52, v33
	v_fma_f32 v33, v37, v32, -v47
	s_wait_dscnt 0x0
	s_delay_alu instid0(VALU_DEP_2) | instskip(NEXT) | instid1(VALU_DEP_1)
	v_dual_fmac_f32 v34, v53, v32 :: v_dual_mul_f32 v47, v55, v29
	v_fma_f32 v47, v54, v28, -v47
	s_delay_alu instid0(VALU_DEP_1) | instskip(SKIP_3) | instid1(VALU_DEP_3)
	v_dual_add_f32 v43, v43, v47 :: v_dual_add_f32 v32, v48, v33
	v_mul_f32_e32 v33, v54, v27
	v_mul_f32_e32 v48, v40, v27
	;; [unrolled: 1-line block ×3, first 2 shown]
	v_dual_fmac_f32 v33, v55, v26 :: v_dual_add_f32 v46, v46, v36
	s_delay_alu instid0(VALU_DEP_1) | instskip(SKIP_3) | instid1(VALU_DEP_3)
	v_dual_add_f32 v33, v45, v33 :: v_dual_add_f32 v44, v44, v34
	v_mul_f32_e32 v34, v55, v27
	v_mul_f32_e32 v27, v39, v27
	v_fma_f32 v45, v39, v26, -v48
	v_fma_f32 v38, v54, v26, -v34
	ds_load_2addr_b64 v[34:37], v22 offset0:224 offset1:240
	v_fmac_f32_e32 v27, v40, v26
	s_wait_loadcnt_dscnt 0x0
	s_barrier_signal -1
	v_add_f32_e32 v0, v0, v38
	s_barrier_wait -1
	v_dual_add_f32 v27, v31, v27 :: v_dual_mul_f32 v38, v54, v29
	v_mul_f32_e32 v29, v39, v29
	v_fma_f32 v39, v39, v28, -v47
	v_add_f32_e32 v30, v50, v30
	global_inv scope:SCOPE_SE
	v_fmac_f32_e32 v38, v55, v28
	v_fmac_f32_e32 v29, v40, v28
	s_delay_alu instid0(VALU_DEP_1) | instskip(SKIP_4) | instid1(VALU_DEP_4)
	v_dual_add_f32 v39, v32, v39 :: v_dual_add_f32 v40, v30, v29
	v_mul_f32_e32 v31, v57, v35
	v_mul_f32_e32 v32, v57, v37
	;; [unrolled: 1-line block ×4, first 2 shown]
	v_fma_f32 v31, v56, v34, -v31
	s_delay_alu instid0(VALU_DEP_4) | instskip(NEXT) | instid1(VALU_DEP_4)
	v_fma_f32 v30, v56, v36, -v32
	v_fmac_f32_e32 v28, v57, v34
	s_delay_alu instid0(VALU_DEP_4) | instskip(NEXT) | instid1(VALU_DEP_4)
	v_dual_fmac_f32 v29, v57, v36 :: v_dual_add_f32 v26, v44, v38
	v_add_f32_e32 v32, v0, v31
	v_mul_f32_e32 v0, v42, v35
	v_add_f32_e32 v38, v46, v45
	v_dual_add_f32 v30, v43, v30 :: v_dual_mul_f32 v35, v41, v35
	v_mul_f32_e32 v43, v42, v37
	s_delay_alu instid0(VALU_DEP_4)
	v_fma_f32 v0, v41, v34, -v0
	v_mul_f32_e32 v37, v41, v37
	v_add_f32_e32 v33, v33, v28
	v_fmac_f32_e32 v35, v42, v34
	v_add_f32_e32 v31, v26, v29
	v_add_f32_e32 v28, v38, v0
	v_fma_f32 v0, v41, v36, -v43
	v_fmac_f32_e32 v37, v42, v36
	v_add_f32_e32 v29, v27, v35
	s_delay_alu instid0(VALU_DEP_2)
	v_dual_add_f32 v27, v39, v0 :: v_dual_add_f32 v26, v40, v37
	s_wait_alu 0xfffe
	s_cbranch_vccz .LBB233_22
.LBB233_11:                             ;   Parent Loop BB233_8 Depth=1
                                        ; =>  This Inner Loop Header: Depth=2
	s_mov_b32 s28, 0
	s_mov_b32 s33, s14
	s_and_saveexec_b32 s29, s0
	s_cbranch_execnz .LBB233_19
; %bb.12:                               ;   in Loop: Header=BB233_11 Depth=2
	s_wait_alu 0xfffe
	s_or_b32 exec_lo, exec_lo, s29
	s_and_saveexec_b32 s29, s33
	s_wait_alu 0xfffe
	s_xor_b32 s29, exec_lo, s29
	s_cbranch_execnz .LBB233_20
.LBB233_13:                             ;   in Loop: Header=BB233_11 Depth=2
	s_wait_alu 0xfffe
	s_or_b32 exec_lo, exec_lo, s29
	v_mov_b32_e32 v34, 0
	s_and_saveexec_b32 s29, s28
	s_cbranch_execz .LBB233_15
.LBB233_14:                             ;   in Loop: Header=BB233_11 Depth=2
	v_lshlrev_b64_e32 v[34:35], 3, v[10:11]
	s_delay_alu instid0(VALU_DEP_1) | instskip(SKIP_1) | instid1(VALU_DEP_2)
	v_add_co_u32 v34, vcc_lo, v12, v34
	s_wait_alu 0xfffd
	v_add_co_ci_u32_e64 v35, null, v13, v35, vcc_lo
	global_load_b64 v[35:36], v[34:35], off
	s_wait_loadcnt 0x0
	v_xor_b32_e32 v34, 0x80000000, v36
	ds_store_b32 v16, v35
.LBB233_15:                             ;   in Loop: Header=BB233_11 Depth=2
	s_wait_alu 0xfffe
	s_or_b32 exec_lo, exec_lo, s29
	v_add_nc_u32_e32 v0, s2, v14
	ds_store_b32 v16, v34 offset:4
	v_cmp_le_u64_e32 vcc_lo, s[8:9], v[0:1]
	s_or_b32 s28, vcc_lo, s19
	s_wait_alu 0xfffe
	s_and_saveexec_b32 s29, s28
	s_wait_alu 0xfffe
	s_xor_b32 s28, exec_lo, s29
; %bb.16:                               ;   in Loop: Header=BB233_11 Depth=2
	ds_store_b32 v17, v1
; %bb.17:                               ;   in Loop: Header=BB233_11 Depth=2
	s_wait_alu 0xfffe
	s_or_saveexec_b32 s28, s28
	v_mov_b32_e32 v34, 0
	s_wait_alu 0xfffe
	s_xor_b32 exec_lo, exec_lo, s28
	s_cbranch_execz .LBB233_10
; %bb.18:                               ;   in Loop: Header=BB233_11 Depth=2
	v_mad_co_u64_u32 v[34:35], null, s20, v0, 0
	s_delay_alu instid0(VALU_DEP_1) | instskip(NEXT) | instid1(VALU_DEP_1)
	v_mad_co_u64_u32 v[35:36], null, s21, v0, v[35:36]
	v_lshlrev_b64_e32 v[34:35], 3, v[34:35]
	s_delay_alu instid0(VALU_DEP_1) | instskip(SKIP_1) | instid1(VALU_DEP_2)
	v_add_co_u32 v34, vcc_lo, v24, v34
	s_wait_alu 0xfffd
	v_add_co_ci_u32_e64 v35, null, v25, v35, vcc_lo
	global_load_b64 v[35:36], v[34:35], off
	s_wait_loadcnt 0x0
	v_xor_b32_e32 v34, 0x80000000, v36
	ds_store_b32 v17, v35
	s_branch .LBB233_10
.LBB233_19:                             ;   in Loop: Header=BB233_11 Depth=2
	s_wait_alu 0xfffe
	v_add_nc_u32_e32 v0, s2, v15
	v_mov_b32_e32 v11, v1
	s_and_not1_b32 s33, s14, exec_lo
	s_mov_b32 s28, exec_lo
	s_delay_alu instid0(VALU_DEP_2) | instskip(SKIP_2) | instid1(SALU_CYCLE_1)
	v_cmp_le_u64_e32 vcc_lo, s[8:9], v[0:1]
	v_mov_b32_e32 v10, v0
	s_and_b32 s34, vcc_lo, exec_lo
	s_or_b32 s33, s33, s34
	s_or_b32 exec_lo, exec_lo, s29
	s_and_saveexec_b32 s29, s33
	s_wait_alu 0xfffe
	s_xor_b32 s29, exec_lo, s29
	s_cbranch_execz .LBB233_13
.LBB233_20:                             ;   in Loop: Header=BB233_11 Depth=2
	s_and_not1_b32 s28, s28, exec_lo
	ds_store_b32 v16, v1
	s_wait_alu 0xfffe
	s_or_b32 exec_lo, exec_lo, s29
	v_mov_b32_e32 v34, 0
	s_and_saveexec_b32 s29, s28
	s_cbranch_execnz .LBB233_14
	s_branch .LBB233_15
.LBB233_21:                             ;   in Loop: Header=BB233_8 Depth=1
	v_dual_mov_b32 v32, v1 :: v_dual_mov_b32 v33, v1
	v_dual_mov_b32 v30, v1 :: v_dual_mov_b32 v31, v1
	;; [unrolled: 1-line block ×4, first 2 shown]
.LBB233_22:                             ;   in Loop: Header=BB233_8 Depth=1
	s_mul_u64 s[2:3], s[30:31], s[24:25]
	s_wait_alu 0xfffe
	s_lshl_b64 s[2:3], s[2:3], 3
	s_wait_alu 0xfffe
	s_add_nc_u64 s[2:3], s[26:27], s[2:3]
	s_wait_alu 0xfffe
	v_add_co_u32 v0, vcc_lo, s2, v2
	s_wait_alu 0xfffd
	v_add_co_ci_u32_e64 v24, null, s3, v3, vcc_lo
	s_and_saveexec_b32 s28, s12
	s_cbranch_execz .LBB233_27
; %bb.23:                               ;   in Loop: Header=BB233_8 Depth=1
	v_mul_f32_e32 v13, s10, v33
	v_mul_f32_e32 v12, s11, v33
	s_and_b32 vcc_lo, exec_lo, s18
	s_mov_b32 s29, -1
	s_delay_alu instid0(VALU_DEP_2) | instskip(NEXT) | instid1(VALU_DEP_2)
	v_fmac_f32_e32 v13, s11, v32
	v_fma_f32 v12, v32, s10, -v12
	s_wait_alu 0xfffe
	s_cbranch_vccz .LBB233_25
; %bb.24:                               ;   in Loop: Header=BB233_8 Depth=1
	v_add_co_u32 v32, vcc_lo, v0, v6
	s_wait_alu 0xfffd
	v_add_co_ci_u32_e64 v33, null, v24, v7, vcc_lo
	s_mov_b32 s29, 0
	global_load_b64 v[34:35], v[32:33], off
	s_wait_loadcnt 0x0
	v_mul_f32_e32 v25, s7, v35
	s_delay_alu instid0(VALU_DEP_1) | instskip(SKIP_1) | instid1(VALU_DEP_1)
	v_fma_f32 v25, v34, s6, -v25
	v_mul_f32_e32 v35, s6, v35
	v_dual_fmac_f32 v35, s7, v34 :: v_dual_add_f32 v34, v12, v25
	s_delay_alu instid0(VALU_DEP_1)
	v_add_f32_e32 v35, v13, v35
	global_store_b64 v[32:33], v[34:35], off
.LBB233_25:                             ;   in Loop: Header=BB233_8 Depth=1
	s_wait_alu 0xfffe
	s_and_not1_b32 vcc_lo, exec_lo, s29
	s_wait_alu 0xfffe
	s_cbranch_vccnz .LBB233_27
; %bb.26:                               ;   in Loop: Header=BB233_8 Depth=1
	v_add_co_u32 v32, vcc_lo, v0, v6
	s_wait_alu 0xfffd
	v_add_co_ci_u32_e64 v33, null, v24, v7, vcc_lo
	global_store_b64 v[32:33], v[12:13], off
.LBB233_27:                             ;   in Loop: Header=BB233_8 Depth=1
	s_wait_alu 0xfffe
	s_or_b32 exec_lo, exec_lo, s28
	s_and_saveexec_b32 s28, s13
	s_cbranch_execz .LBB233_32
; %bb.28:                               ;   in Loop: Header=BB233_8 Depth=1
	v_mul_f32_e32 v13, s10, v31
	v_mul_f32_e32 v12, s11, v31
	s_and_not1_b32 vcc_lo, exec_lo, s18
	s_mov_b32 s29, -1
	s_delay_alu instid0(VALU_DEP_2) | instskip(NEXT) | instid1(VALU_DEP_2)
	v_fmac_f32_e32 v13, s11, v30
	v_fma_f32 v12, v30, s10, -v12
	s_wait_alu 0xfffe
	s_cbranch_vccnz .LBB233_30
; %bb.29:                               ;   in Loop: Header=BB233_8 Depth=1
	v_add_co_u32 v30, vcc_lo, v0, v8
	s_wait_alu 0xfffd
	v_add_co_ci_u32_e64 v31, null, v24, v9, vcc_lo
	s_mov_b32 s29, 0
	global_load_b64 v[32:33], v[30:31], off
	s_wait_loadcnt 0x0
	v_mul_f32_e32 v25, s7, v33
	v_mul_f32_e32 v33, s6, v33
	s_delay_alu instid0(VALU_DEP_2) | instskip(NEXT) | instid1(VALU_DEP_1)
	v_fma_f32 v25, v32, s6, -v25
	v_dual_fmac_f32 v33, s7, v32 :: v_dual_add_f32 v32, v12, v25
	s_delay_alu instid0(VALU_DEP_1)
	v_add_f32_e32 v33, v13, v33
	global_store_b64 v[30:31], v[32:33], off
.LBB233_30:                             ;   in Loop: Header=BB233_8 Depth=1
	s_wait_alu 0xfffe
	s_and_not1_b32 vcc_lo, exec_lo, s29
	s_wait_alu 0xfffe
	s_cbranch_vccnz .LBB233_32
; %bb.31:                               ;   in Loop: Header=BB233_8 Depth=1
	v_add_co_u32 v30, vcc_lo, v0, v8
	s_wait_alu 0xfffd
	v_add_co_ci_u32_e64 v31, null, v24, v9, vcc_lo
	global_store_b64 v[30:31], v[12:13], off
.LBB233_32:                             ;   in Loop: Header=BB233_8 Depth=1
	s_wait_alu 0xfffe
	s_or_b32 exec_lo, exec_lo, s28
	v_add_co_u32 v0, vcc_lo, s2, v4
	s_wait_alu 0xfffd
	v_add_co_ci_u32_e64 v24, null, s3, v5, vcc_lo
	s_and_saveexec_b32 s2, s1
	s_cbranch_execz .LBB233_37
; %bb.33:                               ;   in Loop: Header=BB233_8 Depth=1
	v_mul_f32_e32 v13, s10, v29
	v_mul_f32_e32 v12, s11, v29
	s_and_not1_b32 vcc_lo, exec_lo, s18
	s_mov_b32 s3, -1
	s_delay_alu instid0(VALU_DEP_2) | instskip(NEXT) | instid1(VALU_DEP_2)
	v_fmac_f32_e32 v13, s11, v28
	v_fma_f32 v12, v28, s10, -v12
	s_wait_alu 0xfffe
	s_cbranch_vccnz .LBB233_35
; %bb.34:                               ;   in Loop: Header=BB233_8 Depth=1
	v_add_co_u32 v28, vcc_lo, v0, v6
	s_wait_alu 0xfffd
	v_add_co_ci_u32_e64 v29, null, v24, v7, vcc_lo
	s_mov_b32 s3, 0
	global_load_b64 v[30:31], v[28:29], off
	s_wait_loadcnt 0x0
	v_mul_f32_e32 v25, s7, v31
	s_delay_alu instid0(VALU_DEP_1) | instskip(SKIP_1) | instid1(VALU_DEP_1)
	v_fma_f32 v25, v30, s6, -v25
	v_mul_f32_e32 v31, s6, v31
	v_dual_fmac_f32 v31, s7, v30 :: v_dual_add_f32 v30, v12, v25
	s_delay_alu instid0(VALU_DEP_1)
	v_add_f32_e32 v31, v13, v31
	global_store_b64 v[28:29], v[30:31], off
.LBB233_35:                             ;   in Loop: Header=BB233_8 Depth=1
	s_wait_alu 0xfffe
	s_and_not1_b32 vcc_lo, exec_lo, s3
	s_wait_alu 0xfffe
	s_cbranch_vccnz .LBB233_37
; %bb.36:                               ;   in Loop: Header=BB233_8 Depth=1
	v_add_co_u32 v28, vcc_lo, v0, v6
	s_wait_alu 0xfffd
	v_add_co_ci_u32_e64 v29, null, v24, v7, vcc_lo
	global_store_b64 v[28:29], v[12:13], off
.LBB233_37:                             ;   in Loop: Header=BB233_8 Depth=1
	s_wait_alu 0xfffe
	s_or_b32 exec_lo, exec_lo, s2
	s_and_saveexec_b32 s2, s4
	s_cbranch_execz .LBB233_7
; %bb.38:                               ;   in Loop: Header=BB233_8 Depth=1
	v_mul_f32_e32 v13, s10, v26
	v_mul_f32_e32 v12, s11, v26
	s_and_not1_b32 vcc_lo, exec_lo, s18
	s_mov_b32 s3, -1
	s_delay_alu instid0(VALU_DEP_2) | instskip(NEXT) | instid1(VALU_DEP_2)
	v_fmac_f32_e32 v13, s11, v27
	v_fma_f32 v12, v27, s10, -v12
	s_wait_alu 0xfffe
	s_cbranch_vccnz .LBB233_40
; %bb.39:                               ;   in Loop: Header=BB233_8 Depth=1
	v_add_co_u32 v25, vcc_lo, v0, v8
	s_wait_alu 0xfffd
	v_add_co_ci_u32_e64 v26, null, v24, v9, vcc_lo
	s_mov_b32 s3, 0
	global_load_b64 v[27:28], v[25:26], off
	s_wait_loadcnt 0x0
	v_mul_f32_e32 v29, s7, v28
	v_mul_f32_e32 v28, s6, v28
	s_delay_alu instid0(VALU_DEP_1) | instskip(NEXT) | instid1(VALU_DEP_3)
	v_fmac_f32_e32 v28, s7, v27
	v_fma_f32 v29, v27, s6, -v29
	s_delay_alu instid0(VALU_DEP_1)
	v_dual_add_f32 v28, v13, v28 :: v_dual_add_f32 v27, v12, v29
	global_store_b64 v[25:26], v[27:28], off
.LBB233_40:                             ;   in Loop: Header=BB233_8 Depth=1
	s_wait_alu 0xfffe
	s_and_not1_b32 vcc_lo, exec_lo, s3
	s_wait_alu 0xfffe
	s_cbranch_vccnz .LBB233_7
; %bb.41:                               ;   in Loop: Header=BB233_8 Depth=1
	v_add_co_u32 v25, vcc_lo, v0, v8
	s_wait_alu 0xfffd
	v_add_co_ci_u32_e64 v26, null, v24, v9, vcc_lo
	global_store_b64 v[25:26], v[12:13], off
	s_branch .LBB233_7
.LBB233_42:
	s_endpgm
	.section	.rodata,"a",@progbits
	.p2align	6, 0x0
	.amdhsa_kernel _ZL29rocblas_internal_gemmt_kernelIlLi16ELi32ELi8ELc67ELc67ELc76ELb1ELb1E19rocblas_complex_numIfEPKS1_S3_PS1_EviT_T9_T10_S5_lS7_S5_lS6_T11_S5_li
		.amdhsa_group_segment_fixed_size 4096
		.amdhsa_private_segment_fixed_size 0
		.amdhsa_kernarg_size 108
		.amdhsa_user_sgpr_count 2
		.amdhsa_user_sgpr_dispatch_ptr 0
		.amdhsa_user_sgpr_queue_ptr 0
		.amdhsa_user_sgpr_kernarg_segment_ptr 1
		.amdhsa_user_sgpr_dispatch_id 0
		.amdhsa_user_sgpr_private_segment_size 0
		.amdhsa_wavefront_size32 1
		.amdhsa_uses_dynamic_stack 0
		.amdhsa_enable_private_segment 0
		.amdhsa_system_sgpr_workgroup_id_x 1
		.amdhsa_system_sgpr_workgroup_id_y 1
		.amdhsa_system_sgpr_workgroup_id_z 1
		.amdhsa_system_sgpr_workgroup_info 0
		.amdhsa_system_vgpr_workitem_id 1
		.amdhsa_next_free_vgpr 71
		.amdhsa_next_free_sgpr 35
		.amdhsa_reserve_vcc 1
		.amdhsa_float_round_mode_32 0
		.amdhsa_float_round_mode_16_64 0
		.amdhsa_float_denorm_mode_32 3
		.amdhsa_float_denorm_mode_16_64 3
		.amdhsa_fp16_overflow 0
		.amdhsa_workgroup_processor_mode 1
		.amdhsa_memory_ordered 1
		.amdhsa_forward_progress 1
		.amdhsa_inst_pref_size 26
		.amdhsa_round_robin_scheduling 0
		.amdhsa_exception_fp_ieee_invalid_op 0
		.amdhsa_exception_fp_denorm_src 0
		.amdhsa_exception_fp_ieee_div_zero 0
		.amdhsa_exception_fp_ieee_overflow 0
		.amdhsa_exception_fp_ieee_underflow 0
		.amdhsa_exception_fp_ieee_inexact 0
		.amdhsa_exception_int_div_zero 0
	.end_amdhsa_kernel
	.section	.text._ZL29rocblas_internal_gemmt_kernelIlLi16ELi32ELi8ELc67ELc67ELc76ELb1ELb1E19rocblas_complex_numIfEPKS1_S3_PS1_EviT_T9_T10_S5_lS7_S5_lS6_T11_S5_li,"axG",@progbits,_ZL29rocblas_internal_gemmt_kernelIlLi16ELi32ELi8ELc67ELc67ELc76ELb1ELb1E19rocblas_complex_numIfEPKS1_S3_PS1_EviT_T9_T10_S5_lS7_S5_lS6_T11_S5_li,comdat
.Lfunc_end233:
	.size	_ZL29rocblas_internal_gemmt_kernelIlLi16ELi32ELi8ELc67ELc67ELc76ELb1ELb1E19rocblas_complex_numIfEPKS1_S3_PS1_EviT_T9_T10_S5_lS7_S5_lS6_T11_S5_li, .Lfunc_end233-_ZL29rocblas_internal_gemmt_kernelIlLi16ELi32ELi8ELc67ELc67ELc76ELb1ELb1E19rocblas_complex_numIfEPKS1_S3_PS1_EviT_T9_T10_S5_lS7_S5_lS6_T11_S5_li
                                        ; -- End function
	.set _ZL29rocblas_internal_gemmt_kernelIlLi16ELi32ELi8ELc67ELc67ELc76ELb1ELb1E19rocblas_complex_numIfEPKS1_S3_PS1_EviT_T9_T10_S5_lS7_S5_lS6_T11_S5_li.num_vgpr, 71
	.set _ZL29rocblas_internal_gemmt_kernelIlLi16ELi32ELi8ELc67ELc67ELc76ELb1ELb1E19rocblas_complex_numIfEPKS1_S3_PS1_EviT_T9_T10_S5_lS7_S5_lS6_T11_S5_li.num_agpr, 0
	.set _ZL29rocblas_internal_gemmt_kernelIlLi16ELi32ELi8ELc67ELc67ELc76ELb1ELb1E19rocblas_complex_numIfEPKS1_S3_PS1_EviT_T9_T10_S5_lS7_S5_lS6_T11_S5_li.numbered_sgpr, 35
	.set _ZL29rocblas_internal_gemmt_kernelIlLi16ELi32ELi8ELc67ELc67ELc76ELb1ELb1E19rocblas_complex_numIfEPKS1_S3_PS1_EviT_T9_T10_S5_lS7_S5_lS6_T11_S5_li.num_named_barrier, 0
	.set _ZL29rocblas_internal_gemmt_kernelIlLi16ELi32ELi8ELc67ELc67ELc76ELb1ELb1E19rocblas_complex_numIfEPKS1_S3_PS1_EviT_T9_T10_S5_lS7_S5_lS6_T11_S5_li.private_seg_size, 0
	.set _ZL29rocblas_internal_gemmt_kernelIlLi16ELi32ELi8ELc67ELc67ELc76ELb1ELb1E19rocblas_complex_numIfEPKS1_S3_PS1_EviT_T9_T10_S5_lS7_S5_lS6_T11_S5_li.uses_vcc, 1
	.set _ZL29rocblas_internal_gemmt_kernelIlLi16ELi32ELi8ELc67ELc67ELc76ELb1ELb1E19rocblas_complex_numIfEPKS1_S3_PS1_EviT_T9_T10_S5_lS7_S5_lS6_T11_S5_li.uses_flat_scratch, 0
	.set _ZL29rocblas_internal_gemmt_kernelIlLi16ELi32ELi8ELc67ELc67ELc76ELb1ELb1E19rocblas_complex_numIfEPKS1_S3_PS1_EviT_T9_T10_S5_lS7_S5_lS6_T11_S5_li.has_dyn_sized_stack, 0
	.set _ZL29rocblas_internal_gemmt_kernelIlLi16ELi32ELi8ELc67ELc67ELc76ELb1ELb1E19rocblas_complex_numIfEPKS1_S3_PS1_EviT_T9_T10_S5_lS7_S5_lS6_T11_S5_li.has_recursion, 0
	.set _ZL29rocblas_internal_gemmt_kernelIlLi16ELi32ELi8ELc67ELc67ELc76ELb1ELb1E19rocblas_complex_numIfEPKS1_S3_PS1_EviT_T9_T10_S5_lS7_S5_lS6_T11_S5_li.has_indirect_call, 0
	.section	.AMDGPU.csdata,"",@progbits
; Kernel info:
; codeLenInByte = 3300
; TotalNumSgprs: 37
; NumVgprs: 71
; ScratchSize: 0
; MemoryBound: 0
; FloatMode: 240
; IeeeMode: 1
; LDSByteSize: 4096 bytes/workgroup (compile time only)
; SGPRBlocks: 0
; VGPRBlocks: 8
; NumSGPRsForWavesPerEU: 37
; NumVGPRsForWavesPerEU: 71
; Occupancy: 16
; WaveLimiterHint : 0
; COMPUTE_PGM_RSRC2:SCRATCH_EN: 0
; COMPUTE_PGM_RSRC2:USER_SGPR: 2
; COMPUTE_PGM_RSRC2:TRAP_HANDLER: 0
; COMPUTE_PGM_RSRC2:TGID_X_EN: 1
; COMPUTE_PGM_RSRC2:TGID_Y_EN: 1
; COMPUTE_PGM_RSRC2:TGID_Z_EN: 1
; COMPUTE_PGM_RSRC2:TIDIG_COMP_CNT: 1
	.section	.text._ZL29rocblas_internal_gemmt_kernelIlLi16ELi32ELi8ELc78ELc78ELc85ELb0ELb0E19rocblas_complex_numIfES1_PKS1_PS1_EviT_T9_T10_S5_lS7_S5_lS6_T11_S5_li,"axG",@progbits,_ZL29rocblas_internal_gemmt_kernelIlLi16ELi32ELi8ELc78ELc78ELc85ELb0ELb0E19rocblas_complex_numIfES1_PKS1_PS1_EviT_T9_T10_S5_lS7_S5_lS6_T11_S5_li,comdat
	.globl	_ZL29rocblas_internal_gemmt_kernelIlLi16ELi32ELi8ELc78ELc78ELc85ELb0ELb0E19rocblas_complex_numIfES1_PKS1_PS1_EviT_T9_T10_S5_lS7_S5_lS6_T11_S5_li ; -- Begin function _ZL29rocblas_internal_gemmt_kernelIlLi16ELi32ELi8ELc78ELc78ELc85ELb0ELb0E19rocblas_complex_numIfES1_PKS1_PS1_EviT_T9_T10_S5_lS7_S5_lS6_T11_S5_li
	.p2align	8
	.type	_ZL29rocblas_internal_gemmt_kernelIlLi16ELi32ELi8ELc78ELc78ELc85ELb0ELb0E19rocblas_complex_numIfES1_PKS1_PS1_EviT_T9_T10_S5_lS7_S5_lS6_T11_S5_li,@function
_ZL29rocblas_internal_gemmt_kernelIlLi16ELi32ELi8ELc78ELc78ELc85ELb0ELb0E19rocblas_complex_numIfES1_PKS1_PS1_EviT_T9_T10_S5_lS7_S5_lS6_T11_S5_li: ; @_ZL29rocblas_internal_gemmt_kernelIlLi16ELi32ELi8ELc78ELc78ELc85ELb0ELb0E19rocblas_complex_numIfES1_PKS1_PS1_EviT_T9_T10_S5_lS7_S5_lS6_T11_S5_li
; %bb.0:
	s_clause 0x1
	s_load_b64 s[24:25], s[0:1], 0x48
	s_load_b128 s[12:15], s[0:1], 0x8
	s_wait_kmcnt 0x0
	s_cmp_eq_f32 s24, 1.0
	s_cselect_b32 s2, -1, 0
	s_and_b32 s3, s25, 0x7fffffff
	s_delay_alu instid0(SALU_CYCLE_1) | instskip(SKIP_1) | instid1(SALU_CYCLE_1)
	s_cmp_eq_u32 s3, 0
	s_cselect_b32 s31, -1, 0
	s_and_b32 s3, s2, s31
	s_mov_b32 s2, 0
	s_and_not1_b32 vcc_lo, exec_lo, s3
	s_mov_b32 s3, -1
	s_cbranch_vccnz .LBB234_4
; %bb.1:
	s_cmp_lg_u64 s[12:13], 0
	s_cbranch_scc0 .LBB234_3
; %bb.2:
	s_cmp_neq_f32 s14, 0
	s_cselect_b32 s2, -1, 0
	s_cmp_neq_f32 s15, 0
	s_cselect_b32 s3, -1, 0
	s_delay_alu instid0(SALU_CYCLE_1)
	s_or_b32 s2, s2, s3
.LBB234_3:
	s_delay_alu instid0(SALU_CYCLE_1)
	s_mov_b32 s3, s2
.LBB234_4:
	s_delay_alu instid0(SALU_CYCLE_1)
	s_and_b32 vcc_lo, exec_lo, s3
	s_cbranch_vccz .LBB234_42
; %bb.5:
	s_load_b32 s30, s[0:1], 0x68
	s_lshr_b32 s26, ttmp7, 16
	s_wait_kmcnt 0x0
	s_cmp_ge_u32 s26, s30
	s_cbranch_scc1 .LBB234_42
; %bb.6:
	v_and_b32_e32 v7, 0x3ff, v0
	v_bfe_u32 v10, v0, 10, 10
	s_clause 0x1
	s_load_b128 s[16:19], s[0:1], 0x38
	s_load_b64 s[28:29], s[0:1], 0x60
	s_lshl_b32 s2, ttmp7, 5
	s_clause 0x2
	s_load_b32 s33, s[0:1], 0x0
	s_load_b256 s[4:11], s[0:1], 0x18
	s_load_b128 s[20:23], s[0:1], 0x50
	v_lshl_add_u32 v2, v10, 4, v7
	s_and_b32 s0, s2, 0x1fffe0
	v_and_b32_e32 v14, 7, v0
	s_lshl_b32 s2, ttmp9, 5
	s_cmp_neq_f32 s14, 0
	v_lshrrev_b32_e32 v3, 3, v2
	v_and_b32_e32 v9, 31, v2
	v_lshrrev_b32_e32 v15, 5, v2
	s_cselect_b32 s1, -1, 0
	s_cmp_neq_f32 s15, 0
	v_add_nc_u32_e32 v6, s0, v3
	v_or_b32_e32 v2, s2, v9
	v_add_nc_u32_e32 v11, s0, v10
	s_cselect_b32 s0, -1, 0
	v_lshl_add_u32 v23, v10, 6, 0x800
	s_wait_alu 0xfffe
	s_or_b32 s35, s1, s0
	s_wait_kmcnt 0x0
	v_mad_co_u64_u32 v[0:1], null, s16, v6, 0
	v_cmp_gt_i32_e64 s0, s33, v2
	v_cmp_le_i32_e64 s16, s33, v2
	v_add_nc_u32_e32 v12, 16, v11
	s_cmp_neq_f32 s24, 0
	v_cmp_gt_i64_e64 s34, s[12:13], 0
	s_mov_b32 s27, 0
	v_mad_co_u64_u32 v[4:5], null, s17, v6, v[1:2]
	v_lshlrev_b32_e32 v1, 3, v9
	s_delay_alu instid0(VALU_DEP_1) | instskip(NEXT) | instid1(VALU_DEP_3)
	v_lshl_or_b32 v16, v15, 8, v1
	v_dual_mov_b32 v1, v4 :: v_dual_lshlrev_b32 v8, 3, v14
	s_delay_alu instid0(VALU_DEP_1) | instskip(NEXT) | instid1(VALU_DEP_2)
	v_lshlrev_b64_e32 v[0:1], 3, v[0:1]
	v_lshl_or_b32 v5, v3, 6, v8
	v_ashrrev_i32_e32 v3, 31, v2
	v_mad_co_u64_u32 v[8:9], null, s22, v12, 0
	s_delay_alu instid0(VALU_DEP_3) | instskip(NEXT) | instid1(VALU_DEP_3)
	v_add_nc_u32_e32 v17, 0x800, v5
	v_lshlrev_b64_e32 v[2:3], 3, v[2:3]
	v_mad_co_u64_u32 v[4:5], null, s22, v11, 0
	s_delay_alu instid0(VALU_DEP_2) | instskip(SKIP_1) | instid1(VALU_DEP_3)
	v_add_co_u32 v18, s1, s4, v2
	s_wait_alu 0xf1ff
	v_add_co_ci_u32_e64 v19, null, s5, v3, s1
	v_add_co_u32 v20, s1, s10, v0
	s_delay_alu instid0(VALU_DEP_4)
	v_mov_b32_e32 v0, v5
	s_wait_alu 0xf1ff
	v_add_co_ci_u32_e64 v21, null, s11, v1, s1
	v_cmp_gt_i32_e64 s1, s33, v11
	v_lshlrev_b32_e32 v22, 3, v7
	v_mad_co_u64_u32 v[0:1], null, s23, v11, v[0:1]
	v_mov_b32_e32 v1, v9
	v_cmp_gt_i32_e32 vcc_lo, s33, v6
	v_add_nc_u32_e32 v6, s2, v7
	s_cselect_b32 s11, -1, 0
	s_xor_b32 s17, s31, -1
	v_mad_co_u64_u32 v[1:2], null, s23, v12, v[1:2]
	v_mov_b32_e32 v5, v0
	s_and_b32 s10, s35, s34
	s_wait_alu 0xfffe
	s_or_b32 s11, s11, s17
	s_xor_b32 s22, vcc_lo, -1
	v_lshlrev_b64_e32 v[2:3], 3, v[4:5]
	s_delay_alu instid0(VALU_DEP_3) | instskip(SKIP_3) | instid1(VALU_DEP_4)
	v_mov_b32_e32 v9, v1
	v_dual_mov_b32 v1, 0 :: v_dual_add_nc_u32 v10, 16, v6
	v_cmp_le_i32_e64 s2, v6, v11
	v_ashrrev_i32_e32 v7, 31, v6
	v_lshlrev_b64_e32 v[4:5], 3, v[8:9]
	s_delay_alu instid0(VALU_DEP_4)
	v_cmp_le_i32_e64 s3, v10, v11
	v_ashrrev_i32_e32 v11, 31, v10
	s_and_b32 s4, s1, s2
	v_cmp_le_i32_e64 s2, v6, v12
	v_lshlrev_b64_e32 v[6:7], 3, v[6:7]
	s_and_b32 s5, s1, s3
	v_cmp_gt_i32_e64 s1, s33, v12
	v_cmp_le_i32_e64 s3, v10, v12
	v_lshlrev_b64_e32 v[8:9], 3, v[10:11]
                                        ; implicit-def: $vgpr10_vgpr11
	s_and_b32 s17, s1, s2
	s_and_b32 s1, s1, s3
	s_branch .LBB234_8
.LBB234_7:                              ;   in Loop: Header=BB234_8 Depth=1
	s_wait_alu 0xfffe
	s_or_b32 exec_lo, exec_lo, s2
	s_add_co_i32 s26, s26, 0x10000
	s_delay_alu instid0(SALU_CYCLE_1)
	s_cmp_lt_u32 s26, s30
	s_cbranch_scc0 .LBB234_42
.LBB234_8:                              ; =>This Loop Header: Depth=1
                                        ;     Child Loop BB234_11 Depth 2
	s_and_not1_b32 vcc_lo, exec_lo, s10
	s_wait_alu 0xfffe
	s_cbranch_vccnz .LBB234_21
; %bb.9:                                ;   in Loop: Header=BB234_8 Depth=1
	s_mul_u64 s[2:3], s[8:9], s[26:27]
	s_mul_u64 s[34:35], s[18:19], s[26:27]
	s_wait_alu 0xfffe
	s_lshl_b64 s[2:3], s[2:3], 3
	v_dual_mov_b32 v26, 0 :: v_dual_mov_b32 v27, 0
	s_wait_alu 0xfffe
	v_add_co_u32 v12, vcc_lo, v18, s2
	s_wait_alu 0xfffd
	v_add_co_ci_u32_e64 v13, null, s3, v19, vcc_lo
	s_lshl_b64 s[2:3], s[34:35], 3
	v_dual_mov_b32 v29, 0 :: v_dual_mov_b32 v28, 0
	s_wait_alu 0xfffe
	v_add_co_u32 v24, vcc_lo, v20, s2
	s_wait_alu 0xfffd
	v_add_co_ci_u32_e64 v25, null, s3, v21, vcc_lo
	v_dual_mov_b32 v31, 0 :: v_dual_mov_b32 v30, 0
	v_dual_mov_b32 v33, 0 :: v_dual_mov_b32 v32, 0
	s_mov_b64 s[2:3], 0
	s_branch .LBB234_11
.LBB234_10:                             ;   in Loop: Header=BB234_11 Depth=2
	s_wait_alu 0xfffe
	s_or_b32 exec_lo, exec_lo, s23
	s_wait_dscnt 0x0
	s_barrier_signal -1
	s_barrier_wait -1
	global_inv scope:SCOPE_SE
	ds_load_b128 v[34:37], v23
	ds_load_2addr_b64 v[38:41], v22 offset1:16
	ds_load_b128 v[42:45], v23 offset:1024
	ds_load_b128 v[46:49], v23 offset:16
	;; [unrolled: 1-line block ×4, first 2 shown]
	ds_load_2addr_b64 v[58:61], v22 offset0:32 offset1:48
	ds_load_b128 v[62:65], v23 offset:1040
	s_add_nc_u64 s[2:3], s[2:3], 8
	s_wait_alu 0xfffe
	v_cmp_gt_i64_e64 s23, s[12:13], s[2:3]
	s_and_b32 vcc_lo, exec_lo, s23
	s_wait_dscnt 0x6
	v_mul_f32_e32 v0, v35, v39
	v_dual_mul_f32 v66, v34, v39 :: v_dual_mul_f32 v67, v35, v41
	s_wait_dscnt 0x5
	v_dual_mul_f32 v68, v34, v41 :: v_dual_mul_f32 v69, v43, v39
	v_dual_mul_f32 v39, v42, v39 :: v_dual_mul_f32 v70, v43, v41
	v_mul_f32_e32 v41, v42, v41
	v_fma_f32 v0, v34, v38, -v0
	v_fma_f32 v34, v34, v40, -v67
	v_fmac_f32_e32 v68, v35, v40
	v_fmac_f32_e32 v39, v43, v38
	;; [unrolled: 1-line block ×3, first 2 shown]
	v_add_f32_e32 v0, v32, v0
	v_fmac_f32_e32 v66, v35, v38
	v_fma_f32 v35, v42, v38, -v69
	v_fma_f32 v38, v42, v40, -v70
	v_add_f32_e32 v26, v26, v41
	s_delay_alu instid0(VALU_DEP_4) | instskip(NEXT) | instid1(VALU_DEP_4)
	v_add_f32_e32 v32, v33, v66
	v_dual_add_f32 v33, v30, v34 :: v_dual_add_f32 v34, v28, v35
	v_add_f32_e32 v35, v29, v39
	s_wait_dscnt 0x1
	v_dual_mul_f32 v39, v37, v59 :: v_dual_add_f32 v38, v27, v38
	ds_load_2addr_b64 v[27:30], v22 offset0:64 offset1:80
	v_mul_f32_e32 v42, v37, v61
	v_mul_f32_e32 v41, v36, v61
	v_mul_f32_e32 v40, v36, v59
	v_fma_f32 v39, v36, v58, -v39
	v_add_f32_e32 v31, v31, v68
	v_fma_f32 v36, v36, v60, -v42
	s_delay_alu instid0(VALU_DEP_3) | instskip(SKIP_1) | instid1(VALU_DEP_3)
	v_add_f32_e32 v0, v0, v39
	v_mul_f32_e32 v39, v45, v59
	v_add_f32_e32 v36, v33, v36
	v_fmac_f32_e32 v41, v37, v60
	v_fmac_f32_e32 v40, v37, v58
	v_mul_f32_e32 v37, v45, v61
	v_fma_f32 v33, v44, v58, -v39
	s_delay_alu instid0(VALU_DEP_4) | instskip(NEXT) | instid1(VALU_DEP_3)
	v_add_f32_e32 v39, v31, v41
	v_fma_f32 v31, v44, v60, -v37
	v_mul_f32_e32 v41, v44, v61
	s_wait_dscnt 0x0
	v_mul_f32_e32 v37, v46, v28
	v_add_f32_e32 v40, v32, v40
	v_add_f32_e32 v38, v38, v31
	v_dual_mul_f32 v32, v44, v59 :: v_dual_fmac_f32 v41, v45, v60
	v_mul_f32_e32 v44, v47, v30
	s_delay_alu instid0(VALU_DEP_2) | instskip(NEXT) | instid1(VALU_DEP_3)
	v_dual_fmac_f32 v37, v47, v27 :: v_dual_fmac_f32 v32, v45, v58
	v_add_f32_e32 v41, v26, v41
	v_dual_add_f32 v42, v34, v33 :: v_dual_mul_f32 v33, v47, v28
	s_delay_alu instid0(VALU_DEP_3) | instskip(NEXT) | instid1(VALU_DEP_4)
	v_dual_mul_f32 v26, v46, v30 :: v_dual_add_f32 v37, v40, v37
	v_add_f32_e32 v35, v35, v32
	s_delay_alu instid0(VALU_DEP_3) | instskip(SKIP_4) | instid1(VALU_DEP_1)
	v_fma_f32 v43, v46, v27, -v33
	ds_load_2addr_b64 v[31:34], v22 offset0:96 offset1:112
	v_fmac_f32_e32 v26, v47, v29
	v_add_f32_e32 v0, v0, v43
	v_fma_f32 v43, v46, v29, -v44
	v_dual_add_f32 v39, v39, v26 :: v_dual_add_f32 v36, v36, v43
	v_mul_f32_e32 v43, v63, v30
	v_mul_f32_e32 v30, v62, v30
	s_delay_alu instid0(VALU_DEP_2) | instskip(SKIP_1) | instid1(VALU_DEP_3)
	v_fma_f32 v26, v62, v29, -v43
	v_mul_f32_e32 v40, v63, v28
	v_fmac_f32_e32 v30, v63, v29
	s_wait_dscnt 0x0
	v_dual_mul_f32 v28, v62, v28 :: v_dual_mul_f32 v47, v65, v34
	v_add_f32_e32 v43, v38, v26
	v_fma_f32 v40, v62, v27, -v40
	v_dual_mul_f32 v38, v48, v32 :: v_dual_add_f32 v41, v41, v30
	s_delay_alu instid0(VALU_DEP_4) | instskip(SKIP_1) | instid1(VALU_DEP_3)
	v_fmac_f32_e32 v28, v63, v27
	v_mul_f32_e32 v30, v48, v34
	v_fmac_f32_e32 v38, v49, v31
	v_add_f32_e32 v40, v42, v40
	s_delay_alu instid0(VALU_DEP_4)
	v_add_f32_e32 v42, v35, v28
	ds_load_2addr_b64 v[26:29], v22 offset0:128 offset1:144
	v_mul_f32_e32 v35, v49, v32
	v_mul_f32_e32 v44, v49, v34
	v_fmac_f32_e32 v30, v49, v33
	v_mul_f32_e32 v34, v64, v34
	s_delay_alu instid0(VALU_DEP_4)
	v_fma_f32 v35, v48, v31, -v35
	s_wait_dscnt 0x0
	v_mul_f32_e32 v49, v50, v27
	v_fma_f32 v44, v48, v33, -v44
	v_add_f32_e32 v48, v39, v30
	v_fma_f32 v30, v64, v33, -v47
	s_delay_alu instid0(VALU_DEP_4) | instskip(NEXT) | instid1(VALU_DEP_4)
	v_fmac_f32_e32 v49, v51, v26
	v_dual_add_f32 v45, v37, v38 :: v_dual_add_f32 v44, v36, v44
	s_delay_alu instid0(VALU_DEP_3) | instskip(SKIP_1) | instid1(VALU_DEP_3)
	v_dual_add_f32 v43, v43, v30 :: v_dual_add_f32 v0, v0, v35
	v_mul_f32_e32 v35, v65, v32
	v_dual_mul_f32 v32, v64, v32 :: v_dual_add_f32 v45, v45, v49
	s_delay_alu instid0(VALU_DEP_2) | instskip(SKIP_3) | instid1(VALU_DEP_2)
	v_fma_f32 v46, v64, v31, -v35
	ds_load_b128 v[35:38], v23 offset:1056
	v_fmac_f32_e32 v32, v65, v31
	v_dual_mul_f32 v31, v51, v27 :: v_dual_fmac_f32 v34, v65, v33
	v_add_f32_e32 v47, v42, v32
	s_delay_alu instid0(VALU_DEP_2)
	v_fma_f32 v39, v50, v26, -v31
	ds_load_2addr_b64 v[30:33], v22 offset0:160 offset1:176
	v_add_f32_e32 v46, v40, v46
	v_mul_f32_e32 v40, v51, v29
	v_add_f32_e32 v34, v41, v34
	v_add_f32_e32 v0, v0, v39
	s_delay_alu instid0(VALU_DEP_3) | instskip(SKIP_4) | instid1(VALU_DEP_2)
	v_fma_f32 v58, v50, v28, -v40
	ds_load_b128 v[39:42], v23 offset:1072
	s_wait_dscnt 0x2
	v_dual_mul_f32 v50, v50, v29 :: v_dual_mul_f32 v59, v36, v27
	v_mul_f32_e32 v27, v35, v27
	v_dual_fmac_f32 v50, v51, v28 :: v_dual_mul_f32 v51, v36, v29
	s_delay_alu instid0(VALU_DEP_3) | instskip(NEXT) | instid1(VALU_DEP_3)
	v_fma_f32 v49, v35, v26, -v59
	v_fmac_f32_e32 v27, v36, v26
	s_delay_alu instid0(VALU_DEP_3) | instskip(SKIP_2) | instid1(VALU_DEP_4)
	v_add_f32_e32 v48, v48, v50
	v_mul_f32_e32 v50, v35, v29
	v_fma_f32 v26, v35, v28, -v51
	v_add_f32_e32 v35, v47, v27
	s_wait_dscnt 0x1
	s_delay_alu instid0(VALU_DEP_3) | instskip(NEXT) | instid1(VALU_DEP_3)
	v_dual_mul_f32 v47, v53, v31 :: v_dual_fmac_f32 v50, v36, v28
	v_add_f32_e32 v43, v43, v26
	ds_load_2addr_b64 v[26:29], v22 offset0:192 offset1:208
	v_mul_f32_e32 v36, v52, v31
	v_add_f32_e32 v46, v46, v49
	v_fma_f32 v47, v52, v30, -v47
	v_mul_f32_e32 v49, v53, v33
	s_delay_alu instid0(VALU_DEP_4) | instskip(NEXT) | instid1(VALU_DEP_3)
	v_fmac_f32_e32 v36, v53, v30
	v_add_f32_e32 v0, v0, v47
	s_delay_alu instid0(VALU_DEP_3) | instskip(NEXT) | instid1(VALU_DEP_3)
	v_fma_f32 v47, v52, v32, -v49
	v_dual_add_f32 v45, v45, v36 :: v_dual_mul_f32 v36, v38, v31
	v_mul_f32_e32 v31, v37, v31
	s_delay_alu instid0(VALU_DEP_2) | instskip(NEXT) | instid1(VALU_DEP_2)
	v_fma_f32 v36, v37, v30, -v36
	v_fmac_f32_e32 v31, v38, v30
	v_add_f32_e32 v44, v44, v58
	s_delay_alu instid0(VALU_DEP_2) | instskip(NEXT) | instid1(VALU_DEP_2)
	v_dual_mul_f32 v30, v37, v33 :: v_dual_add_f32 v31, v35, v31
	v_dual_add_f32 v44, v44, v47 :: v_dual_mul_f32 v47, v38, v33
	v_add_f32_e32 v50, v34, v50
	v_mul_f32_e32 v34, v52, v33
	s_delay_alu instid0(VALU_DEP_4) | instskip(NEXT) | instid1(VALU_DEP_4)
	v_fmac_f32_e32 v30, v38, v32
	v_fma_f32 v33, v37, v32, -v47
	s_wait_dscnt 0x0
	s_delay_alu instid0(VALU_DEP_3) | instskip(NEXT) | instid1(VALU_DEP_2)
	v_dual_mul_f32 v47, v40, v27 :: v_dual_fmac_f32 v34, v53, v32
	v_dual_add_f32 v32, v43, v33 :: v_dual_mul_f32 v33, v54, v27
	v_mul_f32_e32 v43, v55, v29
	s_delay_alu instid0(VALU_DEP_2) | instskip(NEXT) | instid1(VALU_DEP_2)
	v_dual_fmac_f32 v33, v55, v26 :: v_dual_add_f32 v46, v46, v36
	v_fma_f32 v43, v54, v28, -v43
	s_delay_alu instid0(VALU_DEP_2) | instskip(SKIP_3) | instid1(VALU_DEP_3)
	v_dual_add_f32 v33, v45, v33 :: v_dual_add_f32 v48, v48, v34
	v_mul_f32_e32 v34, v55, v27
	v_mul_f32_e32 v27, v39, v27
	;; [unrolled: 1-line block ×3, first 2 shown]
	v_fma_f32 v38, v54, v26, -v34
	ds_load_2addr_b64 v[34:37], v22 offset0:224 offset1:240
	v_fmac_f32_e32 v27, v40, v26
	v_add_f32_e32 v30, v50, v30
	s_wait_loadcnt_dscnt 0x0
	v_add_f32_e32 v0, v0, v38
	s_barrier_signal -1
	v_dual_add_f32 v27, v31, v27 :: v_dual_mul_f32 v38, v54, v29
	v_mul_f32_e32 v29, v39, v29
	s_barrier_wait -1
	global_inv scope:SCOPE_SE
	v_fmac_f32_e32 v38, v55, v28
	v_fmac_f32_e32 v29, v40, v28
	s_delay_alu instid0(VALU_DEP_1) | instskip(SKIP_2) | instid1(VALU_DEP_2)
	v_add_f32_e32 v40, v30, v29
	v_mul_f32_e32 v29, v56, v37
	v_mul_f32_e32 v31, v57, v35
	v_fmac_f32_e32 v29, v57, v36
	v_add_f32_e32 v43, v44, v43
	v_fma_f32 v44, v39, v26, -v47
	v_fma_f32 v39, v39, v28, -v45
	;; [unrolled: 1-line block ×3, first 2 shown]
	s_delay_alu instid0(VALU_DEP_2) | instskip(SKIP_1) | instid1(VALU_DEP_2)
	v_dual_add_f32 v39, v32, v39 :: v_dual_mul_f32 v32, v57, v37
	v_mul_f32_e32 v28, v56, v35
	v_fma_f32 v30, v56, v36, -v32
	s_delay_alu instid0(VALU_DEP_4) | instskip(SKIP_1) | instid1(VALU_DEP_4)
	v_add_f32_e32 v32, v0, v31
	v_mul_f32_e32 v0, v42, v35
	v_fmac_f32_e32 v28, v57, v34
	s_delay_alu instid0(VALU_DEP_4) | instskip(SKIP_1) | instid1(VALU_DEP_4)
	v_dual_mul_f32 v35, v41, v35 :: v_dual_add_f32 v30, v43, v30
	v_mul_f32_e32 v43, v42, v37
	v_fma_f32 v0, v41, v34, -v0
	v_dual_mul_f32 v37, v41, v37 :: v_dual_add_f32 v26, v48, v38
	v_add_f32_e32 v38, v46, v44
	v_add_f32_e32 v33, v33, v28
	v_fmac_f32_e32 v35, v42, v34
	s_delay_alu instid0(VALU_DEP_4) | instskip(SKIP_3) | instid1(VALU_DEP_4)
	v_fmac_f32_e32 v37, v42, v36
	v_add_f32_e32 v31, v26, v29
	v_add_f32_e32 v28, v38, v0
	v_fma_f32 v0, v41, v36, -v43
	v_dual_add_f32 v29, v27, v35 :: v_dual_add_f32 v26, v40, v37
	s_delay_alu instid0(VALU_DEP_2)
	v_add_f32_e32 v27, v39, v0
	s_wait_alu 0xfffe
	s_cbranch_vccz .LBB234_22
.LBB234_11:                             ;   Parent Loop BB234_8 Depth=1
                                        ; =>  This Inner Loop Header: Depth=2
	s_mov_b32 s23, 0
	s_mov_b32 s33, s16
	s_and_saveexec_b32 s31, s0
	s_cbranch_execnz .LBB234_19
; %bb.12:                               ;   in Loop: Header=BB234_11 Depth=2
	s_or_b32 exec_lo, exec_lo, s31
	s_wait_alu 0xfffe
	s_and_saveexec_b32 s31, s33
	s_delay_alu instid0(SALU_CYCLE_1)
	s_xor_b32 s31, exec_lo, s31
	s_cbranch_execnz .LBB234_20
.LBB234_13:                             ;   in Loop: Header=BB234_11 Depth=2
	s_or_b32 exec_lo, exec_lo, s31
	s_and_saveexec_b32 s31, s23
	s_cbranch_execz .LBB234_15
.LBB234_14:                             ;   in Loop: Header=BB234_11 Depth=2
	v_mul_lo_u32 v0, s7, v10
	v_mul_lo_u32 v36, s6, v11
	v_mad_co_u64_u32 v[34:35], null, s6, v10, 0
	s_delay_alu instid0(VALU_DEP_1) | instskip(NEXT) | instid1(VALU_DEP_1)
	v_add3_u32 v35, v35, v36, v0
	v_lshlrev_b64_e32 v[34:35], 3, v[34:35]
	s_delay_alu instid0(VALU_DEP_1) | instskip(SKIP_1) | instid1(VALU_DEP_2)
	v_add_co_u32 v34, vcc_lo, v12, v34
	s_wait_alu 0xfffd
	v_add_co_ci_u32_e64 v35, null, v13, v35, vcc_lo
	global_load_b64 v[34:35], v[34:35], off
	s_wait_loadcnt 0x0
	ds_store_b64 v16, v[34:35]
.LBB234_15:                             ;   in Loop: Header=BB234_11 Depth=2
	s_or_b32 exec_lo, exec_lo, s31
	v_add_nc_u32_e32 v0, s2, v14
	s_delay_alu instid0(VALU_DEP_1) | instskip(SKIP_3) | instid1(SALU_CYCLE_1)
	v_cmp_le_u64_e32 vcc_lo, s[12:13], v[0:1]
	s_or_b32 s23, vcc_lo, s22
	s_wait_alu 0xfffe
	s_and_saveexec_b32 s31, s23
	s_xor_b32 s23, exec_lo, s31
; %bb.16:                               ;   in Loop: Header=BB234_11 Depth=2
	v_mov_b32_e32 v0, v1
	ds_store_b64 v17, v[0:1]
; %bb.17:                               ;   in Loop: Header=BB234_11 Depth=2
	s_wait_alu 0xfffe
	s_and_not1_saveexec_b32 s23, s23
	s_cbranch_execz .LBB234_10
; %bb.18:                               ;   in Loop: Header=BB234_11 Depth=2
	v_lshlrev_b64_e32 v[34:35], 3, v[0:1]
	s_delay_alu instid0(VALU_DEP_1) | instskip(SKIP_1) | instid1(VALU_DEP_2)
	v_add_co_u32 v34, vcc_lo, v24, v34
	s_wait_alu 0xfffd
	v_add_co_ci_u32_e64 v35, null, v25, v35, vcc_lo
	global_load_b64 v[34:35], v[34:35], off
	s_wait_loadcnt 0x0
	ds_store_b64 v17, v[34:35]
	s_branch .LBB234_10
.LBB234_19:                             ;   in Loop: Header=BB234_11 Depth=2
	s_wait_alu 0xfffe
	v_add_nc_u32_e32 v0, s2, v15
	v_mov_b32_e32 v11, v1
	s_and_not1_b32 s33, s16, exec_lo
	s_mov_b32 s23, exec_lo
	s_delay_alu instid0(VALU_DEP_2)
	v_cmp_le_u64_e32 vcc_lo, s[12:13], v[0:1]
	v_mov_b32_e32 v10, v0
	s_and_b32 s34, vcc_lo, exec_lo
	s_wait_alu 0xfffe
	s_or_b32 s33, s33, s34
	s_or_b32 exec_lo, exec_lo, s31
	s_wait_alu 0xfffe
	s_and_saveexec_b32 s31, s33
	s_delay_alu instid0(SALU_CYCLE_1)
	s_xor_b32 s31, exec_lo, s31
	s_cbranch_execz .LBB234_13
.LBB234_20:                             ;   in Loop: Header=BB234_11 Depth=2
	v_mov_b32_e32 v0, v1
	s_and_not1_b32 s23, s23, exec_lo
	ds_store_b64 v16, v[0:1]
	s_or_b32 exec_lo, exec_lo, s31
	s_wait_alu 0xfffe
	s_and_saveexec_b32 s31, s23
	s_cbranch_execnz .LBB234_14
	s_branch .LBB234_15
.LBB234_21:                             ;   in Loop: Header=BB234_8 Depth=1
	v_dual_mov_b32 v32, v1 :: v_dual_mov_b32 v33, v1
	v_dual_mov_b32 v30, v1 :: v_dual_mov_b32 v31, v1
	;; [unrolled: 1-line block ×4, first 2 shown]
.LBB234_22:                             ;   in Loop: Header=BB234_8 Depth=1
	s_mul_u64 s[2:3], s[28:29], s[26:27]
	s_wait_alu 0xfffe
	s_lshl_b64 s[2:3], s[2:3], 3
	s_wait_alu 0xfffe
	s_add_nc_u64 s[2:3], s[20:21], s[2:3]
	s_wait_alu 0xfffe
	v_add_co_u32 v0, vcc_lo, s2, v2
	s_wait_alu 0xfffd
	v_add_co_ci_u32_e64 v24, null, s3, v3, vcc_lo
	s_and_saveexec_b32 s23, s4
	s_cbranch_execz .LBB234_27
; %bb.23:                               ;   in Loop: Header=BB234_8 Depth=1
	v_mul_f32_e32 v13, s14, v33
	v_mul_f32_e32 v12, s15, v33
	s_and_b32 vcc_lo, exec_lo, s11
	s_mov_b32 s31, -1
	s_delay_alu instid0(VALU_DEP_2) | instskip(NEXT) | instid1(VALU_DEP_2)
	v_fmac_f32_e32 v13, s15, v32
	v_fma_f32 v12, v32, s14, -v12
	s_wait_alu 0xfffe
	s_cbranch_vccz .LBB234_25
; %bb.24:                               ;   in Loop: Header=BB234_8 Depth=1
	v_add_co_u32 v32, vcc_lo, v0, v6
	s_wait_alu 0xfffd
	v_add_co_ci_u32_e64 v33, null, v24, v7, vcc_lo
	s_mov_b32 s31, 0
	global_load_b64 v[34:35], v[32:33], off
	s_wait_loadcnt 0x0
	v_mul_f32_e32 v25, s25, v35
	s_delay_alu instid0(VALU_DEP_1) | instskip(SKIP_1) | instid1(VALU_DEP_1)
	v_fma_f32 v25, v34, s24, -v25
	v_mul_f32_e32 v35, s24, v35
	v_dual_fmac_f32 v35, s25, v34 :: v_dual_add_f32 v34, v12, v25
	s_delay_alu instid0(VALU_DEP_1)
	v_add_f32_e32 v35, v13, v35
	global_store_b64 v[32:33], v[34:35], off
.LBB234_25:                             ;   in Loop: Header=BB234_8 Depth=1
	s_and_not1_b32 vcc_lo, exec_lo, s31
	s_wait_alu 0xfffe
	s_cbranch_vccnz .LBB234_27
; %bb.26:                               ;   in Loop: Header=BB234_8 Depth=1
	v_add_co_u32 v32, vcc_lo, v0, v6
	s_wait_alu 0xfffd
	v_add_co_ci_u32_e64 v33, null, v24, v7, vcc_lo
	global_store_b64 v[32:33], v[12:13], off
.LBB234_27:                             ;   in Loop: Header=BB234_8 Depth=1
	s_wait_alu 0xfffe
	s_or_b32 exec_lo, exec_lo, s23
	s_and_saveexec_b32 s23, s5
	s_cbranch_execz .LBB234_32
; %bb.28:                               ;   in Loop: Header=BB234_8 Depth=1
	v_mul_f32_e32 v13, s14, v31
	v_mul_f32_e32 v12, s15, v31
	s_and_not1_b32 vcc_lo, exec_lo, s11
	s_mov_b32 s31, -1
	s_delay_alu instid0(VALU_DEP_2) | instskip(NEXT) | instid1(VALU_DEP_2)
	v_fmac_f32_e32 v13, s15, v30
	v_fma_f32 v12, v30, s14, -v12
	s_wait_alu 0xfffe
	s_cbranch_vccnz .LBB234_30
; %bb.29:                               ;   in Loop: Header=BB234_8 Depth=1
	v_add_co_u32 v30, vcc_lo, v0, v8
	s_wait_alu 0xfffd
	v_add_co_ci_u32_e64 v31, null, v24, v9, vcc_lo
	s_mov_b32 s31, 0
	global_load_b64 v[32:33], v[30:31], off
	s_wait_loadcnt 0x0
	v_mul_f32_e32 v25, s25, v33
	v_mul_f32_e32 v33, s24, v33
	s_delay_alu instid0(VALU_DEP_2) | instskip(NEXT) | instid1(VALU_DEP_1)
	v_fma_f32 v25, v32, s24, -v25
	v_dual_fmac_f32 v33, s25, v32 :: v_dual_add_f32 v32, v12, v25
	s_delay_alu instid0(VALU_DEP_1)
	v_add_f32_e32 v33, v13, v33
	global_store_b64 v[30:31], v[32:33], off
.LBB234_30:                             ;   in Loop: Header=BB234_8 Depth=1
	s_and_not1_b32 vcc_lo, exec_lo, s31
	s_wait_alu 0xfffe
	s_cbranch_vccnz .LBB234_32
; %bb.31:                               ;   in Loop: Header=BB234_8 Depth=1
	v_add_co_u32 v30, vcc_lo, v0, v8
	s_wait_alu 0xfffd
	v_add_co_ci_u32_e64 v31, null, v24, v9, vcc_lo
	global_store_b64 v[30:31], v[12:13], off
.LBB234_32:                             ;   in Loop: Header=BB234_8 Depth=1
	s_wait_alu 0xfffe
	s_or_b32 exec_lo, exec_lo, s23
	v_add_co_u32 v0, vcc_lo, s2, v4
	s_wait_alu 0xfffd
	v_add_co_ci_u32_e64 v24, null, s3, v5, vcc_lo
	s_and_saveexec_b32 s2, s17
	s_cbranch_execz .LBB234_37
; %bb.33:                               ;   in Loop: Header=BB234_8 Depth=1
	v_mul_f32_e32 v13, s14, v29
	v_mul_f32_e32 v12, s15, v29
	s_and_not1_b32 vcc_lo, exec_lo, s11
	s_mov_b32 s3, -1
	s_delay_alu instid0(VALU_DEP_2) | instskip(NEXT) | instid1(VALU_DEP_2)
	v_fmac_f32_e32 v13, s15, v28
	v_fma_f32 v12, v28, s14, -v12
	s_wait_alu 0xfffe
	s_cbranch_vccnz .LBB234_35
; %bb.34:                               ;   in Loop: Header=BB234_8 Depth=1
	v_add_co_u32 v28, vcc_lo, v0, v6
	s_wait_alu 0xfffd
	v_add_co_ci_u32_e64 v29, null, v24, v7, vcc_lo
	s_mov_b32 s3, 0
	global_load_b64 v[30:31], v[28:29], off
	s_wait_loadcnt 0x0
	v_mul_f32_e32 v25, s25, v31
	s_delay_alu instid0(VALU_DEP_1) | instskip(SKIP_1) | instid1(VALU_DEP_1)
	v_fma_f32 v25, v30, s24, -v25
	v_mul_f32_e32 v31, s24, v31
	v_dual_fmac_f32 v31, s25, v30 :: v_dual_add_f32 v30, v12, v25
	s_delay_alu instid0(VALU_DEP_1)
	v_add_f32_e32 v31, v13, v31
	global_store_b64 v[28:29], v[30:31], off
.LBB234_35:                             ;   in Loop: Header=BB234_8 Depth=1
	s_wait_alu 0xfffe
	s_and_not1_b32 vcc_lo, exec_lo, s3
	s_wait_alu 0xfffe
	s_cbranch_vccnz .LBB234_37
; %bb.36:                               ;   in Loop: Header=BB234_8 Depth=1
	v_add_co_u32 v28, vcc_lo, v0, v6
	s_wait_alu 0xfffd
	v_add_co_ci_u32_e64 v29, null, v24, v7, vcc_lo
	global_store_b64 v[28:29], v[12:13], off
.LBB234_37:                             ;   in Loop: Header=BB234_8 Depth=1
	s_wait_alu 0xfffe
	s_or_b32 exec_lo, exec_lo, s2
	s_and_saveexec_b32 s2, s1
	s_cbranch_execz .LBB234_7
; %bb.38:                               ;   in Loop: Header=BB234_8 Depth=1
	v_mul_f32_e32 v13, s14, v26
	v_mul_f32_e32 v12, s15, v26
	s_and_not1_b32 vcc_lo, exec_lo, s11
	s_mov_b32 s3, -1
	s_delay_alu instid0(VALU_DEP_2) | instskip(NEXT) | instid1(VALU_DEP_2)
	v_fmac_f32_e32 v13, s15, v27
	v_fma_f32 v12, v27, s14, -v12
	s_wait_alu 0xfffe
	s_cbranch_vccnz .LBB234_40
; %bb.39:                               ;   in Loop: Header=BB234_8 Depth=1
	v_add_co_u32 v25, vcc_lo, v0, v8
	s_wait_alu 0xfffd
	v_add_co_ci_u32_e64 v26, null, v24, v9, vcc_lo
	s_mov_b32 s3, 0
	global_load_b64 v[27:28], v[25:26], off
	s_wait_loadcnt 0x0
	v_mul_f32_e32 v29, s25, v28
	v_mul_f32_e32 v28, s24, v28
	s_delay_alu instid0(VALU_DEP_1) | instskip(NEXT) | instid1(VALU_DEP_3)
	v_fmac_f32_e32 v28, s25, v27
	v_fma_f32 v29, v27, s24, -v29
	s_delay_alu instid0(VALU_DEP_1)
	v_dual_add_f32 v28, v13, v28 :: v_dual_add_f32 v27, v12, v29
	global_store_b64 v[25:26], v[27:28], off
.LBB234_40:                             ;   in Loop: Header=BB234_8 Depth=1
	s_wait_alu 0xfffe
	s_and_not1_b32 vcc_lo, exec_lo, s3
	s_wait_alu 0xfffe
	s_cbranch_vccnz .LBB234_7
; %bb.41:                               ;   in Loop: Header=BB234_8 Depth=1
	v_add_co_u32 v25, vcc_lo, v0, v8
	s_wait_alu 0xfffd
	v_add_co_ci_u32_e64 v26, null, v24, v9, vcc_lo
	global_store_b64 v[25:26], v[12:13], off
	s_branch .LBB234_7
.LBB234_42:
	s_endpgm
	.section	.rodata,"a",@progbits
	.p2align	6, 0x0
	.amdhsa_kernel _ZL29rocblas_internal_gemmt_kernelIlLi16ELi32ELi8ELc78ELc78ELc85ELb0ELb0E19rocblas_complex_numIfES1_PKS1_PS1_EviT_T9_T10_S5_lS7_S5_lS6_T11_S5_li
		.amdhsa_group_segment_fixed_size 4096
		.amdhsa_private_segment_fixed_size 0
		.amdhsa_kernarg_size 108
		.amdhsa_user_sgpr_count 2
		.amdhsa_user_sgpr_dispatch_ptr 0
		.amdhsa_user_sgpr_queue_ptr 0
		.amdhsa_user_sgpr_kernarg_segment_ptr 1
		.amdhsa_user_sgpr_dispatch_id 0
		.amdhsa_user_sgpr_private_segment_size 0
		.amdhsa_wavefront_size32 1
		.amdhsa_uses_dynamic_stack 0
		.amdhsa_enable_private_segment 0
		.amdhsa_system_sgpr_workgroup_id_x 1
		.amdhsa_system_sgpr_workgroup_id_y 1
		.amdhsa_system_sgpr_workgroup_id_z 1
		.amdhsa_system_sgpr_workgroup_info 0
		.amdhsa_system_vgpr_workitem_id 1
		.amdhsa_next_free_vgpr 71
		.amdhsa_next_free_sgpr 36
		.amdhsa_reserve_vcc 1
		.amdhsa_float_round_mode_32 0
		.amdhsa_float_round_mode_16_64 0
		.amdhsa_float_denorm_mode_32 3
		.amdhsa_float_denorm_mode_16_64 3
		.amdhsa_fp16_overflow 0
		.amdhsa_workgroup_processor_mode 1
		.amdhsa_memory_ordered 1
		.amdhsa_forward_progress 1
		.amdhsa_inst_pref_size 26
		.amdhsa_round_robin_scheduling 0
		.amdhsa_exception_fp_ieee_invalid_op 0
		.amdhsa_exception_fp_denorm_src 0
		.amdhsa_exception_fp_ieee_div_zero 0
		.amdhsa_exception_fp_ieee_overflow 0
		.amdhsa_exception_fp_ieee_underflow 0
		.amdhsa_exception_fp_ieee_inexact 0
		.amdhsa_exception_int_div_zero 0
	.end_amdhsa_kernel
	.section	.text._ZL29rocblas_internal_gemmt_kernelIlLi16ELi32ELi8ELc78ELc78ELc85ELb0ELb0E19rocblas_complex_numIfES1_PKS1_PS1_EviT_T9_T10_S5_lS7_S5_lS6_T11_S5_li,"axG",@progbits,_ZL29rocblas_internal_gemmt_kernelIlLi16ELi32ELi8ELc78ELc78ELc85ELb0ELb0E19rocblas_complex_numIfES1_PKS1_PS1_EviT_T9_T10_S5_lS7_S5_lS6_T11_S5_li,comdat
.Lfunc_end234:
	.size	_ZL29rocblas_internal_gemmt_kernelIlLi16ELi32ELi8ELc78ELc78ELc85ELb0ELb0E19rocblas_complex_numIfES1_PKS1_PS1_EviT_T9_T10_S5_lS7_S5_lS6_T11_S5_li, .Lfunc_end234-_ZL29rocblas_internal_gemmt_kernelIlLi16ELi32ELi8ELc78ELc78ELc85ELb0ELb0E19rocblas_complex_numIfES1_PKS1_PS1_EviT_T9_T10_S5_lS7_S5_lS6_T11_S5_li
                                        ; -- End function
	.set _ZL29rocblas_internal_gemmt_kernelIlLi16ELi32ELi8ELc78ELc78ELc85ELb0ELb0E19rocblas_complex_numIfES1_PKS1_PS1_EviT_T9_T10_S5_lS7_S5_lS6_T11_S5_li.num_vgpr, 71
	.set _ZL29rocblas_internal_gemmt_kernelIlLi16ELi32ELi8ELc78ELc78ELc85ELb0ELb0E19rocblas_complex_numIfES1_PKS1_PS1_EviT_T9_T10_S5_lS7_S5_lS6_T11_S5_li.num_agpr, 0
	.set _ZL29rocblas_internal_gemmt_kernelIlLi16ELi32ELi8ELc78ELc78ELc85ELb0ELb0E19rocblas_complex_numIfES1_PKS1_PS1_EviT_T9_T10_S5_lS7_S5_lS6_T11_S5_li.numbered_sgpr, 36
	.set _ZL29rocblas_internal_gemmt_kernelIlLi16ELi32ELi8ELc78ELc78ELc85ELb0ELb0E19rocblas_complex_numIfES1_PKS1_PS1_EviT_T9_T10_S5_lS7_S5_lS6_T11_S5_li.num_named_barrier, 0
	.set _ZL29rocblas_internal_gemmt_kernelIlLi16ELi32ELi8ELc78ELc78ELc85ELb0ELb0E19rocblas_complex_numIfES1_PKS1_PS1_EviT_T9_T10_S5_lS7_S5_lS6_T11_S5_li.private_seg_size, 0
	.set _ZL29rocblas_internal_gemmt_kernelIlLi16ELi32ELi8ELc78ELc78ELc85ELb0ELb0E19rocblas_complex_numIfES1_PKS1_PS1_EviT_T9_T10_S5_lS7_S5_lS6_T11_S5_li.uses_vcc, 1
	.set _ZL29rocblas_internal_gemmt_kernelIlLi16ELi32ELi8ELc78ELc78ELc85ELb0ELb0E19rocblas_complex_numIfES1_PKS1_PS1_EviT_T9_T10_S5_lS7_S5_lS6_T11_S5_li.uses_flat_scratch, 0
	.set _ZL29rocblas_internal_gemmt_kernelIlLi16ELi32ELi8ELc78ELc78ELc85ELb0ELb0E19rocblas_complex_numIfES1_PKS1_PS1_EviT_T9_T10_S5_lS7_S5_lS6_T11_S5_li.has_dyn_sized_stack, 0
	.set _ZL29rocblas_internal_gemmt_kernelIlLi16ELi32ELi8ELc78ELc78ELc85ELb0ELb0E19rocblas_complex_numIfES1_PKS1_PS1_EviT_T9_T10_S5_lS7_S5_lS6_T11_S5_li.has_recursion, 0
	.set _ZL29rocblas_internal_gemmt_kernelIlLi16ELi32ELi8ELc78ELc78ELc85ELb0ELb0E19rocblas_complex_numIfES1_PKS1_PS1_EviT_T9_T10_S5_lS7_S5_lS6_T11_S5_li.has_indirect_call, 0
	.section	.AMDGPU.csdata,"",@progbits
; Kernel info:
; codeLenInByte = 3288
; TotalNumSgprs: 38
; NumVgprs: 71
; ScratchSize: 0
; MemoryBound: 0
; FloatMode: 240
; IeeeMode: 1
; LDSByteSize: 4096 bytes/workgroup (compile time only)
; SGPRBlocks: 0
; VGPRBlocks: 8
; NumSGPRsForWavesPerEU: 38
; NumVGPRsForWavesPerEU: 71
; Occupancy: 16
; WaveLimiterHint : 0
; COMPUTE_PGM_RSRC2:SCRATCH_EN: 0
; COMPUTE_PGM_RSRC2:USER_SGPR: 2
; COMPUTE_PGM_RSRC2:TRAP_HANDLER: 0
; COMPUTE_PGM_RSRC2:TGID_X_EN: 1
; COMPUTE_PGM_RSRC2:TGID_Y_EN: 1
; COMPUTE_PGM_RSRC2:TGID_Z_EN: 1
; COMPUTE_PGM_RSRC2:TIDIG_COMP_CNT: 1
	.section	.text._ZL29rocblas_internal_gemmt_kernelIlLi16ELi32ELi8ELc78ELc84ELc85ELb0ELb0E19rocblas_complex_numIfES1_PKS1_PS1_EviT_T9_T10_S5_lS7_S5_lS6_T11_S5_li,"axG",@progbits,_ZL29rocblas_internal_gemmt_kernelIlLi16ELi32ELi8ELc78ELc84ELc85ELb0ELb0E19rocblas_complex_numIfES1_PKS1_PS1_EviT_T9_T10_S5_lS7_S5_lS6_T11_S5_li,comdat
	.globl	_ZL29rocblas_internal_gemmt_kernelIlLi16ELi32ELi8ELc78ELc84ELc85ELb0ELb0E19rocblas_complex_numIfES1_PKS1_PS1_EviT_T9_T10_S5_lS7_S5_lS6_T11_S5_li ; -- Begin function _ZL29rocblas_internal_gemmt_kernelIlLi16ELi32ELi8ELc78ELc84ELc85ELb0ELb0E19rocblas_complex_numIfES1_PKS1_PS1_EviT_T9_T10_S5_lS7_S5_lS6_T11_S5_li
	.p2align	8
	.type	_ZL29rocblas_internal_gemmt_kernelIlLi16ELi32ELi8ELc78ELc84ELc85ELb0ELb0E19rocblas_complex_numIfES1_PKS1_PS1_EviT_T9_T10_S5_lS7_S5_lS6_T11_S5_li,@function
_ZL29rocblas_internal_gemmt_kernelIlLi16ELi32ELi8ELc78ELc84ELc85ELb0ELb0E19rocblas_complex_numIfES1_PKS1_PS1_EviT_T9_T10_S5_lS7_S5_lS6_T11_S5_li: ; @_ZL29rocblas_internal_gemmt_kernelIlLi16ELi32ELi8ELc78ELc84ELc85ELb0ELb0E19rocblas_complex_numIfES1_PKS1_PS1_EviT_T9_T10_S5_lS7_S5_lS6_T11_S5_li
; %bb.0:
	s_clause 0x1
	s_load_b64 s[24:25], s[0:1], 0x48
	s_load_b128 s[12:15], s[0:1], 0x8
	s_wait_kmcnt 0x0
	s_cmp_eq_f32 s24, 1.0
	s_cselect_b32 s2, -1, 0
	s_and_b32 s3, s25, 0x7fffffff
	s_delay_alu instid0(SALU_CYCLE_1) | instskip(SKIP_1) | instid1(SALU_CYCLE_1)
	s_cmp_eq_u32 s3, 0
	s_cselect_b32 s33, -1, 0
	s_and_b32 s3, s2, s33
	s_mov_b32 s2, 0
	s_and_not1_b32 vcc_lo, exec_lo, s3
	s_mov_b32 s3, -1
	s_cbranch_vccnz .LBB235_4
; %bb.1:
	s_cmp_lg_u64 s[12:13], 0
	s_cbranch_scc0 .LBB235_3
; %bb.2:
	s_cmp_neq_f32 s14, 0
	s_cselect_b32 s2, -1, 0
	s_cmp_neq_f32 s15, 0
	s_cselect_b32 s3, -1, 0
	s_delay_alu instid0(SALU_CYCLE_1)
	s_or_b32 s2, s2, s3
.LBB235_3:
	s_delay_alu instid0(SALU_CYCLE_1)
	s_mov_b32 s3, s2
.LBB235_4:
	s_delay_alu instid0(SALU_CYCLE_1)
	s_and_b32 vcc_lo, exec_lo, s3
	s_cbranch_vccz .LBB235_42
; %bb.5:
	s_load_b32 s30, s[0:1], 0x68
	s_lshr_b32 s26, ttmp7, 16
	s_wait_kmcnt 0x0
	s_cmp_ge_u32 s26, s30
	s_cbranch_scc1 .LBB235_42
; %bb.6:
	v_and_b32_e32 v7, 0x3ff, v0
	v_bfe_u32 v8, v0, 10, 10
	v_and_b32_e32 v14, 7, v0
	s_clause 0x1
	s_load_b32 s34, s[0:1], 0x0
	s_load_b256 s[4:11], s[0:1], 0x18
	s_lshl_b32 s2, ttmp9, 5
	s_clause 0x1
	s_load_b128 s[16:19], s[0:1], 0x38
	s_load_b128 s[20:23], s[0:1], 0x50
	v_lshl_add_u32 v0, v8, 4, v7
	s_lshl_b32 s3, ttmp7, 5
	s_load_b64 s[28:29], s[0:1], 0x60
	s_and_b32 s3, s3, 0x1fffe0
	s_cmp_neq_f32 s14, 0
	v_and_b32_e32 v2, 31, v0
	v_lshrrev_b32_e32 v15, 5, v0
	v_lshrrev_b32_e32 v3, 3, v0
	s_cselect_b32 s31, -1, 0
	s_cmp_neq_f32 s15, 0
	v_or_b32_e32 v0, s2, v2
	v_lshlrev_b32_e32 v5, 3, v2
	v_add_nc_u32_e32 v11, s3, v8
	s_cselect_b32 s0, -1, 0
	v_add_nc_u32_e32 v4, s3, v3
	v_ashrrev_i32_e32 v1, 31, v0
	s_or_b32 s35, s31, s0
	s_wait_kmcnt 0x0
	v_cmp_gt_i32_e64 s0, s34, v0
	v_cmp_le_i32_e64 s31, s34, v0
	v_add_nc_u32_e32 v12, 16, v11
	v_lshlrev_b64_e32 v[1:2], 3, v[0:1]
	v_lshl_or_b32 v16, v15, 8, v5
	v_lshl_add_u32 v23, v8, 6, 0x800
	s_cmp_neq_f32 s24, 0
	v_cmp_gt_i64_e64 s36, s[12:13], 0
	s_mov_b32 s27, 0
	v_add_co_u32 v17, vcc_lo, s4, v1
	v_dual_mov_b32 v1, 0 :: v_dual_lshlrev_b32 v6, 3, v14
	v_add_co_ci_u32_e64 v18, null, s5, v2, vcc_lo
	v_cmp_gt_i32_e32 vcc_lo, s34, v4
	s_delay_alu instid0(VALU_DEP_3) | instskip(SKIP_1) | instid1(VALU_DEP_2)
	v_lshl_or_b32 v0, v3, 6, v6
	v_mad_co_u64_u32 v[2:3], null, s22, v11, 0
	v_add_nc_u32_e32 v19, 0x800, v0
	v_lshlrev_b32_e32 v0, 3, v4
	v_mad_co_u64_u32 v[4:5], null, s22, v12, 0
	s_delay_alu instid0(VALU_DEP_2) | instskip(SKIP_4) | instid1(VALU_DEP_4)
	v_add_co_u32 v20, s1, s10, v0
	v_mov_b32_e32 v0, v3
	v_add_nc_u32_e32 v6, s2, v7
	v_add_co_ci_u32_e64 v21, null, s11, 0, s1
	v_lshlrev_b32_e32 v22, 3, v7
	v_mad_co_u64_u32 v[9:10], null, s23, v11, v[0:1]
	s_delay_alu instid0(VALU_DEP_4)
	v_add_nc_u32_e32 v8, 16, v6
	v_mov_b32_e32 v0, v5
	v_cmp_gt_i32_e64 s1, s34, v11
	v_cmp_le_i32_e64 s2, v6, v11
	v_ashrrev_i32_e32 v7, 31, v6
	v_cmp_le_i32_e64 s3, v8, v11
	v_mad_co_u64_u32 v[10:11], null, s23, v12, v[0:1]
	v_mov_b32_e32 v3, v9
	v_ashrrev_i32_e32 v9, 31, v8
	s_cselect_b32 s11, -1, 0
	s_and_b32 s4, s1, s2
	s_and_b32 s5, s1, s3
	v_cmp_gt_i32_e64 s1, s34, v12
	s_delay_alu instid0(VALU_DEP_4)
	v_mov_b32_e32 v5, v10
	v_cmp_le_i32_e64 s2, v6, v12
	v_cmp_le_i32_e64 s3, v8, v12
	v_lshlrev_b64_e32 v[2:3], 3, v[2:3]
	v_lshlrev_b64_e32 v[6:7], 3, v[6:7]
	v_lshlrev_b64_e32 v[4:5], 3, v[4:5]
	v_lshlrev_b64_e32 v[8:9], 3, v[8:9]
	s_xor_b32 s22, s33, -1
	s_and_b32 s10, s35, s36
	s_wait_alu 0xfffe
	s_or_b32 s11, s11, s22
	s_and_b32 s22, s1, s2
	s_and_b32 s1, s1, s3
	s_xor_b32 s23, vcc_lo, -1
                                        ; implicit-def: $vgpr10_vgpr11
	s_branch .LBB235_8
.LBB235_7:                              ;   in Loop: Header=BB235_8 Depth=1
	s_wait_alu 0xfffe
	s_or_b32 exec_lo, exec_lo, s2
	s_add_co_i32 s26, s26, 0x10000
	s_delay_alu instid0(SALU_CYCLE_1)
	s_cmp_lt_u32 s26, s30
	s_cbranch_scc0 .LBB235_42
.LBB235_8:                              ; =>This Loop Header: Depth=1
                                        ;     Child Loop BB235_11 Depth 2
	s_and_not1_b32 vcc_lo, exec_lo, s10
	s_wait_alu 0xfffe
	s_cbranch_vccnz .LBB235_21
; %bb.9:                                ;   in Loop: Header=BB235_8 Depth=1
	s_mul_u64 s[2:3], s[8:9], s[26:27]
	s_mul_u64 s[34:35], s[18:19], s[26:27]
	s_wait_alu 0xfffe
	s_lshl_b64 s[2:3], s[2:3], 3
	v_dual_mov_b32 v26, 0 :: v_dual_mov_b32 v27, 0
	s_wait_alu 0xfffe
	v_add_co_u32 v12, vcc_lo, v17, s2
	s_wait_alu 0xfffd
	v_add_co_ci_u32_e64 v13, null, s3, v18, vcc_lo
	s_lshl_b64 s[2:3], s[34:35], 3
	v_dual_mov_b32 v29, 0 :: v_dual_mov_b32 v28, 0
	s_wait_alu 0xfffe
	v_add_co_u32 v24, vcc_lo, v20, s2
	s_wait_alu 0xfffd
	v_add_co_ci_u32_e64 v25, null, s3, v21, vcc_lo
	v_dual_mov_b32 v31, 0 :: v_dual_mov_b32 v30, 0
	v_dual_mov_b32 v33, 0 :: v_dual_mov_b32 v32, 0
	s_mov_b64 s[2:3], 0
	s_branch .LBB235_11
.LBB235_10:                             ;   in Loop: Header=BB235_11 Depth=2
	s_or_b32 exec_lo, exec_lo, s33
	s_wait_dscnt 0x0
	s_barrier_signal -1
	s_barrier_wait -1
	global_inv scope:SCOPE_SE
	ds_load_b128 v[34:37], v23
	ds_load_2addr_b64 v[38:41], v22 offset1:16
	ds_load_b128 v[42:45], v23 offset:1024
	ds_load_b128 v[46:49], v23 offset:16
	;; [unrolled: 1-line block ×4, first 2 shown]
	ds_load_2addr_b64 v[58:61], v22 offset0:32 offset1:48
	ds_load_b128 v[62:65], v23 offset:1040
	s_add_nc_u64 s[2:3], s[2:3], 8
	s_wait_alu 0xfffe
	v_cmp_gt_i64_e64 s33, s[12:13], s[2:3]
	s_and_b32 vcc_lo, exec_lo, s33
	s_wait_dscnt 0x6
	v_mul_f32_e32 v0, v35, v39
	v_dual_mul_f32 v66, v34, v39 :: v_dual_mul_f32 v67, v35, v41
	s_wait_dscnt 0x5
	v_dual_mul_f32 v68, v34, v41 :: v_dual_mul_f32 v69, v43, v39
	v_dual_mul_f32 v39, v42, v39 :: v_dual_mul_f32 v70, v43, v41
	v_mul_f32_e32 v41, v42, v41
	v_fma_f32 v0, v34, v38, -v0
	v_fma_f32 v34, v34, v40, -v67
	v_fmac_f32_e32 v68, v35, v40
	v_fmac_f32_e32 v39, v43, v38
	v_fmac_f32_e32 v41, v43, v40
	v_add_f32_e32 v0, v32, v0
	v_fmac_f32_e32 v66, v35, v38
	v_fma_f32 v35, v42, v38, -v69
	v_fma_f32 v38, v42, v40, -v70
	v_add_f32_e32 v26, v26, v41
	s_delay_alu instid0(VALU_DEP_4) | instskip(NEXT) | instid1(VALU_DEP_4)
	v_add_f32_e32 v32, v33, v66
	v_dual_add_f32 v33, v30, v34 :: v_dual_add_f32 v34, v28, v35
	v_add_f32_e32 v35, v29, v39
	s_wait_dscnt 0x1
	v_dual_mul_f32 v39, v37, v59 :: v_dual_add_f32 v38, v27, v38
	ds_load_2addr_b64 v[27:30], v22 offset0:64 offset1:80
	v_mul_f32_e32 v42, v37, v61
	v_mul_f32_e32 v41, v36, v61
	;; [unrolled: 1-line block ×3, first 2 shown]
	v_fma_f32 v39, v36, v58, -v39
	v_add_f32_e32 v31, v31, v68
	v_fma_f32 v36, v36, v60, -v42
	s_delay_alu instid0(VALU_DEP_3) | instskip(SKIP_1) | instid1(VALU_DEP_3)
	v_add_f32_e32 v0, v0, v39
	v_mul_f32_e32 v39, v45, v59
	v_add_f32_e32 v36, v33, v36
	v_fmac_f32_e32 v41, v37, v60
	v_fmac_f32_e32 v40, v37, v58
	v_mul_f32_e32 v37, v45, v61
	v_fma_f32 v33, v44, v58, -v39
	s_delay_alu instid0(VALU_DEP_4) | instskip(NEXT) | instid1(VALU_DEP_3)
	v_add_f32_e32 v39, v31, v41
	v_fma_f32 v31, v44, v60, -v37
	v_mul_f32_e32 v41, v44, v61
	s_wait_dscnt 0x0
	v_mul_f32_e32 v37, v46, v28
	v_add_f32_e32 v40, v32, v40
	v_add_f32_e32 v38, v38, v31
	v_dual_mul_f32 v32, v44, v59 :: v_dual_fmac_f32 v41, v45, v60
	v_mul_f32_e32 v44, v47, v30
	s_delay_alu instid0(VALU_DEP_2) | instskip(NEXT) | instid1(VALU_DEP_3)
	v_dual_fmac_f32 v37, v47, v27 :: v_dual_fmac_f32 v32, v45, v58
	v_add_f32_e32 v41, v26, v41
	v_dual_add_f32 v42, v34, v33 :: v_dual_mul_f32 v33, v47, v28
	s_delay_alu instid0(VALU_DEP_3) | instskip(NEXT) | instid1(VALU_DEP_4)
	v_dual_mul_f32 v26, v46, v30 :: v_dual_add_f32 v37, v40, v37
	v_add_f32_e32 v35, v35, v32
	s_delay_alu instid0(VALU_DEP_3) | instskip(SKIP_4) | instid1(VALU_DEP_1)
	v_fma_f32 v43, v46, v27, -v33
	ds_load_2addr_b64 v[31:34], v22 offset0:96 offset1:112
	v_fmac_f32_e32 v26, v47, v29
	v_add_f32_e32 v0, v0, v43
	v_fma_f32 v43, v46, v29, -v44
	v_dual_add_f32 v39, v39, v26 :: v_dual_add_f32 v36, v36, v43
	v_mul_f32_e32 v43, v63, v30
	v_mul_f32_e32 v30, v62, v30
	s_delay_alu instid0(VALU_DEP_2) | instskip(SKIP_1) | instid1(VALU_DEP_3)
	v_fma_f32 v26, v62, v29, -v43
	v_mul_f32_e32 v40, v63, v28
	v_fmac_f32_e32 v30, v63, v29
	s_wait_dscnt 0x0
	v_dual_mul_f32 v28, v62, v28 :: v_dual_mul_f32 v47, v65, v34
	v_add_f32_e32 v43, v38, v26
	v_fma_f32 v40, v62, v27, -v40
	v_dual_mul_f32 v38, v48, v32 :: v_dual_add_f32 v41, v41, v30
	s_delay_alu instid0(VALU_DEP_4) | instskip(SKIP_1) | instid1(VALU_DEP_3)
	v_fmac_f32_e32 v28, v63, v27
	v_mul_f32_e32 v30, v48, v34
	v_fmac_f32_e32 v38, v49, v31
	v_add_f32_e32 v40, v42, v40
	s_delay_alu instid0(VALU_DEP_4)
	v_add_f32_e32 v42, v35, v28
	ds_load_2addr_b64 v[26:29], v22 offset0:128 offset1:144
	v_mul_f32_e32 v35, v49, v32
	v_mul_f32_e32 v44, v49, v34
	v_fmac_f32_e32 v30, v49, v33
	v_mul_f32_e32 v34, v64, v34
	s_delay_alu instid0(VALU_DEP_4)
	v_fma_f32 v35, v48, v31, -v35
	s_wait_dscnt 0x0
	v_mul_f32_e32 v49, v50, v27
	v_fma_f32 v44, v48, v33, -v44
	v_add_f32_e32 v48, v39, v30
	v_fma_f32 v30, v64, v33, -v47
	s_delay_alu instid0(VALU_DEP_4) | instskip(NEXT) | instid1(VALU_DEP_4)
	v_fmac_f32_e32 v49, v51, v26
	v_dual_add_f32 v45, v37, v38 :: v_dual_add_f32 v44, v36, v44
	s_delay_alu instid0(VALU_DEP_3) | instskip(SKIP_1) | instid1(VALU_DEP_3)
	v_dual_add_f32 v43, v43, v30 :: v_dual_add_f32 v0, v0, v35
	v_mul_f32_e32 v35, v65, v32
	v_dual_mul_f32 v32, v64, v32 :: v_dual_add_f32 v45, v45, v49
	s_delay_alu instid0(VALU_DEP_2) | instskip(SKIP_3) | instid1(VALU_DEP_2)
	v_fma_f32 v46, v64, v31, -v35
	ds_load_b128 v[35:38], v23 offset:1056
	v_fmac_f32_e32 v32, v65, v31
	v_dual_mul_f32 v31, v51, v27 :: v_dual_fmac_f32 v34, v65, v33
	v_add_f32_e32 v47, v42, v32
	s_delay_alu instid0(VALU_DEP_2)
	v_fma_f32 v39, v50, v26, -v31
	ds_load_2addr_b64 v[30:33], v22 offset0:160 offset1:176
	v_add_f32_e32 v46, v40, v46
	v_mul_f32_e32 v40, v51, v29
	v_add_f32_e32 v34, v41, v34
	v_add_f32_e32 v0, v0, v39
	s_delay_alu instid0(VALU_DEP_3) | instskip(SKIP_4) | instid1(VALU_DEP_2)
	v_fma_f32 v58, v50, v28, -v40
	ds_load_b128 v[39:42], v23 offset:1072
	s_wait_dscnt 0x2
	v_dual_mul_f32 v50, v50, v29 :: v_dual_mul_f32 v59, v36, v27
	v_mul_f32_e32 v27, v35, v27
	v_dual_fmac_f32 v50, v51, v28 :: v_dual_mul_f32 v51, v36, v29
	s_delay_alu instid0(VALU_DEP_3) | instskip(NEXT) | instid1(VALU_DEP_3)
	v_fma_f32 v49, v35, v26, -v59
	v_fmac_f32_e32 v27, v36, v26
	s_delay_alu instid0(VALU_DEP_3) | instskip(SKIP_2) | instid1(VALU_DEP_4)
	v_add_f32_e32 v48, v48, v50
	v_mul_f32_e32 v50, v35, v29
	v_fma_f32 v26, v35, v28, -v51
	v_add_f32_e32 v35, v47, v27
	s_wait_dscnt 0x1
	s_delay_alu instid0(VALU_DEP_3) | instskip(NEXT) | instid1(VALU_DEP_3)
	v_dual_mul_f32 v47, v53, v31 :: v_dual_fmac_f32 v50, v36, v28
	v_add_f32_e32 v43, v43, v26
	ds_load_2addr_b64 v[26:29], v22 offset0:192 offset1:208
	v_mul_f32_e32 v36, v52, v31
	v_add_f32_e32 v46, v46, v49
	v_fma_f32 v47, v52, v30, -v47
	v_mul_f32_e32 v49, v53, v33
	s_delay_alu instid0(VALU_DEP_4) | instskip(NEXT) | instid1(VALU_DEP_3)
	v_fmac_f32_e32 v36, v53, v30
	v_add_f32_e32 v0, v0, v47
	s_delay_alu instid0(VALU_DEP_3) | instskip(NEXT) | instid1(VALU_DEP_3)
	v_fma_f32 v47, v52, v32, -v49
	v_dual_add_f32 v45, v45, v36 :: v_dual_mul_f32 v36, v38, v31
	v_mul_f32_e32 v31, v37, v31
	s_delay_alu instid0(VALU_DEP_2) | instskip(NEXT) | instid1(VALU_DEP_2)
	v_fma_f32 v36, v37, v30, -v36
	v_fmac_f32_e32 v31, v38, v30
	v_add_f32_e32 v44, v44, v58
	s_delay_alu instid0(VALU_DEP_2) | instskip(NEXT) | instid1(VALU_DEP_2)
	v_dual_mul_f32 v30, v37, v33 :: v_dual_add_f32 v31, v35, v31
	v_dual_add_f32 v44, v44, v47 :: v_dual_mul_f32 v47, v38, v33
	v_add_f32_e32 v50, v34, v50
	v_mul_f32_e32 v34, v52, v33
	s_delay_alu instid0(VALU_DEP_4) | instskip(NEXT) | instid1(VALU_DEP_4)
	v_fmac_f32_e32 v30, v38, v32
	v_fma_f32 v33, v37, v32, -v47
	s_wait_dscnt 0x0
	s_delay_alu instid0(VALU_DEP_3) | instskip(NEXT) | instid1(VALU_DEP_2)
	v_dual_mul_f32 v47, v40, v27 :: v_dual_fmac_f32 v34, v53, v32
	v_dual_add_f32 v32, v43, v33 :: v_dual_mul_f32 v33, v54, v27
	v_mul_f32_e32 v43, v55, v29
	s_delay_alu instid0(VALU_DEP_2) | instskip(NEXT) | instid1(VALU_DEP_2)
	v_dual_fmac_f32 v33, v55, v26 :: v_dual_add_f32 v46, v46, v36
	v_fma_f32 v43, v54, v28, -v43
	s_delay_alu instid0(VALU_DEP_2) | instskip(SKIP_3) | instid1(VALU_DEP_3)
	v_dual_add_f32 v33, v45, v33 :: v_dual_add_f32 v48, v48, v34
	v_mul_f32_e32 v34, v55, v27
	v_mul_f32_e32 v27, v39, v27
	;; [unrolled: 1-line block ×3, first 2 shown]
	v_fma_f32 v38, v54, v26, -v34
	ds_load_2addr_b64 v[34:37], v22 offset0:224 offset1:240
	v_fmac_f32_e32 v27, v40, v26
	v_add_f32_e32 v30, v50, v30
	s_wait_loadcnt_dscnt 0x0
	v_add_f32_e32 v0, v0, v38
	s_barrier_signal -1
	v_dual_add_f32 v27, v31, v27 :: v_dual_mul_f32 v38, v54, v29
	v_mul_f32_e32 v29, v39, v29
	s_barrier_wait -1
	global_inv scope:SCOPE_SE
	v_fmac_f32_e32 v38, v55, v28
	v_fmac_f32_e32 v29, v40, v28
	s_delay_alu instid0(VALU_DEP_1) | instskip(SKIP_2) | instid1(VALU_DEP_2)
	v_add_f32_e32 v40, v30, v29
	v_mul_f32_e32 v29, v56, v37
	v_mul_f32_e32 v31, v57, v35
	v_fmac_f32_e32 v29, v57, v36
	v_add_f32_e32 v43, v44, v43
	v_fma_f32 v44, v39, v26, -v47
	v_fma_f32 v39, v39, v28, -v45
	;; [unrolled: 1-line block ×3, first 2 shown]
	s_delay_alu instid0(VALU_DEP_2) | instskip(SKIP_1) | instid1(VALU_DEP_2)
	v_dual_add_f32 v39, v32, v39 :: v_dual_mul_f32 v32, v57, v37
	v_mul_f32_e32 v28, v56, v35
	v_fma_f32 v30, v56, v36, -v32
	s_delay_alu instid0(VALU_DEP_4) | instskip(SKIP_1) | instid1(VALU_DEP_4)
	v_add_f32_e32 v32, v0, v31
	v_mul_f32_e32 v0, v42, v35
	v_fmac_f32_e32 v28, v57, v34
	s_delay_alu instid0(VALU_DEP_4) | instskip(SKIP_1) | instid1(VALU_DEP_4)
	v_dual_mul_f32 v35, v41, v35 :: v_dual_add_f32 v30, v43, v30
	v_mul_f32_e32 v43, v42, v37
	v_fma_f32 v0, v41, v34, -v0
	v_dual_mul_f32 v37, v41, v37 :: v_dual_add_f32 v26, v48, v38
	v_add_f32_e32 v38, v46, v44
	v_add_f32_e32 v33, v33, v28
	v_fmac_f32_e32 v35, v42, v34
	s_delay_alu instid0(VALU_DEP_4) | instskip(SKIP_3) | instid1(VALU_DEP_4)
	v_fmac_f32_e32 v37, v42, v36
	v_add_f32_e32 v31, v26, v29
	v_add_f32_e32 v28, v38, v0
	v_fma_f32 v0, v41, v36, -v43
	v_dual_add_f32 v29, v27, v35 :: v_dual_add_f32 v26, v40, v37
	s_delay_alu instid0(VALU_DEP_2)
	v_add_f32_e32 v27, v39, v0
	s_wait_alu 0xfffe
	s_cbranch_vccz .LBB235_22
.LBB235_11:                             ;   Parent Loop BB235_8 Depth=1
                                        ; =>  This Inner Loop Header: Depth=2
	s_mov_b32 s33, 0
	s_mov_b32 s35, s31
	s_and_saveexec_b32 s34, s0
	s_cbranch_execnz .LBB235_19
; %bb.12:                               ;   in Loop: Header=BB235_11 Depth=2
	s_wait_alu 0xfffe
	s_or_b32 exec_lo, exec_lo, s34
	s_and_saveexec_b32 s34, s35
	s_wait_alu 0xfffe
	s_xor_b32 s34, exec_lo, s34
	s_cbranch_execnz .LBB235_20
.LBB235_13:                             ;   in Loop: Header=BB235_11 Depth=2
	s_wait_alu 0xfffe
	s_or_b32 exec_lo, exec_lo, s34
	s_and_saveexec_b32 s34, s33
	s_cbranch_execz .LBB235_15
.LBB235_14:                             ;   in Loop: Header=BB235_11 Depth=2
	v_mul_lo_u32 v0, s7, v10
	v_mul_lo_u32 v36, s6, v11
	v_mad_co_u64_u32 v[34:35], null, s6, v10, 0
	s_delay_alu instid0(VALU_DEP_1) | instskip(NEXT) | instid1(VALU_DEP_1)
	v_add3_u32 v35, v35, v36, v0
	v_lshlrev_b64_e32 v[34:35], 3, v[34:35]
	s_delay_alu instid0(VALU_DEP_1) | instskip(SKIP_1) | instid1(VALU_DEP_2)
	v_add_co_u32 v34, vcc_lo, v12, v34
	s_wait_alu 0xfffd
	v_add_co_ci_u32_e64 v35, null, v13, v35, vcc_lo
	global_load_b64 v[34:35], v[34:35], off
	s_wait_loadcnt 0x0
	ds_store_b64 v16, v[34:35]
.LBB235_15:                             ;   in Loop: Header=BB235_11 Depth=2
	s_wait_alu 0xfffe
	s_or_b32 exec_lo, exec_lo, s34
	v_add_nc_u32_e32 v0, s2, v14
	s_delay_alu instid0(VALU_DEP_1) | instskip(SKIP_1) | instid1(SALU_CYCLE_1)
	v_cmp_le_u64_e32 vcc_lo, s[12:13], v[0:1]
	s_or_b32 s33, vcc_lo, s23
	s_and_saveexec_b32 s34, s33
	s_wait_alu 0xfffe
	s_xor_b32 s33, exec_lo, s34
; %bb.16:                               ;   in Loop: Header=BB235_11 Depth=2
	v_mov_b32_e32 v0, v1
	ds_store_b64 v19, v[0:1]
; %bb.17:                               ;   in Loop: Header=BB235_11 Depth=2
	s_and_not1_saveexec_b32 s33, s33
	s_cbranch_execz .LBB235_10
; %bb.18:                               ;   in Loop: Header=BB235_11 Depth=2
	v_mad_co_u64_u32 v[34:35], null, s16, v0, 0
	s_delay_alu instid0(VALU_DEP_1) | instskip(NEXT) | instid1(VALU_DEP_1)
	v_mad_co_u64_u32 v[35:36], null, s17, v0, v[35:36]
	v_lshlrev_b64_e32 v[34:35], 3, v[34:35]
	s_delay_alu instid0(VALU_DEP_1) | instskip(SKIP_1) | instid1(VALU_DEP_2)
	v_add_co_u32 v34, vcc_lo, v24, v34
	s_wait_alu 0xfffd
	v_add_co_ci_u32_e64 v35, null, v25, v35, vcc_lo
	global_load_b64 v[34:35], v[34:35], off
	s_wait_loadcnt 0x0
	ds_store_b64 v19, v[34:35]
	s_branch .LBB235_10
.LBB235_19:                             ;   in Loop: Header=BB235_11 Depth=2
	s_wait_alu 0xfffe
	v_add_nc_u32_e32 v0, s2, v15
	v_mov_b32_e32 v11, v1
	s_and_not1_b32 s35, s31, exec_lo
	s_mov_b32 s33, exec_lo
	s_delay_alu instid0(VALU_DEP_2)
	v_cmp_le_u64_e32 vcc_lo, s[12:13], v[0:1]
	v_mov_b32_e32 v10, v0
	s_and_b32 s36, vcc_lo, exec_lo
	s_wait_alu 0xfffe
	s_or_b32 s35, s35, s36
	s_or_b32 exec_lo, exec_lo, s34
	s_wait_alu 0xfffe
	s_and_saveexec_b32 s34, s35
	s_wait_alu 0xfffe
	s_xor_b32 s34, exec_lo, s34
	s_cbranch_execz .LBB235_13
.LBB235_20:                             ;   in Loop: Header=BB235_11 Depth=2
	v_mov_b32_e32 v0, v1
	s_and_not1_b32 s33, s33, exec_lo
	ds_store_b64 v16, v[0:1]
	s_wait_alu 0xfffe
	s_or_b32 exec_lo, exec_lo, s34
	s_and_saveexec_b32 s34, s33
	s_cbranch_execnz .LBB235_14
	s_branch .LBB235_15
.LBB235_21:                             ;   in Loop: Header=BB235_8 Depth=1
	v_dual_mov_b32 v32, v1 :: v_dual_mov_b32 v33, v1
	v_dual_mov_b32 v30, v1 :: v_dual_mov_b32 v31, v1
	;; [unrolled: 1-line block ×4, first 2 shown]
.LBB235_22:                             ;   in Loop: Header=BB235_8 Depth=1
	s_mul_u64 s[2:3], s[28:29], s[26:27]
	s_wait_alu 0xfffe
	s_lshl_b64 s[2:3], s[2:3], 3
	s_wait_alu 0xfffe
	s_add_nc_u64 s[2:3], s[20:21], s[2:3]
	s_wait_alu 0xfffe
	v_add_co_u32 v0, vcc_lo, s2, v2
	s_wait_alu 0xfffd
	v_add_co_ci_u32_e64 v24, null, s3, v3, vcc_lo
	s_and_saveexec_b32 s33, s4
	s_cbranch_execz .LBB235_27
; %bb.23:                               ;   in Loop: Header=BB235_8 Depth=1
	v_mul_f32_e32 v13, s14, v33
	v_mul_f32_e32 v12, s15, v33
	s_and_b32 vcc_lo, exec_lo, s11
	s_mov_b32 s34, -1
	s_delay_alu instid0(VALU_DEP_2) | instskip(NEXT) | instid1(VALU_DEP_2)
	v_fmac_f32_e32 v13, s15, v32
	v_fma_f32 v12, v32, s14, -v12
	s_wait_alu 0xfffe
	s_cbranch_vccz .LBB235_25
; %bb.24:                               ;   in Loop: Header=BB235_8 Depth=1
	v_add_co_u32 v32, vcc_lo, v0, v6
	s_wait_alu 0xfffd
	v_add_co_ci_u32_e64 v33, null, v24, v7, vcc_lo
	s_mov_b32 s34, 0
	global_load_b64 v[34:35], v[32:33], off
	s_wait_loadcnt 0x0
	v_mul_f32_e32 v25, s25, v35
	s_delay_alu instid0(VALU_DEP_1) | instskip(SKIP_1) | instid1(VALU_DEP_1)
	v_fma_f32 v25, v34, s24, -v25
	v_mul_f32_e32 v35, s24, v35
	v_dual_fmac_f32 v35, s25, v34 :: v_dual_add_f32 v34, v12, v25
	s_delay_alu instid0(VALU_DEP_1)
	v_add_f32_e32 v35, v13, v35
	global_store_b64 v[32:33], v[34:35], off
.LBB235_25:                             ;   in Loop: Header=BB235_8 Depth=1
	s_wait_alu 0xfffe
	s_and_not1_b32 vcc_lo, exec_lo, s34
	s_wait_alu 0xfffe
	s_cbranch_vccnz .LBB235_27
; %bb.26:                               ;   in Loop: Header=BB235_8 Depth=1
	v_add_co_u32 v32, vcc_lo, v0, v6
	s_wait_alu 0xfffd
	v_add_co_ci_u32_e64 v33, null, v24, v7, vcc_lo
	global_store_b64 v[32:33], v[12:13], off
.LBB235_27:                             ;   in Loop: Header=BB235_8 Depth=1
	s_or_b32 exec_lo, exec_lo, s33
	s_and_saveexec_b32 s33, s5
	s_cbranch_execz .LBB235_32
; %bb.28:                               ;   in Loop: Header=BB235_8 Depth=1
	v_mul_f32_e32 v13, s14, v31
	v_mul_f32_e32 v12, s15, v31
	s_and_not1_b32 vcc_lo, exec_lo, s11
	s_mov_b32 s34, -1
	s_delay_alu instid0(VALU_DEP_2) | instskip(NEXT) | instid1(VALU_DEP_2)
	v_fmac_f32_e32 v13, s15, v30
	v_fma_f32 v12, v30, s14, -v12
	s_wait_alu 0xfffe
	s_cbranch_vccnz .LBB235_30
; %bb.29:                               ;   in Loop: Header=BB235_8 Depth=1
	v_add_co_u32 v30, vcc_lo, v0, v8
	s_wait_alu 0xfffd
	v_add_co_ci_u32_e64 v31, null, v24, v9, vcc_lo
	s_mov_b32 s34, 0
	global_load_b64 v[32:33], v[30:31], off
	s_wait_loadcnt 0x0
	v_mul_f32_e32 v25, s25, v33
	v_mul_f32_e32 v33, s24, v33
	s_delay_alu instid0(VALU_DEP_2) | instskip(NEXT) | instid1(VALU_DEP_1)
	v_fma_f32 v25, v32, s24, -v25
	v_dual_fmac_f32 v33, s25, v32 :: v_dual_add_f32 v32, v12, v25
	s_delay_alu instid0(VALU_DEP_1)
	v_add_f32_e32 v33, v13, v33
	global_store_b64 v[30:31], v[32:33], off
.LBB235_30:                             ;   in Loop: Header=BB235_8 Depth=1
	s_wait_alu 0xfffe
	s_and_not1_b32 vcc_lo, exec_lo, s34
	s_wait_alu 0xfffe
	s_cbranch_vccnz .LBB235_32
; %bb.31:                               ;   in Loop: Header=BB235_8 Depth=1
	v_add_co_u32 v30, vcc_lo, v0, v8
	s_wait_alu 0xfffd
	v_add_co_ci_u32_e64 v31, null, v24, v9, vcc_lo
	global_store_b64 v[30:31], v[12:13], off
.LBB235_32:                             ;   in Loop: Header=BB235_8 Depth=1
	s_or_b32 exec_lo, exec_lo, s33
	v_add_co_u32 v0, vcc_lo, s2, v4
	s_wait_alu 0xfffd
	v_add_co_ci_u32_e64 v24, null, s3, v5, vcc_lo
	s_and_saveexec_b32 s2, s22
	s_cbranch_execz .LBB235_37
; %bb.33:                               ;   in Loop: Header=BB235_8 Depth=1
	v_mul_f32_e32 v13, s14, v29
	v_mul_f32_e32 v12, s15, v29
	s_and_not1_b32 vcc_lo, exec_lo, s11
	s_mov_b32 s3, -1
	s_delay_alu instid0(VALU_DEP_2) | instskip(NEXT) | instid1(VALU_DEP_2)
	v_fmac_f32_e32 v13, s15, v28
	v_fma_f32 v12, v28, s14, -v12
	s_wait_alu 0xfffe
	s_cbranch_vccnz .LBB235_35
; %bb.34:                               ;   in Loop: Header=BB235_8 Depth=1
	v_add_co_u32 v28, vcc_lo, v0, v6
	s_wait_alu 0xfffd
	v_add_co_ci_u32_e64 v29, null, v24, v7, vcc_lo
	s_mov_b32 s3, 0
	global_load_b64 v[30:31], v[28:29], off
	s_wait_loadcnt 0x0
	v_mul_f32_e32 v25, s25, v31
	s_delay_alu instid0(VALU_DEP_1) | instskip(SKIP_1) | instid1(VALU_DEP_1)
	v_fma_f32 v25, v30, s24, -v25
	v_mul_f32_e32 v31, s24, v31
	v_dual_fmac_f32 v31, s25, v30 :: v_dual_add_f32 v30, v12, v25
	s_delay_alu instid0(VALU_DEP_1)
	v_add_f32_e32 v31, v13, v31
	global_store_b64 v[28:29], v[30:31], off
.LBB235_35:                             ;   in Loop: Header=BB235_8 Depth=1
	s_wait_alu 0xfffe
	s_and_not1_b32 vcc_lo, exec_lo, s3
	s_wait_alu 0xfffe
	s_cbranch_vccnz .LBB235_37
; %bb.36:                               ;   in Loop: Header=BB235_8 Depth=1
	v_add_co_u32 v28, vcc_lo, v0, v6
	s_wait_alu 0xfffd
	v_add_co_ci_u32_e64 v29, null, v24, v7, vcc_lo
	global_store_b64 v[28:29], v[12:13], off
.LBB235_37:                             ;   in Loop: Header=BB235_8 Depth=1
	s_wait_alu 0xfffe
	s_or_b32 exec_lo, exec_lo, s2
	s_and_saveexec_b32 s2, s1
	s_cbranch_execz .LBB235_7
; %bb.38:                               ;   in Loop: Header=BB235_8 Depth=1
	v_mul_f32_e32 v13, s14, v26
	v_mul_f32_e32 v12, s15, v26
	s_and_not1_b32 vcc_lo, exec_lo, s11
	s_mov_b32 s3, -1
	s_delay_alu instid0(VALU_DEP_2) | instskip(NEXT) | instid1(VALU_DEP_2)
	v_fmac_f32_e32 v13, s15, v27
	v_fma_f32 v12, v27, s14, -v12
	s_wait_alu 0xfffe
	s_cbranch_vccnz .LBB235_40
; %bb.39:                               ;   in Loop: Header=BB235_8 Depth=1
	v_add_co_u32 v25, vcc_lo, v0, v8
	s_wait_alu 0xfffd
	v_add_co_ci_u32_e64 v26, null, v24, v9, vcc_lo
	s_mov_b32 s3, 0
	global_load_b64 v[27:28], v[25:26], off
	s_wait_loadcnt 0x0
	v_mul_f32_e32 v29, s25, v28
	v_mul_f32_e32 v28, s24, v28
	s_delay_alu instid0(VALU_DEP_1) | instskip(NEXT) | instid1(VALU_DEP_3)
	v_fmac_f32_e32 v28, s25, v27
	v_fma_f32 v29, v27, s24, -v29
	s_delay_alu instid0(VALU_DEP_1)
	v_dual_add_f32 v28, v13, v28 :: v_dual_add_f32 v27, v12, v29
	global_store_b64 v[25:26], v[27:28], off
.LBB235_40:                             ;   in Loop: Header=BB235_8 Depth=1
	s_wait_alu 0xfffe
	s_and_not1_b32 vcc_lo, exec_lo, s3
	s_wait_alu 0xfffe
	s_cbranch_vccnz .LBB235_7
; %bb.41:                               ;   in Loop: Header=BB235_8 Depth=1
	v_add_co_u32 v25, vcc_lo, v0, v8
	s_wait_alu 0xfffd
	v_add_co_ci_u32_e64 v26, null, v24, v9, vcc_lo
	global_store_b64 v[25:26], v[12:13], off
	s_branch .LBB235_7
.LBB235_42:
	s_endpgm
	.section	.rodata,"a",@progbits
	.p2align	6, 0x0
	.amdhsa_kernel _ZL29rocblas_internal_gemmt_kernelIlLi16ELi32ELi8ELc78ELc84ELc85ELb0ELb0E19rocblas_complex_numIfES1_PKS1_PS1_EviT_T9_T10_S5_lS7_S5_lS6_T11_S5_li
		.amdhsa_group_segment_fixed_size 4096
		.amdhsa_private_segment_fixed_size 0
		.amdhsa_kernarg_size 108
		.amdhsa_user_sgpr_count 2
		.amdhsa_user_sgpr_dispatch_ptr 0
		.amdhsa_user_sgpr_queue_ptr 0
		.amdhsa_user_sgpr_kernarg_segment_ptr 1
		.amdhsa_user_sgpr_dispatch_id 0
		.amdhsa_user_sgpr_private_segment_size 0
		.amdhsa_wavefront_size32 1
		.amdhsa_uses_dynamic_stack 0
		.amdhsa_enable_private_segment 0
		.amdhsa_system_sgpr_workgroup_id_x 1
		.amdhsa_system_sgpr_workgroup_id_y 1
		.amdhsa_system_sgpr_workgroup_id_z 1
		.amdhsa_system_sgpr_workgroup_info 0
		.amdhsa_system_vgpr_workitem_id 1
		.amdhsa_next_free_vgpr 71
		.amdhsa_next_free_sgpr 37
		.amdhsa_reserve_vcc 1
		.amdhsa_float_round_mode_32 0
		.amdhsa_float_round_mode_16_64 0
		.amdhsa_float_denorm_mode_32 3
		.amdhsa_float_denorm_mode_16_64 3
		.amdhsa_fp16_overflow 0
		.amdhsa_workgroup_processor_mode 1
		.amdhsa_memory_ordered 1
		.amdhsa_forward_progress 1
		.amdhsa_inst_pref_size 26
		.amdhsa_round_robin_scheduling 0
		.amdhsa_exception_fp_ieee_invalid_op 0
		.amdhsa_exception_fp_denorm_src 0
		.amdhsa_exception_fp_ieee_div_zero 0
		.amdhsa_exception_fp_ieee_overflow 0
		.amdhsa_exception_fp_ieee_underflow 0
		.amdhsa_exception_fp_ieee_inexact 0
		.amdhsa_exception_int_div_zero 0
	.end_amdhsa_kernel
	.section	.text._ZL29rocblas_internal_gemmt_kernelIlLi16ELi32ELi8ELc78ELc84ELc85ELb0ELb0E19rocblas_complex_numIfES1_PKS1_PS1_EviT_T9_T10_S5_lS7_S5_lS6_T11_S5_li,"axG",@progbits,_ZL29rocblas_internal_gemmt_kernelIlLi16ELi32ELi8ELc78ELc84ELc85ELb0ELb0E19rocblas_complex_numIfES1_PKS1_PS1_EviT_T9_T10_S5_lS7_S5_lS6_T11_S5_li,comdat
.Lfunc_end235:
	.size	_ZL29rocblas_internal_gemmt_kernelIlLi16ELi32ELi8ELc78ELc84ELc85ELb0ELb0E19rocblas_complex_numIfES1_PKS1_PS1_EviT_T9_T10_S5_lS7_S5_lS6_T11_S5_li, .Lfunc_end235-_ZL29rocblas_internal_gemmt_kernelIlLi16ELi32ELi8ELc78ELc84ELc85ELb0ELb0E19rocblas_complex_numIfES1_PKS1_PS1_EviT_T9_T10_S5_lS7_S5_lS6_T11_S5_li
                                        ; -- End function
	.set _ZL29rocblas_internal_gemmt_kernelIlLi16ELi32ELi8ELc78ELc84ELc85ELb0ELb0E19rocblas_complex_numIfES1_PKS1_PS1_EviT_T9_T10_S5_lS7_S5_lS6_T11_S5_li.num_vgpr, 71
	.set _ZL29rocblas_internal_gemmt_kernelIlLi16ELi32ELi8ELc78ELc84ELc85ELb0ELb0E19rocblas_complex_numIfES1_PKS1_PS1_EviT_T9_T10_S5_lS7_S5_lS6_T11_S5_li.num_agpr, 0
	.set _ZL29rocblas_internal_gemmt_kernelIlLi16ELi32ELi8ELc78ELc84ELc85ELb0ELb0E19rocblas_complex_numIfES1_PKS1_PS1_EviT_T9_T10_S5_lS7_S5_lS6_T11_S5_li.numbered_sgpr, 37
	.set _ZL29rocblas_internal_gemmt_kernelIlLi16ELi32ELi8ELc78ELc84ELc85ELb0ELb0E19rocblas_complex_numIfES1_PKS1_PS1_EviT_T9_T10_S5_lS7_S5_lS6_T11_S5_li.num_named_barrier, 0
	.set _ZL29rocblas_internal_gemmt_kernelIlLi16ELi32ELi8ELc78ELc84ELc85ELb0ELb0E19rocblas_complex_numIfES1_PKS1_PS1_EviT_T9_T10_S5_lS7_S5_lS6_T11_S5_li.private_seg_size, 0
	.set _ZL29rocblas_internal_gemmt_kernelIlLi16ELi32ELi8ELc78ELc84ELc85ELb0ELb0E19rocblas_complex_numIfES1_PKS1_PS1_EviT_T9_T10_S5_lS7_S5_lS6_T11_S5_li.uses_vcc, 1
	.set _ZL29rocblas_internal_gemmt_kernelIlLi16ELi32ELi8ELc78ELc84ELc85ELb0ELb0E19rocblas_complex_numIfES1_PKS1_PS1_EviT_T9_T10_S5_lS7_S5_lS6_T11_S5_li.uses_flat_scratch, 0
	.set _ZL29rocblas_internal_gemmt_kernelIlLi16ELi32ELi8ELc78ELc84ELc85ELb0ELb0E19rocblas_complex_numIfES1_PKS1_PS1_EviT_T9_T10_S5_lS7_S5_lS6_T11_S5_li.has_dyn_sized_stack, 0
	.set _ZL29rocblas_internal_gemmt_kernelIlLi16ELi32ELi8ELc78ELc84ELc85ELb0ELb0E19rocblas_complex_numIfES1_PKS1_PS1_EviT_T9_T10_S5_lS7_S5_lS6_T11_S5_li.has_recursion, 0
	.set _ZL29rocblas_internal_gemmt_kernelIlLi16ELi32ELi8ELc78ELc84ELc85ELb0ELb0E19rocblas_complex_numIfES1_PKS1_PS1_EviT_T9_T10_S5_lS7_S5_lS6_T11_S5_li.has_indirect_call, 0
	.section	.AMDGPU.csdata,"",@progbits
; Kernel info:
; codeLenInByte = 3264
; TotalNumSgprs: 39
; NumVgprs: 71
; ScratchSize: 0
; MemoryBound: 0
; FloatMode: 240
; IeeeMode: 1
; LDSByteSize: 4096 bytes/workgroup (compile time only)
; SGPRBlocks: 0
; VGPRBlocks: 8
; NumSGPRsForWavesPerEU: 39
; NumVGPRsForWavesPerEU: 71
; Occupancy: 16
; WaveLimiterHint : 0
; COMPUTE_PGM_RSRC2:SCRATCH_EN: 0
; COMPUTE_PGM_RSRC2:USER_SGPR: 2
; COMPUTE_PGM_RSRC2:TRAP_HANDLER: 0
; COMPUTE_PGM_RSRC2:TGID_X_EN: 1
; COMPUTE_PGM_RSRC2:TGID_Y_EN: 1
; COMPUTE_PGM_RSRC2:TGID_Z_EN: 1
; COMPUTE_PGM_RSRC2:TIDIG_COMP_CNT: 1
	.section	.text._ZL29rocblas_internal_gemmt_kernelIlLi16ELi32ELi8ELc78ELc67ELc85ELb0ELb1E19rocblas_complex_numIfES1_PKS1_PS1_EviT_T9_T10_S5_lS7_S5_lS6_T11_S5_li,"axG",@progbits,_ZL29rocblas_internal_gemmt_kernelIlLi16ELi32ELi8ELc78ELc67ELc85ELb0ELb1E19rocblas_complex_numIfES1_PKS1_PS1_EviT_T9_T10_S5_lS7_S5_lS6_T11_S5_li,comdat
	.globl	_ZL29rocblas_internal_gemmt_kernelIlLi16ELi32ELi8ELc78ELc67ELc85ELb0ELb1E19rocblas_complex_numIfES1_PKS1_PS1_EviT_T9_T10_S5_lS7_S5_lS6_T11_S5_li ; -- Begin function _ZL29rocblas_internal_gemmt_kernelIlLi16ELi32ELi8ELc78ELc67ELc85ELb0ELb1E19rocblas_complex_numIfES1_PKS1_PS1_EviT_T9_T10_S5_lS7_S5_lS6_T11_S5_li
	.p2align	8
	.type	_ZL29rocblas_internal_gemmt_kernelIlLi16ELi32ELi8ELc78ELc67ELc85ELb0ELb1E19rocblas_complex_numIfES1_PKS1_PS1_EviT_T9_T10_S5_lS7_S5_lS6_T11_S5_li,@function
_ZL29rocblas_internal_gemmt_kernelIlLi16ELi32ELi8ELc78ELc67ELc85ELb0ELb1E19rocblas_complex_numIfES1_PKS1_PS1_EviT_T9_T10_S5_lS7_S5_lS6_T11_S5_li: ; @_ZL29rocblas_internal_gemmt_kernelIlLi16ELi32ELi8ELc78ELc67ELc85ELb0ELb1E19rocblas_complex_numIfES1_PKS1_PS1_EviT_T9_T10_S5_lS7_S5_lS6_T11_S5_li
; %bb.0:
	s_clause 0x1
	s_load_b64 s[24:25], s[0:1], 0x48
	s_load_b128 s[12:15], s[0:1], 0x8
	s_wait_kmcnt 0x0
	s_cmp_eq_f32 s24, 1.0
	s_cselect_b32 s2, -1, 0
	s_and_b32 s3, s25, 0x7fffffff
	s_delay_alu instid0(SALU_CYCLE_1) | instskip(SKIP_1) | instid1(SALU_CYCLE_1)
	s_cmp_eq_u32 s3, 0
	s_cselect_b32 s33, -1, 0
	s_and_b32 s3, s2, s33
	s_mov_b32 s2, 0
	s_and_not1_b32 vcc_lo, exec_lo, s3
	s_mov_b32 s3, -1
	s_cbranch_vccnz .LBB236_4
; %bb.1:
	s_cmp_lg_u64 s[12:13], 0
	s_cbranch_scc0 .LBB236_3
; %bb.2:
	s_cmp_neq_f32 s14, 0
	s_cselect_b32 s2, -1, 0
	s_cmp_neq_f32 s15, 0
	s_cselect_b32 s3, -1, 0
	s_delay_alu instid0(SALU_CYCLE_1)
	s_or_b32 s2, s2, s3
.LBB236_3:
	s_delay_alu instid0(SALU_CYCLE_1)
	s_mov_b32 s3, s2
.LBB236_4:
	s_delay_alu instid0(SALU_CYCLE_1)
	s_and_b32 vcc_lo, exec_lo, s3
	s_cbranch_vccz .LBB236_42
; %bb.5:
	s_load_b32 s30, s[0:1], 0x68
	s_lshr_b32 s26, ttmp7, 16
	s_wait_kmcnt 0x0
	s_cmp_ge_u32 s26, s30
	s_cbranch_scc1 .LBB236_42
; %bb.6:
	v_and_b32_e32 v7, 0x3ff, v0
	v_bfe_u32 v8, v0, 10, 10
	v_and_b32_e32 v14, 7, v0
	s_clause 0x1
	s_load_b32 s34, s[0:1], 0x0
	s_load_b256 s[4:11], s[0:1], 0x18
	s_lshl_b32 s2, ttmp9, 5
	s_clause 0x1
	s_load_b128 s[16:19], s[0:1], 0x38
	s_load_b128 s[20:23], s[0:1], 0x50
	v_lshl_add_u32 v0, v8, 4, v7
	s_lshl_b32 s3, ttmp7, 5
	s_load_b64 s[28:29], s[0:1], 0x60
	s_and_b32 s3, s3, 0x1fffe0
	s_cmp_neq_f32 s14, 0
	v_and_b32_e32 v2, 31, v0
	v_lshrrev_b32_e32 v15, 5, v0
	v_lshrrev_b32_e32 v3, 3, v0
	s_cselect_b32 s31, -1, 0
	s_cmp_neq_f32 s15, 0
	v_or_b32_e32 v0, s2, v2
	v_lshlrev_b32_e32 v5, 3, v2
	v_add_nc_u32_e32 v11, s3, v8
	s_cselect_b32 s0, -1, 0
	v_add_nc_u32_e32 v4, s3, v3
	v_ashrrev_i32_e32 v1, 31, v0
	s_or_b32 s35, s31, s0
	s_wait_kmcnt 0x0
	v_cmp_gt_i32_e64 s0, s34, v0
	v_cmp_le_i32_e64 s31, s34, v0
	v_add_nc_u32_e32 v12, 16, v11
	v_lshlrev_b64_e32 v[1:2], 3, v[0:1]
	v_lshl_or_b32 v16, v15, 8, v5
	v_lshl_add_u32 v23, v8, 6, 0x800
	s_cmp_neq_f32 s24, 0
	v_cmp_gt_i64_e64 s36, s[12:13], 0
	s_mov_b32 s27, 0
	v_add_co_u32 v17, vcc_lo, s4, v1
	v_dual_mov_b32 v1, 0 :: v_dual_lshlrev_b32 v6, 3, v14
	v_add_co_ci_u32_e64 v18, null, s5, v2, vcc_lo
	v_cmp_gt_i32_e32 vcc_lo, s34, v4
	s_delay_alu instid0(VALU_DEP_3) | instskip(SKIP_1) | instid1(VALU_DEP_2)
	v_lshl_or_b32 v0, v3, 6, v6
	v_mad_co_u64_u32 v[2:3], null, s22, v11, 0
	v_add_nc_u32_e32 v19, 0x800, v0
	v_lshlrev_b32_e32 v0, 3, v4
	v_mad_co_u64_u32 v[4:5], null, s22, v12, 0
	s_delay_alu instid0(VALU_DEP_2) | instskip(SKIP_4) | instid1(VALU_DEP_4)
	v_add_co_u32 v20, s1, s10, v0
	v_mov_b32_e32 v0, v3
	v_add_nc_u32_e32 v6, s2, v7
	v_add_co_ci_u32_e64 v21, null, s11, 0, s1
	v_lshlrev_b32_e32 v22, 3, v7
	v_mad_co_u64_u32 v[9:10], null, s23, v11, v[0:1]
	s_delay_alu instid0(VALU_DEP_4)
	v_add_nc_u32_e32 v8, 16, v6
	v_mov_b32_e32 v0, v5
	v_cmp_gt_i32_e64 s1, s34, v11
	v_cmp_le_i32_e64 s2, v6, v11
	v_ashrrev_i32_e32 v7, 31, v6
	v_cmp_le_i32_e64 s3, v8, v11
	v_mad_co_u64_u32 v[10:11], null, s23, v12, v[0:1]
	v_mov_b32_e32 v3, v9
	v_ashrrev_i32_e32 v9, 31, v8
	s_cselect_b32 s11, -1, 0
	s_and_b32 s4, s1, s2
	s_and_b32 s5, s1, s3
	v_cmp_gt_i32_e64 s1, s34, v12
	s_delay_alu instid0(VALU_DEP_4)
	v_mov_b32_e32 v5, v10
	v_cmp_le_i32_e64 s2, v6, v12
	v_cmp_le_i32_e64 s3, v8, v12
	v_lshlrev_b64_e32 v[2:3], 3, v[2:3]
	v_lshlrev_b64_e32 v[6:7], 3, v[6:7]
	;; [unrolled: 1-line block ×4, first 2 shown]
	s_xor_b32 s22, s33, -1
	s_and_b32 s10, s35, s36
	s_wait_alu 0xfffe
	s_or_b32 s11, s11, s22
	s_and_b32 s22, s1, s2
	s_and_b32 s1, s1, s3
	s_xor_b32 s23, vcc_lo, -1
                                        ; implicit-def: $vgpr10_vgpr11
	s_branch .LBB236_8
.LBB236_7:                              ;   in Loop: Header=BB236_8 Depth=1
	s_wait_alu 0xfffe
	s_or_b32 exec_lo, exec_lo, s2
	s_add_co_i32 s26, s26, 0x10000
	s_delay_alu instid0(SALU_CYCLE_1)
	s_cmp_lt_u32 s26, s30
	s_cbranch_scc0 .LBB236_42
.LBB236_8:                              ; =>This Loop Header: Depth=1
                                        ;     Child Loop BB236_11 Depth 2
	s_and_not1_b32 vcc_lo, exec_lo, s10
	s_wait_alu 0xfffe
	s_cbranch_vccnz .LBB236_21
; %bb.9:                                ;   in Loop: Header=BB236_8 Depth=1
	s_mul_u64 s[2:3], s[8:9], s[26:27]
	s_mul_u64 s[34:35], s[18:19], s[26:27]
	s_wait_alu 0xfffe
	s_lshl_b64 s[2:3], s[2:3], 3
	v_dual_mov_b32 v26, 0 :: v_dual_mov_b32 v27, 0
	s_wait_alu 0xfffe
	v_add_co_u32 v12, vcc_lo, v17, s2
	s_wait_alu 0xfffd
	v_add_co_ci_u32_e64 v13, null, s3, v18, vcc_lo
	s_lshl_b64 s[2:3], s[34:35], 3
	v_dual_mov_b32 v29, 0 :: v_dual_mov_b32 v28, 0
	s_wait_alu 0xfffe
	v_add_co_u32 v24, vcc_lo, v20, s2
	s_wait_alu 0xfffd
	v_add_co_ci_u32_e64 v25, null, s3, v21, vcc_lo
	v_dual_mov_b32 v31, 0 :: v_dual_mov_b32 v30, 0
	v_dual_mov_b32 v33, 0 :: v_dual_mov_b32 v32, 0
	s_mov_b64 s[2:3], 0
	s_branch .LBB236_11
.LBB236_10:                             ;   in Loop: Header=BB236_11 Depth=2
	s_or_b32 exec_lo, exec_lo, s33
	ds_store_b32 v19, v34 offset:4
	s_wait_dscnt 0x0
	s_barrier_signal -1
	s_barrier_wait -1
	global_inv scope:SCOPE_SE
	ds_load_b128 v[34:37], v23
	ds_load_2addr_b64 v[38:41], v22 offset1:16
	ds_load_b128 v[42:45], v23 offset:1024
	ds_load_b128 v[46:49], v23 offset:16
	;; [unrolled: 1-line block ×4, first 2 shown]
	ds_load_2addr_b64 v[58:61], v22 offset0:32 offset1:48
	ds_load_b128 v[62:65], v23 offset:1040
	s_add_nc_u64 s[2:3], s[2:3], 8
	s_wait_alu 0xfffe
	v_cmp_gt_i64_e64 s33, s[12:13], s[2:3]
	s_and_b32 vcc_lo, exec_lo, s33
	s_wait_dscnt 0x6
	v_mul_f32_e32 v0, v35, v39
	v_dual_mul_f32 v66, v34, v39 :: v_dual_mul_f32 v67, v35, v41
	s_wait_dscnt 0x5
	v_dual_mul_f32 v68, v34, v41 :: v_dual_mul_f32 v69, v43, v39
	v_dual_mul_f32 v39, v42, v39 :: v_dual_mul_f32 v70, v43, v41
	v_mul_f32_e32 v41, v42, v41
	v_fma_f32 v0, v34, v38, -v0
	v_fma_f32 v34, v34, v40, -v67
	s_delay_alu instid0(VALU_DEP_4)
	v_fmac_f32_e32 v39, v43, v38
	v_fmac_f32_e32 v68, v35, v40
	v_fmac_f32_e32 v41, v43, v40
	v_add_f32_e32 v0, v32, v0
	v_fmac_f32_e32 v66, v35, v38
	v_fma_f32 v35, v42, v38, -v69
	s_delay_alu instid0(VALU_DEP_2)
	v_add_f32_e32 v32, v33, v66
	v_add_f32_e32 v33, v30, v34
	v_fma_f32 v30, v42, v40, -v70
	s_wait_dscnt 0x1
	v_mul_f32_e32 v38, v37, v59
	v_add_f32_e32 v34, v28, v35
	v_dual_add_f32 v35, v29, v39 :: v_dual_add_f32 v26, v26, v41
	v_add_f32_e32 v39, v27, v30
	ds_load_2addr_b64 v[27:30], v22 offset0:64 offset1:80
	v_fma_f32 v38, v36, v58, -v38
	v_mul_f32_e32 v42, v37, v61
	v_mul_f32_e32 v41, v36, v61
	s_delay_alu instid0(VALU_DEP_3) | instskip(SKIP_1) | instid1(VALU_DEP_3)
	v_dual_add_f32 v31, v31, v68 :: v_dual_add_f32 v0, v0, v38
	v_mul_f32_e32 v38, v45, v59
	v_dual_mul_f32 v40, v36, v59 :: v_dual_fmac_f32 v41, v37, v60
	v_fma_f32 v36, v36, v60, -v42
	s_delay_alu instid0(VALU_DEP_2) | instskip(SKIP_1) | instid1(VALU_DEP_3)
	v_fmac_f32_e32 v40, v37, v58
	v_mul_f32_e32 v37, v45, v61
	v_add_f32_e32 v36, v33, v36
	v_fma_f32 v33, v44, v58, -v38
	v_add_f32_e32 v38, v31, v41
	v_mul_f32_e32 v41, v44, v61
	v_fma_f32 v31, v44, v60, -v37
	v_add_f32_e32 v40, v32, v40
	v_mul_f32_e32 v32, v44, v59
	s_wait_dscnt 0x0
	v_dual_add_f32 v42, v34, v33 :: v_dual_mul_f32 v33, v47, v28
	v_fmac_f32_e32 v41, v45, v60
	s_delay_alu instid0(VALU_DEP_3) | instskip(SKIP_1) | instid1(VALU_DEP_4)
	v_dual_mul_f32 v37, v46, v28 :: v_dual_fmac_f32 v32, v45, v58
	v_add_f32_e32 v39, v39, v31
	v_fma_f32 v43, v46, v27, -v33
	s_delay_alu instid0(VALU_DEP_3) | instskip(NEXT) | instid1(VALU_DEP_4)
	v_fmac_f32_e32 v37, v47, v27
	v_add_f32_e32 v35, v35, v32
	ds_load_2addr_b64 v[31:34], v22 offset0:96 offset1:112
	v_mul_f32_e32 v44, v47, v30
	v_add_f32_e32 v0, v0, v43
	v_dual_add_f32 v37, v40, v37 :: v_dual_mul_f32 v40, v63, v28
	v_mul_f32_e32 v28, v62, v28
	s_delay_alu instid0(VALU_DEP_4)
	v_fma_f32 v43, v46, v29, -v44
	v_add_f32_e32 v41, v26, v41
	v_mul_f32_e32 v26, v46, v30
	v_fma_f32 v40, v62, v27, -v40
	v_fmac_f32_e32 v28, v63, v27
	v_dual_add_f32 v36, v36, v43 :: v_dual_mul_f32 v43, v63, v30
	v_mul_f32_e32 v30, v62, v30
	s_delay_alu instid0(VALU_DEP_4) | instskip(NEXT) | instid1(VALU_DEP_4)
	v_add_f32_e32 v40, v42, v40
	v_add_f32_e32 v42, v35, v28
	s_wait_dscnt 0x0
	s_delay_alu instid0(VALU_DEP_3) | instskip(NEXT) | instid1(VALU_DEP_1)
	v_dual_fmac_f32 v30, v63, v29 :: v_dual_mul_f32 v35, v49, v32
	v_add_f32_e32 v41, v41, v30
	s_delay_alu instid0(VALU_DEP_2) | instskip(NEXT) | instid1(VALU_DEP_1)
	v_fma_f32 v35, v48, v31, -v35
	v_dual_add_f32 v0, v0, v35 :: v_dual_mul_f32 v35, v65, v32
	v_dual_fmac_f32 v26, v47, v29 :: v_dual_mul_f32 v47, v65, v34
	s_delay_alu instid0(VALU_DEP_2) | instskip(NEXT) | instid1(VALU_DEP_2)
	v_fma_f32 v46, v64, v31, -v35
	v_add_f32_e32 v44, v38, v26
	v_fma_f32 v26, v62, v29, -v43
	v_dual_mul_f32 v38, v48, v32 :: v_dual_mul_f32 v43, v49, v34
	s_delay_alu instid0(VALU_DEP_2) | instskip(SKIP_3) | instid1(VALU_DEP_2)
	v_dual_mul_f32 v32, v64, v32 :: v_dual_add_f32 v39, v39, v26
	ds_load_2addr_b64 v[26:29], v22 offset0:128 offset1:144
	v_fmac_f32_e32 v38, v49, v31
	v_fma_f32 v43, v48, v33, -v43
	v_add_f32_e32 v45, v37, v38
	s_delay_alu instid0(VALU_DEP_2) | instskip(SKIP_4) | instid1(VALU_DEP_2)
	v_add_f32_e32 v43, v36, v43
	ds_load_b128 v[35:38], v23 offset:1056
	v_mul_f32_e32 v30, v48, v34
	v_fmac_f32_e32 v32, v65, v31
	s_wait_dscnt 0x1
	v_dual_fmac_f32 v30, v49, v33 :: v_dual_mul_f32 v49, v50, v27
	s_delay_alu instid0(VALU_DEP_1) | instskip(SKIP_2) | instid1(VALU_DEP_4)
	v_dual_mul_f32 v31, v51, v27 :: v_dual_add_f32 v44, v44, v30
	v_fma_f32 v30, v64, v33, -v47
	v_add_f32_e32 v47, v42, v32
	v_fmac_f32_e32 v49, v51, v26
	s_delay_alu instid0(VALU_DEP_3) | instskip(SKIP_1) | instid1(VALU_DEP_3)
	v_add_f32_e32 v48, v39, v30
	v_fma_f32 v39, v50, v26, -v31
	v_dual_add_f32 v45, v45, v49 :: v_dual_mul_f32 v34, v64, v34
	s_delay_alu instid0(VALU_DEP_2) | instskip(NEXT) | instid1(VALU_DEP_2)
	v_add_f32_e32 v0, v0, v39
	v_fmac_f32_e32 v34, v65, v33
	ds_load_2addr_b64 v[30:33], v22 offset0:160 offset1:176
	v_add_f32_e32 v46, v40, v46
	v_mul_f32_e32 v40, v51, v29
	s_delay_alu instid0(VALU_DEP_1) | instskip(NEXT) | instid1(VALU_DEP_1)
	v_fma_f32 v58, v50, v28, -v40
	v_dual_mul_f32 v50, v50, v29 :: v_dual_add_f32 v43, v43, v58
	s_delay_alu instid0(VALU_DEP_1)
	v_fmac_f32_e32 v50, v51, v28
	v_add_f32_e32 v34, v41, v34
	ds_load_b128 v[39:42], v23 offset:1072
	s_wait_dscnt 0x2
	v_mul_f32_e32 v59, v36, v27
	v_dual_mul_f32 v27, v35, v27 :: v_dual_add_f32 v44, v44, v50
	v_mul_f32_e32 v50, v35, v29
	v_mul_f32_e32 v51, v36, v29
	s_delay_alu instid0(VALU_DEP_4) | instskip(NEXT) | instid1(VALU_DEP_4)
	v_fma_f32 v49, v35, v26, -v59
	v_fmac_f32_e32 v27, v36, v26
	s_delay_alu instid0(VALU_DEP_4)
	v_fmac_f32_e32 v50, v36, v28
	s_wait_dscnt 0x1
	v_mul_f32_e32 v36, v52, v31
	v_fma_f32 v26, v35, v28, -v51
	v_add_f32_e32 v35, v47, v27
	v_mul_f32_e32 v47, v53, v31
	s_delay_alu instid0(VALU_DEP_4) | instskip(NEXT) | instid1(VALU_DEP_2)
	v_fmac_f32_e32 v36, v53, v30
	v_fma_f32 v47, v52, v30, -v47
	s_delay_alu instid0(VALU_DEP_2) | instskip(SKIP_1) | instid1(VALU_DEP_3)
	v_dual_add_f32 v45, v45, v36 :: v_dual_mul_f32 v36, v38, v31
	v_dual_mul_f32 v31, v37, v31 :: v_dual_add_f32 v46, v46, v49
	v_dual_mul_f32 v49, v53, v33 :: v_dual_add_f32 v0, v0, v47
	s_delay_alu instid0(VALU_DEP_3) | instskip(NEXT) | instid1(VALU_DEP_3)
	v_fma_f32 v36, v37, v30, -v36
	v_dual_fmac_f32 v31, v38, v30 :: v_dual_mul_f32 v30, v37, v33
	s_delay_alu instid0(VALU_DEP_3) | instskip(NEXT) | instid1(VALU_DEP_2)
	v_fma_f32 v47, v52, v32, -v49
	v_dual_add_f32 v31, v35, v31 :: v_dual_fmac_f32 v30, v38, v32
	s_delay_alu instid0(VALU_DEP_2)
	v_add_f32_e32 v43, v43, v47
	v_dual_mul_f32 v47, v38, v33 :: v_dual_add_f32 v48, v48, v26
	ds_load_2addr_b64 v[26:29], v22 offset0:192 offset1:208
	v_add_f32_e32 v50, v34, v50
	v_mul_f32_e32 v34, v52, v33
	v_fma_f32 v33, v37, v32, -v47
	s_wait_dscnt 0x0
	s_delay_alu instid0(VALU_DEP_2) | instskip(NEXT) | instid1(VALU_DEP_1)
	v_dual_fmac_f32 v34, v53, v32 :: v_dual_mul_f32 v47, v55, v29
	v_fma_f32 v47, v54, v28, -v47
	s_delay_alu instid0(VALU_DEP_1) | instskip(SKIP_3) | instid1(VALU_DEP_3)
	v_dual_add_f32 v43, v43, v47 :: v_dual_add_f32 v32, v48, v33
	v_mul_f32_e32 v33, v54, v27
	v_mul_f32_e32 v48, v40, v27
	;; [unrolled: 1-line block ×3, first 2 shown]
	v_dual_fmac_f32 v33, v55, v26 :: v_dual_add_f32 v46, v46, v36
	s_delay_alu instid0(VALU_DEP_1) | instskip(SKIP_3) | instid1(VALU_DEP_3)
	v_dual_add_f32 v33, v45, v33 :: v_dual_add_f32 v44, v44, v34
	v_mul_f32_e32 v34, v55, v27
	v_mul_f32_e32 v27, v39, v27
	v_fma_f32 v45, v39, v26, -v48
	v_fma_f32 v38, v54, v26, -v34
	ds_load_2addr_b64 v[34:37], v22 offset0:224 offset1:240
	v_fmac_f32_e32 v27, v40, v26
	s_wait_loadcnt_dscnt 0x0
	s_barrier_signal -1
	v_add_f32_e32 v0, v0, v38
	s_barrier_wait -1
	v_dual_add_f32 v27, v31, v27 :: v_dual_mul_f32 v38, v54, v29
	v_mul_f32_e32 v29, v39, v29
	v_fma_f32 v39, v39, v28, -v47
	v_add_f32_e32 v30, v50, v30
	global_inv scope:SCOPE_SE
	v_fmac_f32_e32 v38, v55, v28
	v_fmac_f32_e32 v29, v40, v28
	s_delay_alu instid0(VALU_DEP_1) | instskip(SKIP_4) | instid1(VALU_DEP_4)
	v_dual_add_f32 v39, v32, v39 :: v_dual_add_f32 v40, v30, v29
	v_mul_f32_e32 v31, v57, v35
	v_mul_f32_e32 v32, v57, v37
	;; [unrolled: 1-line block ×4, first 2 shown]
	v_fma_f32 v31, v56, v34, -v31
	s_delay_alu instid0(VALU_DEP_4) | instskip(NEXT) | instid1(VALU_DEP_4)
	v_fma_f32 v30, v56, v36, -v32
	v_fmac_f32_e32 v28, v57, v34
	s_delay_alu instid0(VALU_DEP_4) | instskip(NEXT) | instid1(VALU_DEP_4)
	v_dual_fmac_f32 v29, v57, v36 :: v_dual_add_f32 v26, v44, v38
	v_add_f32_e32 v32, v0, v31
	v_mul_f32_e32 v0, v42, v35
	v_add_f32_e32 v38, v46, v45
	v_dual_add_f32 v30, v43, v30 :: v_dual_mul_f32 v35, v41, v35
	v_mul_f32_e32 v43, v42, v37
	s_delay_alu instid0(VALU_DEP_4)
	v_fma_f32 v0, v41, v34, -v0
	v_mul_f32_e32 v37, v41, v37
	v_add_f32_e32 v33, v33, v28
	v_fmac_f32_e32 v35, v42, v34
	v_add_f32_e32 v31, v26, v29
	v_add_f32_e32 v28, v38, v0
	v_fma_f32 v0, v41, v36, -v43
	v_fmac_f32_e32 v37, v42, v36
	v_add_f32_e32 v29, v27, v35
	s_delay_alu instid0(VALU_DEP_2)
	v_dual_add_f32 v27, v39, v0 :: v_dual_add_f32 v26, v40, v37
	s_wait_alu 0xfffe
	s_cbranch_vccz .LBB236_22
.LBB236_11:                             ;   Parent Loop BB236_8 Depth=1
                                        ; =>  This Inner Loop Header: Depth=2
	s_mov_b32 s33, 0
	s_mov_b32 s35, s31
	s_and_saveexec_b32 s34, s0
	s_cbranch_execnz .LBB236_19
; %bb.12:                               ;   in Loop: Header=BB236_11 Depth=2
	s_wait_alu 0xfffe
	s_or_b32 exec_lo, exec_lo, s34
	s_and_saveexec_b32 s34, s35
	s_wait_alu 0xfffe
	s_xor_b32 s34, exec_lo, s34
	s_cbranch_execnz .LBB236_20
.LBB236_13:                             ;   in Loop: Header=BB236_11 Depth=2
	s_wait_alu 0xfffe
	s_or_b32 exec_lo, exec_lo, s34
	s_and_saveexec_b32 s34, s33
	s_cbranch_execz .LBB236_15
.LBB236_14:                             ;   in Loop: Header=BB236_11 Depth=2
	v_mul_lo_u32 v0, s7, v10
	v_mul_lo_u32 v36, s6, v11
	v_mad_co_u64_u32 v[34:35], null, s6, v10, 0
	s_delay_alu instid0(VALU_DEP_1) | instskip(NEXT) | instid1(VALU_DEP_1)
	v_add3_u32 v35, v35, v36, v0
	v_lshlrev_b64_e32 v[34:35], 3, v[34:35]
	s_delay_alu instid0(VALU_DEP_1) | instskip(SKIP_1) | instid1(VALU_DEP_2)
	v_add_co_u32 v34, vcc_lo, v12, v34
	s_wait_alu 0xfffd
	v_add_co_ci_u32_e64 v35, null, v13, v35, vcc_lo
	global_load_b64 v[34:35], v[34:35], off
	s_wait_loadcnt 0x0
	ds_store_b64 v16, v[34:35]
.LBB236_15:                             ;   in Loop: Header=BB236_11 Depth=2
	s_wait_alu 0xfffe
	s_or_b32 exec_lo, exec_lo, s34
	v_add_nc_u32_e32 v0, s2, v14
	s_delay_alu instid0(VALU_DEP_1) | instskip(SKIP_1) | instid1(SALU_CYCLE_1)
	v_cmp_le_u64_e32 vcc_lo, s[12:13], v[0:1]
	s_or_b32 s33, vcc_lo, s23
	s_and_saveexec_b32 s34, s33
	s_wait_alu 0xfffe
	s_xor_b32 s33, exec_lo, s34
; %bb.16:                               ;   in Loop: Header=BB236_11 Depth=2
	ds_store_b32 v19, v1
; %bb.17:                               ;   in Loop: Header=BB236_11 Depth=2
	s_or_saveexec_b32 s33, s33
	v_mov_b32_e32 v34, 0
	s_xor_b32 exec_lo, exec_lo, s33
	s_cbranch_execz .LBB236_10
; %bb.18:                               ;   in Loop: Header=BB236_11 Depth=2
	v_mad_co_u64_u32 v[34:35], null, s16, v0, 0
	s_delay_alu instid0(VALU_DEP_1) | instskip(NEXT) | instid1(VALU_DEP_1)
	v_mad_co_u64_u32 v[35:36], null, s17, v0, v[35:36]
	v_lshlrev_b64_e32 v[34:35], 3, v[34:35]
	s_delay_alu instid0(VALU_DEP_1) | instskip(SKIP_1) | instid1(VALU_DEP_2)
	v_add_co_u32 v34, vcc_lo, v24, v34
	s_wait_alu 0xfffd
	v_add_co_ci_u32_e64 v35, null, v25, v35, vcc_lo
	global_load_b64 v[35:36], v[34:35], off
	s_wait_loadcnt 0x0
	v_xor_b32_e32 v34, 0x80000000, v36
	ds_store_b32 v19, v35
	s_branch .LBB236_10
.LBB236_19:                             ;   in Loop: Header=BB236_11 Depth=2
	s_wait_alu 0xfffe
	v_add_nc_u32_e32 v0, s2, v15
	v_mov_b32_e32 v11, v1
	s_and_not1_b32 s35, s31, exec_lo
	s_mov_b32 s33, exec_lo
	s_delay_alu instid0(VALU_DEP_2)
	v_cmp_le_u64_e32 vcc_lo, s[12:13], v[0:1]
	v_mov_b32_e32 v10, v0
	s_and_b32 s36, vcc_lo, exec_lo
	s_wait_alu 0xfffe
	s_or_b32 s35, s35, s36
	s_or_b32 exec_lo, exec_lo, s34
	s_wait_alu 0xfffe
	s_and_saveexec_b32 s34, s35
	s_wait_alu 0xfffe
	s_xor_b32 s34, exec_lo, s34
	s_cbranch_execz .LBB236_13
.LBB236_20:                             ;   in Loop: Header=BB236_11 Depth=2
	v_mov_b32_e32 v0, v1
	s_and_not1_b32 s33, s33, exec_lo
	ds_store_b64 v16, v[0:1]
	s_wait_alu 0xfffe
	s_or_b32 exec_lo, exec_lo, s34
	s_and_saveexec_b32 s34, s33
	s_cbranch_execnz .LBB236_14
	s_branch .LBB236_15
.LBB236_21:                             ;   in Loop: Header=BB236_8 Depth=1
	v_dual_mov_b32 v32, v1 :: v_dual_mov_b32 v33, v1
	v_dual_mov_b32 v30, v1 :: v_dual_mov_b32 v31, v1
	;; [unrolled: 1-line block ×4, first 2 shown]
.LBB236_22:                             ;   in Loop: Header=BB236_8 Depth=1
	s_mul_u64 s[2:3], s[28:29], s[26:27]
	s_wait_alu 0xfffe
	s_lshl_b64 s[2:3], s[2:3], 3
	s_wait_alu 0xfffe
	s_add_nc_u64 s[2:3], s[20:21], s[2:3]
	s_wait_alu 0xfffe
	v_add_co_u32 v0, vcc_lo, s2, v2
	s_wait_alu 0xfffd
	v_add_co_ci_u32_e64 v24, null, s3, v3, vcc_lo
	s_and_saveexec_b32 s33, s4
	s_cbranch_execz .LBB236_27
; %bb.23:                               ;   in Loop: Header=BB236_8 Depth=1
	v_mul_f32_e32 v13, s14, v33
	v_mul_f32_e32 v12, s15, v33
	s_and_b32 vcc_lo, exec_lo, s11
	s_mov_b32 s34, -1
	s_delay_alu instid0(VALU_DEP_2) | instskip(NEXT) | instid1(VALU_DEP_2)
	v_fmac_f32_e32 v13, s15, v32
	v_fma_f32 v12, v32, s14, -v12
	s_wait_alu 0xfffe
	s_cbranch_vccz .LBB236_25
; %bb.24:                               ;   in Loop: Header=BB236_8 Depth=1
	v_add_co_u32 v32, vcc_lo, v0, v6
	s_wait_alu 0xfffd
	v_add_co_ci_u32_e64 v33, null, v24, v7, vcc_lo
	s_mov_b32 s34, 0
	global_load_b64 v[34:35], v[32:33], off
	s_wait_loadcnt 0x0
	v_mul_f32_e32 v25, s25, v35
	s_delay_alu instid0(VALU_DEP_1) | instskip(SKIP_1) | instid1(VALU_DEP_1)
	v_fma_f32 v25, v34, s24, -v25
	v_mul_f32_e32 v35, s24, v35
	v_dual_fmac_f32 v35, s25, v34 :: v_dual_add_f32 v34, v12, v25
	s_delay_alu instid0(VALU_DEP_1)
	v_add_f32_e32 v35, v13, v35
	global_store_b64 v[32:33], v[34:35], off
.LBB236_25:                             ;   in Loop: Header=BB236_8 Depth=1
	s_wait_alu 0xfffe
	s_and_not1_b32 vcc_lo, exec_lo, s34
	s_wait_alu 0xfffe
	s_cbranch_vccnz .LBB236_27
; %bb.26:                               ;   in Loop: Header=BB236_8 Depth=1
	v_add_co_u32 v32, vcc_lo, v0, v6
	s_wait_alu 0xfffd
	v_add_co_ci_u32_e64 v33, null, v24, v7, vcc_lo
	global_store_b64 v[32:33], v[12:13], off
.LBB236_27:                             ;   in Loop: Header=BB236_8 Depth=1
	s_or_b32 exec_lo, exec_lo, s33
	s_and_saveexec_b32 s33, s5
	s_cbranch_execz .LBB236_32
; %bb.28:                               ;   in Loop: Header=BB236_8 Depth=1
	v_mul_f32_e32 v13, s14, v31
	v_mul_f32_e32 v12, s15, v31
	s_and_not1_b32 vcc_lo, exec_lo, s11
	s_mov_b32 s34, -1
	s_delay_alu instid0(VALU_DEP_2) | instskip(NEXT) | instid1(VALU_DEP_2)
	v_fmac_f32_e32 v13, s15, v30
	v_fma_f32 v12, v30, s14, -v12
	s_wait_alu 0xfffe
	s_cbranch_vccnz .LBB236_30
; %bb.29:                               ;   in Loop: Header=BB236_8 Depth=1
	v_add_co_u32 v30, vcc_lo, v0, v8
	s_wait_alu 0xfffd
	v_add_co_ci_u32_e64 v31, null, v24, v9, vcc_lo
	s_mov_b32 s34, 0
	global_load_b64 v[32:33], v[30:31], off
	s_wait_loadcnt 0x0
	v_mul_f32_e32 v25, s25, v33
	v_mul_f32_e32 v33, s24, v33
	s_delay_alu instid0(VALU_DEP_2) | instskip(NEXT) | instid1(VALU_DEP_1)
	v_fma_f32 v25, v32, s24, -v25
	v_dual_fmac_f32 v33, s25, v32 :: v_dual_add_f32 v32, v12, v25
	s_delay_alu instid0(VALU_DEP_1)
	v_add_f32_e32 v33, v13, v33
	global_store_b64 v[30:31], v[32:33], off
.LBB236_30:                             ;   in Loop: Header=BB236_8 Depth=1
	s_wait_alu 0xfffe
	s_and_not1_b32 vcc_lo, exec_lo, s34
	s_wait_alu 0xfffe
	s_cbranch_vccnz .LBB236_32
; %bb.31:                               ;   in Loop: Header=BB236_8 Depth=1
	v_add_co_u32 v30, vcc_lo, v0, v8
	s_wait_alu 0xfffd
	v_add_co_ci_u32_e64 v31, null, v24, v9, vcc_lo
	global_store_b64 v[30:31], v[12:13], off
.LBB236_32:                             ;   in Loop: Header=BB236_8 Depth=1
	s_or_b32 exec_lo, exec_lo, s33
	v_add_co_u32 v0, vcc_lo, s2, v4
	s_wait_alu 0xfffd
	v_add_co_ci_u32_e64 v24, null, s3, v5, vcc_lo
	s_and_saveexec_b32 s2, s22
	s_cbranch_execz .LBB236_37
; %bb.33:                               ;   in Loop: Header=BB236_8 Depth=1
	v_mul_f32_e32 v13, s14, v29
	v_mul_f32_e32 v12, s15, v29
	s_and_not1_b32 vcc_lo, exec_lo, s11
	s_mov_b32 s3, -1
	s_delay_alu instid0(VALU_DEP_2) | instskip(NEXT) | instid1(VALU_DEP_2)
	v_fmac_f32_e32 v13, s15, v28
	v_fma_f32 v12, v28, s14, -v12
	s_wait_alu 0xfffe
	s_cbranch_vccnz .LBB236_35
; %bb.34:                               ;   in Loop: Header=BB236_8 Depth=1
	v_add_co_u32 v28, vcc_lo, v0, v6
	s_wait_alu 0xfffd
	v_add_co_ci_u32_e64 v29, null, v24, v7, vcc_lo
	s_mov_b32 s3, 0
	global_load_b64 v[30:31], v[28:29], off
	s_wait_loadcnt 0x0
	v_mul_f32_e32 v25, s25, v31
	s_delay_alu instid0(VALU_DEP_1) | instskip(SKIP_1) | instid1(VALU_DEP_1)
	v_fma_f32 v25, v30, s24, -v25
	v_mul_f32_e32 v31, s24, v31
	v_dual_fmac_f32 v31, s25, v30 :: v_dual_add_f32 v30, v12, v25
	s_delay_alu instid0(VALU_DEP_1)
	v_add_f32_e32 v31, v13, v31
	global_store_b64 v[28:29], v[30:31], off
.LBB236_35:                             ;   in Loop: Header=BB236_8 Depth=1
	s_wait_alu 0xfffe
	s_and_not1_b32 vcc_lo, exec_lo, s3
	s_wait_alu 0xfffe
	s_cbranch_vccnz .LBB236_37
; %bb.36:                               ;   in Loop: Header=BB236_8 Depth=1
	v_add_co_u32 v28, vcc_lo, v0, v6
	s_wait_alu 0xfffd
	v_add_co_ci_u32_e64 v29, null, v24, v7, vcc_lo
	global_store_b64 v[28:29], v[12:13], off
.LBB236_37:                             ;   in Loop: Header=BB236_8 Depth=1
	s_wait_alu 0xfffe
	s_or_b32 exec_lo, exec_lo, s2
	s_and_saveexec_b32 s2, s1
	s_cbranch_execz .LBB236_7
; %bb.38:                               ;   in Loop: Header=BB236_8 Depth=1
	v_mul_f32_e32 v13, s14, v26
	v_mul_f32_e32 v12, s15, v26
	s_and_not1_b32 vcc_lo, exec_lo, s11
	s_mov_b32 s3, -1
	s_delay_alu instid0(VALU_DEP_2) | instskip(NEXT) | instid1(VALU_DEP_2)
	v_fmac_f32_e32 v13, s15, v27
	v_fma_f32 v12, v27, s14, -v12
	s_wait_alu 0xfffe
	s_cbranch_vccnz .LBB236_40
; %bb.39:                               ;   in Loop: Header=BB236_8 Depth=1
	v_add_co_u32 v25, vcc_lo, v0, v8
	s_wait_alu 0xfffd
	v_add_co_ci_u32_e64 v26, null, v24, v9, vcc_lo
	s_mov_b32 s3, 0
	global_load_b64 v[27:28], v[25:26], off
	s_wait_loadcnt 0x0
	v_mul_f32_e32 v29, s25, v28
	v_mul_f32_e32 v28, s24, v28
	s_delay_alu instid0(VALU_DEP_1) | instskip(NEXT) | instid1(VALU_DEP_3)
	v_fmac_f32_e32 v28, s25, v27
	v_fma_f32 v29, v27, s24, -v29
	s_delay_alu instid0(VALU_DEP_1)
	v_dual_add_f32 v28, v13, v28 :: v_dual_add_f32 v27, v12, v29
	global_store_b64 v[25:26], v[27:28], off
.LBB236_40:                             ;   in Loop: Header=BB236_8 Depth=1
	s_wait_alu 0xfffe
	s_and_not1_b32 vcc_lo, exec_lo, s3
	s_wait_alu 0xfffe
	s_cbranch_vccnz .LBB236_7
; %bb.41:                               ;   in Loop: Header=BB236_8 Depth=1
	v_add_co_u32 v25, vcc_lo, v0, v8
	s_wait_alu 0xfffd
	v_add_co_ci_u32_e64 v26, null, v24, v9, vcc_lo
	global_store_b64 v[25:26], v[12:13], off
	s_branch .LBB236_7
.LBB236_42:
	s_endpgm
	.section	.rodata,"a",@progbits
	.p2align	6, 0x0
	.amdhsa_kernel _ZL29rocblas_internal_gemmt_kernelIlLi16ELi32ELi8ELc78ELc67ELc85ELb0ELb1E19rocblas_complex_numIfES1_PKS1_PS1_EviT_T9_T10_S5_lS7_S5_lS6_T11_S5_li
		.amdhsa_group_segment_fixed_size 4096
		.amdhsa_private_segment_fixed_size 0
		.amdhsa_kernarg_size 108
		.amdhsa_user_sgpr_count 2
		.amdhsa_user_sgpr_dispatch_ptr 0
		.amdhsa_user_sgpr_queue_ptr 0
		.amdhsa_user_sgpr_kernarg_segment_ptr 1
		.amdhsa_user_sgpr_dispatch_id 0
		.amdhsa_user_sgpr_private_segment_size 0
		.amdhsa_wavefront_size32 1
		.amdhsa_uses_dynamic_stack 0
		.amdhsa_enable_private_segment 0
		.amdhsa_system_sgpr_workgroup_id_x 1
		.amdhsa_system_sgpr_workgroup_id_y 1
		.amdhsa_system_sgpr_workgroup_id_z 1
		.amdhsa_system_sgpr_workgroup_info 0
		.amdhsa_system_vgpr_workitem_id 1
		.amdhsa_next_free_vgpr 71
		.amdhsa_next_free_sgpr 37
		.amdhsa_reserve_vcc 1
		.amdhsa_float_round_mode_32 0
		.amdhsa_float_round_mode_16_64 0
		.amdhsa_float_denorm_mode_32 3
		.amdhsa_float_denorm_mode_16_64 3
		.amdhsa_fp16_overflow 0
		.amdhsa_workgroup_processor_mode 1
		.amdhsa_memory_ordered 1
		.amdhsa_forward_progress 1
		.amdhsa_inst_pref_size 26
		.amdhsa_round_robin_scheduling 0
		.amdhsa_exception_fp_ieee_invalid_op 0
		.amdhsa_exception_fp_denorm_src 0
		.amdhsa_exception_fp_ieee_div_zero 0
		.amdhsa_exception_fp_ieee_overflow 0
		.amdhsa_exception_fp_ieee_underflow 0
		.amdhsa_exception_fp_ieee_inexact 0
		.amdhsa_exception_int_div_zero 0
	.end_amdhsa_kernel
	.section	.text._ZL29rocblas_internal_gemmt_kernelIlLi16ELi32ELi8ELc78ELc67ELc85ELb0ELb1E19rocblas_complex_numIfES1_PKS1_PS1_EviT_T9_T10_S5_lS7_S5_lS6_T11_S5_li,"axG",@progbits,_ZL29rocblas_internal_gemmt_kernelIlLi16ELi32ELi8ELc78ELc67ELc85ELb0ELb1E19rocblas_complex_numIfES1_PKS1_PS1_EviT_T9_T10_S5_lS7_S5_lS6_T11_S5_li,comdat
.Lfunc_end236:
	.size	_ZL29rocblas_internal_gemmt_kernelIlLi16ELi32ELi8ELc78ELc67ELc85ELb0ELb1E19rocblas_complex_numIfES1_PKS1_PS1_EviT_T9_T10_S5_lS7_S5_lS6_T11_S5_li, .Lfunc_end236-_ZL29rocblas_internal_gemmt_kernelIlLi16ELi32ELi8ELc78ELc67ELc85ELb0ELb1E19rocblas_complex_numIfES1_PKS1_PS1_EviT_T9_T10_S5_lS7_S5_lS6_T11_S5_li
                                        ; -- End function
	.set _ZL29rocblas_internal_gemmt_kernelIlLi16ELi32ELi8ELc78ELc67ELc85ELb0ELb1E19rocblas_complex_numIfES1_PKS1_PS1_EviT_T9_T10_S5_lS7_S5_lS6_T11_S5_li.num_vgpr, 71
	.set _ZL29rocblas_internal_gemmt_kernelIlLi16ELi32ELi8ELc78ELc67ELc85ELb0ELb1E19rocblas_complex_numIfES1_PKS1_PS1_EviT_T9_T10_S5_lS7_S5_lS6_T11_S5_li.num_agpr, 0
	.set _ZL29rocblas_internal_gemmt_kernelIlLi16ELi32ELi8ELc78ELc67ELc85ELb0ELb1E19rocblas_complex_numIfES1_PKS1_PS1_EviT_T9_T10_S5_lS7_S5_lS6_T11_S5_li.numbered_sgpr, 37
	.set _ZL29rocblas_internal_gemmt_kernelIlLi16ELi32ELi8ELc78ELc67ELc85ELb0ELb1E19rocblas_complex_numIfES1_PKS1_PS1_EviT_T9_T10_S5_lS7_S5_lS6_T11_S5_li.num_named_barrier, 0
	.set _ZL29rocblas_internal_gemmt_kernelIlLi16ELi32ELi8ELc78ELc67ELc85ELb0ELb1E19rocblas_complex_numIfES1_PKS1_PS1_EviT_T9_T10_S5_lS7_S5_lS6_T11_S5_li.private_seg_size, 0
	.set _ZL29rocblas_internal_gemmt_kernelIlLi16ELi32ELi8ELc78ELc67ELc85ELb0ELb1E19rocblas_complex_numIfES1_PKS1_PS1_EviT_T9_T10_S5_lS7_S5_lS6_T11_S5_li.uses_vcc, 1
	.set _ZL29rocblas_internal_gemmt_kernelIlLi16ELi32ELi8ELc78ELc67ELc85ELb0ELb1E19rocblas_complex_numIfES1_PKS1_PS1_EviT_T9_T10_S5_lS7_S5_lS6_T11_S5_li.uses_flat_scratch, 0
	.set _ZL29rocblas_internal_gemmt_kernelIlLi16ELi32ELi8ELc78ELc67ELc85ELb0ELb1E19rocblas_complex_numIfES1_PKS1_PS1_EviT_T9_T10_S5_lS7_S5_lS6_T11_S5_li.has_dyn_sized_stack, 0
	.set _ZL29rocblas_internal_gemmt_kernelIlLi16ELi32ELi8ELc78ELc67ELc85ELb0ELb1E19rocblas_complex_numIfES1_PKS1_PS1_EviT_T9_T10_S5_lS7_S5_lS6_T11_S5_li.has_recursion, 0
	.set _ZL29rocblas_internal_gemmt_kernelIlLi16ELi32ELi8ELc78ELc67ELc85ELb0ELb1E19rocblas_complex_numIfES1_PKS1_PS1_EviT_T9_T10_S5_lS7_S5_lS6_T11_S5_li.has_indirect_call, 0
	.section	.AMDGPU.csdata,"",@progbits
; Kernel info:
; codeLenInByte = 3288
; TotalNumSgprs: 39
; NumVgprs: 71
; ScratchSize: 0
; MemoryBound: 0
; FloatMode: 240
; IeeeMode: 1
; LDSByteSize: 4096 bytes/workgroup (compile time only)
; SGPRBlocks: 0
; VGPRBlocks: 8
; NumSGPRsForWavesPerEU: 39
; NumVGPRsForWavesPerEU: 71
; Occupancy: 16
; WaveLimiterHint : 0
; COMPUTE_PGM_RSRC2:SCRATCH_EN: 0
; COMPUTE_PGM_RSRC2:USER_SGPR: 2
; COMPUTE_PGM_RSRC2:TRAP_HANDLER: 0
; COMPUTE_PGM_RSRC2:TGID_X_EN: 1
; COMPUTE_PGM_RSRC2:TGID_Y_EN: 1
; COMPUTE_PGM_RSRC2:TGID_Z_EN: 1
; COMPUTE_PGM_RSRC2:TIDIG_COMP_CNT: 1
	.section	.text._ZL29rocblas_internal_gemmt_kernelIlLi16ELi32ELi8ELc84ELc78ELc85ELb0ELb0E19rocblas_complex_numIfES1_PKS1_PS1_EviT_T9_T10_S5_lS7_S5_lS6_T11_S5_li,"axG",@progbits,_ZL29rocblas_internal_gemmt_kernelIlLi16ELi32ELi8ELc84ELc78ELc85ELb0ELb0E19rocblas_complex_numIfES1_PKS1_PS1_EviT_T9_T10_S5_lS7_S5_lS6_T11_S5_li,comdat
	.globl	_ZL29rocblas_internal_gemmt_kernelIlLi16ELi32ELi8ELc84ELc78ELc85ELb0ELb0E19rocblas_complex_numIfES1_PKS1_PS1_EviT_T9_T10_S5_lS7_S5_lS6_T11_S5_li ; -- Begin function _ZL29rocblas_internal_gemmt_kernelIlLi16ELi32ELi8ELc84ELc78ELc85ELb0ELb0E19rocblas_complex_numIfES1_PKS1_PS1_EviT_T9_T10_S5_lS7_S5_lS6_T11_S5_li
	.p2align	8
	.type	_ZL29rocblas_internal_gemmt_kernelIlLi16ELi32ELi8ELc84ELc78ELc85ELb0ELb0E19rocblas_complex_numIfES1_PKS1_PS1_EviT_T9_T10_S5_lS7_S5_lS6_T11_S5_li,@function
_ZL29rocblas_internal_gemmt_kernelIlLi16ELi32ELi8ELc84ELc78ELc85ELb0ELb0E19rocblas_complex_numIfES1_PKS1_PS1_EviT_T9_T10_S5_lS7_S5_lS6_T11_S5_li: ; @_ZL29rocblas_internal_gemmt_kernelIlLi16ELi32ELi8ELc84ELc78ELc85ELb0ELb0E19rocblas_complex_numIfES1_PKS1_PS1_EviT_T9_T10_S5_lS7_S5_lS6_T11_S5_li
; %bb.0:
	s_clause 0x1
	s_load_b64 s[24:25], s[0:1], 0x48
	s_load_b128 s[12:15], s[0:1], 0x8
	s_wait_kmcnt 0x0
	s_cmp_eq_f32 s24, 1.0
	s_cselect_b32 s2, -1, 0
	s_and_b32 s3, s25, 0x7fffffff
	s_delay_alu instid0(SALU_CYCLE_1) | instskip(SKIP_1) | instid1(SALU_CYCLE_1)
	s_cmp_eq_u32 s3, 0
	s_cselect_b32 s31, -1, 0
	s_and_b32 s3, s2, s31
	s_mov_b32 s2, 0
	s_and_not1_b32 vcc_lo, exec_lo, s3
	s_mov_b32 s3, -1
	s_cbranch_vccnz .LBB237_4
; %bb.1:
	s_cmp_lg_u64 s[12:13], 0
	s_cbranch_scc0 .LBB237_3
; %bb.2:
	s_cmp_neq_f32 s14, 0
	s_cselect_b32 s2, -1, 0
	s_cmp_neq_f32 s15, 0
	s_cselect_b32 s3, -1, 0
	s_delay_alu instid0(SALU_CYCLE_1)
	s_or_b32 s2, s2, s3
.LBB237_3:
	s_delay_alu instid0(SALU_CYCLE_1)
	s_mov_b32 s3, s2
.LBB237_4:
	s_delay_alu instid0(SALU_CYCLE_1)
	s_and_b32 vcc_lo, exec_lo, s3
	s_cbranch_vccz .LBB237_42
; %bb.5:
	s_load_b32 s30, s[0:1], 0x68
	s_lshr_b32 s26, ttmp7, 16
	s_wait_kmcnt 0x0
	s_cmp_ge_u32 s26, s30
	s_cbranch_scc1 .LBB237_42
; %bb.6:
	v_and_b32_e32 v7, 0x3ff, v0
	v_bfe_u32 v8, v0, 10, 10
	s_clause 0x1
	s_load_b128 s[16:19], s[0:1], 0x38
	s_load_b256 s[4:11], s[0:1], 0x18
	s_lshl_b32 s2, ttmp7, 5
	s_lshl_b32 s3, ttmp9, 5
	s_and_b32 s2, s2, 0x1fffe0
	v_lshl_add_u32 v1, v8, 4, v7
	s_cmp_neq_f32 s14, 0
	s_clause 0x2
	s_load_b32 s33, s[0:1], 0x0
	s_load_b128 s[20:23], s[0:1], 0x50
	s_load_b64 s[28:29], s[0:1], 0x60
	v_and_b32_e32 v14, 7, v0
	v_and_b32_e32 v9, 31, v1
	v_lshrrev_b32_e32 v6, 3, v1
	s_cselect_b32 s0, -1, 0
	s_cmp_neq_f32 s15, 0
	v_lshrrev_b32_e32 v15, 5, v1
	v_or_b32_e32 v11, s3, v9
	v_add_nc_u32_e32 v10, s2, v6
	s_cselect_b32 s1, -1, 0
	v_lshl_add_u32 v23, v8, 6, 0x800
	s_mov_b32 s27, 0
	s_wait_kmcnt 0x0
	v_mul_lo_u32 v4, s7, v11
	v_mad_co_u64_u32 v[2:3], null, s6, v11, 0
	v_mad_co_u64_u32 v[0:1], null, s16, v10, 0
	s_or_b32 s7, s0, s1
	s_ashr_i32 s0, s3, 31
	s_cmp_neq_f32 s24, 0
	s_mul_i32 s0, s6, s0
	v_cmp_le_i32_e64 s6, s33, v11
	v_add3_u32 v3, v3, s0, v4
	v_mad_co_u64_u32 v[4:5], null, s17, v10, v[1:2]
	v_lshlrev_b32_e32 v1, 3, v9
	v_add_nc_u32_e32 v9, s2, v8
	s_delay_alu instid0(VALU_DEP_4)
	v_lshlrev_b64_e32 v[2:3], 3, v[2:3]
	v_cmp_gt_i32_e64 s0, s33, v11
	v_cmp_gt_i64_e64 s16, s[12:13], 0
	v_lshl_or_b32 v16, v15, 8, v1
	v_mov_b32_e32 v1, v4
	v_lshlrev_b32_e32 v5, 3, v14
	v_add_co_u32 v17, vcc_lo, s4, v2
	s_delay_alu instid0(VALU_DEP_1) | instskip(SKIP_3) | instid1(VALU_DEP_2)
	v_add_co_ci_u32_e64 v18, null, s5, v3, vcc_lo
	v_mad_co_u64_u32 v[2:3], null, s22, v9, 0
	v_lshlrev_b64_e32 v[0:1], 3, v[0:1]
	v_lshl_or_b32 v5, v6, 6, v5
	v_add_co_u32 v20, s1, s10, v0
	s_delay_alu instid0(VALU_DEP_4) | instskip(SKIP_1) | instid1(VALU_DEP_4)
	v_mov_b32_e32 v0, v3
	s_wait_alu 0xf1ff
	v_add_co_ci_u32_e64 v21, null, s11, v1, s1
	v_add_nc_u32_e32 v19, 0x800, v5
	v_cmp_gt_i32_e64 s1, s33, v9
	v_mad_co_u64_u32 v[0:1], null, s23, v9, v[0:1]
	v_add_nc_u32_e32 v12, 16, v9
	v_lshlrev_b32_e32 v22, 3, v7
	s_cselect_b32 s10, -1, 0
	s_xor_b32 s11, s31, -1
	s_wait_alu 0xfffe
	s_and_b32 s7, s7, s16
	s_or_b32 s10, s10, s11
	v_mov_b32_e32 v3, v0
	v_mad_co_u64_u32 v[4:5], null, s22, v12, 0
	s_delay_alu instid0(VALU_DEP_1) | instskip(SKIP_1) | instid1(VALU_DEP_2)
	v_mov_b32_e32 v1, v5
	v_cmp_gt_i32_e32 vcc_lo, s33, v10
	v_mad_co_u64_u32 v[10:11], null, s23, v12, v[1:2]
	v_add_nc_u32_e32 v6, s3, v7
	v_lshlrev_b64_e32 v[2:3], 3, v[2:3]
	v_mov_b32_e32 v1, 0
	s_xor_b32 s16, vcc_lo, -1
	s_delay_alu instid0(VALU_DEP_3) | instskip(SKIP_2) | instid1(VALU_DEP_3)
	v_dual_mov_b32 v5, v10 :: v_dual_add_nc_u32 v8, 16, v6
	v_cmp_le_i32_e64 s2, v6, v9
	v_ashrrev_i32_e32 v7, 31, v6
                                        ; implicit-def: $vgpr10_vgpr11
	v_lshlrev_b64_e32 v[4:5], 3, v[4:5]
	s_delay_alu instid0(VALU_DEP_4)
	v_cmp_le_i32_e64 s3, v8, v9
	v_ashrrev_i32_e32 v9, 31, v8
	s_and_b32 s4, s1, s2
	v_cmp_le_i32_e64 s2, v6, v12
	v_lshlrev_b64_e32 v[6:7], 3, v[6:7]
	s_and_b32 s5, s1, s3
	v_cmp_gt_i32_e64 s1, s33, v12
	v_cmp_le_i32_e64 s3, v8, v12
	v_lshlrev_b64_e32 v[8:9], 3, v[8:9]
	s_and_b32 s11, s1, s2
	s_and_b32 s1, s1, s3
	s_branch .LBB237_8
.LBB237_7:                              ;   in Loop: Header=BB237_8 Depth=1
	s_wait_alu 0xfffe
	s_or_b32 exec_lo, exec_lo, s2
	s_add_co_i32 s26, s26, 0x10000
	s_delay_alu instid0(SALU_CYCLE_1)
	s_cmp_lt_u32 s26, s30
	s_cbranch_scc0 .LBB237_42
.LBB237_8:                              ; =>This Loop Header: Depth=1
                                        ;     Child Loop BB237_11 Depth 2
	s_wait_alu 0xfffe
	s_and_not1_b32 vcc_lo, exec_lo, s7
	s_wait_alu 0xfffe
	s_cbranch_vccnz .LBB237_21
; %bb.9:                                ;   in Loop: Header=BB237_8 Depth=1
	s_mul_u64 s[2:3], s[8:9], s[26:27]
	s_mul_u64 s[22:23], s[18:19], s[26:27]
	s_wait_alu 0xfffe
	s_lshl_b64 s[2:3], s[2:3], 3
	v_dual_mov_b32 v26, 0 :: v_dual_mov_b32 v27, 0
	s_wait_alu 0xfffe
	v_add_co_u32 v12, vcc_lo, v17, s2
	s_wait_alu 0xfffd
	v_add_co_ci_u32_e64 v13, null, s3, v18, vcc_lo
	s_lshl_b64 s[2:3], s[22:23], 3
	v_dual_mov_b32 v29, 0 :: v_dual_mov_b32 v28, 0
	s_wait_alu 0xfffe
	v_add_co_u32 v24, vcc_lo, v20, s2
	s_wait_alu 0xfffd
	v_add_co_ci_u32_e64 v25, null, s3, v21, vcc_lo
	v_dual_mov_b32 v31, 0 :: v_dual_mov_b32 v30, 0
	v_dual_mov_b32 v33, 0 :: v_dual_mov_b32 v32, 0
	s_mov_b64 s[2:3], 0
	s_branch .LBB237_11
.LBB237_10:                             ;   in Loop: Header=BB237_11 Depth=2
	s_wait_alu 0xfffe
	s_or_b32 exec_lo, exec_lo, s17
	s_wait_dscnt 0x0
	s_barrier_signal -1
	s_barrier_wait -1
	global_inv scope:SCOPE_SE
	ds_load_b128 v[34:37], v23
	ds_load_2addr_b64 v[38:41], v22 offset1:16
	ds_load_b128 v[42:45], v23 offset:1024
	ds_load_b128 v[46:49], v23 offset:16
	;; [unrolled: 1-line block ×4, first 2 shown]
	ds_load_2addr_b64 v[58:61], v22 offset0:32 offset1:48
	ds_load_b128 v[62:65], v23 offset:1040
	s_add_nc_u64 s[2:3], s[2:3], 8
	s_wait_alu 0xfffe
	v_cmp_gt_i64_e64 s17, s[12:13], s[2:3]
	s_and_b32 vcc_lo, exec_lo, s17
	s_wait_dscnt 0x6
	v_mul_f32_e32 v0, v35, v39
	v_dual_mul_f32 v66, v34, v39 :: v_dual_mul_f32 v67, v35, v41
	s_wait_dscnt 0x5
	v_dual_mul_f32 v68, v34, v41 :: v_dual_mul_f32 v69, v43, v39
	v_dual_mul_f32 v39, v42, v39 :: v_dual_mul_f32 v70, v43, v41
	v_mul_f32_e32 v41, v42, v41
	v_fma_f32 v0, v34, v38, -v0
	v_fma_f32 v34, v34, v40, -v67
	v_fmac_f32_e32 v68, v35, v40
	v_fmac_f32_e32 v39, v43, v38
	;; [unrolled: 1-line block ×3, first 2 shown]
	v_add_f32_e32 v0, v32, v0
	v_fmac_f32_e32 v66, v35, v38
	v_fma_f32 v35, v42, v38, -v69
	v_fma_f32 v38, v42, v40, -v70
	v_add_f32_e32 v26, v26, v41
	s_delay_alu instid0(VALU_DEP_4) | instskip(NEXT) | instid1(VALU_DEP_4)
	v_add_f32_e32 v32, v33, v66
	v_dual_add_f32 v33, v30, v34 :: v_dual_add_f32 v34, v28, v35
	v_add_f32_e32 v35, v29, v39
	s_wait_dscnt 0x1
	v_dual_mul_f32 v39, v37, v59 :: v_dual_add_f32 v38, v27, v38
	ds_load_2addr_b64 v[27:30], v22 offset0:64 offset1:80
	v_mul_f32_e32 v42, v37, v61
	v_mul_f32_e32 v41, v36, v61
	;; [unrolled: 1-line block ×3, first 2 shown]
	v_fma_f32 v39, v36, v58, -v39
	v_add_f32_e32 v31, v31, v68
	v_fma_f32 v36, v36, v60, -v42
	s_delay_alu instid0(VALU_DEP_3) | instskip(SKIP_1) | instid1(VALU_DEP_3)
	v_add_f32_e32 v0, v0, v39
	v_mul_f32_e32 v39, v45, v59
	v_add_f32_e32 v36, v33, v36
	v_fmac_f32_e32 v41, v37, v60
	v_fmac_f32_e32 v40, v37, v58
	v_mul_f32_e32 v37, v45, v61
	v_fma_f32 v33, v44, v58, -v39
	s_delay_alu instid0(VALU_DEP_4) | instskip(NEXT) | instid1(VALU_DEP_3)
	v_add_f32_e32 v39, v31, v41
	v_fma_f32 v31, v44, v60, -v37
	v_mul_f32_e32 v41, v44, v61
	s_wait_dscnt 0x0
	v_mul_f32_e32 v37, v46, v28
	v_add_f32_e32 v40, v32, v40
	v_add_f32_e32 v38, v38, v31
	v_dual_mul_f32 v32, v44, v59 :: v_dual_fmac_f32 v41, v45, v60
	v_mul_f32_e32 v44, v47, v30
	s_delay_alu instid0(VALU_DEP_2) | instskip(NEXT) | instid1(VALU_DEP_3)
	v_dual_fmac_f32 v37, v47, v27 :: v_dual_fmac_f32 v32, v45, v58
	v_add_f32_e32 v41, v26, v41
	v_dual_add_f32 v42, v34, v33 :: v_dual_mul_f32 v33, v47, v28
	s_delay_alu instid0(VALU_DEP_3) | instskip(NEXT) | instid1(VALU_DEP_4)
	v_dual_mul_f32 v26, v46, v30 :: v_dual_add_f32 v37, v40, v37
	v_add_f32_e32 v35, v35, v32
	s_delay_alu instid0(VALU_DEP_3) | instskip(SKIP_4) | instid1(VALU_DEP_1)
	v_fma_f32 v43, v46, v27, -v33
	ds_load_2addr_b64 v[31:34], v22 offset0:96 offset1:112
	v_fmac_f32_e32 v26, v47, v29
	v_add_f32_e32 v0, v0, v43
	v_fma_f32 v43, v46, v29, -v44
	v_dual_add_f32 v39, v39, v26 :: v_dual_add_f32 v36, v36, v43
	v_mul_f32_e32 v43, v63, v30
	v_mul_f32_e32 v30, v62, v30
	s_delay_alu instid0(VALU_DEP_2) | instskip(SKIP_1) | instid1(VALU_DEP_3)
	v_fma_f32 v26, v62, v29, -v43
	v_mul_f32_e32 v40, v63, v28
	v_fmac_f32_e32 v30, v63, v29
	s_wait_dscnt 0x0
	v_dual_mul_f32 v28, v62, v28 :: v_dual_mul_f32 v47, v65, v34
	v_add_f32_e32 v43, v38, v26
	v_fma_f32 v40, v62, v27, -v40
	v_dual_mul_f32 v38, v48, v32 :: v_dual_add_f32 v41, v41, v30
	s_delay_alu instid0(VALU_DEP_4) | instskip(SKIP_1) | instid1(VALU_DEP_3)
	v_fmac_f32_e32 v28, v63, v27
	v_mul_f32_e32 v30, v48, v34
	v_fmac_f32_e32 v38, v49, v31
	v_add_f32_e32 v40, v42, v40
	s_delay_alu instid0(VALU_DEP_4)
	v_add_f32_e32 v42, v35, v28
	ds_load_2addr_b64 v[26:29], v22 offset0:128 offset1:144
	v_mul_f32_e32 v35, v49, v32
	v_mul_f32_e32 v44, v49, v34
	v_fmac_f32_e32 v30, v49, v33
	v_mul_f32_e32 v34, v64, v34
	s_delay_alu instid0(VALU_DEP_4)
	v_fma_f32 v35, v48, v31, -v35
	s_wait_dscnt 0x0
	v_mul_f32_e32 v49, v50, v27
	v_fma_f32 v44, v48, v33, -v44
	v_add_f32_e32 v48, v39, v30
	v_fma_f32 v30, v64, v33, -v47
	s_delay_alu instid0(VALU_DEP_4) | instskip(NEXT) | instid1(VALU_DEP_4)
	v_fmac_f32_e32 v49, v51, v26
	v_dual_add_f32 v45, v37, v38 :: v_dual_add_f32 v44, v36, v44
	s_delay_alu instid0(VALU_DEP_3) | instskip(SKIP_1) | instid1(VALU_DEP_3)
	v_dual_add_f32 v43, v43, v30 :: v_dual_add_f32 v0, v0, v35
	v_mul_f32_e32 v35, v65, v32
	v_dual_mul_f32 v32, v64, v32 :: v_dual_add_f32 v45, v45, v49
	s_delay_alu instid0(VALU_DEP_2) | instskip(SKIP_3) | instid1(VALU_DEP_2)
	v_fma_f32 v46, v64, v31, -v35
	ds_load_b128 v[35:38], v23 offset:1056
	v_fmac_f32_e32 v32, v65, v31
	v_dual_mul_f32 v31, v51, v27 :: v_dual_fmac_f32 v34, v65, v33
	v_add_f32_e32 v47, v42, v32
	s_delay_alu instid0(VALU_DEP_2)
	v_fma_f32 v39, v50, v26, -v31
	ds_load_2addr_b64 v[30:33], v22 offset0:160 offset1:176
	v_add_f32_e32 v46, v40, v46
	v_mul_f32_e32 v40, v51, v29
	v_add_f32_e32 v34, v41, v34
	v_add_f32_e32 v0, v0, v39
	s_delay_alu instid0(VALU_DEP_3) | instskip(SKIP_4) | instid1(VALU_DEP_2)
	v_fma_f32 v58, v50, v28, -v40
	ds_load_b128 v[39:42], v23 offset:1072
	s_wait_dscnt 0x2
	v_dual_mul_f32 v50, v50, v29 :: v_dual_mul_f32 v59, v36, v27
	v_mul_f32_e32 v27, v35, v27
	v_dual_fmac_f32 v50, v51, v28 :: v_dual_mul_f32 v51, v36, v29
	s_delay_alu instid0(VALU_DEP_3) | instskip(NEXT) | instid1(VALU_DEP_3)
	v_fma_f32 v49, v35, v26, -v59
	v_fmac_f32_e32 v27, v36, v26
	s_delay_alu instid0(VALU_DEP_3) | instskip(SKIP_2) | instid1(VALU_DEP_4)
	v_add_f32_e32 v48, v48, v50
	v_mul_f32_e32 v50, v35, v29
	v_fma_f32 v26, v35, v28, -v51
	v_add_f32_e32 v35, v47, v27
	s_wait_dscnt 0x1
	s_delay_alu instid0(VALU_DEP_3) | instskip(NEXT) | instid1(VALU_DEP_3)
	v_dual_mul_f32 v47, v53, v31 :: v_dual_fmac_f32 v50, v36, v28
	v_add_f32_e32 v43, v43, v26
	ds_load_2addr_b64 v[26:29], v22 offset0:192 offset1:208
	v_mul_f32_e32 v36, v52, v31
	v_add_f32_e32 v46, v46, v49
	v_fma_f32 v47, v52, v30, -v47
	v_mul_f32_e32 v49, v53, v33
	s_delay_alu instid0(VALU_DEP_4) | instskip(NEXT) | instid1(VALU_DEP_3)
	v_fmac_f32_e32 v36, v53, v30
	v_add_f32_e32 v0, v0, v47
	s_delay_alu instid0(VALU_DEP_3) | instskip(NEXT) | instid1(VALU_DEP_3)
	v_fma_f32 v47, v52, v32, -v49
	v_dual_add_f32 v45, v45, v36 :: v_dual_mul_f32 v36, v38, v31
	v_mul_f32_e32 v31, v37, v31
	s_delay_alu instid0(VALU_DEP_2) | instskip(NEXT) | instid1(VALU_DEP_2)
	v_fma_f32 v36, v37, v30, -v36
	v_fmac_f32_e32 v31, v38, v30
	v_add_f32_e32 v44, v44, v58
	s_delay_alu instid0(VALU_DEP_2) | instskip(NEXT) | instid1(VALU_DEP_2)
	v_dual_mul_f32 v30, v37, v33 :: v_dual_add_f32 v31, v35, v31
	v_dual_add_f32 v44, v44, v47 :: v_dual_mul_f32 v47, v38, v33
	v_add_f32_e32 v50, v34, v50
	v_mul_f32_e32 v34, v52, v33
	s_delay_alu instid0(VALU_DEP_4) | instskip(NEXT) | instid1(VALU_DEP_4)
	v_fmac_f32_e32 v30, v38, v32
	v_fma_f32 v33, v37, v32, -v47
	s_wait_dscnt 0x0
	s_delay_alu instid0(VALU_DEP_3) | instskip(NEXT) | instid1(VALU_DEP_2)
	v_dual_mul_f32 v47, v40, v27 :: v_dual_fmac_f32 v34, v53, v32
	v_dual_add_f32 v32, v43, v33 :: v_dual_mul_f32 v33, v54, v27
	v_mul_f32_e32 v43, v55, v29
	s_delay_alu instid0(VALU_DEP_2) | instskip(NEXT) | instid1(VALU_DEP_2)
	v_dual_fmac_f32 v33, v55, v26 :: v_dual_add_f32 v46, v46, v36
	v_fma_f32 v43, v54, v28, -v43
	s_delay_alu instid0(VALU_DEP_2) | instskip(SKIP_3) | instid1(VALU_DEP_3)
	v_dual_add_f32 v33, v45, v33 :: v_dual_add_f32 v48, v48, v34
	v_mul_f32_e32 v34, v55, v27
	v_mul_f32_e32 v27, v39, v27
	;; [unrolled: 1-line block ×3, first 2 shown]
	v_fma_f32 v38, v54, v26, -v34
	ds_load_2addr_b64 v[34:37], v22 offset0:224 offset1:240
	v_fmac_f32_e32 v27, v40, v26
	v_add_f32_e32 v30, v50, v30
	s_wait_loadcnt_dscnt 0x0
	v_add_f32_e32 v0, v0, v38
	s_barrier_signal -1
	v_dual_add_f32 v27, v31, v27 :: v_dual_mul_f32 v38, v54, v29
	v_mul_f32_e32 v29, v39, v29
	s_barrier_wait -1
	global_inv scope:SCOPE_SE
	v_fmac_f32_e32 v38, v55, v28
	v_fmac_f32_e32 v29, v40, v28
	s_delay_alu instid0(VALU_DEP_1) | instskip(SKIP_2) | instid1(VALU_DEP_2)
	v_add_f32_e32 v40, v30, v29
	v_mul_f32_e32 v29, v56, v37
	v_mul_f32_e32 v31, v57, v35
	v_fmac_f32_e32 v29, v57, v36
	v_add_f32_e32 v43, v44, v43
	v_fma_f32 v44, v39, v26, -v47
	v_fma_f32 v39, v39, v28, -v45
	;; [unrolled: 1-line block ×3, first 2 shown]
	s_delay_alu instid0(VALU_DEP_2) | instskip(SKIP_1) | instid1(VALU_DEP_2)
	v_dual_add_f32 v39, v32, v39 :: v_dual_mul_f32 v32, v57, v37
	v_mul_f32_e32 v28, v56, v35
	v_fma_f32 v30, v56, v36, -v32
	s_delay_alu instid0(VALU_DEP_4) | instskip(SKIP_1) | instid1(VALU_DEP_4)
	v_add_f32_e32 v32, v0, v31
	v_mul_f32_e32 v0, v42, v35
	v_fmac_f32_e32 v28, v57, v34
	s_delay_alu instid0(VALU_DEP_4) | instskip(SKIP_1) | instid1(VALU_DEP_4)
	v_dual_mul_f32 v35, v41, v35 :: v_dual_add_f32 v30, v43, v30
	v_mul_f32_e32 v43, v42, v37
	v_fma_f32 v0, v41, v34, -v0
	v_dual_mul_f32 v37, v41, v37 :: v_dual_add_f32 v26, v48, v38
	v_add_f32_e32 v38, v46, v44
	v_add_f32_e32 v33, v33, v28
	v_fmac_f32_e32 v35, v42, v34
	s_delay_alu instid0(VALU_DEP_4) | instskip(SKIP_3) | instid1(VALU_DEP_4)
	v_fmac_f32_e32 v37, v42, v36
	v_add_f32_e32 v31, v26, v29
	v_add_f32_e32 v28, v38, v0
	v_fma_f32 v0, v41, v36, -v43
	v_dual_add_f32 v29, v27, v35 :: v_dual_add_f32 v26, v40, v37
	s_delay_alu instid0(VALU_DEP_2)
	v_add_f32_e32 v27, v39, v0
	s_wait_alu 0xfffe
	s_cbranch_vccz .LBB237_22
.LBB237_11:                             ;   Parent Loop BB237_8 Depth=1
                                        ; =>  This Inner Loop Header: Depth=2
	s_mov_b32 s17, 0
	s_mov_b32 s23, s6
	s_and_saveexec_b32 s22, s0
	s_cbranch_execnz .LBB237_19
; %bb.12:                               ;   in Loop: Header=BB237_11 Depth=2
	s_wait_alu 0xfffe
	s_or_b32 exec_lo, exec_lo, s22
	s_and_saveexec_b32 s22, s23
	s_wait_alu 0xfffe
	s_xor_b32 s22, exec_lo, s22
	s_cbranch_execnz .LBB237_20
.LBB237_13:                             ;   in Loop: Header=BB237_11 Depth=2
	s_wait_alu 0xfffe
	s_or_b32 exec_lo, exec_lo, s22
	s_and_saveexec_b32 s22, s17
	s_cbranch_execz .LBB237_15
.LBB237_14:                             ;   in Loop: Header=BB237_11 Depth=2
	v_lshlrev_b64_e32 v[34:35], 3, v[10:11]
	s_delay_alu instid0(VALU_DEP_1) | instskip(SKIP_1) | instid1(VALU_DEP_2)
	v_add_co_u32 v34, vcc_lo, v12, v34
	s_wait_alu 0xfffd
	v_add_co_ci_u32_e64 v35, null, v13, v35, vcc_lo
	global_load_b64 v[34:35], v[34:35], off
	s_wait_loadcnt 0x0
	ds_store_b64 v16, v[34:35]
.LBB237_15:                             ;   in Loop: Header=BB237_11 Depth=2
	s_wait_alu 0xfffe
	s_or_b32 exec_lo, exec_lo, s22
	v_add_nc_u32_e32 v0, s2, v14
	s_delay_alu instid0(VALU_DEP_1)
	v_cmp_le_u64_e32 vcc_lo, s[12:13], v[0:1]
	s_or_b32 s17, vcc_lo, s16
	s_wait_alu 0xfffe
	s_and_saveexec_b32 s22, s17
	s_wait_alu 0xfffe
	s_xor_b32 s17, exec_lo, s22
; %bb.16:                               ;   in Loop: Header=BB237_11 Depth=2
	v_mov_b32_e32 v0, v1
	ds_store_b64 v19, v[0:1]
; %bb.17:                               ;   in Loop: Header=BB237_11 Depth=2
	s_wait_alu 0xfffe
	s_and_not1_saveexec_b32 s17, s17
	s_cbranch_execz .LBB237_10
; %bb.18:                               ;   in Loop: Header=BB237_11 Depth=2
	v_lshlrev_b64_e32 v[34:35], 3, v[0:1]
	s_delay_alu instid0(VALU_DEP_1) | instskip(SKIP_1) | instid1(VALU_DEP_2)
	v_add_co_u32 v34, vcc_lo, v24, v34
	s_wait_alu 0xfffd
	v_add_co_ci_u32_e64 v35, null, v25, v35, vcc_lo
	global_load_b64 v[34:35], v[34:35], off
	s_wait_loadcnt 0x0
	ds_store_b64 v19, v[34:35]
	s_branch .LBB237_10
.LBB237_19:                             ;   in Loop: Header=BB237_11 Depth=2
	s_wait_alu 0xfffe
	v_add_nc_u32_e32 v0, s2, v15
	v_mov_b32_e32 v11, v1
	s_and_not1_b32 s23, s6, exec_lo
	s_mov_b32 s17, exec_lo
	s_delay_alu instid0(VALU_DEP_2)
	v_cmp_le_u64_e32 vcc_lo, s[12:13], v[0:1]
	v_mov_b32_e32 v10, v0
	s_and_b32 s31, vcc_lo, exec_lo
	s_wait_alu 0xfffe
	s_or_b32 s23, s23, s31
	s_or_b32 exec_lo, exec_lo, s22
	s_wait_alu 0xfffe
	s_and_saveexec_b32 s22, s23
	s_wait_alu 0xfffe
	s_xor_b32 s22, exec_lo, s22
	s_cbranch_execz .LBB237_13
.LBB237_20:                             ;   in Loop: Header=BB237_11 Depth=2
	v_mov_b32_e32 v0, v1
	s_and_not1_b32 s17, s17, exec_lo
	ds_store_b64 v16, v[0:1]
	s_wait_alu 0xfffe
	s_or_b32 exec_lo, exec_lo, s22
	s_and_saveexec_b32 s22, s17
	s_cbranch_execnz .LBB237_14
	s_branch .LBB237_15
.LBB237_21:                             ;   in Loop: Header=BB237_8 Depth=1
	v_dual_mov_b32 v32, v1 :: v_dual_mov_b32 v33, v1
	v_dual_mov_b32 v30, v1 :: v_dual_mov_b32 v31, v1
	;; [unrolled: 1-line block ×4, first 2 shown]
.LBB237_22:                             ;   in Loop: Header=BB237_8 Depth=1
	s_mul_u64 s[2:3], s[28:29], s[26:27]
	s_wait_alu 0xfffe
	s_lshl_b64 s[2:3], s[2:3], 3
	s_wait_alu 0xfffe
	s_add_nc_u64 s[2:3], s[20:21], s[2:3]
	s_wait_alu 0xfffe
	v_add_co_u32 v0, vcc_lo, s2, v2
	s_wait_alu 0xfffd
	v_add_co_ci_u32_e64 v24, null, s3, v3, vcc_lo
	s_and_saveexec_b32 s17, s4
	s_cbranch_execz .LBB237_27
; %bb.23:                               ;   in Loop: Header=BB237_8 Depth=1
	v_mul_f32_e32 v13, s14, v33
	v_mul_f32_e32 v12, s15, v33
	s_and_b32 vcc_lo, exec_lo, s10
	s_mov_b32 s22, -1
	s_delay_alu instid0(VALU_DEP_2) | instskip(NEXT) | instid1(VALU_DEP_2)
	v_fmac_f32_e32 v13, s15, v32
	v_fma_f32 v12, v32, s14, -v12
	s_wait_alu 0xfffe
	s_cbranch_vccz .LBB237_25
; %bb.24:                               ;   in Loop: Header=BB237_8 Depth=1
	v_add_co_u32 v32, vcc_lo, v0, v6
	s_wait_alu 0xfffd
	v_add_co_ci_u32_e64 v33, null, v24, v7, vcc_lo
	s_mov_b32 s22, 0
	global_load_b64 v[34:35], v[32:33], off
	s_wait_loadcnt 0x0
	v_mul_f32_e32 v25, s25, v35
	s_delay_alu instid0(VALU_DEP_1) | instskip(SKIP_1) | instid1(VALU_DEP_1)
	v_fma_f32 v25, v34, s24, -v25
	v_mul_f32_e32 v35, s24, v35
	v_dual_fmac_f32 v35, s25, v34 :: v_dual_add_f32 v34, v12, v25
	s_delay_alu instid0(VALU_DEP_1)
	v_add_f32_e32 v35, v13, v35
	global_store_b64 v[32:33], v[34:35], off
.LBB237_25:                             ;   in Loop: Header=BB237_8 Depth=1
	s_wait_alu 0xfffe
	s_and_not1_b32 vcc_lo, exec_lo, s22
	s_wait_alu 0xfffe
	s_cbranch_vccnz .LBB237_27
; %bb.26:                               ;   in Loop: Header=BB237_8 Depth=1
	v_add_co_u32 v32, vcc_lo, v0, v6
	s_wait_alu 0xfffd
	v_add_co_ci_u32_e64 v33, null, v24, v7, vcc_lo
	global_store_b64 v[32:33], v[12:13], off
.LBB237_27:                             ;   in Loop: Header=BB237_8 Depth=1
	s_wait_alu 0xfffe
	s_or_b32 exec_lo, exec_lo, s17
	s_and_saveexec_b32 s17, s5
	s_cbranch_execz .LBB237_32
; %bb.28:                               ;   in Loop: Header=BB237_8 Depth=1
	v_mul_f32_e32 v13, s14, v31
	v_mul_f32_e32 v12, s15, v31
	s_and_not1_b32 vcc_lo, exec_lo, s10
	s_mov_b32 s22, -1
	s_delay_alu instid0(VALU_DEP_2) | instskip(NEXT) | instid1(VALU_DEP_2)
	v_fmac_f32_e32 v13, s15, v30
	v_fma_f32 v12, v30, s14, -v12
	s_wait_alu 0xfffe
	s_cbranch_vccnz .LBB237_30
; %bb.29:                               ;   in Loop: Header=BB237_8 Depth=1
	v_add_co_u32 v30, vcc_lo, v0, v8
	s_wait_alu 0xfffd
	v_add_co_ci_u32_e64 v31, null, v24, v9, vcc_lo
	s_mov_b32 s22, 0
	global_load_b64 v[32:33], v[30:31], off
	s_wait_loadcnt 0x0
	v_mul_f32_e32 v25, s25, v33
	v_mul_f32_e32 v33, s24, v33
	s_delay_alu instid0(VALU_DEP_2) | instskip(NEXT) | instid1(VALU_DEP_1)
	v_fma_f32 v25, v32, s24, -v25
	v_dual_fmac_f32 v33, s25, v32 :: v_dual_add_f32 v32, v12, v25
	s_delay_alu instid0(VALU_DEP_1)
	v_add_f32_e32 v33, v13, v33
	global_store_b64 v[30:31], v[32:33], off
.LBB237_30:                             ;   in Loop: Header=BB237_8 Depth=1
	s_wait_alu 0xfffe
	s_and_not1_b32 vcc_lo, exec_lo, s22
	s_wait_alu 0xfffe
	s_cbranch_vccnz .LBB237_32
; %bb.31:                               ;   in Loop: Header=BB237_8 Depth=1
	v_add_co_u32 v30, vcc_lo, v0, v8
	s_wait_alu 0xfffd
	v_add_co_ci_u32_e64 v31, null, v24, v9, vcc_lo
	global_store_b64 v[30:31], v[12:13], off
.LBB237_32:                             ;   in Loop: Header=BB237_8 Depth=1
	s_wait_alu 0xfffe
	s_or_b32 exec_lo, exec_lo, s17
	v_add_co_u32 v0, vcc_lo, s2, v4
	s_wait_alu 0xfffd
	v_add_co_ci_u32_e64 v24, null, s3, v5, vcc_lo
	s_and_saveexec_b32 s2, s11
	s_cbranch_execz .LBB237_37
; %bb.33:                               ;   in Loop: Header=BB237_8 Depth=1
	v_mul_f32_e32 v13, s14, v29
	v_mul_f32_e32 v12, s15, v29
	s_and_not1_b32 vcc_lo, exec_lo, s10
	s_mov_b32 s3, -1
	s_delay_alu instid0(VALU_DEP_2) | instskip(NEXT) | instid1(VALU_DEP_2)
	v_fmac_f32_e32 v13, s15, v28
	v_fma_f32 v12, v28, s14, -v12
	s_wait_alu 0xfffe
	s_cbranch_vccnz .LBB237_35
; %bb.34:                               ;   in Loop: Header=BB237_8 Depth=1
	v_add_co_u32 v28, vcc_lo, v0, v6
	s_wait_alu 0xfffd
	v_add_co_ci_u32_e64 v29, null, v24, v7, vcc_lo
	s_mov_b32 s3, 0
	global_load_b64 v[30:31], v[28:29], off
	s_wait_loadcnt 0x0
	v_mul_f32_e32 v25, s25, v31
	s_delay_alu instid0(VALU_DEP_1) | instskip(SKIP_1) | instid1(VALU_DEP_1)
	v_fma_f32 v25, v30, s24, -v25
	v_mul_f32_e32 v31, s24, v31
	v_dual_fmac_f32 v31, s25, v30 :: v_dual_add_f32 v30, v12, v25
	s_delay_alu instid0(VALU_DEP_1)
	v_add_f32_e32 v31, v13, v31
	global_store_b64 v[28:29], v[30:31], off
.LBB237_35:                             ;   in Loop: Header=BB237_8 Depth=1
	s_wait_alu 0xfffe
	s_and_not1_b32 vcc_lo, exec_lo, s3
	s_wait_alu 0xfffe
	s_cbranch_vccnz .LBB237_37
; %bb.36:                               ;   in Loop: Header=BB237_8 Depth=1
	v_add_co_u32 v28, vcc_lo, v0, v6
	s_wait_alu 0xfffd
	v_add_co_ci_u32_e64 v29, null, v24, v7, vcc_lo
	global_store_b64 v[28:29], v[12:13], off
.LBB237_37:                             ;   in Loop: Header=BB237_8 Depth=1
	s_wait_alu 0xfffe
	s_or_b32 exec_lo, exec_lo, s2
	s_and_saveexec_b32 s2, s1
	s_cbranch_execz .LBB237_7
; %bb.38:                               ;   in Loop: Header=BB237_8 Depth=1
	v_mul_f32_e32 v13, s14, v26
	v_mul_f32_e32 v12, s15, v26
	s_and_not1_b32 vcc_lo, exec_lo, s10
	s_mov_b32 s3, -1
	s_delay_alu instid0(VALU_DEP_2) | instskip(NEXT) | instid1(VALU_DEP_2)
	v_fmac_f32_e32 v13, s15, v27
	v_fma_f32 v12, v27, s14, -v12
	s_wait_alu 0xfffe
	s_cbranch_vccnz .LBB237_40
; %bb.39:                               ;   in Loop: Header=BB237_8 Depth=1
	v_add_co_u32 v25, vcc_lo, v0, v8
	s_wait_alu 0xfffd
	v_add_co_ci_u32_e64 v26, null, v24, v9, vcc_lo
	s_mov_b32 s3, 0
	global_load_b64 v[27:28], v[25:26], off
	s_wait_loadcnt 0x0
	v_mul_f32_e32 v29, s25, v28
	v_mul_f32_e32 v28, s24, v28
	s_delay_alu instid0(VALU_DEP_1) | instskip(NEXT) | instid1(VALU_DEP_3)
	v_fmac_f32_e32 v28, s25, v27
	v_fma_f32 v29, v27, s24, -v29
	s_delay_alu instid0(VALU_DEP_1)
	v_dual_add_f32 v28, v13, v28 :: v_dual_add_f32 v27, v12, v29
	global_store_b64 v[25:26], v[27:28], off
.LBB237_40:                             ;   in Loop: Header=BB237_8 Depth=1
	s_wait_alu 0xfffe
	s_and_not1_b32 vcc_lo, exec_lo, s3
	s_wait_alu 0xfffe
	s_cbranch_vccnz .LBB237_7
; %bb.41:                               ;   in Loop: Header=BB237_8 Depth=1
	v_add_co_u32 v25, vcc_lo, v0, v8
	s_wait_alu 0xfffd
	v_add_co_ci_u32_e64 v26, null, v24, v9, vcc_lo
	global_store_b64 v[25:26], v[12:13], off
	s_branch .LBB237_7
.LBB237_42:
	s_endpgm
	.section	.rodata,"a",@progbits
	.p2align	6, 0x0
	.amdhsa_kernel _ZL29rocblas_internal_gemmt_kernelIlLi16ELi32ELi8ELc84ELc78ELc85ELb0ELb0E19rocblas_complex_numIfES1_PKS1_PS1_EviT_T9_T10_S5_lS7_S5_lS6_T11_S5_li
		.amdhsa_group_segment_fixed_size 4096
		.amdhsa_private_segment_fixed_size 0
		.amdhsa_kernarg_size 108
		.amdhsa_user_sgpr_count 2
		.amdhsa_user_sgpr_dispatch_ptr 0
		.amdhsa_user_sgpr_queue_ptr 0
		.amdhsa_user_sgpr_kernarg_segment_ptr 1
		.amdhsa_user_sgpr_dispatch_id 0
		.amdhsa_user_sgpr_private_segment_size 0
		.amdhsa_wavefront_size32 1
		.amdhsa_uses_dynamic_stack 0
		.amdhsa_enable_private_segment 0
		.amdhsa_system_sgpr_workgroup_id_x 1
		.amdhsa_system_sgpr_workgroup_id_y 1
		.amdhsa_system_sgpr_workgroup_id_z 1
		.amdhsa_system_sgpr_workgroup_info 0
		.amdhsa_system_vgpr_workitem_id 1
		.amdhsa_next_free_vgpr 71
		.amdhsa_next_free_sgpr 34
		.amdhsa_reserve_vcc 1
		.amdhsa_float_round_mode_32 0
		.amdhsa_float_round_mode_16_64 0
		.amdhsa_float_denorm_mode_32 3
		.amdhsa_float_denorm_mode_16_64 3
		.amdhsa_fp16_overflow 0
		.amdhsa_workgroup_processor_mode 1
		.amdhsa_memory_ordered 1
		.amdhsa_forward_progress 1
		.amdhsa_inst_pref_size 26
		.amdhsa_round_robin_scheduling 0
		.amdhsa_exception_fp_ieee_invalid_op 0
		.amdhsa_exception_fp_denorm_src 0
		.amdhsa_exception_fp_ieee_div_zero 0
		.amdhsa_exception_fp_ieee_overflow 0
		.amdhsa_exception_fp_ieee_underflow 0
		.amdhsa_exception_fp_ieee_inexact 0
		.amdhsa_exception_int_div_zero 0
	.end_amdhsa_kernel
	.section	.text._ZL29rocblas_internal_gemmt_kernelIlLi16ELi32ELi8ELc84ELc78ELc85ELb0ELb0E19rocblas_complex_numIfES1_PKS1_PS1_EviT_T9_T10_S5_lS7_S5_lS6_T11_S5_li,"axG",@progbits,_ZL29rocblas_internal_gemmt_kernelIlLi16ELi32ELi8ELc84ELc78ELc85ELb0ELb0E19rocblas_complex_numIfES1_PKS1_PS1_EviT_T9_T10_S5_lS7_S5_lS6_T11_S5_li,comdat
.Lfunc_end237:
	.size	_ZL29rocblas_internal_gemmt_kernelIlLi16ELi32ELi8ELc84ELc78ELc85ELb0ELb0E19rocblas_complex_numIfES1_PKS1_PS1_EviT_T9_T10_S5_lS7_S5_lS6_T11_S5_li, .Lfunc_end237-_ZL29rocblas_internal_gemmt_kernelIlLi16ELi32ELi8ELc84ELc78ELc85ELb0ELb0E19rocblas_complex_numIfES1_PKS1_PS1_EviT_T9_T10_S5_lS7_S5_lS6_T11_S5_li
                                        ; -- End function
	.set _ZL29rocblas_internal_gemmt_kernelIlLi16ELi32ELi8ELc84ELc78ELc85ELb0ELb0E19rocblas_complex_numIfES1_PKS1_PS1_EviT_T9_T10_S5_lS7_S5_lS6_T11_S5_li.num_vgpr, 71
	.set _ZL29rocblas_internal_gemmt_kernelIlLi16ELi32ELi8ELc84ELc78ELc85ELb0ELb0E19rocblas_complex_numIfES1_PKS1_PS1_EviT_T9_T10_S5_lS7_S5_lS6_T11_S5_li.num_agpr, 0
	.set _ZL29rocblas_internal_gemmt_kernelIlLi16ELi32ELi8ELc84ELc78ELc85ELb0ELb0E19rocblas_complex_numIfES1_PKS1_PS1_EviT_T9_T10_S5_lS7_S5_lS6_T11_S5_li.numbered_sgpr, 34
	.set _ZL29rocblas_internal_gemmt_kernelIlLi16ELi32ELi8ELc84ELc78ELc85ELb0ELb0E19rocblas_complex_numIfES1_PKS1_PS1_EviT_T9_T10_S5_lS7_S5_lS6_T11_S5_li.num_named_barrier, 0
	.set _ZL29rocblas_internal_gemmt_kernelIlLi16ELi32ELi8ELc84ELc78ELc85ELb0ELb0E19rocblas_complex_numIfES1_PKS1_PS1_EviT_T9_T10_S5_lS7_S5_lS6_T11_S5_li.private_seg_size, 0
	.set _ZL29rocblas_internal_gemmt_kernelIlLi16ELi32ELi8ELc84ELc78ELc85ELb0ELb0E19rocblas_complex_numIfES1_PKS1_PS1_EviT_T9_T10_S5_lS7_S5_lS6_T11_S5_li.uses_vcc, 1
	.set _ZL29rocblas_internal_gemmt_kernelIlLi16ELi32ELi8ELc84ELc78ELc85ELb0ELb0E19rocblas_complex_numIfES1_PKS1_PS1_EviT_T9_T10_S5_lS7_S5_lS6_T11_S5_li.uses_flat_scratch, 0
	.set _ZL29rocblas_internal_gemmt_kernelIlLi16ELi32ELi8ELc84ELc78ELc85ELb0ELb0E19rocblas_complex_numIfES1_PKS1_PS1_EviT_T9_T10_S5_lS7_S5_lS6_T11_S5_li.has_dyn_sized_stack, 0
	.set _ZL29rocblas_internal_gemmt_kernelIlLi16ELi32ELi8ELc84ELc78ELc85ELb0ELb0E19rocblas_complex_numIfES1_PKS1_PS1_EviT_T9_T10_S5_lS7_S5_lS6_T11_S5_li.has_recursion, 0
	.set _ZL29rocblas_internal_gemmt_kernelIlLi16ELi32ELi8ELc84ELc78ELc85ELb0ELb0E19rocblas_complex_numIfES1_PKS1_PS1_EviT_T9_T10_S5_lS7_S5_lS6_T11_S5_li.has_indirect_call, 0
	.section	.AMDGPU.csdata,"",@progbits
; Kernel info:
; codeLenInByte = 3292
; TotalNumSgprs: 36
; NumVgprs: 71
; ScratchSize: 0
; MemoryBound: 0
; FloatMode: 240
; IeeeMode: 1
; LDSByteSize: 4096 bytes/workgroup (compile time only)
; SGPRBlocks: 0
; VGPRBlocks: 8
; NumSGPRsForWavesPerEU: 36
; NumVGPRsForWavesPerEU: 71
; Occupancy: 16
; WaveLimiterHint : 0
; COMPUTE_PGM_RSRC2:SCRATCH_EN: 0
; COMPUTE_PGM_RSRC2:USER_SGPR: 2
; COMPUTE_PGM_RSRC2:TRAP_HANDLER: 0
; COMPUTE_PGM_RSRC2:TGID_X_EN: 1
; COMPUTE_PGM_RSRC2:TGID_Y_EN: 1
; COMPUTE_PGM_RSRC2:TGID_Z_EN: 1
; COMPUTE_PGM_RSRC2:TIDIG_COMP_CNT: 1
	.section	.text._ZL29rocblas_internal_gemmt_kernelIlLi16ELi32ELi8ELc84ELc84ELc85ELb0ELb0E19rocblas_complex_numIfES1_PKS1_PS1_EviT_T9_T10_S5_lS7_S5_lS6_T11_S5_li,"axG",@progbits,_ZL29rocblas_internal_gemmt_kernelIlLi16ELi32ELi8ELc84ELc84ELc85ELb0ELb0E19rocblas_complex_numIfES1_PKS1_PS1_EviT_T9_T10_S5_lS7_S5_lS6_T11_S5_li,comdat
	.globl	_ZL29rocblas_internal_gemmt_kernelIlLi16ELi32ELi8ELc84ELc84ELc85ELb0ELb0E19rocblas_complex_numIfES1_PKS1_PS1_EviT_T9_T10_S5_lS7_S5_lS6_T11_S5_li ; -- Begin function _ZL29rocblas_internal_gemmt_kernelIlLi16ELi32ELi8ELc84ELc84ELc85ELb0ELb0E19rocblas_complex_numIfES1_PKS1_PS1_EviT_T9_T10_S5_lS7_S5_lS6_T11_S5_li
	.p2align	8
	.type	_ZL29rocblas_internal_gemmt_kernelIlLi16ELi32ELi8ELc84ELc84ELc85ELb0ELb0E19rocblas_complex_numIfES1_PKS1_PS1_EviT_T9_T10_S5_lS7_S5_lS6_T11_S5_li,@function
_ZL29rocblas_internal_gemmt_kernelIlLi16ELi32ELi8ELc84ELc84ELc85ELb0ELb0E19rocblas_complex_numIfES1_PKS1_PS1_EviT_T9_T10_S5_lS7_S5_lS6_T11_S5_li: ; @_ZL29rocblas_internal_gemmt_kernelIlLi16ELi32ELi8ELc84ELc84ELc85ELb0ELb0E19rocblas_complex_numIfES1_PKS1_PS1_EviT_T9_T10_S5_lS7_S5_lS6_T11_S5_li
; %bb.0:
	s_clause 0x1
	s_load_b64 s[24:25], s[0:1], 0x48
	s_load_b128 s[12:15], s[0:1], 0x8
	s_wait_kmcnt 0x0
	s_cmp_eq_f32 s24, 1.0
	s_cselect_b32 s2, -1, 0
	s_and_b32 s3, s25, 0x7fffffff
	s_delay_alu instid0(SALU_CYCLE_1) | instskip(SKIP_1) | instid1(SALU_CYCLE_1)
	s_cmp_eq_u32 s3, 0
	s_cselect_b32 s31, -1, 0
	s_and_b32 s3, s2, s31
	s_mov_b32 s2, 0
	s_and_not1_b32 vcc_lo, exec_lo, s3
	s_mov_b32 s3, -1
	s_cbranch_vccnz .LBB238_4
; %bb.1:
	s_cmp_lg_u64 s[12:13], 0
	s_cbranch_scc0 .LBB238_3
; %bb.2:
	s_cmp_neq_f32 s14, 0
	s_cselect_b32 s2, -1, 0
	s_cmp_neq_f32 s15, 0
	s_cselect_b32 s3, -1, 0
	s_delay_alu instid0(SALU_CYCLE_1)
	s_or_b32 s2, s2, s3
.LBB238_3:
	s_delay_alu instid0(SALU_CYCLE_1)
	s_mov_b32 s3, s2
.LBB238_4:
	s_delay_alu instid0(SALU_CYCLE_1)
	s_and_b32 vcc_lo, exec_lo, s3
	s_cbranch_vccz .LBB238_42
; %bb.5:
	s_load_b32 s30, s[0:1], 0x68
	s_lshr_b32 s26, ttmp7, 16
	s_wait_kmcnt 0x0
	s_cmp_ge_u32 s26, s30
	s_cbranch_scc1 .LBB238_42
; %bb.6:
	v_and_b32_e32 v7, 0x3ff, v0
	v_bfe_u32 v8, v0, 10, 10
	s_load_b256 s[4:11], s[0:1], 0x18
	s_lshl_b32 s2, ttmp7, 5
	s_lshl_b32 s3, ttmp9, 5
	s_and_b32 s2, s2, 0x1fffe0
	v_lshl_add_u32 v2, v8, 4, v7
	s_cmp_neq_f32 s14, 0
	v_and_b32_e32 v14, 7, v0
	s_clause 0x3
	s_load_b32 s33, s[0:1], 0x0
	s_load_b128 s[16:19], s[0:1], 0x38
	s_load_b128 s[20:23], s[0:1], 0x50
	s_load_b64 s[28:29], s[0:1], 0x60
	v_and_b32_e32 v3, 31, v2
	s_cselect_b32 s0, -1, 0
	s_cmp_neq_f32 s15, 0
	v_lshrrev_b32_e32 v6, 3, v2
	v_lshrrev_b32_e32 v15, 5, v2
	v_or_b32_e32 v4, s3, v3
	s_cselect_b32 s1, -1, 0
	s_ashr_i32 s34, s3, 31
	v_add_nc_u32_e32 v2, s2, v6
	v_lshlrev_b32_e32 v3, 3, v3
	v_add_nc_u32_e32 v11, s2, v8
	s_wait_kmcnt 0x0
	v_mul_lo_u32 v5, s7, v4
	v_mad_co_u64_u32 v[0:1], null, s6, v4, 0
	s_mul_i32 s6, s6, s34
	v_lshl_or_b32 v16, v15, 8, v3
	v_add_nc_u32_e32 v12, 16, v11
	s_or_b32 s34, s0, s1
	v_cmp_gt_i32_e64 s0, s33, v4
	v_lshl_add_u32 v23, v8, 6, 0x800
	s_wait_alu 0xfffe
	v_add3_u32 v1, v1, s6, v5
	v_cmp_le_i32_e64 s6, s33, v4
	s_cmp_neq_f32 s24, 0
	v_cmp_gt_i64_e64 s7, s[12:13], 0
	s_mov_b32 s27, 0
	v_lshlrev_b64_e32 v[0:1], 3, v[0:1]
	s_delay_alu instid0(VALU_DEP_1) | instskip(NEXT) | instid1(VALU_DEP_1)
	v_add_co_u32 v17, vcc_lo, s4, v0
	v_add_co_ci_u32_e64 v18, null, s5, v1, vcc_lo
	v_mov_b32_e32 v1, 0
	v_lshlrev_b32_e32 v9, 3, v14
	v_cmp_gt_i32_e32 vcc_lo, s33, v2
	v_lshlrev_b32_e32 v0, 3, v2
	v_mad_co_u64_u32 v[2:3], null, s22, v11, 0
	s_delay_alu instid0(VALU_DEP_4) | instskip(NEXT) | instid1(VALU_DEP_3)
	v_lshl_or_b32 v5, v6, 6, v9
	v_add_co_u32 v20, s1, s10, v0
	s_delay_alu instid0(VALU_DEP_1) | instskip(NEXT) | instid1(VALU_DEP_3)
	v_add_co_ci_u32_e64 v21, null, s11, 0, s1
	v_add_nc_u32_e32 v19, 0x800, v5
	v_mad_co_u64_u32 v[4:5], null, s22, v12, 0
	v_mov_b32_e32 v0, v3
	v_add_nc_u32_e32 v6, s3, v7
	v_cmp_gt_i32_e64 s1, s33, v11
	v_lshlrev_b32_e32 v22, 3, v7
	s_cselect_b32 s10, -1, 0
	v_mad_co_u64_u32 v[9:10], null, s23, v11, v[0:1]
	v_add_nc_u32_e32 v8, 16, v6
	v_mov_b32_e32 v0, v5
	v_cmp_le_i32_e64 s2, v6, v11
	v_ashrrev_i32_e32 v7, 31, v6
	s_xor_b32 s11, s31, -1
	v_cmp_le_i32_e64 s3, v8, v11
	v_mad_co_u64_u32 v[10:11], null, s23, v12, v[0:1]
	v_mov_b32_e32 v3, v9
	v_ashrrev_i32_e32 v9, 31, v8
	s_and_b32 s4, s1, s2
	s_and_b32 s5, s1, s3
	v_cmp_gt_i32_e64 s1, s33, v12
	v_cmp_le_i32_e64 s2, v6, v12
	v_mov_b32_e32 v5, v10
	v_cmp_le_i32_e64 s3, v8, v12
	v_lshlrev_b64_e32 v[2:3], 3, v[2:3]
	v_lshlrev_b64_e32 v[6:7], 3, v[6:7]
	;; [unrolled: 1-line block ×4, first 2 shown]
	s_and_b32 s7, s34, s7
	s_wait_alu 0xfffe
	s_or_b32 s10, s10, s11
	s_and_b32 s11, s1, s2
	s_and_b32 s1, s1, s3
	s_xor_b32 s22, vcc_lo, -1
                                        ; implicit-def: $vgpr10_vgpr11
	s_branch .LBB238_8
.LBB238_7:                              ;   in Loop: Header=BB238_8 Depth=1
	s_wait_alu 0xfffe
	s_or_b32 exec_lo, exec_lo, s2
	s_add_co_i32 s26, s26, 0x10000
	s_delay_alu instid0(SALU_CYCLE_1)
	s_cmp_lt_u32 s26, s30
	s_cbranch_scc0 .LBB238_42
.LBB238_8:                              ; =>This Loop Header: Depth=1
                                        ;     Child Loop BB238_11 Depth 2
	s_and_not1_b32 vcc_lo, exec_lo, s7
	s_wait_alu 0xfffe
	s_cbranch_vccnz .LBB238_21
; %bb.9:                                ;   in Loop: Header=BB238_8 Depth=1
	s_mul_u64 s[2:3], s[8:9], s[26:27]
	s_mul_u64 s[34:35], s[18:19], s[26:27]
	s_wait_alu 0xfffe
	s_lshl_b64 s[2:3], s[2:3], 3
	v_dual_mov_b32 v26, 0 :: v_dual_mov_b32 v27, 0
	s_wait_alu 0xfffe
	v_add_co_u32 v12, vcc_lo, v17, s2
	s_wait_alu 0xfffd
	v_add_co_ci_u32_e64 v13, null, s3, v18, vcc_lo
	s_lshl_b64 s[2:3], s[34:35], 3
	v_dual_mov_b32 v29, 0 :: v_dual_mov_b32 v28, 0
	s_wait_alu 0xfffe
	v_add_co_u32 v24, vcc_lo, v20, s2
	s_wait_alu 0xfffd
	v_add_co_ci_u32_e64 v25, null, s3, v21, vcc_lo
	v_dual_mov_b32 v31, 0 :: v_dual_mov_b32 v30, 0
	v_dual_mov_b32 v33, 0 :: v_dual_mov_b32 v32, 0
	s_mov_b64 s[2:3], 0
	s_branch .LBB238_11
.LBB238_10:                             ;   in Loop: Header=BB238_11 Depth=2
	s_wait_alu 0xfffe
	s_or_b32 exec_lo, exec_lo, s23
	s_wait_dscnt 0x0
	s_barrier_signal -1
	s_barrier_wait -1
	global_inv scope:SCOPE_SE
	ds_load_b128 v[34:37], v23
	ds_load_2addr_b64 v[38:41], v22 offset1:16
	ds_load_b128 v[42:45], v23 offset:1024
	ds_load_b128 v[46:49], v23 offset:16
	;; [unrolled: 1-line block ×4, first 2 shown]
	ds_load_2addr_b64 v[58:61], v22 offset0:32 offset1:48
	ds_load_b128 v[62:65], v23 offset:1040
	s_add_nc_u64 s[2:3], s[2:3], 8
	s_wait_alu 0xfffe
	v_cmp_gt_i64_e64 s23, s[12:13], s[2:3]
	s_and_b32 vcc_lo, exec_lo, s23
	s_wait_dscnt 0x6
	v_mul_f32_e32 v0, v35, v39
	v_dual_mul_f32 v66, v34, v39 :: v_dual_mul_f32 v67, v35, v41
	s_wait_dscnt 0x5
	v_dual_mul_f32 v68, v34, v41 :: v_dual_mul_f32 v69, v43, v39
	v_dual_mul_f32 v39, v42, v39 :: v_dual_mul_f32 v70, v43, v41
	v_mul_f32_e32 v41, v42, v41
	v_fma_f32 v0, v34, v38, -v0
	v_fma_f32 v34, v34, v40, -v67
	v_fmac_f32_e32 v68, v35, v40
	v_fmac_f32_e32 v39, v43, v38
	v_fmac_f32_e32 v41, v43, v40
	v_add_f32_e32 v0, v32, v0
	v_fmac_f32_e32 v66, v35, v38
	v_fma_f32 v35, v42, v38, -v69
	v_fma_f32 v38, v42, v40, -v70
	v_add_f32_e32 v26, v26, v41
	s_delay_alu instid0(VALU_DEP_4) | instskip(NEXT) | instid1(VALU_DEP_4)
	v_add_f32_e32 v32, v33, v66
	v_dual_add_f32 v33, v30, v34 :: v_dual_add_f32 v34, v28, v35
	v_add_f32_e32 v35, v29, v39
	s_wait_dscnt 0x1
	v_dual_mul_f32 v39, v37, v59 :: v_dual_add_f32 v38, v27, v38
	ds_load_2addr_b64 v[27:30], v22 offset0:64 offset1:80
	v_mul_f32_e32 v42, v37, v61
	v_mul_f32_e32 v41, v36, v61
	;; [unrolled: 1-line block ×3, first 2 shown]
	v_fma_f32 v39, v36, v58, -v39
	v_add_f32_e32 v31, v31, v68
	v_fma_f32 v36, v36, v60, -v42
	s_delay_alu instid0(VALU_DEP_3) | instskip(SKIP_1) | instid1(VALU_DEP_3)
	v_add_f32_e32 v0, v0, v39
	v_mul_f32_e32 v39, v45, v59
	v_add_f32_e32 v36, v33, v36
	v_fmac_f32_e32 v41, v37, v60
	v_fmac_f32_e32 v40, v37, v58
	v_mul_f32_e32 v37, v45, v61
	v_fma_f32 v33, v44, v58, -v39
	s_delay_alu instid0(VALU_DEP_4) | instskip(NEXT) | instid1(VALU_DEP_3)
	v_add_f32_e32 v39, v31, v41
	v_fma_f32 v31, v44, v60, -v37
	v_mul_f32_e32 v41, v44, v61
	s_wait_dscnt 0x0
	v_mul_f32_e32 v37, v46, v28
	v_add_f32_e32 v40, v32, v40
	v_add_f32_e32 v38, v38, v31
	v_dual_mul_f32 v32, v44, v59 :: v_dual_fmac_f32 v41, v45, v60
	v_mul_f32_e32 v44, v47, v30
	s_delay_alu instid0(VALU_DEP_2) | instskip(NEXT) | instid1(VALU_DEP_3)
	v_dual_fmac_f32 v37, v47, v27 :: v_dual_fmac_f32 v32, v45, v58
	v_add_f32_e32 v41, v26, v41
	v_dual_add_f32 v42, v34, v33 :: v_dual_mul_f32 v33, v47, v28
	s_delay_alu instid0(VALU_DEP_3) | instskip(NEXT) | instid1(VALU_DEP_4)
	v_dual_mul_f32 v26, v46, v30 :: v_dual_add_f32 v37, v40, v37
	v_add_f32_e32 v35, v35, v32
	s_delay_alu instid0(VALU_DEP_3) | instskip(SKIP_4) | instid1(VALU_DEP_1)
	v_fma_f32 v43, v46, v27, -v33
	ds_load_2addr_b64 v[31:34], v22 offset0:96 offset1:112
	v_fmac_f32_e32 v26, v47, v29
	v_add_f32_e32 v0, v0, v43
	v_fma_f32 v43, v46, v29, -v44
	v_dual_add_f32 v39, v39, v26 :: v_dual_add_f32 v36, v36, v43
	v_mul_f32_e32 v43, v63, v30
	v_mul_f32_e32 v30, v62, v30
	s_delay_alu instid0(VALU_DEP_2) | instskip(SKIP_1) | instid1(VALU_DEP_3)
	v_fma_f32 v26, v62, v29, -v43
	v_mul_f32_e32 v40, v63, v28
	v_fmac_f32_e32 v30, v63, v29
	s_wait_dscnt 0x0
	v_dual_mul_f32 v28, v62, v28 :: v_dual_mul_f32 v47, v65, v34
	v_add_f32_e32 v43, v38, v26
	v_fma_f32 v40, v62, v27, -v40
	v_dual_mul_f32 v38, v48, v32 :: v_dual_add_f32 v41, v41, v30
	s_delay_alu instid0(VALU_DEP_4) | instskip(SKIP_1) | instid1(VALU_DEP_3)
	v_fmac_f32_e32 v28, v63, v27
	v_mul_f32_e32 v30, v48, v34
	v_fmac_f32_e32 v38, v49, v31
	v_add_f32_e32 v40, v42, v40
	s_delay_alu instid0(VALU_DEP_4)
	v_add_f32_e32 v42, v35, v28
	ds_load_2addr_b64 v[26:29], v22 offset0:128 offset1:144
	v_mul_f32_e32 v35, v49, v32
	v_mul_f32_e32 v44, v49, v34
	v_fmac_f32_e32 v30, v49, v33
	v_mul_f32_e32 v34, v64, v34
	s_delay_alu instid0(VALU_DEP_4)
	v_fma_f32 v35, v48, v31, -v35
	s_wait_dscnt 0x0
	v_mul_f32_e32 v49, v50, v27
	v_fma_f32 v44, v48, v33, -v44
	v_add_f32_e32 v48, v39, v30
	v_fma_f32 v30, v64, v33, -v47
	s_delay_alu instid0(VALU_DEP_4) | instskip(NEXT) | instid1(VALU_DEP_4)
	v_fmac_f32_e32 v49, v51, v26
	v_dual_add_f32 v45, v37, v38 :: v_dual_add_f32 v44, v36, v44
	s_delay_alu instid0(VALU_DEP_3) | instskip(SKIP_1) | instid1(VALU_DEP_3)
	v_dual_add_f32 v43, v43, v30 :: v_dual_add_f32 v0, v0, v35
	v_mul_f32_e32 v35, v65, v32
	v_dual_mul_f32 v32, v64, v32 :: v_dual_add_f32 v45, v45, v49
	s_delay_alu instid0(VALU_DEP_2) | instskip(SKIP_3) | instid1(VALU_DEP_2)
	v_fma_f32 v46, v64, v31, -v35
	ds_load_b128 v[35:38], v23 offset:1056
	v_fmac_f32_e32 v32, v65, v31
	v_dual_mul_f32 v31, v51, v27 :: v_dual_fmac_f32 v34, v65, v33
	v_add_f32_e32 v47, v42, v32
	s_delay_alu instid0(VALU_DEP_2)
	v_fma_f32 v39, v50, v26, -v31
	ds_load_2addr_b64 v[30:33], v22 offset0:160 offset1:176
	v_add_f32_e32 v46, v40, v46
	v_mul_f32_e32 v40, v51, v29
	v_add_f32_e32 v34, v41, v34
	v_add_f32_e32 v0, v0, v39
	s_delay_alu instid0(VALU_DEP_3) | instskip(SKIP_4) | instid1(VALU_DEP_2)
	v_fma_f32 v58, v50, v28, -v40
	ds_load_b128 v[39:42], v23 offset:1072
	s_wait_dscnt 0x2
	v_dual_mul_f32 v50, v50, v29 :: v_dual_mul_f32 v59, v36, v27
	v_mul_f32_e32 v27, v35, v27
	v_dual_fmac_f32 v50, v51, v28 :: v_dual_mul_f32 v51, v36, v29
	s_delay_alu instid0(VALU_DEP_3) | instskip(NEXT) | instid1(VALU_DEP_3)
	v_fma_f32 v49, v35, v26, -v59
	v_fmac_f32_e32 v27, v36, v26
	s_delay_alu instid0(VALU_DEP_3) | instskip(SKIP_2) | instid1(VALU_DEP_4)
	v_add_f32_e32 v48, v48, v50
	v_mul_f32_e32 v50, v35, v29
	v_fma_f32 v26, v35, v28, -v51
	v_add_f32_e32 v35, v47, v27
	s_wait_dscnt 0x1
	s_delay_alu instid0(VALU_DEP_3) | instskip(NEXT) | instid1(VALU_DEP_3)
	v_dual_mul_f32 v47, v53, v31 :: v_dual_fmac_f32 v50, v36, v28
	v_add_f32_e32 v43, v43, v26
	ds_load_2addr_b64 v[26:29], v22 offset0:192 offset1:208
	v_mul_f32_e32 v36, v52, v31
	v_add_f32_e32 v46, v46, v49
	v_fma_f32 v47, v52, v30, -v47
	v_mul_f32_e32 v49, v53, v33
	s_delay_alu instid0(VALU_DEP_4) | instskip(NEXT) | instid1(VALU_DEP_3)
	v_fmac_f32_e32 v36, v53, v30
	v_add_f32_e32 v0, v0, v47
	s_delay_alu instid0(VALU_DEP_3) | instskip(NEXT) | instid1(VALU_DEP_3)
	v_fma_f32 v47, v52, v32, -v49
	v_dual_add_f32 v45, v45, v36 :: v_dual_mul_f32 v36, v38, v31
	v_mul_f32_e32 v31, v37, v31
	s_delay_alu instid0(VALU_DEP_2) | instskip(NEXT) | instid1(VALU_DEP_2)
	v_fma_f32 v36, v37, v30, -v36
	v_fmac_f32_e32 v31, v38, v30
	v_add_f32_e32 v44, v44, v58
	s_delay_alu instid0(VALU_DEP_2) | instskip(NEXT) | instid1(VALU_DEP_2)
	v_dual_mul_f32 v30, v37, v33 :: v_dual_add_f32 v31, v35, v31
	v_dual_add_f32 v44, v44, v47 :: v_dual_mul_f32 v47, v38, v33
	v_add_f32_e32 v50, v34, v50
	v_mul_f32_e32 v34, v52, v33
	s_delay_alu instid0(VALU_DEP_4) | instskip(NEXT) | instid1(VALU_DEP_4)
	v_fmac_f32_e32 v30, v38, v32
	v_fma_f32 v33, v37, v32, -v47
	s_wait_dscnt 0x0
	s_delay_alu instid0(VALU_DEP_3) | instskip(NEXT) | instid1(VALU_DEP_2)
	v_dual_mul_f32 v47, v40, v27 :: v_dual_fmac_f32 v34, v53, v32
	v_dual_add_f32 v32, v43, v33 :: v_dual_mul_f32 v33, v54, v27
	v_mul_f32_e32 v43, v55, v29
	s_delay_alu instid0(VALU_DEP_2) | instskip(NEXT) | instid1(VALU_DEP_2)
	v_dual_fmac_f32 v33, v55, v26 :: v_dual_add_f32 v46, v46, v36
	v_fma_f32 v43, v54, v28, -v43
	s_delay_alu instid0(VALU_DEP_2) | instskip(SKIP_3) | instid1(VALU_DEP_3)
	v_dual_add_f32 v33, v45, v33 :: v_dual_add_f32 v48, v48, v34
	v_mul_f32_e32 v34, v55, v27
	v_mul_f32_e32 v27, v39, v27
	;; [unrolled: 1-line block ×3, first 2 shown]
	v_fma_f32 v38, v54, v26, -v34
	ds_load_2addr_b64 v[34:37], v22 offset0:224 offset1:240
	v_fmac_f32_e32 v27, v40, v26
	v_add_f32_e32 v30, v50, v30
	s_wait_loadcnt_dscnt 0x0
	v_add_f32_e32 v0, v0, v38
	s_barrier_signal -1
	v_dual_add_f32 v27, v31, v27 :: v_dual_mul_f32 v38, v54, v29
	v_mul_f32_e32 v29, v39, v29
	s_barrier_wait -1
	global_inv scope:SCOPE_SE
	v_fmac_f32_e32 v38, v55, v28
	v_fmac_f32_e32 v29, v40, v28
	s_delay_alu instid0(VALU_DEP_1) | instskip(SKIP_2) | instid1(VALU_DEP_2)
	v_add_f32_e32 v40, v30, v29
	v_mul_f32_e32 v29, v56, v37
	v_mul_f32_e32 v31, v57, v35
	v_fmac_f32_e32 v29, v57, v36
	v_add_f32_e32 v43, v44, v43
	v_fma_f32 v44, v39, v26, -v47
	v_fma_f32 v39, v39, v28, -v45
	;; [unrolled: 1-line block ×3, first 2 shown]
	s_delay_alu instid0(VALU_DEP_2) | instskip(SKIP_1) | instid1(VALU_DEP_2)
	v_dual_add_f32 v39, v32, v39 :: v_dual_mul_f32 v32, v57, v37
	v_mul_f32_e32 v28, v56, v35
	v_fma_f32 v30, v56, v36, -v32
	s_delay_alu instid0(VALU_DEP_4) | instskip(SKIP_1) | instid1(VALU_DEP_4)
	v_add_f32_e32 v32, v0, v31
	v_mul_f32_e32 v0, v42, v35
	v_fmac_f32_e32 v28, v57, v34
	s_delay_alu instid0(VALU_DEP_4) | instskip(SKIP_1) | instid1(VALU_DEP_4)
	v_dual_mul_f32 v35, v41, v35 :: v_dual_add_f32 v30, v43, v30
	v_mul_f32_e32 v43, v42, v37
	v_fma_f32 v0, v41, v34, -v0
	v_dual_mul_f32 v37, v41, v37 :: v_dual_add_f32 v26, v48, v38
	v_add_f32_e32 v38, v46, v44
	v_add_f32_e32 v33, v33, v28
	v_fmac_f32_e32 v35, v42, v34
	s_delay_alu instid0(VALU_DEP_4) | instskip(SKIP_3) | instid1(VALU_DEP_4)
	v_fmac_f32_e32 v37, v42, v36
	v_add_f32_e32 v31, v26, v29
	v_add_f32_e32 v28, v38, v0
	v_fma_f32 v0, v41, v36, -v43
	v_dual_add_f32 v29, v27, v35 :: v_dual_add_f32 v26, v40, v37
	s_delay_alu instid0(VALU_DEP_2)
	v_add_f32_e32 v27, v39, v0
	s_wait_alu 0xfffe
	s_cbranch_vccz .LBB238_22
.LBB238_11:                             ;   Parent Loop BB238_8 Depth=1
                                        ; =>  This Inner Loop Header: Depth=2
	s_mov_b32 s23, 0
	s_mov_b32 s33, s6
	s_and_saveexec_b32 s31, s0
	s_cbranch_execnz .LBB238_19
; %bb.12:                               ;   in Loop: Header=BB238_11 Depth=2
	s_or_b32 exec_lo, exec_lo, s31
	s_wait_alu 0xfffe
	s_and_saveexec_b32 s31, s33
	s_delay_alu instid0(SALU_CYCLE_1)
	s_xor_b32 s31, exec_lo, s31
	s_cbranch_execnz .LBB238_20
.LBB238_13:                             ;   in Loop: Header=BB238_11 Depth=2
	s_or_b32 exec_lo, exec_lo, s31
	s_and_saveexec_b32 s31, s23
	s_cbranch_execz .LBB238_15
.LBB238_14:                             ;   in Loop: Header=BB238_11 Depth=2
	v_lshlrev_b64_e32 v[34:35], 3, v[10:11]
	s_delay_alu instid0(VALU_DEP_1) | instskip(SKIP_1) | instid1(VALU_DEP_2)
	v_add_co_u32 v34, vcc_lo, v12, v34
	s_wait_alu 0xfffd
	v_add_co_ci_u32_e64 v35, null, v13, v35, vcc_lo
	global_load_b64 v[34:35], v[34:35], off
	s_wait_loadcnt 0x0
	ds_store_b64 v16, v[34:35]
.LBB238_15:                             ;   in Loop: Header=BB238_11 Depth=2
	s_or_b32 exec_lo, exec_lo, s31
	v_add_nc_u32_e32 v0, s2, v14
	s_delay_alu instid0(VALU_DEP_1) | instskip(SKIP_3) | instid1(SALU_CYCLE_1)
	v_cmp_le_u64_e32 vcc_lo, s[12:13], v[0:1]
	s_or_b32 s23, vcc_lo, s22
	s_wait_alu 0xfffe
	s_and_saveexec_b32 s31, s23
	s_xor_b32 s23, exec_lo, s31
; %bb.16:                               ;   in Loop: Header=BB238_11 Depth=2
	v_mov_b32_e32 v0, v1
	ds_store_b64 v19, v[0:1]
; %bb.17:                               ;   in Loop: Header=BB238_11 Depth=2
	s_wait_alu 0xfffe
	s_and_not1_saveexec_b32 s23, s23
	s_cbranch_execz .LBB238_10
; %bb.18:                               ;   in Loop: Header=BB238_11 Depth=2
	v_mad_co_u64_u32 v[34:35], null, s16, v0, 0
	s_delay_alu instid0(VALU_DEP_1) | instskip(NEXT) | instid1(VALU_DEP_1)
	v_mad_co_u64_u32 v[35:36], null, s17, v0, v[35:36]
	v_lshlrev_b64_e32 v[34:35], 3, v[34:35]
	s_delay_alu instid0(VALU_DEP_1) | instskip(SKIP_1) | instid1(VALU_DEP_2)
	v_add_co_u32 v34, vcc_lo, v24, v34
	s_wait_alu 0xfffd
	v_add_co_ci_u32_e64 v35, null, v25, v35, vcc_lo
	global_load_b64 v[34:35], v[34:35], off
	s_wait_loadcnt 0x0
	ds_store_b64 v19, v[34:35]
	s_branch .LBB238_10
.LBB238_19:                             ;   in Loop: Header=BB238_11 Depth=2
	s_wait_alu 0xfffe
	v_add_nc_u32_e32 v0, s2, v15
	v_mov_b32_e32 v11, v1
	s_and_not1_b32 s33, s6, exec_lo
	s_mov_b32 s23, exec_lo
	s_delay_alu instid0(VALU_DEP_2)
	v_cmp_le_u64_e32 vcc_lo, s[12:13], v[0:1]
	v_mov_b32_e32 v10, v0
	s_and_b32 s34, vcc_lo, exec_lo
	s_wait_alu 0xfffe
	s_or_b32 s33, s33, s34
	s_or_b32 exec_lo, exec_lo, s31
	s_wait_alu 0xfffe
	s_and_saveexec_b32 s31, s33
	s_delay_alu instid0(SALU_CYCLE_1)
	s_xor_b32 s31, exec_lo, s31
	s_cbranch_execz .LBB238_13
.LBB238_20:                             ;   in Loop: Header=BB238_11 Depth=2
	v_mov_b32_e32 v0, v1
	s_and_not1_b32 s23, s23, exec_lo
	ds_store_b64 v16, v[0:1]
	s_or_b32 exec_lo, exec_lo, s31
	s_wait_alu 0xfffe
	s_and_saveexec_b32 s31, s23
	s_cbranch_execnz .LBB238_14
	s_branch .LBB238_15
.LBB238_21:                             ;   in Loop: Header=BB238_8 Depth=1
	v_dual_mov_b32 v32, v1 :: v_dual_mov_b32 v33, v1
	v_dual_mov_b32 v30, v1 :: v_dual_mov_b32 v31, v1
	v_dual_mov_b32 v28, v1 :: v_dual_mov_b32 v29, v1
	v_dual_mov_b32 v27, v1 :: v_dual_mov_b32 v26, v1
.LBB238_22:                             ;   in Loop: Header=BB238_8 Depth=1
	s_mul_u64 s[2:3], s[28:29], s[26:27]
	s_wait_alu 0xfffe
	s_lshl_b64 s[2:3], s[2:3], 3
	s_wait_alu 0xfffe
	s_add_nc_u64 s[2:3], s[20:21], s[2:3]
	s_wait_alu 0xfffe
	v_add_co_u32 v0, vcc_lo, s2, v2
	s_wait_alu 0xfffd
	v_add_co_ci_u32_e64 v24, null, s3, v3, vcc_lo
	s_and_saveexec_b32 s23, s4
	s_cbranch_execz .LBB238_27
; %bb.23:                               ;   in Loop: Header=BB238_8 Depth=1
	v_mul_f32_e32 v13, s14, v33
	v_mul_f32_e32 v12, s15, v33
	s_and_b32 vcc_lo, exec_lo, s10
	s_mov_b32 s31, -1
	s_delay_alu instid0(VALU_DEP_2) | instskip(NEXT) | instid1(VALU_DEP_2)
	v_fmac_f32_e32 v13, s15, v32
	v_fma_f32 v12, v32, s14, -v12
	s_wait_alu 0xfffe
	s_cbranch_vccz .LBB238_25
; %bb.24:                               ;   in Loop: Header=BB238_8 Depth=1
	v_add_co_u32 v32, vcc_lo, v0, v6
	s_wait_alu 0xfffd
	v_add_co_ci_u32_e64 v33, null, v24, v7, vcc_lo
	s_mov_b32 s31, 0
	global_load_b64 v[34:35], v[32:33], off
	s_wait_loadcnt 0x0
	v_mul_f32_e32 v25, s25, v35
	s_delay_alu instid0(VALU_DEP_1) | instskip(SKIP_1) | instid1(VALU_DEP_1)
	v_fma_f32 v25, v34, s24, -v25
	v_mul_f32_e32 v35, s24, v35
	v_dual_fmac_f32 v35, s25, v34 :: v_dual_add_f32 v34, v12, v25
	s_delay_alu instid0(VALU_DEP_1)
	v_add_f32_e32 v35, v13, v35
	global_store_b64 v[32:33], v[34:35], off
.LBB238_25:                             ;   in Loop: Header=BB238_8 Depth=1
	s_and_not1_b32 vcc_lo, exec_lo, s31
	s_wait_alu 0xfffe
	s_cbranch_vccnz .LBB238_27
; %bb.26:                               ;   in Loop: Header=BB238_8 Depth=1
	v_add_co_u32 v32, vcc_lo, v0, v6
	s_wait_alu 0xfffd
	v_add_co_ci_u32_e64 v33, null, v24, v7, vcc_lo
	global_store_b64 v[32:33], v[12:13], off
.LBB238_27:                             ;   in Loop: Header=BB238_8 Depth=1
	s_wait_alu 0xfffe
	s_or_b32 exec_lo, exec_lo, s23
	s_and_saveexec_b32 s23, s5
	s_cbranch_execz .LBB238_32
; %bb.28:                               ;   in Loop: Header=BB238_8 Depth=1
	v_mul_f32_e32 v13, s14, v31
	v_mul_f32_e32 v12, s15, v31
	s_and_not1_b32 vcc_lo, exec_lo, s10
	s_mov_b32 s31, -1
	s_delay_alu instid0(VALU_DEP_2) | instskip(NEXT) | instid1(VALU_DEP_2)
	v_fmac_f32_e32 v13, s15, v30
	v_fma_f32 v12, v30, s14, -v12
	s_wait_alu 0xfffe
	s_cbranch_vccnz .LBB238_30
; %bb.29:                               ;   in Loop: Header=BB238_8 Depth=1
	v_add_co_u32 v30, vcc_lo, v0, v8
	s_wait_alu 0xfffd
	v_add_co_ci_u32_e64 v31, null, v24, v9, vcc_lo
	s_mov_b32 s31, 0
	global_load_b64 v[32:33], v[30:31], off
	s_wait_loadcnt 0x0
	v_mul_f32_e32 v25, s25, v33
	v_mul_f32_e32 v33, s24, v33
	s_delay_alu instid0(VALU_DEP_2) | instskip(NEXT) | instid1(VALU_DEP_1)
	v_fma_f32 v25, v32, s24, -v25
	v_dual_fmac_f32 v33, s25, v32 :: v_dual_add_f32 v32, v12, v25
	s_delay_alu instid0(VALU_DEP_1)
	v_add_f32_e32 v33, v13, v33
	global_store_b64 v[30:31], v[32:33], off
.LBB238_30:                             ;   in Loop: Header=BB238_8 Depth=1
	s_and_not1_b32 vcc_lo, exec_lo, s31
	s_wait_alu 0xfffe
	s_cbranch_vccnz .LBB238_32
; %bb.31:                               ;   in Loop: Header=BB238_8 Depth=1
	v_add_co_u32 v30, vcc_lo, v0, v8
	s_wait_alu 0xfffd
	v_add_co_ci_u32_e64 v31, null, v24, v9, vcc_lo
	global_store_b64 v[30:31], v[12:13], off
.LBB238_32:                             ;   in Loop: Header=BB238_8 Depth=1
	s_wait_alu 0xfffe
	s_or_b32 exec_lo, exec_lo, s23
	v_add_co_u32 v0, vcc_lo, s2, v4
	s_wait_alu 0xfffd
	v_add_co_ci_u32_e64 v24, null, s3, v5, vcc_lo
	s_and_saveexec_b32 s2, s11
	s_cbranch_execz .LBB238_37
; %bb.33:                               ;   in Loop: Header=BB238_8 Depth=1
	v_mul_f32_e32 v13, s14, v29
	v_mul_f32_e32 v12, s15, v29
	s_and_not1_b32 vcc_lo, exec_lo, s10
	s_mov_b32 s3, -1
	s_delay_alu instid0(VALU_DEP_2) | instskip(NEXT) | instid1(VALU_DEP_2)
	v_fmac_f32_e32 v13, s15, v28
	v_fma_f32 v12, v28, s14, -v12
	s_wait_alu 0xfffe
	s_cbranch_vccnz .LBB238_35
; %bb.34:                               ;   in Loop: Header=BB238_8 Depth=1
	v_add_co_u32 v28, vcc_lo, v0, v6
	s_wait_alu 0xfffd
	v_add_co_ci_u32_e64 v29, null, v24, v7, vcc_lo
	s_mov_b32 s3, 0
	global_load_b64 v[30:31], v[28:29], off
	s_wait_loadcnt 0x0
	v_mul_f32_e32 v25, s25, v31
	s_delay_alu instid0(VALU_DEP_1) | instskip(SKIP_1) | instid1(VALU_DEP_1)
	v_fma_f32 v25, v30, s24, -v25
	v_mul_f32_e32 v31, s24, v31
	v_dual_fmac_f32 v31, s25, v30 :: v_dual_add_f32 v30, v12, v25
	s_delay_alu instid0(VALU_DEP_1)
	v_add_f32_e32 v31, v13, v31
	global_store_b64 v[28:29], v[30:31], off
.LBB238_35:                             ;   in Loop: Header=BB238_8 Depth=1
	s_wait_alu 0xfffe
	s_and_not1_b32 vcc_lo, exec_lo, s3
	s_wait_alu 0xfffe
	s_cbranch_vccnz .LBB238_37
; %bb.36:                               ;   in Loop: Header=BB238_8 Depth=1
	v_add_co_u32 v28, vcc_lo, v0, v6
	s_wait_alu 0xfffd
	v_add_co_ci_u32_e64 v29, null, v24, v7, vcc_lo
	global_store_b64 v[28:29], v[12:13], off
.LBB238_37:                             ;   in Loop: Header=BB238_8 Depth=1
	s_wait_alu 0xfffe
	s_or_b32 exec_lo, exec_lo, s2
	s_and_saveexec_b32 s2, s1
	s_cbranch_execz .LBB238_7
; %bb.38:                               ;   in Loop: Header=BB238_8 Depth=1
	v_mul_f32_e32 v13, s14, v26
	v_mul_f32_e32 v12, s15, v26
	s_and_not1_b32 vcc_lo, exec_lo, s10
	s_mov_b32 s3, -1
	s_delay_alu instid0(VALU_DEP_2) | instskip(NEXT) | instid1(VALU_DEP_2)
	v_fmac_f32_e32 v13, s15, v27
	v_fma_f32 v12, v27, s14, -v12
	s_wait_alu 0xfffe
	s_cbranch_vccnz .LBB238_40
; %bb.39:                               ;   in Loop: Header=BB238_8 Depth=1
	v_add_co_u32 v25, vcc_lo, v0, v8
	s_wait_alu 0xfffd
	v_add_co_ci_u32_e64 v26, null, v24, v9, vcc_lo
	s_mov_b32 s3, 0
	global_load_b64 v[27:28], v[25:26], off
	s_wait_loadcnt 0x0
	v_mul_f32_e32 v29, s25, v28
	v_mul_f32_e32 v28, s24, v28
	s_delay_alu instid0(VALU_DEP_1) | instskip(NEXT) | instid1(VALU_DEP_3)
	v_fmac_f32_e32 v28, s25, v27
	v_fma_f32 v29, v27, s24, -v29
	s_delay_alu instid0(VALU_DEP_1)
	v_dual_add_f32 v28, v13, v28 :: v_dual_add_f32 v27, v12, v29
	global_store_b64 v[25:26], v[27:28], off
.LBB238_40:                             ;   in Loop: Header=BB238_8 Depth=1
	s_wait_alu 0xfffe
	s_and_not1_b32 vcc_lo, exec_lo, s3
	s_wait_alu 0xfffe
	s_cbranch_vccnz .LBB238_7
; %bb.41:                               ;   in Loop: Header=BB238_8 Depth=1
	v_add_co_u32 v25, vcc_lo, v0, v8
	s_wait_alu 0xfffd
	v_add_co_ci_u32_e64 v26, null, v24, v9, vcc_lo
	global_store_b64 v[25:26], v[12:13], off
	s_branch .LBB238_7
.LBB238_42:
	s_endpgm
	.section	.rodata,"a",@progbits
	.p2align	6, 0x0
	.amdhsa_kernel _ZL29rocblas_internal_gemmt_kernelIlLi16ELi32ELi8ELc84ELc84ELc85ELb0ELb0E19rocblas_complex_numIfES1_PKS1_PS1_EviT_T9_T10_S5_lS7_S5_lS6_T11_S5_li
		.amdhsa_group_segment_fixed_size 4096
		.amdhsa_private_segment_fixed_size 0
		.amdhsa_kernarg_size 108
		.amdhsa_user_sgpr_count 2
		.amdhsa_user_sgpr_dispatch_ptr 0
		.amdhsa_user_sgpr_queue_ptr 0
		.amdhsa_user_sgpr_kernarg_segment_ptr 1
		.amdhsa_user_sgpr_dispatch_id 0
		.amdhsa_user_sgpr_private_segment_size 0
		.amdhsa_wavefront_size32 1
		.amdhsa_uses_dynamic_stack 0
		.amdhsa_enable_private_segment 0
		.amdhsa_system_sgpr_workgroup_id_x 1
		.amdhsa_system_sgpr_workgroup_id_y 1
		.amdhsa_system_sgpr_workgroup_id_z 1
		.amdhsa_system_sgpr_workgroup_info 0
		.amdhsa_system_vgpr_workitem_id 1
		.amdhsa_next_free_vgpr 71
		.amdhsa_next_free_sgpr 36
		.amdhsa_reserve_vcc 1
		.amdhsa_float_round_mode_32 0
		.amdhsa_float_round_mode_16_64 0
		.amdhsa_float_denorm_mode_32 3
		.amdhsa_float_denorm_mode_16_64 3
		.amdhsa_fp16_overflow 0
		.amdhsa_workgroup_processor_mode 1
		.amdhsa_memory_ordered 1
		.amdhsa_forward_progress 1
		.amdhsa_inst_pref_size 26
		.amdhsa_round_robin_scheduling 0
		.amdhsa_exception_fp_ieee_invalid_op 0
		.amdhsa_exception_fp_denorm_src 0
		.amdhsa_exception_fp_ieee_div_zero 0
		.amdhsa_exception_fp_ieee_overflow 0
		.amdhsa_exception_fp_ieee_underflow 0
		.amdhsa_exception_fp_ieee_inexact 0
		.amdhsa_exception_int_div_zero 0
	.end_amdhsa_kernel
	.section	.text._ZL29rocblas_internal_gemmt_kernelIlLi16ELi32ELi8ELc84ELc84ELc85ELb0ELb0E19rocblas_complex_numIfES1_PKS1_PS1_EviT_T9_T10_S5_lS7_S5_lS6_T11_S5_li,"axG",@progbits,_ZL29rocblas_internal_gemmt_kernelIlLi16ELi32ELi8ELc84ELc84ELc85ELb0ELb0E19rocblas_complex_numIfES1_PKS1_PS1_EviT_T9_T10_S5_lS7_S5_lS6_T11_S5_li,comdat
.Lfunc_end238:
	.size	_ZL29rocblas_internal_gemmt_kernelIlLi16ELi32ELi8ELc84ELc84ELc85ELb0ELb0E19rocblas_complex_numIfES1_PKS1_PS1_EviT_T9_T10_S5_lS7_S5_lS6_T11_S5_li, .Lfunc_end238-_ZL29rocblas_internal_gemmt_kernelIlLi16ELi32ELi8ELc84ELc84ELc85ELb0ELb0E19rocblas_complex_numIfES1_PKS1_PS1_EviT_T9_T10_S5_lS7_S5_lS6_T11_S5_li
                                        ; -- End function
	.set _ZL29rocblas_internal_gemmt_kernelIlLi16ELi32ELi8ELc84ELc84ELc85ELb0ELb0E19rocblas_complex_numIfES1_PKS1_PS1_EviT_T9_T10_S5_lS7_S5_lS6_T11_S5_li.num_vgpr, 71
	.set _ZL29rocblas_internal_gemmt_kernelIlLi16ELi32ELi8ELc84ELc84ELc85ELb0ELb0E19rocblas_complex_numIfES1_PKS1_PS1_EviT_T9_T10_S5_lS7_S5_lS6_T11_S5_li.num_agpr, 0
	.set _ZL29rocblas_internal_gemmt_kernelIlLi16ELi32ELi8ELc84ELc84ELc85ELb0ELb0E19rocblas_complex_numIfES1_PKS1_PS1_EviT_T9_T10_S5_lS7_S5_lS6_T11_S5_li.numbered_sgpr, 36
	.set _ZL29rocblas_internal_gemmt_kernelIlLi16ELi32ELi8ELc84ELc84ELc85ELb0ELb0E19rocblas_complex_numIfES1_PKS1_PS1_EviT_T9_T10_S5_lS7_S5_lS6_T11_S5_li.num_named_barrier, 0
	.set _ZL29rocblas_internal_gemmt_kernelIlLi16ELi32ELi8ELc84ELc84ELc85ELb0ELb0E19rocblas_complex_numIfES1_PKS1_PS1_EviT_T9_T10_S5_lS7_S5_lS6_T11_S5_li.private_seg_size, 0
	.set _ZL29rocblas_internal_gemmt_kernelIlLi16ELi32ELi8ELc84ELc84ELc85ELb0ELb0E19rocblas_complex_numIfES1_PKS1_PS1_EviT_T9_T10_S5_lS7_S5_lS6_T11_S5_li.uses_vcc, 1
	.set _ZL29rocblas_internal_gemmt_kernelIlLi16ELi32ELi8ELc84ELc84ELc85ELb0ELb0E19rocblas_complex_numIfES1_PKS1_PS1_EviT_T9_T10_S5_lS7_S5_lS6_T11_S5_li.uses_flat_scratch, 0
	.set _ZL29rocblas_internal_gemmt_kernelIlLi16ELi32ELi8ELc84ELc84ELc85ELb0ELb0E19rocblas_complex_numIfES1_PKS1_PS1_EviT_T9_T10_S5_lS7_S5_lS6_T11_S5_li.has_dyn_sized_stack, 0
	.set _ZL29rocblas_internal_gemmt_kernelIlLi16ELi32ELi8ELc84ELc84ELc85ELb0ELb0E19rocblas_complex_numIfES1_PKS1_PS1_EviT_T9_T10_S5_lS7_S5_lS6_T11_S5_li.has_recursion, 0
	.set _ZL29rocblas_internal_gemmt_kernelIlLi16ELi32ELi8ELc84ELc84ELc85ELb0ELb0E19rocblas_complex_numIfES1_PKS1_PS1_EviT_T9_T10_S5_lS7_S5_lS6_T11_S5_li.has_indirect_call, 0
	.section	.AMDGPU.csdata,"",@progbits
; Kernel info:
; codeLenInByte = 3252
; TotalNumSgprs: 38
; NumVgprs: 71
; ScratchSize: 0
; MemoryBound: 0
; FloatMode: 240
; IeeeMode: 1
; LDSByteSize: 4096 bytes/workgroup (compile time only)
; SGPRBlocks: 0
; VGPRBlocks: 8
; NumSGPRsForWavesPerEU: 38
; NumVGPRsForWavesPerEU: 71
; Occupancy: 16
; WaveLimiterHint : 0
; COMPUTE_PGM_RSRC2:SCRATCH_EN: 0
; COMPUTE_PGM_RSRC2:USER_SGPR: 2
; COMPUTE_PGM_RSRC2:TRAP_HANDLER: 0
; COMPUTE_PGM_RSRC2:TGID_X_EN: 1
; COMPUTE_PGM_RSRC2:TGID_Y_EN: 1
; COMPUTE_PGM_RSRC2:TGID_Z_EN: 1
; COMPUTE_PGM_RSRC2:TIDIG_COMP_CNT: 1
	.section	.text._ZL29rocblas_internal_gemmt_kernelIlLi16ELi32ELi8ELc84ELc67ELc85ELb0ELb1E19rocblas_complex_numIfES1_PKS1_PS1_EviT_T9_T10_S5_lS7_S5_lS6_T11_S5_li,"axG",@progbits,_ZL29rocblas_internal_gemmt_kernelIlLi16ELi32ELi8ELc84ELc67ELc85ELb0ELb1E19rocblas_complex_numIfES1_PKS1_PS1_EviT_T9_T10_S5_lS7_S5_lS6_T11_S5_li,comdat
	.globl	_ZL29rocblas_internal_gemmt_kernelIlLi16ELi32ELi8ELc84ELc67ELc85ELb0ELb1E19rocblas_complex_numIfES1_PKS1_PS1_EviT_T9_T10_S5_lS7_S5_lS6_T11_S5_li ; -- Begin function _ZL29rocblas_internal_gemmt_kernelIlLi16ELi32ELi8ELc84ELc67ELc85ELb0ELb1E19rocblas_complex_numIfES1_PKS1_PS1_EviT_T9_T10_S5_lS7_S5_lS6_T11_S5_li
	.p2align	8
	.type	_ZL29rocblas_internal_gemmt_kernelIlLi16ELi32ELi8ELc84ELc67ELc85ELb0ELb1E19rocblas_complex_numIfES1_PKS1_PS1_EviT_T9_T10_S5_lS7_S5_lS6_T11_S5_li,@function
_ZL29rocblas_internal_gemmt_kernelIlLi16ELi32ELi8ELc84ELc67ELc85ELb0ELb1E19rocblas_complex_numIfES1_PKS1_PS1_EviT_T9_T10_S5_lS7_S5_lS6_T11_S5_li: ; @_ZL29rocblas_internal_gemmt_kernelIlLi16ELi32ELi8ELc84ELc67ELc85ELb0ELb1E19rocblas_complex_numIfES1_PKS1_PS1_EviT_T9_T10_S5_lS7_S5_lS6_T11_S5_li
; %bb.0:
	s_clause 0x1
	s_load_b64 s[24:25], s[0:1], 0x48
	s_load_b128 s[12:15], s[0:1], 0x8
	s_wait_kmcnt 0x0
	s_cmp_eq_f32 s24, 1.0
	s_cselect_b32 s2, -1, 0
	s_and_b32 s3, s25, 0x7fffffff
	s_delay_alu instid0(SALU_CYCLE_1) | instskip(SKIP_1) | instid1(SALU_CYCLE_1)
	s_cmp_eq_u32 s3, 0
	s_cselect_b32 s31, -1, 0
	s_and_b32 s3, s2, s31
	s_mov_b32 s2, 0
	s_and_not1_b32 vcc_lo, exec_lo, s3
	s_mov_b32 s3, -1
	s_cbranch_vccnz .LBB239_4
; %bb.1:
	s_cmp_lg_u64 s[12:13], 0
	s_cbranch_scc0 .LBB239_3
; %bb.2:
	s_cmp_neq_f32 s14, 0
	s_cselect_b32 s2, -1, 0
	s_cmp_neq_f32 s15, 0
	s_cselect_b32 s3, -1, 0
	s_delay_alu instid0(SALU_CYCLE_1)
	s_or_b32 s2, s2, s3
.LBB239_3:
	s_delay_alu instid0(SALU_CYCLE_1)
	s_mov_b32 s3, s2
.LBB239_4:
	s_delay_alu instid0(SALU_CYCLE_1)
	s_and_b32 vcc_lo, exec_lo, s3
	s_cbranch_vccz .LBB239_42
; %bb.5:
	s_load_b32 s30, s[0:1], 0x68
	s_lshr_b32 s26, ttmp7, 16
	s_wait_kmcnt 0x0
	s_cmp_ge_u32 s26, s30
	s_cbranch_scc1 .LBB239_42
; %bb.6:
	v_and_b32_e32 v7, 0x3ff, v0
	v_bfe_u32 v8, v0, 10, 10
	s_load_b256 s[4:11], s[0:1], 0x18
	s_lshl_b32 s2, ttmp7, 5
	s_lshl_b32 s3, ttmp9, 5
	s_and_b32 s2, s2, 0x1fffe0
	v_lshl_add_u32 v2, v8, 4, v7
	s_cmp_neq_f32 s14, 0
	v_and_b32_e32 v14, 7, v0
	s_clause 0x3
	s_load_b32 s33, s[0:1], 0x0
	s_load_b128 s[16:19], s[0:1], 0x38
	s_load_b128 s[20:23], s[0:1], 0x50
	s_load_b64 s[28:29], s[0:1], 0x60
	v_and_b32_e32 v3, 31, v2
	s_cselect_b32 s0, -1, 0
	s_cmp_neq_f32 s15, 0
	v_lshrrev_b32_e32 v6, 3, v2
	v_lshrrev_b32_e32 v15, 5, v2
	v_or_b32_e32 v4, s3, v3
	s_cselect_b32 s1, -1, 0
	s_ashr_i32 s34, s3, 31
	v_add_nc_u32_e32 v2, s2, v6
	v_lshlrev_b32_e32 v3, 3, v3
	v_add_nc_u32_e32 v11, s2, v8
	s_wait_kmcnt 0x0
	v_mul_lo_u32 v5, s7, v4
	v_mad_co_u64_u32 v[0:1], null, s6, v4, 0
	s_mul_i32 s6, s6, s34
	v_lshl_or_b32 v16, v15, 8, v3
	v_add_nc_u32_e32 v12, 16, v11
	s_or_b32 s34, s0, s1
	v_cmp_gt_i32_e64 s0, s33, v4
	v_lshl_add_u32 v23, v8, 6, 0x800
	s_wait_alu 0xfffe
	v_add3_u32 v1, v1, s6, v5
	v_cmp_le_i32_e64 s6, s33, v4
	s_cmp_neq_f32 s24, 0
	v_cmp_gt_i64_e64 s7, s[12:13], 0
	s_mov_b32 s27, 0
	v_lshlrev_b64_e32 v[0:1], 3, v[0:1]
	s_delay_alu instid0(VALU_DEP_1) | instskip(NEXT) | instid1(VALU_DEP_1)
	v_add_co_u32 v17, vcc_lo, s4, v0
	v_add_co_ci_u32_e64 v18, null, s5, v1, vcc_lo
	v_mov_b32_e32 v1, 0
	v_lshlrev_b32_e32 v9, 3, v14
	v_cmp_gt_i32_e32 vcc_lo, s33, v2
	v_lshlrev_b32_e32 v0, 3, v2
	v_mad_co_u64_u32 v[2:3], null, s22, v11, 0
	s_delay_alu instid0(VALU_DEP_4) | instskip(NEXT) | instid1(VALU_DEP_3)
	v_lshl_or_b32 v5, v6, 6, v9
	v_add_co_u32 v20, s1, s10, v0
	s_delay_alu instid0(VALU_DEP_1) | instskip(NEXT) | instid1(VALU_DEP_3)
	v_add_co_ci_u32_e64 v21, null, s11, 0, s1
	v_add_nc_u32_e32 v19, 0x800, v5
	v_mad_co_u64_u32 v[4:5], null, s22, v12, 0
	v_mov_b32_e32 v0, v3
	v_add_nc_u32_e32 v6, s3, v7
	v_cmp_gt_i32_e64 s1, s33, v11
	v_lshlrev_b32_e32 v22, 3, v7
	s_cselect_b32 s10, -1, 0
	v_mad_co_u64_u32 v[9:10], null, s23, v11, v[0:1]
	v_add_nc_u32_e32 v8, 16, v6
	v_mov_b32_e32 v0, v5
	v_cmp_le_i32_e64 s2, v6, v11
	v_ashrrev_i32_e32 v7, 31, v6
	s_xor_b32 s11, s31, -1
	v_cmp_le_i32_e64 s3, v8, v11
	v_mad_co_u64_u32 v[10:11], null, s23, v12, v[0:1]
	v_mov_b32_e32 v3, v9
	v_ashrrev_i32_e32 v9, 31, v8
	s_and_b32 s4, s1, s2
	s_and_b32 s5, s1, s3
	v_cmp_gt_i32_e64 s1, s33, v12
	v_cmp_le_i32_e64 s2, v6, v12
	v_mov_b32_e32 v5, v10
	v_cmp_le_i32_e64 s3, v8, v12
	v_lshlrev_b64_e32 v[2:3], 3, v[2:3]
	v_lshlrev_b64_e32 v[6:7], 3, v[6:7]
	;; [unrolled: 1-line block ×4, first 2 shown]
	s_and_b32 s7, s34, s7
	s_wait_alu 0xfffe
	s_or_b32 s10, s10, s11
	s_and_b32 s11, s1, s2
	s_and_b32 s1, s1, s3
	s_xor_b32 s22, vcc_lo, -1
                                        ; implicit-def: $vgpr10_vgpr11
	s_branch .LBB239_8
.LBB239_7:                              ;   in Loop: Header=BB239_8 Depth=1
	s_wait_alu 0xfffe
	s_or_b32 exec_lo, exec_lo, s2
	s_add_co_i32 s26, s26, 0x10000
	s_delay_alu instid0(SALU_CYCLE_1)
	s_cmp_lt_u32 s26, s30
	s_cbranch_scc0 .LBB239_42
.LBB239_8:                              ; =>This Loop Header: Depth=1
                                        ;     Child Loop BB239_11 Depth 2
	s_and_not1_b32 vcc_lo, exec_lo, s7
	s_wait_alu 0xfffe
	s_cbranch_vccnz .LBB239_21
; %bb.9:                                ;   in Loop: Header=BB239_8 Depth=1
	s_mul_u64 s[2:3], s[8:9], s[26:27]
	s_mul_u64 s[34:35], s[18:19], s[26:27]
	s_wait_alu 0xfffe
	s_lshl_b64 s[2:3], s[2:3], 3
	v_dual_mov_b32 v26, 0 :: v_dual_mov_b32 v27, 0
	s_wait_alu 0xfffe
	v_add_co_u32 v12, vcc_lo, v17, s2
	s_wait_alu 0xfffd
	v_add_co_ci_u32_e64 v13, null, s3, v18, vcc_lo
	s_lshl_b64 s[2:3], s[34:35], 3
	v_dual_mov_b32 v29, 0 :: v_dual_mov_b32 v28, 0
	s_wait_alu 0xfffe
	v_add_co_u32 v24, vcc_lo, v20, s2
	s_wait_alu 0xfffd
	v_add_co_ci_u32_e64 v25, null, s3, v21, vcc_lo
	v_dual_mov_b32 v31, 0 :: v_dual_mov_b32 v30, 0
	v_dual_mov_b32 v33, 0 :: v_dual_mov_b32 v32, 0
	s_mov_b64 s[2:3], 0
	s_branch .LBB239_11
.LBB239_10:                             ;   in Loop: Header=BB239_11 Depth=2
	s_or_b32 exec_lo, exec_lo, s23
	ds_store_b32 v19, v34 offset:4
	s_wait_dscnt 0x0
	s_barrier_signal -1
	s_barrier_wait -1
	global_inv scope:SCOPE_SE
	ds_load_b128 v[34:37], v23
	ds_load_2addr_b64 v[38:41], v22 offset1:16
	ds_load_b128 v[42:45], v23 offset:1024
	ds_load_b128 v[46:49], v23 offset:16
	;; [unrolled: 1-line block ×4, first 2 shown]
	ds_load_2addr_b64 v[58:61], v22 offset0:32 offset1:48
	ds_load_b128 v[62:65], v23 offset:1040
	s_add_nc_u64 s[2:3], s[2:3], 8
	s_wait_alu 0xfffe
	v_cmp_gt_i64_e64 s23, s[12:13], s[2:3]
	s_and_b32 vcc_lo, exec_lo, s23
	s_wait_dscnt 0x6
	v_mul_f32_e32 v0, v35, v39
	v_dual_mul_f32 v66, v34, v39 :: v_dual_mul_f32 v67, v35, v41
	s_wait_dscnt 0x5
	v_dual_mul_f32 v68, v34, v41 :: v_dual_mul_f32 v69, v43, v39
	v_dual_mul_f32 v39, v42, v39 :: v_dual_mul_f32 v70, v43, v41
	v_mul_f32_e32 v41, v42, v41
	v_fma_f32 v0, v34, v38, -v0
	v_fma_f32 v34, v34, v40, -v67
	s_delay_alu instid0(VALU_DEP_4)
	v_fmac_f32_e32 v39, v43, v38
	v_fmac_f32_e32 v68, v35, v40
	;; [unrolled: 1-line block ×3, first 2 shown]
	v_add_f32_e32 v0, v32, v0
	v_fmac_f32_e32 v66, v35, v38
	v_fma_f32 v35, v42, v38, -v69
	s_delay_alu instid0(VALU_DEP_2)
	v_add_f32_e32 v32, v33, v66
	v_add_f32_e32 v33, v30, v34
	v_fma_f32 v30, v42, v40, -v70
	s_wait_dscnt 0x1
	v_mul_f32_e32 v38, v37, v59
	v_add_f32_e32 v34, v28, v35
	v_dual_add_f32 v35, v29, v39 :: v_dual_add_f32 v26, v26, v41
	v_add_f32_e32 v39, v27, v30
	ds_load_2addr_b64 v[27:30], v22 offset0:64 offset1:80
	v_fma_f32 v38, v36, v58, -v38
	v_mul_f32_e32 v42, v37, v61
	v_mul_f32_e32 v41, v36, v61
	s_delay_alu instid0(VALU_DEP_3) | instskip(SKIP_1) | instid1(VALU_DEP_3)
	v_dual_add_f32 v31, v31, v68 :: v_dual_add_f32 v0, v0, v38
	v_mul_f32_e32 v38, v45, v59
	v_dual_mul_f32 v40, v36, v59 :: v_dual_fmac_f32 v41, v37, v60
	v_fma_f32 v36, v36, v60, -v42
	s_delay_alu instid0(VALU_DEP_2) | instskip(SKIP_1) | instid1(VALU_DEP_3)
	v_fmac_f32_e32 v40, v37, v58
	v_mul_f32_e32 v37, v45, v61
	v_add_f32_e32 v36, v33, v36
	v_fma_f32 v33, v44, v58, -v38
	v_add_f32_e32 v38, v31, v41
	v_mul_f32_e32 v41, v44, v61
	v_fma_f32 v31, v44, v60, -v37
	v_add_f32_e32 v40, v32, v40
	v_mul_f32_e32 v32, v44, v59
	s_wait_dscnt 0x0
	v_dual_add_f32 v42, v34, v33 :: v_dual_mul_f32 v33, v47, v28
	v_fmac_f32_e32 v41, v45, v60
	s_delay_alu instid0(VALU_DEP_3) | instskip(SKIP_1) | instid1(VALU_DEP_4)
	v_dual_mul_f32 v37, v46, v28 :: v_dual_fmac_f32 v32, v45, v58
	v_add_f32_e32 v39, v39, v31
	v_fma_f32 v43, v46, v27, -v33
	s_delay_alu instid0(VALU_DEP_3) | instskip(NEXT) | instid1(VALU_DEP_4)
	v_fmac_f32_e32 v37, v47, v27
	v_add_f32_e32 v35, v35, v32
	ds_load_2addr_b64 v[31:34], v22 offset0:96 offset1:112
	v_mul_f32_e32 v44, v47, v30
	v_add_f32_e32 v0, v0, v43
	v_dual_add_f32 v37, v40, v37 :: v_dual_mul_f32 v40, v63, v28
	v_mul_f32_e32 v28, v62, v28
	s_delay_alu instid0(VALU_DEP_4)
	v_fma_f32 v43, v46, v29, -v44
	v_add_f32_e32 v41, v26, v41
	v_mul_f32_e32 v26, v46, v30
	v_fma_f32 v40, v62, v27, -v40
	v_fmac_f32_e32 v28, v63, v27
	v_dual_add_f32 v36, v36, v43 :: v_dual_mul_f32 v43, v63, v30
	v_mul_f32_e32 v30, v62, v30
	s_delay_alu instid0(VALU_DEP_4) | instskip(NEXT) | instid1(VALU_DEP_4)
	v_add_f32_e32 v40, v42, v40
	v_add_f32_e32 v42, v35, v28
	s_wait_dscnt 0x0
	s_delay_alu instid0(VALU_DEP_3) | instskip(NEXT) | instid1(VALU_DEP_1)
	v_dual_fmac_f32 v30, v63, v29 :: v_dual_mul_f32 v35, v49, v32
	v_add_f32_e32 v41, v41, v30
	s_delay_alu instid0(VALU_DEP_2) | instskip(NEXT) | instid1(VALU_DEP_1)
	v_fma_f32 v35, v48, v31, -v35
	v_dual_add_f32 v0, v0, v35 :: v_dual_mul_f32 v35, v65, v32
	v_dual_fmac_f32 v26, v47, v29 :: v_dual_mul_f32 v47, v65, v34
	s_delay_alu instid0(VALU_DEP_2) | instskip(NEXT) | instid1(VALU_DEP_2)
	v_fma_f32 v46, v64, v31, -v35
	v_add_f32_e32 v44, v38, v26
	v_fma_f32 v26, v62, v29, -v43
	v_dual_mul_f32 v38, v48, v32 :: v_dual_mul_f32 v43, v49, v34
	s_delay_alu instid0(VALU_DEP_2) | instskip(SKIP_3) | instid1(VALU_DEP_2)
	v_dual_mul_f32 v32, v64, v32 :: v_dual_add_f32 v39, v39, v26
	ds_load_2addr_b64 v[26:29], v22 offset0:128 offset1:144
	v_fmac_f32_e32 v38, v49, v31
	v_fma_f32 v43, v48, v33, -v43
	v_add_f32_e32 v45, v37, v38
	s_delay_alu instid0(VALU_DEP_2) | instskip(SKIP_4) | instid1(VALU_DEP_2)
	v_add_f32_e32 v43, v36, v43
	ds_load_b128 v[35:38], v23 offset:1056
	v_mul_f32_e32 v30, v48, v34
	v_fmac_f32_e32 v32, v65, v31
	s_wait_dscnt 0x1
	v_dual_fmac_f32 v30, v49, v33 :: v_dual_mul_f32 v49, v50, v27
	s_delay_alu instid0(VALU_DEP_1) | instskip(SKIP_2) | instid1(VALU_DEP_4)
	v_dual_mul_f32 v31, v51, v27 :: v_dual_add_f32 v44, v44, v30
	v_fma_f32 v30, v64, v33, -v47
	v_add_f32_e32 v47, v42, v32
	v_fmac_f32_e32 v49, v51, v26
	s_delay_alu instid0(VALU_DEP_3) | instskip(SKIP_1) | instid1(VALU_DEP_3)
	v_add_f32_e32 v48, v39, v30
	v_fma_f32 v39, v50, v26, -v31
	v_dual_add_f32 v45, v45, v49 :: v_dual_mul_f32 v34, v64, v34
	s_delay_alu instid0(VALU_DEP_2) | instskip(NEXT) | instid1(VALU_DEP_2)
	v_add_f32_e32 v0, v0, v39
	v_fmac_f32_e32 v34, v65, v33
	ds_load_2addr_b64 v[30:33], v22 offset0:160 offset1:176
	v_add_f32_e32 v46, v40, v46
	v_mul_f32_e32 v40, v51, v29
	s_delay_alu instid0(VALU_DEP_1) | instskip(NEXT) | instid1(VALU_DEP_1)
	v_fma_f32 v58, v50, v28, -v40
	v_dual_mul_f32 v50, v50, v29 :: v_dual_add_f32 v43, v43, v58
	s_delay_alu instid0(VALU_DEP_1)
	v_fmac_f32_e32 v50, v51, v28
	v_add_f32_e32 v34, v41, v34
	ds_load_b128 v[39:42], v23 offset:1072
	s_wait_dscnt 0x2
	v_mul_f32_e32 v59, v36, v27
	v_dual_mul_f32 v27, v35, v27 :: v_dual_add_f32 v44, v44, v50
	v_mul_f32_e32 v50, v35, v29
	v_mul_f32_e32 v51, v36, v29
	s_delay_alu instid0(VALU_DEP_4) | instskip(NEXT) | instid1(VALU_DEP_4)
	v_fma_f32 v49, v35, v26, -v59
	v_fmac_f32_e32 v27, v36, v26
	s_delay_alu instid0(VALU_DEP_4)
	v_fmac_f32_e32 v50, v36, v28
	s_wait_dscnt 0x1
	v_mul_f32_e32 v36, v52, v31
	v_fma_f32 v26, v35, v28, -v51
	v_add_f32_e32 v35, v47, v27
	v_mul_f32_e32 v47, v53, v31
	s_delay_alu instid0(VALU_DEP_4) | instskip(NEXT) | instid1(VALU_DEP_2)
	v_fmac_f32_e32 v36, v53, v30
	v_fma_f32 v47, v52, v30, -v47
	s_delay_alu instid0(VALU_DEP_2) | instskip(SKIP_1) | instid1(VALU_DEP_3)
	v_dual_add_f32 v45, v45, v36 :: v_dual_mul_f32 v36, v38, v31
	v_dual_mul_f32 v31, v37, v31 :: v_dual_add_f32 v46, v46, v49
	v_dual_mul_f32 v49, v53, v33 :: v_dual_add_f32 v0, v0, v47
	s_delay_alu instid0(VALU_DEP_3) | instskip(NEXT) | instid1(VALU_DEP_3)
	v_fma_f32 v36, v37, v30, -v36
	v_dual_fmac_f32 v31, v38, v30 :: v_dual_mul_f32 v30, v37, v33
	s_delay_alu instid0(VALU_DEP_3) | instskip(NEXT) | instid1(VALU_DEP_2)
	v_fma_f32 v47, v52, v32, -v49
	v_dual_add_f32 v31, v35, v31 :: v_dual_fmac_f32 v30, v38, v32
	s_delay_alu instid0(VALU_DEP_2)
	v_add_f32_e32 v43, v43, v47
	v_dual_mul_f32 v47, v38, v33 :: v_dual_add_f32 v48, v48, v26
	ds_load_2addr_b64 v[26:29], v22 offset0:192 offset1:208
	v_add_f32_e32 v50, v34, v50
	v_mul_f32_e32 v34, v52, v33
	v_fma_f32 v33, v37, v32, -v47
	s_wait_dscnt 0x0
	s_delay_alu instid0(VALU_DEP_2) | instskip(NEXT) | instid1(VALU_DEP_1)
	v_dual_fmac_f32 v34, v53, v32 :: v_dual_mul_f32 v47, v55, v29
	v_fma_f32 v47, v54, v28, -v47
	s_delay_alu instid0(VALU_DEP_1) | instskip(SKIP_3) | instid1(VALU_DEP_3)
	v_dual_add_f32 v43, v43, v47 :: v_dual_add_f32 v32, v48, v33
	v_mul_f32_e32 v33, v54, v27
	v_mul_f32_e32 v48, v40, v27
	v_mul_f32_e32 v47, v40, v29
	v_dual_fmac_f32 v33, v55, v26 :: v_dual_add_f32 v46, v46, v36
	s_delay_alu instid0(VALU_DEP_1) | instskip(SKIP_3) | instid1(VALU_DEP_3)
	v_dual_add_f32 v33, v45, v33 :: v_dual_add_f32 v44, v44, v34
	v_mul_f32_e32 v34, v55, v27
	v_mul_f32_e32 v27, v39, v27
	v_fma_f32 v45, v39, v26, -v48
	v_fma_f32 v38, v54, v26, -v34
	ds_load_2addr_b64 v[34:37], v22 offset0:224 offset1:240
	v_fmac_f32_e32 v27, v40, v26
	s_wait_loadcnt_dscnt 0x0
	s_barrier_signal -1
	v_add_f32_e32 v0, v0, v38
	s_barrier_wait -1
	v_dual_add_f32 v27, v31, v27 :: v_dual_mul_f32 v38, v54, v29
	v_mul_f32_e32 v29, v39, v29
	v_fma_f32 v39, v39, v28, -v47
	v_add_f32_e32 v30, v50, v30
	global_inv scope:SCOPE_SE
	v_fmac_f32_e32 v38, v55, v28
	v_fmac_f32_e32 v29, v40, v28
	s_delay_alu instid0(VALU_DEP_1) | instskip(SKIP_4) | instid1(VALU_DEP_4)
	v_dual_add_f32 v39, v32, v39 :: v_dual_add_f32 v40, v30, v29
	v_mul_f32_e32 v31, v57, v35
	v_mul_f32_e32 v32, v57, v37
	;; [unrolled: 1-line block ×4, first 2 shown]
	v_fma_f32 v31, v56, v34, -v31
	s_delay_alu instid0(VALU_DEP_4) | instskip(NEXT) | instid1(VALU_DEP_4)
	v_fma_f32 v30, v56, v36, -v32
	v_fmac_f32_e32 v28, v57, v34
	s_delay_alu instid0(VALU_DEP_4) | instskip(NEXT) | instid1(VALU_DEP_4)
	v_dual_fmac_f32 v29, v57, v36 :: v_dual_add_f32 v26, v44, v38
	v_add_f32_e32 v32, v0, v31
	v_mul_f32_e32 v0, v42, v35
	v_add_f32_e32 v38, v46, v45
	v_dual_add_f32 v30, v43, v30 :: v_dual_mul_f32 v35, v41, v35
	v_mul_f32_e32 v43, v42, v37
	s_delay_alu instid0(VALU_DEP_4)
	v_fma_f32 v0, v41, v34, -v0
	v_mul_f32_e32 v37, v41, v37
	v_add_f32_e32 v33, v33, v28
	v_fmac_f32_e32 v35, v42, v34
	v_add_f32_e32 v31, v26, v29
	v_add_f32_e32 v28, v38, v0
	v_fma_f32 v0, v41, v36, -v43
	v_fmac_f32_e32 v37, v42, v36
	v_add_f32_e32 v29, v27, v35
	s_delay_alu instid0(VALU_DEP_2)
	v_dual_add_f32 v27, v39, v0 :: v_dual_add_f32 v26, v40, v37
	s_wait_alu 0xfffe
	s_cbranch_vccz .LBB239_22
.LBB239_11:                             ;   Parent Loop BB239_8 Depth=1
                                        ; =>  This Inner Loop Header: Depth=2
	s_mov_b32 s23, 0
	s_mov_b32 s33, s6
	s_and_saveexec_b32 s31, s0
	s_cbranch_execnz .LBB239_19
; %bb.12:                               ;   in Loop: Header=BB239_11 Depth=2
	s_or_b32 exec_lo, exec_lo, s31
	s_wait_alu 0xfffe
	s_and_saveexec_b32 s31, s33
	s_delay_alu instid0(SALU_CYCLE_1)
	s_xor_b32 s31, exec_lo, s31
	s_cbranch_execnz .LBB239_20
.LBB239_13:                             ;   in Loop: Header=BB239_11 Depth=2
	s_or_b32 exec_lo, exec_lo, s31
	s_and_saveexec_b32 s31, s23
	s_cbranch_execz .LBB239_15
.LBB239_14:                             ;   in Loop: Header=BB239_11 Depth=2
	v_lshlrev_b64_e32 v[34:35], 3, v[10:11]
	s_delay_alu instid0(VALU_DEP_1) | instskip(SKIP_1) | instid1(VALU_DEP_2)
	v_add_co_u32 v34, vcc_lo, v12, v34
	s_wait_alu 0xfffd
	v_add_co_ci_u32_e64 v35, null, v13, v35, vcc_lo
	global_load_b64 v[34:35], v[34:35], off
	s_wait_loadcnt 0x0
	ds_store_b64 v16, v[34:35]
.LBB239_15:                             ;   in Loop: Header=BB239_11 Depth=2
	s_or_b32 exec_lo, exec_lo, s31
	v_add_nc_u32_e32 v0, s2, v14
	s_delay_alu instid0(VALU_DEP_1) | instskip(SKIP_3) | instid1(SALU_CYCLE_1)
	v_cmp_le_u64_e32 vcc_lo, s[12:13], v[0:1]
	s_or_b32 s23, vcc_lo, s22
	s_wait_alu 0xfffe
	s_and_saveexec_b32 s31, s23
	s_xor_b32 s23, exec_lo, s31
; %bb.16:                               ;   in Loop: Header=BB239_11 Depth=2
	ds_store_b32 v19, v1
; %bb.17:                               ;   in Loop: Header=BB239_11 Depth=2
	s_wait_alu 0xfffe
	s_or_saveexec_b32 s23, s23
	v_mov_b32_e32 v34, 0
	s_wait_alu 0xfffe
	s_xor_b32 exec_lo, exec_lo, s23
	s_cbranch_execz .LBB239_10
; %bb.18:                               ;   in Loop: Header=BB239_11 Depth=2
	v_mad_co_u64_u32 v[34:35], null, s16, v0, 0
	s_delay_alu instid0(VALU_DEP_1) | instskip(NEXT) | instid1(VALU_DEP_1)
	v_mad_co_u64_u32 v[35:36], null, s17, v0, v[35:36]
	v_lshlrev_b64_e32 v[34:35], 3, v[34:35]
	s_delay_alu instid0(VALU_DEP_1) | instskip(SKIP_1) | instid1(VALU_DEP_2)
	v_add_co_u32 v34, vcc_lo, v24, v34
	s_wait_alu 0xfffd
	v_add_co_ci_u32_e64 v35, null, v25, v35, vcc_lo
	global_load_b64 v[35:36], v[34:35], off
	s_wait_loadcnt 0x0
	v_xor_b32_e32 v34, 0x80000000, v36
	ds_store_b32 v19, v35
	s_branch .LBB239_10
.LBB239_19:                             ;   in Loop: Header=BB239_11 Depth=2
	s_wait_alu 0xfffe
	v_add_nc_u32_e32 v0, s2, v15
	v_mov_b32_e32 v11, v1
	s_and_not1_b32 s33, s6, exec_lo
	s_mov_b32 s23, exec_lo
	s_delay_alu instid0(VALU_DEP_2)
	v_cmp_le_u64_e32 vcc_lo, s[12:13], v[0:1]
	v_mov_b32_e32 v10, v0
	s_and_b32 s34, vcc_lo, exec_lo
	s_wait_alu 0xfffe
	s_or_b32 s33, s33, s34
	s_or_b32 exec_lo, exec_lo, s31
	s_wait_alu 0xfffe
	s_and_saveexec_b32 s31, s33
	s_delay_alu instid0(SALU_CYCLE_1)
	s_xor_b32 s31, exec_lo, s31
	s_cbranch_execz .LBB239_13
.LBB239_20:                             ;   in Loop: Header=BB239_11 Depth=2
	v_mov_b32_e32 v0, v1
	s_and_not1_b32 s23, s23, exec_lo
	ds_store_b64 v16, v[0:1]
	s_or_b32 exec_lo, exec_lo, s31
	s_wait_alu 0xfffe
	s_and_saveexec_b32 s31, s23
	s_cbranch_execnz .LBB239_14
	s_branch .LBB239_15
.LBB239_21:                             ;   in Loop: Header=BB239_8 Depth=1
	v_dual_mov_b32 v32, v1 :: v_dual_mov_b32 v33, v1
	v_dual_mov_b32 v30, v1 :: v_dual_mov_b32 v31, v1
	v_dual_mov_b32 v28, v1 :: v_dual_mov_b32 v29, v1
	v_dual_mov_b32 v27, v1 :: v_dual_mov_b32 v26, v1
.LBB239_22:                             ;   in Loop: Header=BB239_8 Depth=1
	s_mul_u64 s[2:3], s[28:29], s[26:27]
	s_wait_alu 0xfffe
	s_lshl_b64 s[2:3], s[2:3], 3
	s_wait_alu 0xfffe
	s_add_nc_u64 s[2:3], s[20:21], s[2:3]
	s_wait_alu 0xfffe
	v_add_co_u32 v0, vcc_lo, s2, v2
	s_wait_alu 0xfffd
	v_add_co_ci_u32_e64 v24, null, s3, v3, vcc_lo
	s_and_saveexec_b32 s23, s4
	s_cbranch_execz .LBB239_27
; %bb.23:                               ;   in Loop: Header=BB239_8 Depth=1
	v_mul_f32_e32 v13, s14, v33
	v_mul_f32_e32 v12, s15, v33
	s_and_b32 vcc_lo, exec_lo, s10
	s_mov_b32 s31, -1
	s_delay_alu instid0(VALU_DEP_2) | instskip(NEXT) | instid1(VALU_DEP_2)
	v_fmac_f32_e32 v13, s15, v32
	v_fma_f32 v12, v32, s14, -v12
	s_wait_alu 0xfffe
	s_cbranch_vccz .LBB239_25
; %bb.24:                               ;   in Loop: Header=BB239_8 Depth=1
	v_add_co_u32 v32, vcc_lo, v0, v6
	s_wait_alu 0xfffd
	v_add_co_ci_u32_e64 v33, null, v24, v7, vcc_lo
	s_mov_b32 s31, 0
	global_load_b64 v[34:35], v[32:33], off
	s_wait_loadcnt 0x0
	v_mul_f32_e32 v25, s25, v35
	s_delay_alu instid0(VALU_DEP_1) | instskip(SKIP_1) | instid1(VALU_DEP_1)
	v_fma_f32 v25, v34, s24, -v25
	v_mul_f32_e32 v35, s24, v35
	v_dual_fmac_f32 v35, s25, v34 :: v_dual_add_f32 v34, v12, v25
	s_delay_alu instid0(VALU_DEP_1)
	v_add_f32_e32 v35, v13, v35
	global_store_b64 v[32:33], v[34:35], off
.LBB239_25:                             ;   in Loop: Header=BB239_8 Depth=1
	s_and_not1_b32 vcc_lo, exec_lo, s31
	s_wait_alu 0xfffe
	s_cbranch_vccnz .LBB239_27
; %bb.26:                               ;   in Loop: Header=BB239_8 Depth=1
	v_add_co_u32 v32, vcc_lo, v0, v6
	s_wait_alu 0xfffd
	v_add_co_ci_u32_e64 v33, null, v24, v7, vcc_lo
	global_store_b64 v[32:33], v[12:13], off
.LBB239_27:                             ;   in Loop: Header=BB239_8 Depth=1
	s_wait_alu 0xfffe
	s_or_b32 exec_lo, exec_lo, s23
	s_and_saveexec_b32 s23, s5
	s_cbranch_execz .LBB239_32
; %bb.28:                               ;   in Loop: Header=BB239_8 Depth=1
	v_mul_f32_e32 v13, s14, v31
	v_mul_f32_e32 v12, s15, v31
	s_and_not1_b32 vcc_lo, exec_lo, s10
	s_mov_b32 s31, -1
	s_delay_alu instid0(VALU_DEP_2) | instskip(NEXT) | instid1(VALU_DEP_2)
	v_fmac_f32_e32 v13, s15, v30
	v_fma_f32 v12, v30, s14, -v12
	s_wait_alu 0xfffe
	s_cbranch_vccnz .LBB239_30
; %bb.29:                               ;   in Loop: Header=BB239_8 Depth=1
	v_add_co_u32 v30, vcc_lo, v0, v8
	s_wait_alu 0xfffd
	v_add_co_ci_u32_e64 v31, null, v24, v9, vcc_lo
	s_mov_b32 s31, 0
	global_load_b64 v[32:33], v[30:31], off
	s_wait_loadcnt 0x0
	v_mul_f32_e32 v25, s25, v33
	v_mul_f32_e32 v33, s24, v33
	s_delay_alu instid0(VALU_DEP_2) | instskip(NEXT) | instid1(VALU_DEP_1)
	v_fma_f32 v25, v32, s24, -v25
	v_dual_fmac_f32 v33, s25, v32 :: v_dual_add_f32 v32, v12, v25
	s_delay_alu instid0(VALU_DEP_1)
	v_add_f32_e32 v33, v13, v33
	global_store_b64 v[30:31], v[32:33], off
.LBB239_30:                             ;   in Loop: Header=BB239_8 Depth=1
	s_and_not1_b32 vcc_lo, exec_lo, s31
	s_wait_alu 0xfffe
	s_cbranch_vccnz .LBB239_32
; %bb.31:                               ;   in Loop: Header=BB239_8 Depth=1
	v_add_co_u32 v30, vcc_lo, v0, v8
	s_wait_alu 0xfffd
	v_add_co_ci_u32_e64 v31, null, v24, v9, vcc_lo
	global_store_b64 v[30:31], v[12:13], off
.LBB239_32:                             ;   in Loop: Header=BB239_8 Depth=1
	s_wait_alu 0xfffe
	s_or_b32 exec_lo, exec_lo, s23
	v_add_co_u32 v0, vcc_lo, s2, v4
	s_wait_alu 0xfffd
	v_add_co_ci_u32_e64 v24, null, s3, v5, vcc_lo
	s_and_saveexec_b32 s2, s11
	s_cbranch_execz .LBB239_37
; %bb.33:                               ;   in Loop: Header=BB239_8 Depth=1
	v_mul_f32_e32 v13, s14, v29
	v_mul_f32_e32 v12, s15, v29
	s_and_not1_b32 vcc_lo, exec_lo, s10
	s_mov_b32 s3, -1
	s_delay_alu instid0(VALU_DEP_2) | instskip(NEXT) | instid1(VALU_DEP_2)
	v_fmac_f32_e32 v13, s15, v28
	v_fma_f32 v12, v28, s14, -v12
	s_wait_alu 0xfffe
	s_cbranch_vccnz .LBB239_35
; %bb.34:                               ;   in Loop: Header=BB239_8 Depth=1
	v_add_co_u32 v28, vcc_lo, v0, v6
	s_wait_alu 0xfffd
	v_add_co_ci_u32_e64 v29, null, v24, v7, vcc_lo
	s_mov_b32 s3, 0
	global_load_b64 v[30:31], v[28:29], off
	s_wait_loadcnt 0x0
	v_mul_f32_e32 v25, s25, v31
	s_delay_alu instid0(VALU_DEP_1) | instskip(SKIP_1) | instid1(VALU_DEP_1)
	v_fma_f32 v25, v30, s24, -v25
	v_mul_f32_e32 v31, s24, v31
	v_dual_fmac_f32 v31, s25, v30 :: v_dual_add_f32 v30, v12, v25
	s_delay_alu instid0(VALU_DEP_1)
	v_add_f32_e32 v31, v13, v31
	global_store_b64 v[28:29], v[30:31], off
.LBB239_35:                             ;   in Loop: Header=BB239_8 Depth=1
	s_wait_alu 0xfffe
	s_and_not1_b32 vcc_lo, exec_lo, s3
	s_wait_alu 0xfffe
	s_cbranch_vccnz .LBB239_37
; %bb.36:                               ;   in Loop: Header=BB239_8 Depth=1
	v_add_co_u32 v28, vcc_lo, v0, v6
	s_wait_alu 0xfffd
	v_add_co_ci_u32_e64 v29, null, v24, v7, vcc_lo
	global_store_b64 v[28:29], v[12:13], off
.LBB239_37:                             ;   in Loop: Header=BB239_8 Depth=1
	s_wait_alu 0xfffe
	s_or_b32 exec_lo, exec_lo, s2
	s_and_saveexec_b32 s2, s1
	s_cbranch_execz .LBB239_7
; %bb.38:                               ;   in Loop: Header=BB239_8 Depth=1
	v_mul_f32_e32 v13, s14, v26
	v_mul_f32_e32 v12, s15, v26
	s_and_not1_b32 vcc_lo, exec_lo, s10
	s_mov_b32 s3, -1
	s_delay_alu instid0(VALU_DEP_2) | instskip(NEXT) | instid1(VALU_DEP_2)
	v_fmac_f32_e32 v13, s15, v27
	v_fma_f32 v12, v27, s14, -v12
	s_wait_alu 0xfffe
	s_cbranch_vccnz .LBB239_40
; %bb.39:                               ;   in Loop: Header=BB239_8 Depth=1
	v_add_co_u32 v25, vcc_lo, v0, v8
	s_wait_alu 0xfffd
	v_add_co_ci_u32_e64 v26, null, v24, v9, vcc_lo
	s_mov_b32 s3, 0
	global_load_b64 v[27:28], v[25:26], off
	s_wait_loadcnt 0x0
	v_mul_f32_e32 v29, s25, v28
	v_mul_f32_e32 v28, s24, v28
	s_delay_alu instid0(VALU_DEP_1) | instskip(NEXT) | instid1(VALU_DEP_3)
	v_fmac_f32_e32 v28, s25, v27
	v_fma_f32 v29, v27, s24, -v29
	s_delay_alu instid0(VALU_DEP_1)
	v_dual_add_f32 v28, v13, v28 :: v_dual_add_f32 v27, v12, v29
	global_store_b64 v[25:26], v[27:28], off
.LBB239_40:                             ;   in Loop: Header=BB239_8 Depth=1
	s_wait_alu 0xfffe
	s_and_not1_b32 vcc_lo, exec_lo, s3
	s_wait_alu 0xfffe
	s_cbranch_vccnz .LBB239_7
; %bb.41:                               ;   in Loop: Header=BB239_8 Depth=1
	v_add_co_u32 v25, vcc_lo, v0, v8
	s_wait_alu 0xfffd
	v_add_co_ci_u32_e64 v26, null, v24, v9, vcc_lo
	global_store_b64 v[25:26], v[12:13], off
	s_branch .LBB239_7
.LBB239_42:
	s_endpgm
	.section	.rodata,"a",@progbits
	.p2align	6, 0x0
	.amdhsa_kernel _ZL29rocblas_internal_gemmt_kernelIlLi16ELi32ELi8ELc84ELc67ELc85ELb0ELb1E19rocblas_complex_numIfES1_PKS1_PS1_EviT_T9_T10_S5_lS7_S5_lS6_T11_S5_li
		.amdhsa_group_segment_fixed_size 4096
		.amdhsa_private_segment_fixed_size 0
		.amdhsa_kernarg_size 108
		.amdhsa_user_sgpr_count 2
		.amdhsa_user_sgpr_dispatch_ptr 0
		.amdhsa_user_sgpr_queue_ptr 0
		.amdhsa_user_sgpr_kernarg_segment_ptr 1
		.amdhsa_user_sgpr_dispatch_id 0
		.amdhsa_user_sgpr_private_segment_size 0
		.amdhsa_wavefront_size32 1
		.amdhsa_uses_dynamic_stack 0
		.amdhsa_enable_private_segment 0
		.amdhsa_system_sgpr_workgroup_id_x 1
		.amdhsa_system_sgpr_workgroup_id_y 1
		.amdhsa_system_sgpr_workgroup_id_z 1
		.amdhsa_system_sgpr_workgroup_info 0
		.amdhsa_system_vgpr_workitem_id 1
		.amdhsa_next_free_vgpr 71
		.amdhsa_next_free_sgpr 36
		.amdhsa_reserve_vcc 1
		.amdhsa_float_round_mode_32 0
		.amdhsa_float_round_mode_16_64 0
		.amdhsa_float_denorm_mode_32 3
		.amdhsa_float_denorm_mode_16_64 3
		.amdhsa_fp16_overflow 0
		.amdhsa_workgroup_processor_mode 1
		.amdhsa_memory_ordered 1
		.amdhsa_forward_progress 1
		.amdhsa_inst_pref_size 26
		.amdhsa_round_robin_scheduling 0
		.amdhsa_exception_fp_ieee_invalid_op 0
		.amdhsa_exception_fp_denorm_src 0
		.amdhsa_exception_fp_ieee_div_zero 0
		.amdhsa_exception_fp_ieee_overflow 0
		.amdhsa_exception_fp_ieee_underflow 0
		.amdhsa_exception_fp_ieee_inexact 0
		.amdhsa_exception_int_div_zero 0
	.end_amdhsa_kernel
	.section	.text._ZL29rocblas_internal_gemmt_kernelIlLi16ELi32ELi8ELc84ELc67ELc85ELb0ELb1E19rocblas_complex_numIfES1_PKS1_PS1_EviT_T9_T10_S5_lS7_S5_lS6_T11_S5_li,"axG",@progbits,_ZL29rocblas_internal_gemmt_kernelIlLi16ELi32ELi8ELc84ELc67ELc85ELb0ELb1E19rocblas_complex_numIfES1_PKS1_PS1_EviT_T9_T10_S5_lS7_S5_lS6_T11_S5_li,comdat
.Lfunc_end239:
	.size	_ZL29rocblas_internal_gemmt_kernelIlLi16ELi32ELi8ELc84ELc67ELc85ELb0ELb1E19rocblas_complex_numIfES1_PKS1_PS1_EviT_T9_T10_S5_lS7_S5_lS6_T11_S5_li, .Lfunc_end239-_ZL29rocblas_internal_gemmt_kernelIlLi16ELi32ELi8ELc84ELc67ELc85ELb0ELb1E19rocblas_complex_numIfES1_PKS1_PS1_EviT_T9_T10_S5_lS7_S5_lS6_T11_S5_li
                                        ; -- End function
	.set _ZL29rocblas_internal_gemmt_kernelIlLi16ELi32ELi8ELc84ELc67ELc85ELb0ELb1E19rocblas_complex_numIfES1_PKS1_PS1_EviT_T9_T10_S5_lS7_S5_lS6_T11_S5_li.num_vgpr, 71
	.set _ZL29rocblas_internal_gemmt_kernelIlLi16ELi32ELi8ELc84ELc67ELc85ELb0ELb1E19rocblas_complex_numIfES1_PKS1_PS1_EviT_T9_T10_S5_lS7_S5_lS6_T11_S5_li.num_agpr, 0
	.set _ZL29rocblas_internal_gemmt_kernelIlLi16ELi32ELi8ELc84ELc67ELc85ELb0ELb1E19rocblas_complex_numIfES1_PKS1_PS1_EviT_T9_T10_S5_lS7_S5_lS6_T11_S5_li.numbered_sgpr, 36
	.set _ZL29rocblas_internal_gemmt_kernelIlLi16ELi32ELi8ELc84ELc67ELc85ELb0ELb1E19rocblas_complex_numIfES1_PKS1_PS1_EviT_T9_T10_S5_lS7_S5_lS6_T11_S5_li.num_named_barrier, 0
	.set _ZL29rocblas_internal_gemmt_kernelIlLi16ELi32ELi8ELc84ELc67ELc85ELb0ELb1E19rocblas_complex_numIfES1_PKS1_PS1_EviT_T9_T10_S5_lS7_S5_lS6_T11_S5_li.private_seg_size, 0
	.set _ZL29rocblas_internal_gemmt_kernelIlLi16ELi32ELi8ELc84ELc67ELc85ELb0ELb1E19rocblas_complex_numIfES1_PKS1_PS1_EviT_T9_T10_S5_lS7_S5_lS6_T11_S5_li.uses_vcc, 1
	.set _ZL29rocblas_internal_gemmt_kernelIlLi16ELi32ELi8ELc84ELc67ELc85ELb0ELb1E19rocblas_complex_numIfES1_PKS1_PS1_EviT_T9_T10_S5_lS7_S5_lS6_T11_S5_li.uses_flat_scratch, 0
	.set _ZL29rocblas_internal_gemmt_kernelIlLi16ELi32ELi8ELc84ELc67ELc85ELb0ELb1E19rocblas_complex_numIfES1_PKS1_PS1_EviT_T9_T10_S5_lS7_S5_lS6_T11_S5_li.has_dyn_sized_stack, 0
	.set _ZL29rocblas_internal_gemmt_kernelIlLi16ELi32ELi8ELc84ELc67ELc85ELb0ELb1E19rocblas_complex_numIfES1_PKS1_PS1_EviT_T9_T10_S5_lS7_S5_lS6_T11_S5_li.has_recursion, 0
	.set _ZL29rocblas_internal_gemmt_kernelIlLi16ELi32ELi8ELc84ELc67ELc85ELb0ELb1E19rocblas_complex_numIfES1_PKS1_PS1_EviT_T9_T10_S5_lS7_S5_lS6_T11_S5_li.has_indirect_call, 0
	.section	.AMDGPU.csdata,"",@progbits
; Kernel info:
; codeLenInByte = 3276
; TotalNumSgprs: 38
; NumVgprs: 71
; ScratchSize: 0
; MemoryBound: 0
; FloatMode: 240
; IeeeMode: 1
; LDSByteSize: 4096 bytes/workgroup (compile time only)
; SGPRBlocks: 0
; VGPRBlocks: 8
; NumSGPRsForWavesPerEU: 38
; NumVGPRsForWavesPerEU: 71
; Occupancy: 16
; WaveLimiterHint : 0
; COMPUTE_PGM_RSRC2:SCRATCH_EN: 0
; COMPUTE_PGM_RSRC2:USER_SGPR: 2
; COMPUTE_PGM_RSRC2:TRAP_HANDLER: 0
; COMPUTE_PGM_RSRC2:TGID_X_EN: 1
; COMPUTE_PGM_RSRC2:TGID_Y_EN: 1
; COMPUTE_PGM_RSRC2:TGID_Z_EN: 1
; COMPUTE_PGM_RSRC2:TIDIG_COMP_CNT: 1
	.section	.text._ZL29rocblas_internal_gemmt_kernelIlLi16ELi32ELi8ELc67ELc78ELc85ELb1ELb0E19rocblas_complex_numIfES1_PKS1_PS1_EviT_T9_T10_S5_lS7_S5_lS6_T11_S5_li,"axG",@progbits,_ZL29rocblas_internal_gemmt_kernelIlLi16ELi32ELi8ELc67ELc78ELc85ELb1ELb0E19rocblas_complex_numIfES1_PKS1_PS1_EviT_T9_T10_S5_lS7_S5_lS6_T11_S5_li,comdat
	.globl	_ZL29rocblas_internal_gemmt_kernelIlLi16ELi32ELi8ELc67ELc78ELc85ELb1ELb0E19rocblas_complex_numIfES1_PKS1_PS1_EviT_T9_T10_S5_lS7_S5_lS6_T11_S5_li ; -- Begin function _ZL29rocblas_internal_gemmt_kernelIlLi16ELi32ELi8ELc67ELc78ELc85ELb1ELb0E19rocblas_complex_numIfES1_PKS1_PS1_EviT_T9_T10_S5_lS7_S5_lS6_T11_S5_li
	.p2align	8
	.type	_ZL29rocblas_internal_gemmt_kernelIlLi16ELi32ELi8ELc67ELc78ELc85ELb1ELb0E19rocblas_complex_numIfES1_PKS1_PS1_EviT_T9_T10_S5_lS7_S5_lS6_T11_S5_li,@function
_ZL29rocblas_internal_gemmt_kernelIlLi16ELi32ELi8ELc67ELc78ELc85ELb1ELb0E19rocblas_complex_numIfES1_PKS1_PS1_EviT_T9_T10_S5_lS7_S5_lS6_T11_S5_li: ; @_ZL29rocblas_internal_gemmt_kernelIlLi16ELi32ELi8ELc67ELc78ELc85ELb1ELb0E19rocblas_complex_numIfES1_PKS1_PS1_EviT_T9_T10_S5_lS7_S5_lS6_T11_S5_li
; %bb.0:
	s_clause 0x1
	s_load_b64 s[24:25], s[0:1], 0x48
	s_load_b128 s[12:15], s[0:1], 0x8
	s_wait_kmcnt 0x0
	s_cmp_eq_f32 s24, 1.0
	s_cselect_b32 s2, -1, 0
	s_and_b32 s3, s25, 0x7fffffff
	s_delay_alu instid0(SALU_CYCLE_1) | instskip(SKIP_1) | instid1(SALU_CYCLE_1)
	s_cmp_eq_u32 s3, 0
	s_cselect_b32 s31, -1, 0
	s_and_b32 s3, s2, s31
	s_mov_b32 s2, 0
	s_and_not1_b32 vcc_lo, exec_lo, s3
	s_mov_b32 s3, -1
	s_cbranch_vccnz .LBB240_4
; %bb.1:
	s_cmp_lg_u64 s[12:13], 0
	s_cbranch_scc0 .LBB240_3
; %bb.2:
	s_cmp_neq_f32 s14, 0
	s_cselect_b32 s2, -1, 0
	s_cmp_neq_f32 s15, 0
	s_cselect_b32 s3, -1, 0
	s_delay_alu instid0(SALU_CYCLE_1)
	s_or_b32 s2, s2, s3
.LBB240_3:
	s_delay_alu instid0(SALU_CYCLE_1)
	s_mov_b32 s3, s2
.LBB240_4:
	s_delay_alu instid0(SALU_CYCLE_1)
	s_and_b32 vcc_lo, exec_lo, s3
	s_cbranch_vccz .LBB240_42
; %bb.5:
	s_load_b32 s30, s[0:1], 0x68
	s_lshr_b32 s26, ttmp7, 16
	s_wait_kmcnt 0x0
	s_cmp_ge_u32 s26, s30
	s_cbranch_scc1 .LBB240_42
; %bb.6:
	v_and_b32_e32 v7, 0x3ff, v0
	v_bfe_u32 v8, v0, 10, 10
	s_clause 0x1
	s_load_b128 s[16:19], s[0:1], 0x38
	s_load_b256 s[4:11], s[0:1], 0x18
	s_lshl_b32 s2, ttmp7, 5
	s_lshl_b32 s3, ttmp9, 5
	s_and_b32 s2, s2, 0x1fffe0
	v_lshl_add_u32 v1, v8, 4, v7
	s_cmp_neq_f32 s14, 0
	s_clause 0x2
	s_load_b32 s33, s[0:1], 0x0
	s_load_b128 s[20:23], s[0:1], 0x50
	s_load_b64 s[28:29], s[0:1], 0x60
	v_and_b32_e32 v14, 7, v0
	v_and_b32_e32 v9, 31, v1
	v_lshrrev_b32_e32 v6, 3, v1
	s_cselect_b32 s0, -1, 0
	s_cmp_neq_f32 s15, 0
	v_lshrrev_b32_e32 v15, 5, v1
	v_or_b32_e32 v11, s3, v9
	v_add_nc_u32_e32 v10, s2, v6
	s_cselect_b32 s1, -1, 0
	v_lshl_add_u32 v23, v8, 6, 0x800
	s_mov_b32 s27, 0
	s_wait_kmcnt 0x0
	v_mul_lo_u32 v4, s7, v11
	v_mad_co_u64_u32 v[2:3], null, s6, v11, 0
	v_mad_co_u64_u32 v[0:1], null, s16, v10, 0
	s_or_b32 s7, s0, s1
	s_ashr_i32 s0, s3, 31
	s_cmp_neq_f32 s24, 0
	s_mul_i32 s0, s6, s0
	v_cmp_le_i32_e64 s6, s33, v11
	v_add3_u32 v3, v3, s0, v4
	v_mad_co_u64_u32 v[4:5], null, s17, v10, v[1:2]
	v_lshlrev_b32_e32 v1, 3, v9
	v_add_nc_u32_e32 v9, s2, v8
	s_delay_alu instid0(VALU_DEP_4)
	v_lshlrev_b64_e32 v[2:3], 3, v[2:3]
	v_cmp_gt_i32_e64 s0, s33, v11
	v_cmp_gt_i64_e64 s16, s[12:13], 0
	v_lshl_or_b32 v16, v15, 8, v1
	v_mov_b32_e32 v1, v4
	v_lshlrev_b32_e32 v5, 3, v14
	v_add_co_u32 v17, vcc_lo, s4, v2
	s_delay_alu instid0(VALU_DEP_1) | instskip(SKIP_3) | instid1(VALU_DEP_2)
	v_add_co_ci_u32_e64 v18, null, s5, v3, vcc_lo
	v_mad_co_u64_u32 v[2:3], null, s22, v9, 0
	v_lshlrev_b64_e32 v[0:1], 3, v[0:1]
	v_lshl_or_b32 v5, v6, 6, v5
	v_add_co_u32 v20, s1, s10, v0
	s_delay_alu instid0(VALU_DEP_4) | instskip(SKIP_1) | instid1(VALU_DEP_4)
	v_mov_b32_e32 v0, v3
	s_wait_alu 0xf1ff
	v_add_co_ci_u32_e64 v21, null, s11, v1, s1
	v_add_nc_u32_e32 v19, 0x800, v5
	v_cmp_gt_i32_e64 s1, s33, v9
	v_mad_co_u64_u32 v[0:1], null, s23, v9, v[0:1]
	v_add_nc_u32_e32 v12, 16, v9
	v_lshlrev_b32_e32 v22, 3, v7
	s_cselect_b32 s10, -1, 0
	s_xor_b32 s11, s31, -1
	s_wait_alu 0xfffe
	s_and_b32 s7, s7, s16
	s_or_b32 s10, s10, s11
	v_mov_b32_e32 v3, v0
	v_mad_co_u64_u32 v[4:5], null, s22, v12, 0
	s_delay_alu instid0(VALU_DEP_1) | instskip(SKIP_1) | instid1(VALU_DEP_2)
	v_mov_b32_e32 v1, v5
	v_cmp_gt_i32_e32 vcc_lo, s33, v10
	v_mad_co_u64_u32 v[10:11], null, s23, v12, v[1:2]
	v_add_nc_u32_e32 v6, s3, v7
	v_lshlrev_b64_e32 v[2:3], 3, v[2:3]
	v_mov_b32_e32 v1, 0
	s_xor_b32 s16, vcc_lo, -1
	s_delay_alu instid0(VALU_DEP_3) | instskip(SKIP_2) | instid1(VALU_DEP_3)
	v_dual_mov_b32 v5, v10 :: v_dual_add_nc_u32 v8, 16, v6
	v_cmp_le_i32_e64 s2, v6, v9
	v_ashrrev_i32_e32 v7, 31, v6
                                        ; implicit-def: $vgpr10_vgpr11
	v_lshlrev_b64_e32 v[4:5], 3, v[4:5]
	s_delay_alu instid0(VALU_DEP_4)
	v_cmp_le_i32_e64 s3, v8, v9
	v_ashrrev_i32_e32 v9, 31, v8
	s_and_b32 s4, s1, s2
	v_cmp_le_i32_e64 s2, v6, v12
	v_lshlrev_b64_e32 v[6:7], 3, v[6:7]
	s_and_b32 s5, s1, s3
	v_cmp_gt_i32_e64 s1, s33, v12
	v_cmp_le_i32_e64 s3, v8, v12
	v_lshlrev_b64_e32 v[8:9], 3, v[8:9]
	s_and_b32 s11, s1, s2
	s_and_b32 s1, s1, s3
	s_branch .LBB240_8
.LBB240_7:                              ;   in Loop: Header=BB240_8 Depth=1
	s_wait_alu 0xfffe
	s_or_b32 exec_lo, exec_lo, s2
	s_add_co_i32 s26, s26, 0x10000
	s_delay_alu instid0(SALU_CYCLE_1)
	s_cmp_lt_u32 s26, s30
	s_cbranch_scc0 .LBB240_42
.LBB240_8:                              ; =>This Loop Header: Depth=1
                                        ;     Child Loop BB240_11 Depth 2
	s_wait_alu 0xfffe
	s_and_not1_b32 vcc_lo, exec_lo, s7
	s_wait_alu 0xfffe
	s_cbranch_vccnz .LBB240_21
; %bb.9:                                ;   in Loop: Header=BB240_8 Depth=1
	s_mul_u64 s[2:3], s[8:9], s[26:27]
	s_mul_u64 s[22:23], s[18:19], s[26:27]
	s_wait_alu 0xfffe
	s_lshl_b64 s[2:3], s[2:3], 3
	v_dual_mov_b32 v26, 0 :: v_dual_mov_b32 v27, 0
	s_wait_alu 0xfffe
	v_add_co_u32 v12, vcc_lo, v17, s2
	s_wait_alu 0xfffd
	v_add_co_ci_u32_e64 v13, null, s3, v18, vcc_lo
	s_lshl_b64 s[2:3], s[22:23], 3
	v_dual_mov_b32 v29, 0 :: v_dual_mov_b32 v28, 0
	s_wait_alu 0xfffe
	v_add_co_u32 v24, vcc_lo, v20, s2
	s_wait_alu 0xfffd
	v_add_co_ci_u32_e64 v25, null, s3, v21, vcc_lo
	v_dual_mov_b32 v31, 0 :: v_dual_mov_b32 v30, 0
	v_dual_mov_b32 v33, 0 :: v_dual_mov_b32 v32, 0
	s_mov_b64 s[2:3], 0
	s_branch .LBB240_11
.LBB240_10:                             ;   in Loop: Header=BB240_11 Depth=2
	s_wait_alu 0xfffe
	s_or_b32 exec_lo, exec_lo, s17
	s_wait_dscnt 0x0
	s_barrier_signal -1
	s_barrier_wait -1
	global_inv scope:SCOPE_SE
	ds_load_b128 v[34:37], v23
	ds_load_2addr_b64 v[38:41], v22 offset1:16
	ds_load_b128 v[42:45], v23 offset:1024
	ds_load_b128 v[46:49], v23 offset:16
	ds_load_b128 v[50:53], v23 offset:32
	ds_load_b128 v[54:57], v23 offset:48
	ds_load_2addr_b64 v[58:61], v22 offset0:32 offset1:48
	ds_load_b128 v[62:65], v23 offset:1040
	s_add_nc_u64 s[2:3], s[2:3], 8
	s_wait_alu 0xfffe
	v_cmp_gt_i64_e64 s17, s[12:13], s[2:3]
	s_and_b32 vcc_lo, exec_lo, s17
	s_wait_dscnt 0x6
	v_mul_f32_e32 v0, v35, v39
	v_dual_mul_f32 v66, v34, v39 :: v_dual_mul_f32 v67, v35, v41
	s_wait_dscnt 0x5
	v_dual_mul_f32 v68, v34, v41 :: v_dual_mul_f32 v69, v43, v39
	v_dual_mul_f32 v39, v42, v39 :: v_dual_mul_f32 v70, v43, v41
	v_mul_f32_e32 v41, v42, v41
	v_fma_f32 v0, v34, v38, -v0
	v_fma_f32 v34, v34, v40, -v67
	v_fmac_f32_e32 v68, v35, v40
	v_fmac_f32_e32 v39, v43, v38
	;; [unrolled: 1-line block ×3, first 2 shown]
	v_add_f32_e32 v0, v32, v0
	v_fmac_f32_e32 v66, v35, v38
	v_fma_f32 v35, v42, v38, -v69
	v_fma_f32 v38, v42, v40, -v70
	v_add_f32_e32 v26, v26, v41
	s_delay_alu instid0(VALU_DEP_4) | instskip(NEXT) | instid1(VALU_DEP_4)
	v_add_f32_e32 v32, v33, v66
	v_dual_add_f32 v33, v30, v34 :: v_dual_add_f32 v34, v28, v35
	v_add_f32_e32 v35, v29, v39
	s_wait_dscnt 0x1
	v_dual_mul_f32 v39, v37, v59 :: v_dual_add_f32 v38, v27, v38
	ds_load_2addr_b64 v[27:30], v22 offset0:64 offset1:80
	v_mul_f32_e32 v42, v37, v61
	v_mul_f32_e32 v41, v36, v61
	;; [unrolled: 1-line block ×3, first 2 shown]
	v_fma_f32 v39, v36, v58, -v39
	v_add_f32_e32 v31, v31, v68
	v_fma_f32 v36, v36, v60, -v42
	s_delay_alu instid0(VALU_DEP_3) | instskip(SKIP_1) | instid1(VALU_DEP_3)
	v_add_f32_e32 v0, v0, v39
	v_mul_f32_e32 v39, v45, v59
	v_add_f32_e32 v36, v33, v36
	v_fmac_f32_e32 v41, v37, v60
	v_fmac_f32_e32 v40, v37, v58
	v_mul_f32_e32 v37, v45, v61
	v_fma_f32 v33, v44, v58, -v39
	s_delay_alu instid0(VALU_DEP_4) | instskip(NEXT) | instid1(VALU_DEP_3)
	v_add_f32_e32 v39, v31, v41
	v_fma_f32 v31, v44, v60, -v37
	v_mul_f32_e32 v41, v44, v61
	s_wait_dscnt 0x0
	v_mul_f32_e32 v37, v46, v28
	v_add_f32_e32 v40, v32, v40
	v_add_f32_e32 v38, v38, v31
	v_dual_mul_f32 v32, v44, v59 :: v_dual_fmac_f32 v41, v45, v60
	v_mul_f32_e32 v44, v47, v30
	s_delay_alu instid0(VALU_DEP_2) | instskip(NEXT) | instid1(VALU_DEP_3)
	v_dual_fmac_f32 v37, v47, v27 :: v_dual_fmac_f32 v32, v45, v58
	v_add_f32_e32 v41, v26, v41
	v_dual_add_f32 v42, v34, v33 :: v_dual_mul_f32 v33, v47, v28
	s_delay_alu instid0(VALU_DEP_3) | instskip(NEXT) | instid1(VALU_DEP_4)
	v_dual_mul_f32 v26, v46, v30 :: v_dual_add_f32 v37, v40, v37
	v_add_f32_e32 v35, v35, v32
	s_delay_alu instid0(VALU_DEP_3) | instskip(SKIP_4) | instid1(VALU_DEP_1)
	v_fma_f32 v43, v46, v27, -v33
	ds_load_2addr_b64 v[31:34], v22 offset0:96 offset1:112
	v_fmac_f32_e32 v26, v47, v29
	v_add_f32_e32 v0, v0, v43
	v_fma_f32 v43, v46, v29, -v44
	v_dual_add_f32 v39, v39, v26 :: v_dual_add_f32 v36, v36, v43
	v_mul_f32_e32 v43, v63, v30
	v_mul_f32_e32 v30, v62, v30
	s_delay_alu instid0(VALU_DEP_2) | instskip(SKIP_1) | instid1(VALU_DEP_3)
	v_fma_f32 v26, v62, v29, -v43
	v_mul_f32_e32 v40, v63, v28
	v_fmac_f32_e32 v30, v63, v29
	s_wait_dscnt 0x0
	v_dual_mul_f32 v28, v62, v28 :: v_dual_mul_f32 v47, v65, v34
	v_add_f32_e32 v43, v38, v26
	v_fma_f32 v40, v62, v27, -v40
	v_dual_mul_f32 v38, v48, v32 :: v_dual_add_f32 v41, v41, v30
	s_delay_alu instid0(VALU_DEP_4) | instskip(SKIP_1) | instid1(VALU_DEP_3)
	v_fmac_f32_e32 v28, v63, v27
	v_mul_f32_e32 v30, v48, v34
	v_fmac_f32_e32 v38, v49, v31
	v_add_f32_e32 v40, v42, v40
	s_delay_alu instid0(VALU_DEP_4)
	v_add_f32_e32 v42, v35, v28
	ds_load_2addr_b64 v[26:29], v22 offset0:128 offset1:144
	v_mul_f32_e32 v35, v49, v32
	v_mul_f32_e32 v44, v49, v34
	v_fmac_f32_e32 v30, v49, v33
	v_mul_f32_e32 v34, v64, v34
	s_delay_alu instid0(VALU_DEP_4)
	v_fma_f32 v35, v48, v31, -v35
	s_wait_dscnt 0x0
	v_mul_f32_e32 v49, v50, v27
	v_fma_f32 v44, v48, v33, -v44
	v_add_f32_e32 v48, v39, v30
	v_fma_f32 v30, v64, v33, -v47
	s_delay_alu instid0(VALU_DEP_4) | instskip(NEXT) | instid1(VALU_DEP_4)
	v_fmac_f32_e32 v49, v51, v26
	v_dual_add_f32 v45, v37, v38 :: v_dual_add_f32 v44, v36, v44
	s_delay_alu instid0(VALU_DEP_3) | instskip(SKIP_1) | instid1(VALU_DEP_3)
	v_dual_add_f32 v43, v43, v30 :: v_dual_add_f32 v0, v0, v35
	v_mul_f32_e32 v35, v65, v32
	v_dual_mul_f32 v32, v64, v32 :: v_dual_add_f32 v45, v45, v49
	s_delay_alu instid0(VALU_DEP_2) | instskip(SKIP_3) | instid1(VALU_DEP_2)
	v_fma_f32 v46, v64, v31, -v35
	ds_load_b128 v[35:38], v23 offset:1056
	v_fmac_f32_e32 v32, v65, v31
	v_dual_mul_f32 v31, v51, v27 :: v_dual_fmac_f32 v34, v65, v33
	v_add_f32_e32 v47, v42, v32
	s_delay_alu instid0(VALU_DEP_2)
	v_fma_f32 v39, v50, v26, -v31
	ds_load_2addr_b64 v[30:33], v22 offset0:160 offset1:176
	v_add_f32_e32 v46, v40, v46
	v_mul_f32_e32 v40, v51, v29
	v_add_f32_e32 v34, v41, v34
	v_add_f32_e32 v0, v0, v39
	s_delay_alu instid0(VALU_DEP_3) | instskip(SKIP_4) | instid1(VALU_DEP_2)
	v_fma_f32 v58, v50, v28, -v40
	ds_load_b128 v[39:42], v23 offset:1072
	s_wait_dscnt 0x2
	v_dual_mul_f32 v50, v50, v29 :: v_dual_mul_f32 v59, v36, v27
	v_mul_f32_e32 v27, v35, v27
	v_dual_fmac_f32 v50, v51, v28 :: v_dual_mul_f32 v51, v36, v29
	s_delay_alu instid0(VALU_DEP_3) | instskip(NEXT) | instid1(VALU_DEP_3)
	v_fma_f32 v49, v35, v26, -v59
	v_fmac_f32_e32 v27, v36, v26
	s_delay_alu instid0(VALU_DEP_3) | instskip(SKIP_2) | instid1(VALU_DEP_4)
	v_add_f32_e32 v48, v48, v50
	v_mul_f32_e32 v50, v35, v29
	v_fma_f32 v26, v35, v28, -v51
	v_add_f32_e32 v35, v47, v27
	s_wait_dscnt 0x1
	s_delay_alu instid0(VALU_DEP_3) | instskip(NEXT) | instid1(VALU_DEP_3)
	v_dual_mul_f32 v47, v53, v31 :: v_dual_fmac_f32 v50, v36, v28
	v_add_f32_e32 v43, v43, v26
	ds_load_2addr_b64 v[26:29], v22 offset0:192 offset1:208
	v_mul_f32_e32 v36, v52, v31
	v_add_f32_e32 v46, v46, v49
	v_fma_f32 v47, v52, v30, -v47
	v_mul_f32_e32 v49, v53, v33
	s_delay_alu instid0(VALU_DEP_4) | instskip(NEXT) | instid1(VALU_DEP_3)
	v_fmac_f32_e32 v36, v53, v30
	v_add_f32_e32 v0, v0, v47
	s_delay_alu instid0(VALU_DEP_3) | instskip(NEXT) | instid1(VALU_DEP_3)
	v_fma_f32 v47, v52, v32, -v49
	v_dual_add_f32 v45, v45, v36 :: v_dual_mul_f32 v36, v38, v31
	v_mul_f32_e32 v31, v37, v31
	s_delay_alu instid0(VALU_DEP_2) | instskip(NEXT) | instid1(VALU_DEP_2)
	v_fma_f32 v36, v37, v30, -v36
	v_fmac_f32_e32 v31, v38, v30
	v_add_f32_e32 v44, v44, v58
	s_delay_alu instid0(VALU_DEP_2) | instskip(NEXT) | instid1(VALU_DEP_2)
	v_dual_mul_f32 v30, v37, v33 :: v_dual_add_f32 v31, v35, v31
	v_dual_add_f32 v44, v44, v47 :: v_dual_mul_f32 v47, v38, v33
	v_add_f32_e32 v50, v34, v50
	v_mul_f32_e32 v34, v52, v33
	s_delay_alu instid0(VALU_DEP_4) | instskip(NEXT) | instid1(VALU_DEP_4)
	v_fmac_f32_e32 v30, v38, v32
	v_fma_f32 v33, v37, v32, -v47
	s_wait_dscnt 0x0
	s_delay_alu instid0(VALU_DEP_3) | instskip(NEXT) | instid1(VALU_DEP_2)
	v_dual_mul_f32 v47, v40, v27 :: v_dual_fmac_f32 v34, v53, v32
	v_dual_add_f32 v32, v43, v33 :: v_dual_mul_f32 v33, v54, v27
	v_mul_f32_e32 v43, v55, v29
	s_delay_alu instid0(VALU_DEP_2) | instskip(NEXT) | instid1(VALU_DEP_2)
	v_dual_fmac_f32 v33, v55, v26 :: v_dual_add_f32 v46, v46, v36
	v_fma_f32 v43, v54, v28, -v43
	s_delay_alu instid0(VALU_DEP_2) | instskip(SKIP_3) | instid1(VALU_DEP_3)
	v_dual_add_f32 v33, v45, v33 :: v_dual_add_f32 v48, v48, v34
	v_mul_f32_e32 v34, v55, v27
	v_mul_f32_e32 v27, v39, v27
	;; [unrolled: 1-line block ×3, first 2 shown]
	v_fma_f32 v38, v54, v26, -v34
	ds_load_2addr_b64 v[34:37], v22 offset0:224 offset1:240
	v_fmac_f32_e32 v27, v40, v26
	v_add_f32_e32 v30, v50, v30
	s_wait_loadcnt_dscnt 0x0
	v_add_f32_e32 v0, v0, v38
	s_barrier_signal -1
	v_dual_add_f32 v27, v31, v27 :: v_dual_mul_f32 v38, v54, v29
	v_mul_f32_e32 v29, v39, v29
	s_barrier_wait -1
	global_inv scope:SCOPE_SE
	v_fmac_f32_e32 v38, v55, v28
	v_fmac_f32_e32 v29, v40, v28
	s_delay_alu instid0(VALU_DEP_1) | instskip(SKIP_2) | instid1(VALU_DEP_2)
	v_add_f32_e32 v40, v30, v29
	v_mul_f32_e32 v29, v56, v37
	v_mul_f32_e32 v31, v57, v35
	v_fmac_f32_e32 v29, v57, v36
	v_add_f32_e32 v43, v44, v43
	v_fma_f32 v44, v39, v26, -v47
	v_fma_f32 v39, v39, v28, -v45
	;; [unrolled: 1-line block ×3, first 2 shown]
	s_delay_alu instid0(VALU_DEP_2) | instskip(SKIP_1) | instid1(VALU_DEP_2)
	v_dual_add_f32 v39, v32, v39 :: v_dual_mul_f32 v32, v57, v37
	v_mul_f32_e32 v28, v56, v35
	v_fma_f32 v30, v56, v36, -v32
	s_delay_alu instid0(VALU_DEP_4) | instskip(SKIP_1) | instid1(VALU_DEP_4)
	v_add_f32_e32 v32, v0, v31
	v_mul_f32_e32 v0, v42, v35
	v_fmac_f32_e32 v28, v57, v34
	s_delay_alu instid0(VALU_DEP_4) | instskip(SKIP_1) | instid1(VALU_DEP_4)
	v_dual_mul_f32 v35, v41, v35 :: v_dual_add_f32 v30, v43, v30
	v_mul_f32_e32 v43, v42, v37
	v_fma_f32 v0, v41, v34, -v0
	v_dual_mul_f32 v37, v41, v37 :: v_dual_add_f32 v26, v48, v38
	v_add_f32_e32 v38, v46, v44
	v_add_f32_e32 v33, v33, v28
	v_fmac_f32_e32 v35, v42, v34
	s_delay_alu instid0(VALU_DEP_4) | instskip(SKIP_3) | instid1(VALU_DEP_4)
	v_fmac_f32_e32 v37, v42, v36
	v_add_f32_e32 v31, v26, v29
	v_add_f32_e32 v28, v38, v0
	v_fma_f32 v0, v41, v36, -v43
	v_dual_add_f32 v29, v27, v35 :: v_dual_add_f32 v26, v40, v37
	s_delay_alu instid0(VALU_DEP_2)
	v_add_f32_e32 v27, v39, v0
	s_wait_alu 0xfffe
	s_cbranch_vccz .LBB240_22
.LBB240_11:                             ;   Parent Loop BB240_8 Depth=1
                                        ; =>  This Inner Loop Header: Depth=2
	s_mov_b32 s17, 0
	s_mov_b32 s23, s6
	s_and_saveexec_b32 s22, s0
	s_cbranch_execnz .LBB240_19
; %bb.12:                               ;   in Loop: Header=BB240_11 Depth=2
	s_wait_alu 0xfffe
	s_or_b32 exec_lo, exec_lo, s22
	s_and_saveexec_b32 s22, s23
	s_wait_alu 0xfffe
	s_xor_b32 s22, exec_lo, s22
	s_cbranch_execnz .LBB240_20
.LBB240_13:                             ;   in Loop: Header=BB240_11 Depth=2
	s_wait_alu 0xfffe
	s_or_b32 exec_lo, exec_lo, s22
	v_mov_b32_e32 v34, 0
	s_and_saveexec_b32 s22, s17
	s_cbranch_execz .LBB240_15
.LBB240_14:                             ;   in Loop: Header=BB240_11 Depth=2
	v_lshlrev_b64_e32 v[34:35], 3, v[10:11]
	s_delay_alu instid0(VALU_DEP_1) | instskip(SKIP_1) | instid1(VALU_DEP_2)
	v_add_co_u32 v34, vcc_lo, v12, v34
	s_wait_alu 0xfffd
	v_add_co_ci_u32_e64 v35, null, v13, v35, vcc_lo
	global_load_b64 v[35:36], v[34:35], off
	s_wait_loadcnt 0x0
	v_xor_b32_e32 v34, 0x80000000, v36
	ds_store_b32 v16, v35
.LBB240_15:                             ;   in Loop: Header=BB240_11 Depth=2
	s_wait_alu 0xfffe
	s_or_b32 exec_lo, exec_lo, s22
	v_add_nc_u32_e32 v0, s2, v14
	ds_store_b32 v16, v34 offset:4
	v_cmp_le_u64_e32 vcc_lo, s[12:13], v[0:1]
	s_or_b32 s17, vcc_lo, s16
	s_wait_alu 0xfffe
	s_and_saveexec_b32 s22, s17
	s_wait_alu 0xfffe
	s_xor_b32 s17, exec_lo, s22
; %bb.16:                               ;   in Loop: Header=BB240_11 Depth=2
	v_mov_b32_e32 v0, v1
	ds_store_b64 v19, v[0:1]
; %bb.17:                               ;   in Loop: Header=BB240_11 Depth=2
	s_wait_alu 0xfffe
	s_and_not1_saveexec_b32 s17, s17
	s_cbranch_execz .LBB240_10
; %bb.18:                               ;   in Loop: Header=BB240_11 Depth=2
	v_lshlrev_b64_e32 v[34:35], 3, v[0:1]
	s_delay_alu instid0(VALU_DEP_1) | instskip(SKIP_1) | instid1(VALU_DEP_2)
	v_add_co_u32 v34, vcc_lo, v24, v34
	s_wait_alu 0xfffd
	v_add_co_ci_u32_e64 v35, null, v25, v35, vcc_lo
	global_load_b64 v[34:35], v[34:35], off
	s_wait_loadcnt 0x0
	ds_store_b64 v19, v[34:35]
	s_branch .LBB240_10
.LBB240_19:                             ;   in Loop: Header=BB240_11 Depth=2
	s_wait_alu 0xfffe
	v_add_nc_u32_e32 v0, s2, v15
	v_mov_b32_e32 v11, v1
	s_and_not1_b32 s23, s6, exec_lo
	s_mov_b32 s17, exec_lo
	s_delay_alu instid0(VALU_DEP_2)
	v_cmp_le_u64_e32 vcc_lo, s[12:13], v[0:1]
	v_mov_b32_e32 v10, v0
	s_and_b32 s31, vcc_lo, exec_lo
	s_wait_alu 0xfffe
	s_or_b32 s23, s23, s31
	s_or_b32 exec_lo, exec_lo, s22
	s_wait_alu 0xfffe
	s_and_saveexec_b32 s22, s23
	s_wait_alu 0xfffe
	s_xor_b32 s22, exec_lo, s22
	s_cbranch_execz .LBB240_13
.LBB240_20:                             ;   in Loop: Header=BB240_11 Depth=2
	s_and_not1_b32 s17, s17, exec_lo
	ds_store_b32 v16, v1
	s_wait_alu 0xfffe
	s_or_b32 exec_lo, exec_lo, s22
	v_mov_b32_e32 v34, 0
	s_and_saveexec_b32 s22, s17
	s_cbranch_execnz .LBB240_14
	s_branch .LBB240_15
.LBB240_21:                             ;   in Loop: Header=BB240_8 Depth=1
	v_dual_mov_b32 v32, v1 :: v_dual_mov_b32 v33, v1
	v_dual_mov_b32 v30, v1 :: v_dual_mov_b32 v31, v1
	;; [unrolled: 1-line block ×4, first 2 shown]
.LBB240_22:                             ;   in Loop: Header=BB240_8 Depth=1
	s_mul_u64 s[2:3], s[28:29], s[26:27]
	s_wait_alu 0xfffe
	s_lshl_b64 s[2:3], s[2:3], 3
	s_wait_alu 0xfffe
	s_add_nc_u64 s[2:3], s[20:21], s[2:3]
	s_wait_alu 0xfffe
	v_add_co_u32 v0, vcc_lo, s2, v2
	s_wait_alu 0xfffd
	v_add_co_ci_u32_e64 v24, null, s3, v3, vcc_lo
	s_and_saveexec_b32 s17, s4
	s_cbranch_execz .LBB240_27
; %bb.23:                               ;   in Loop: Header=BB240_8 Depth=1
	v_mul_f32_e32 v13, s14, v33
	v_mul_f32_e32 v12, s15, v33
	s_and_b32 vcc_lo, exec_lo, s10
	s_mov_b32 s22, -1
	s_delay_alu instid0(VALU_DEP_2) | instskip(NEXT) | instid1(VALU_DEP_2)
	v_fmac_f32_e32 v13, s15, v32
	v_fma_f32 v12, v32, s14, -v12
	s_wait_alu 0xfffe
	s_cbranch_vccz .LBB240_25
; %bb.24:                               ;   in Loop: Header=BB240_8 Depth=1
	v_add_co_u32 v32, vcc_lo, v0, v6
	s_wait_alu 0xfffd
	v_add_co_ci_u32_e64 v33, null, v24, v7, vcc_lo
	s_mov_b32 s22, 0
	global_load_b64 v[34:35], v[32:33], off
	s_wait_loadcnt 0x0
	v_mul_f32_e32 v25, s25, v35
	s_delay_alu instid0(VALU_DEP_1) | instskip(SKIP_1) | instid1(VALU_DEP_1)
	v_fma_f32 v25, v34, s24, -v25
	v_mul_f32_e32 v35, s24, v35
	v_dual_fmac_f32 v35, s25, v34 :: v_dual_add_f32 v34, v12, v25
	s_delay_alu instid0(VALU_DEP_1)
	v_add_f32_e32 v35, v13, v35
	global_store_b64 v[32:33], v[34:35], off
.LBB240_25:                             ;   in Loop: Header=BB240_8 Depth=1
	s_wait_alu 0xfffe
	s_and_not1_b32 vcc_lo, exec_lo, s22
	s_wait_alu 0xfffe
	s_cbranch_vccnz .LBB240_27
; %bb.26:                               ;   in Loop: Header=BB240_8 Depth=1
	v_add_co_u32 v32, vcc_lo, v0, v6
	s_wait_alu 0xfffd
	v_add_co_ci_u32_e64 v33, null, v24, v7, vcc_lo
	global_store_b64 v[32:33], v[12:13], off
.LBB240_27:                             ;   in Loop: Header=BB240_8 Depth=1
	s_wait_alu 0xfffe
	s_or_b32 exec_lo, exec_lo, s17
	s_and_saveexec_b32 s17, s5
	s_cbranch_execz .LBB240_32
; %bb.28:                               ;   in Loop: Header=BB240_8 Depth=1
	v_mul_f32_e32 v13, s14, v31
	v_mul_f32_e32 v12, s15, v31
	s_and_not1_b32 vcc_lo, exec_lo, s10
	s_mov_b32 s22, -1
	s_delay_alu instid0(VALU_DEP_2) | instskip(NEXT) | instid1(VALU_DEP_2)
	v_fmac_f32_e32 v13, s15, v30
	v_fma_f32 v12, v30, s14, -v12
	s_wait_alu 0xfffe
	s_cbranch_vccnz .LBB240_30
; %bb.29:                               ;   in Loop: Header=BB240_8 Depth=1
	v_add_co_u32 v30, vcc_lo, v0, v8
	s_wait_alu 0xfffd
	v_add_co_ci_u32_e64 v31, null, v24, v9, vcc_lo
	s_mov_b32 s22, 0
	global_load_b64 v[32:33], v[30:31], off
	s_wait_loadcnt 0x0
	v_mul_f32_e32 v25, s25, v33
	v_mul_f32_e32 v33, s24, v33
	s_delay_alu instid0(VALU_DEP_2) | instskip(NEXT) | instid1(VALU_DEP_1)
	v_fma_f32 v25, v32, s24, -v25
	v_dual_fmac_f32 v33, s25, v32 :: v_dual_add_f32 v32, v12, v25
	s_delay_alu instid0(VALU_DEP_1)
	v_add_f32_e32 v33, v13, v33
	global_store_b64 v[30:31], v[32:33], off
.LBB240_30:                             ;   in Loop: Header=BB240_8 Depth=1
	s_wait_alu 0xfffe
	s_and_not1_b32 vcc_lo, exec_lo, s22
	s_wait_alu 0xfffe
	s_cbranch_vccnz .LBB240_32
; %bb.31:                               ;   in Loop: Header=BB240_8 Depth=1
	v_add_co_u32 v30, vcc_lo, v0, v8
	s_wait_alu 0xfffd
	v_add_co_ci_u32_e64 v31, null, v24, v9, vcc_lo
	global_store_b64 v[30:31], v[12:13], off
.LBB240_32:                             ;   in Loop: Header=BB240_8 Depth=1
	s_wait_alu 0xfffe
	s_or_b32 exec_lo, exec_lo, s17
	v_add_co_u32 v0, vcc_lo, s2, v4
	s_wait_alu 0xfffd
	v_add_co_ci_u32_e64 v24, null, s3, v5, vcc_lo
	s_and_saveexec_b32 s2, s11
	s_cbranch_execz .LBB240_37
; %bb.33:                               ;   in Loop: Header=BB240_8 Depth=1
	v_mul_f32_e32 v13, s14, v29
	v_mul_f32_e32 v12, s15, v29
	s_and_not1_b32 vcc_lo, exec_lo, s10
	s_mov_b32 s3, -1
	s_delay_alu instid0(VALU_DEP_2) | instskip(NEXT) | instid1(VALU_DEP_2)
	v_fmac_f32_e32 v13, s15, v28
	v_fma_f32 v12, v28, s14, -v12
	s_wait_alu 0xfffe
	s_cbranch_vccnz .LBB240_35
; %bb.34:                               ;   in Loop: Header=BB240_8 Depth=1
	v_add_co_u32 v28, vcc_lo, v0, v6
	s_wait_alu 0xfffd
	v_add_co_ci_u32_e64 v29, null, v24, v7, vcc_lo
	s_mov_b32 s3, 0
	global_load_b64 v[30:31], v[28:29], off
	s_wait_loadcnt 0x0
	v_mul_f32_e32 v25, s25, v31
	s_delay_alu instid0(VALU_DEP_1) | instskip(SKIP_1) | instid1(VALU_DEP_1)
	v_fma_f32 v25, v30, s24, -v25
	v_mul_f32_e32 v31, s24, v31
	v_dual_fmac_f32 v31, s25, v30 :: v_dual_add_f32 v30, v12, v25
	s_delay_alu instid0(VALU_DEP_1)
	v_add_f32_e32 v31, v13, v31
	global_store_b64 v[28:29], v[30:31], off
.LBB240_35:                             ;   in Loop: Header=BB240_8 Depth=1
	s_wait_alu 0xfffe
	s_and_not1_b32 vcc_lo, exec_lo, s3
	s_wait_alu 0xfffe
	s_cbranch_vccnz .LBB240_37
; %bb.36:                               ;   in Loop: Header=BB240_8 Depth=1
	v_add_co_u32 v28, vcc_lo, v0, v6
	s_wait_alu 0xfffd
	v_add_co_ci_u32_e64 v29, null, v24, v7, vcc_lo
	global_store_b64 v[28:29], v[12:13], off
.LBB240_37:                             ;   in Loop: Header=BB240_8 Depth=1
	s_wait_alu 0xfffe
	s_or_b32 exec_lo, exec_lo, s2
	s_and_saveexec_b32 s2, s1
	s_cbranch_execz .LBB240_7
; %bb.38:                               ;   in Loop: Header=BB240_8 Depth=1
	v_mul_f32_e32 v13, s14, v26
	v_mul_f32_e32 v12, s15, v26
	s_and_not1_b32 vcc_lo, exec_lo, s10
	s_mov_b32 s3, -1
	s_delay_alu instid0(VALU_DEP_2) | instskip(NEXT) | instid1(VALU_DEP_2)
	v_fmac_f32_e32 v13, s15, v27
	v_fma_f32 v12, v27, s14, -v12
	s_wait_alu 0xfffe
	s_cbranch_vccnz .LBB240_40
; %bb.39:                               ;   in Loop: Header=BB240_8 Depth=1
	v_add_co_u32 v25, vcc_lo, v0, v8
	s_wait_alu 0xfffd
	v_add_co_ci_u32_e64 v26, null, v24, v9, vcc_lo
	s_mov_b32 s3, 0
	global_load_b64 v[27:28], v[25:26], off
	s_wait_loadcnt 0x0
	v_mul_f32_e32 v29, s25, v28
	v_mul_f32_e32 v28, s24, v28
	s_delay_alu instid0(VALU_DEP_1) | instskip(NEXT) | instid1(VALU_DEP_3)
	v_fmac_f32_e32 v28, s25, v27
	v_fma_f32 v29, v27, s24, -v29
	s_delay_alu instid0(VALU_DEP_1)
	v_dual_add_f32 v28, v13, v28 :: v_dual_add_f32 v27, v12, v29
	global_store_b64 v[25:26], v[27:28], off
.LBB240_40:                             ;   in Loop: Header=BB240_8 Depth=1
	s_wait_alu 0xfffe
	s_and_not1_b32 vcc_lo, exec_lo, s3
	s_wait_alu 0xfffe
	s_cbranch_vccnz .LBB240_7
; %bb.41:                               ;   in Loop: Header=BB240_8 Depth=1
	v_add_co_u32 v25, vcc_lo, v0, v8
	s_wait_alu 0xfffd
	v_add_co_ci_u32_e64 v26, null, v24, v9, vcc_lo
	global_store_b64 v[25:26], v[12:13], off
	s_branch .LBB240_7
.LBB240_42:
	s_endpgm
	.section	.rodata,"a",@progbits
	.p2align	6, 0x0
	.amdhsa_kernel _ZL29rocblas_internal_gemmt_kernelIlLi16ELi32ELi8ELc67ELc78ELc85ELb1ELb0E19rocblas_complex_numIfES1_PKS1_PS1_EviT_T9_T10_S5_lS7_S5_lS6_T11_S5_li
		.amdhsa_group_segment_fixed_size 4096
		.amdhsa_private_segment_fixed_size 0
		.amdhsa_kernarg_size 108
		.amdhsa_user_sgpr_count 2
		.amdhsa_user_sgpr_dispatch_ptr 0
		.amdhsa_user_sgpr_queue_ptr 0
		.amdhsa_user_sgpr_kernarg_segment_ptr 1
		.amdhsa_user_sgpr_dispatch_id 0
		.amdhsa_user_sgpr_private_segment_size 0
		.amdhsa_wavefront_size32 1
		.amdhsa_uses_dynamic_stack 0
		.amdhsa_enable_private_segment 0
		.amdhsa_system_sgpr_workgroup_id_x 1
		.amdhsa_system_sgpr_workgroup_id_y 1
		.amdhsa_system_sgpr_workgroup_id_z 1
		.amdhsa_system_sgpr_workgroup_info 0
		.amdhsa_system_vgpr_workitem_id 1
		.amdhsa_next_free_vgpr 71
		.amdhsa_next_free_sgpr 34
		.amdhsa_reserve_vcc 1
		.amdhsa_float_round_mode_32 0
		.amdhsa_float_round_mode_16_64 0
		.amdhsa_float_denorm_mode_32 3
		.amdhsa_float_denorm_mode_16_64 3
		.amdhsa_fp16_overflow 0
		.amdhsa_workgroup_processor_mode 1
		.amdhsa_memory_ordered 1
		.amdhsa_forward_progress 1
		.amdhsa_inst_pref_size 26
		.amdhsa_round_robin_scheduling 0
		.amdhsa_exception_fp_ieee_invalid_op 0
		.amdhsa_exception_fp_denorm_src 0
		.amdhsa_exception_fp_ieee_div_zero 0
		.amdhsa_exception_fp_ieee_overflow 0
		.amdhsa_exception_fp_ieee_underflow 0
		.amdhsa_exception_fp_ieee_inexact 0
		.amdhsa_exception_int_div_zero 0
	.end_amdhsa_kernel
	.section	.text._ZL29rocblas_internal_gemmt_kernelIlLi16ELi32ELi8ELc67ELc78ELc85ELb1ELb0E19rocblas_complex_numIfES1_PKS1_PS1_EviT_T9_T10_S5_lS7_S5_lS6_T11_S5_li,"axG",@progbits,_ZL29rocblas_internal_gemmt_kernelIlLi16ELi32ELi8ELc67ELc78ELc85ELb1ELb0E19rocblas_complex_numIfES1_PKS1_PS1_EviT_T9_T10_S5_lS7_S5_lS6_T11_S5_li,comdat
.Lfunc_end240:
	.size	_ZL29rocblas_internal_gemmt_kernelIlLi16ELi32ELi8ELc67ELc78ELc85ELb1ELb0E19rocblas_complex_numIfES1_PKS1_PS1_EviT_T9_T10_S5_lS7_S5_lS6_T11_S5_li, .Lfunc_end240-_ZL29rocblas_internal_gemmt_kernelIlLi16ELi32ELi8ELc67ELc78ELc85ELb1ELb0E19rocblas_complex_numIfES1_PKS1_PS1_EviT_T9_T10_S5_lS7_S5_lS6_T11_S5_li
                                        ; -- End function
	.set _ZL29rocblas_internal_gemmt_kernelIlLi16ELi32ELi8ELc67ELc78ELc85ELb1ELb0E19rocblas_complex_numIfES1_PKS1_PS1_EviT_T9_T10_S5_lS7_S5_lS6_T11_S5_li.num_vgpr, 71
	.set _ZL29rocblas_internal_gemmt_kernelIlLi16ELi32ELi8ELc67ELc78ELc85ELb1ELb0E19rocblas_complex_numIfES1_PKS1_PS1_EviT_T9_T10_S5_lS7_S5_lS6_T11_S5_li.num_agpr, 0
	.set _ZL29rocblas_internal_gemmt_kernelIlLi16ELi32ELi8ELc67ELc78ELc85ELb1ELb0E19rocblas_complex_numIfES1_PKS1_PS1_EviT_T9_T10_S5_lS7_S5_lS6_T11_S5_li.numbered_sgpr, 34
	.set _ZL29rocblas_internal_gemmt_kernelIlLi16ELi32ELi8ELc67ELc78ELc85ELb1ELb0E19rocblas_complex_numIfES1_PKS1_PS1_EviT_T9_T10_S5_lS7_S5_lS6_T11_S5_li.num_named_barrier, 0
	.set _ZL29rocblas_internal_gemmt_kernelIlLi16ELi32ELi8ELc67ELc78ELc85ELb1ELb0E19rocblas_complex_numIfES1_PKS1_PS1_EviT_T9_T10_S5_lS7_S5_lS6_T11_S5_li.private_seg_size, 0
	.set _ZL29rocblas_internal_gemmt_kernelIlLi16ELi32ELi8ELc67ELc78ELc85ELb1ELb0E19rocblas_complex_numIfES1_PKS1_PS1_EviT_T9_T10_S5_lS7_S5_lS6_T11_S5_li.uses_vcc, 1
	.set _ZL29rocblas_internal_gemmt_kernelIlLi16ELi32ELi8ELc67ELc78ELc85ELb1ELb0E19rocblas_complex_numIfES1_PKS1_PS1_EviT_T9_T10_S5_lS7_S5_lS6_T11_S5_li.uses_flat_scratch, 0
	.set _ZL29rocblas_internal_gemmt_kernelIlLi16ELi32ELi8ELc67ELc78ELc85ELb1ELb0E19rocblas_complex_numIfES1_PKS1_PS1_EviT_T9_T10_S5_lS7_S5_lS6_T11_S5_li.has_dyn_sized_stack, 0
	.set _ZL29rocblas_internal_gemmt_kernelIlLi16ELi32ELi8ELc67ELc78ELc85ELb1ELb0E19rocblas_complex_numIfES1_PKS1_PS1_EviT_T9_T10_S5_lS7_S5_lS6_T11_S5_li.has_recursion, 0
	.set _ZL29rocblas_internal_gemmt_kernelIlLi16ELi32ELi8ELc67ELc78ELc85ELb1ELb0E19rocblas_complex_numIfES1_PKS1_PS1_EviT_T9_T10_S5_lS7_S5_lS6_T11_S5_li.has_indirect_call, 0
	.section	.AMDGPU.csdata,"",@progbits
; Kernel info:
; codeLenInByte = 3308
; TotalNumSgprs: 36
; NumVgprs: 71
; ScratchSize: 0
; MemoryBound: 0
; FloatMode: 240
; IeeeMode: 1
; LDSByteSize: 4096 bytes/workgroup (compile time only)
; SGPRBlocks: 0
; VGPRBlocks: 8
; NumSGPRsForWavesPerEU: 36
; NumVGPRsForWavesPerEU: 71
; Occupancy: 16
; WaveLimiterHint : 0
; COMPUTE_PGM_RSRC2:SCRATCH_EN: 0
; COMPUTE_PGM_RSRC2:USER_SGPR: 2
; COMPUTE_PGM_RSRC2:TRAP_HANDLER: 0
; COMPUTE_PGM_RSRC2:TGID_X_EN: 1
; COMPUTE_PGM_RSRC2:TGID_Y_EN: 1
; COMPUTE_PGM_RSRC2:TGID_Z_EN: 1
; COMPUTE_PGM_RSRC2:TIDIG_COMP_CNT: 1
	.section	.text._ZL29rocblas_internal_gemmt_kernelIlLi16ELi32ELi8ELc67ELc84ELc85ELb1ELb0E19rocblas_complex_numIfES1_PKS1_PS1_EviT_T9_T10_S5_lS7_S5_lS6_T11_S5_li,"axG",@progbits,_ZL29rocblas_internal_gemmt_kernelIlLi16ELi32ELi8ELc67ELc84ELc85ELb1ELb0E19rocblas_complex_numIfES1_PKS1_PS1_EviT_T9_T10_S5_lS7_S5_lS6_T11_S5_li,comdat
	.globl	_ZL29rocblas_internal_gemmt_kernelIlLi16ELi32ELi8ELc67ELc84ELc85ELb1ELb0E19rocblas_complex_numIfES1_PKS1_PS1_EviT_T9_T10_S5_lS7_S5_lS6_T11_S5_li ; -- Begin function _ZL29rocblas_internal_gemmt_kernelIlLi16ELi32ELi8ELc67ELc84ELc85ELb1ELb0E19rocblas_complex_numIfES1_PKS1_PS1_EviT_T9_T10_S5_lS7_S5_lS6_T11_S5_li
	.p2align	8
	.type	_ZL29rocblas_internal_gemmt_kernelIlLi16ELi32ELi8ELc67ELc84ELc85ELb1ELb0E19rocblas_complex_numIfES1_PKS1_PS1_EviT_T9_T10_S5_lS7_S5_lS6_T11_S5_li,@function
_ZL29rocblas_internal_gemmt_kernelIlLi16ELi32ELi8ELc67ELc84ELc85ELb1ELb0E19rocblas_complex_numIfES1_PKS1_PS1_EviT_T9_T10_S5_lS7_S5_lS6_T11_S5_li: ; @_ZL29rocblas_internal_gemmt_kernelIlLi16ELi32ELi8ELc67ELc84ELc85ELb1ELb0E19rocblas_complex_numIfES1_PKS1_PS1_EviT_T9_T10_S5_lS7_S5_lS6_T11_S5_li
; %bb.0:
	s_clause 0x1
	s_load_b64 s[24:25], s[0:1], 0x48
	s_load_b128 s[12:15], s[0:1], 0x8
	s_wait_kmcnt 0x0
	s_cmp_eq_f32 s24, 1.0
	s_cselect_b32 s2, -1, 0
	s_and_b32 s3, s25, 0x7fffffff
	s_delay_alu instid0(SALU_CYCLE_1) | instskip(SKIP_1) | instid1(SALU_CYCLE_1)
	s_cmp_eq_u32 s3, 0
	s_cselect_b32 s31, -1, 0
	s_and_b32 s3, s2, s31
	s_mov_b32 s2, 0
	s_and_not1_b32 vcc_lo, exec_lo, s3
	s_mov_b32 s3, -1
	s_cbranch_vccnz .LBB241_4
; %bb.1:
	s_cmp_lg_u64 s[12:13], 0
	s_cbranch_scc0 .LBB241_3
; %bb.2:
	s_cmp_neq_f32 s14, 0
	s_cselect_b32 s2, -1, 0
	s_cmp_neq_f32 s15, 0
	s_cselect_b32 s3, -1, 0
	s_delay_alu instid0(SALU_CYCLE_1)
	s_or_b32 s2, s2, s3
.LBB241_3:
	s_delay_alu instid0(SALU_CYCLE_1)
	s_mov_b32 s3, s2
.LBB241_4:
	s_delay_alu instid0(SALU_CYCLE_1)
	s_and_b32 vcc_lo, exec_lo, s3
	s_cbranch_vccz .LBB241_42
; %bb.5:
	s_load_b32 s30, s[0:1], 0x68
	s_lshr_b32 s26, ttmp7, 16
	s_wait_kmcnt 0x0
	s_cmp_ge_u32 s26, s30
	s_cbranch_scc1 .LBB241_42
; %bb.6:
	v_and_b32_e32 v7, 0x3ff, v0
	v_bfe_u32 v8, v0, 10, 10
	s_load_b256 s[4:11], s[0:1], 0x18
	s_lshl_b32 s2, ttmp7, 5
	s_lshl_b32 s3, ttmp9, 5
	s_and_b32 s2, s2, 0x1fffe0
	v_lshl_add_u32 v2, v8, 4, v7
	s_cmp_neq_f32 s14, 0
	v_and_b32_e32 v14, 7, v0
	s_clause 0x3
	s_load_b32 s33, s[0:1], 0x0
	s_load_b128 s[16:19], s[0:1], 0x38
	s_load_b128 s[20:23], s[0:1], 0x50
	s_load_b64 s[28:29], s[0:1], 0x60
	v_and_b32_e32 v3, 31, v2
	s_cselect_b32 s0, -1, 0
	s_cmp_neq_f32 s15, 0
	v_lshrrev_b32_e32 v6, 3, v2
	v_lshrrev_b32_e32 v15, 5, v2
	v_or_b32_e32 v4, s3, v3
	s_cselect_b32 s1, -1, 0
	s_ashr_i32 s34, s3, 31
	v_add_nc_u32_e32 v2, s2, v6
	v_lshlrev_b32_e32 v3, 3, v3
	v_add_nc_u32_e32 v11, s2, v8
	s_wait_kmcnt 0x0
	v_mul_lo_u32 v5, s7, v4
	v_mad_co_u64_u32 v[0:1], null, s6, v4, 0
	s_mul_i32 s6, s6, s34
	v_lshl_or_b32 v16, v15, 8, v3
	v_add_nc_u32_e32 v12, 16, v11
	s_or_b32 s34, s0, s1
	v_cmp_gt_i32_e64 s0, s33, v4
	v_lshl_add_u32 v23, v8, 6, 0x800
	s_wait_alu 0xfffe
	v_add3_u32 v1, v1, s6, v5
	v_cmp_le_i32_e64 s6, s33, v4
	s_cmp_neq_f32 s24, 0
	v_cmp_gt_i64_e64 s7, s[12:13], 0
	s_mov_b32 s27, 0
	v_lshlrev_b64_e32 v[0:1], 3, v[0:1]
	s_delay_alu instid0(VALU_DEP_1) | instskip(NEXT) | instid1(VALU_DEP_1)
	v_add_co_u32 v17, vcc_lo, s4, v0
	v_add_co_ci_u32_e64 v18, null, s5, v1, vcc_lo
	v_mov_b32_e32 v1, 0
	v_lshlrev_b32_e32 v9, 3, v14
	v_cmp_gt_i32_e32 vcc_lo, s33, v2
	v_lshlrev_b32_e32 v0, 3, v2
	v_mad_co_u64_u32 v[2:3], null, s22, v11, 0
	s_delay_alu instid0(VALU_DEP_4) | instskip(NEXT) | instid1(VALU_DEP_3)
	v_lshl_or_b32 v5, v6, 6, v9
	v_add_co_u32 v20, s1, s10, v0
	s_delay_alu instid0(VALU_DEP_1) | instskip(NEXT) | instid1(VALU_DEP_3)
	v_add_co_ci_u32_e64 v21, null, s11, 0, s1
	v_add_nc_u32_e32 v19, 0x800, v5
	v_mad_co_u64_u32 v[4:5], null, s22, v12, 0
	v_mov_b32_e32 v0, v3
	v_add_nc_u32_e32 v6, s3, v7
	v_cmp_gt_i32_e64 s1, s33, v11
	v_lshlrev_b32_e32 v22, 3, v7
	s_cselect_b32 s10, -1, 0
	v_mad_co_u64_u32 v[9:10], null, s23, v11, v[0:1]
	v_add_nc_u32_e32 v8, 16, v6
	v_mov_b32_e32 v0, v5
	v_cmp_le_i32_e64 s2, v6, v11
	v_ashrrev_i32_e32 v7, 31, v6
	s_xor_b32 s11, s31, -1
	v_cmp_le_i32_e64 s3, v8, v11
	v_mad_co_u64_u32 v[10:11], null, s23, v12, v[0:1]
	v_mov_b32_e32 v3, v9
	v_ashrrev_i32_e32 v9, 31, v8
	s_and_b32 s4, s1, s2
	s_and_b32 s5, s1, s3
	v_cmp_gt_i32_e64 s1, s33, v12
	v_cmp_le_i32_e64 s2, v6, v12
	v_mov_b32_e32 v5, v10
	v_cmp_le_i32_e64 s3, v8, v12
	v_lshlrev_b64_e32 v[2:3], 3, v[2:3]
	v_lshlrev_b64_e32 v[6:7], 3, v[6:7]
	;; [unrolled: 1-line block ×4, first 2 shown]
	s_and_b32 s7, s34, s7
	s_wait_alu 0xfffe
	s_or_b32 s10, s10, s11
	s_and_b32 s11, s1, s2
	s_and_b32 s1, s1, s3
	s_xor_b32 s22, vcc_lo, -1
                                        ; implicit-def: $vgpr10_vgpr11
	s_branch .LBB241_8
.LBB241_7:                              ;   in Loop: Header=BB241_8 Depth=1
	s_wait_alu 0xfffe
	s_or_b32 exec_lo, exec_lo, s2
	s_add_co_i32 s26, s26, 0x10000
	s_delay_alu instid0(SALU_CYCLE_1)
	s_cmp_lt_u32 s26, s30
	s_cbranch_scc0 .LBB241_42
.LBB241_8:                              ; =>This Loop Header: Depth=1
                                        ;     Child Loop BB241_11 Depth 2
	s_and_not1_b32 vcc_lo, exec_lo, s7
	s_wait_alu 0xfffe
	s_cbranch_vccnz .LBB241_21
; %bb.9:                                ;   in Loop: Header=BB241_8 Depth=1
	s_mul_u64 s[2:3], s[8:9], s[26:27]
	s_mul_u64 s[34:35], s[18:19], s[26:27]
	s_wait_alu 0xfffe
	s_lshl_b64 s[2:3], s[2:3], 3
	v_dual_mov_b32 v26, 0 :: v_dual_mov_b32 v27, 0
	s_wait_alu 0xfffe
	v_add_co_u32 v12, vcc_lo, v17, s2
	s_wait_alu 0xfffd
	v_add_co_ci_u32_e64 v13, null, s3, v18, vcc_lo
	s_lshl_b64 s[2:3], s[34:35], 3
	v_dual_mov_b32 v29, 0 :: v_dual_mov_b32 v28, 0
	s_wait_alu 0xfffe
	v_add_co_u32 v24, vcc_lo, v20, s2
	s_wait_alu 0xfffd
	v_add_co_ci_u32_e64 v25, null, s3, v21, vcc_lo
	v_dual_mov_b32 v31, 0 :: v_dual_mov_b32 v30, 0
	v_dual_mov_b32 v33, 0 :: v_dual_mov_b32 v32, 0
	s_mov_b64 s[2:3], 0
	s_branch .LBB241_11
.LBB241_10:                             ;   in Loop: Header=BB241_11 Depth=2
	s_wait_alu 0xfffe
	s_or_b32 exec_lo, exec_lo, s23
	s_wait_dscnt 0x0
	s_barrier_signal -1
	s_barrier_wait -1
	global_inv scope:SCOPE_SE
	ds_load_b128 v[34:37], v23
	ds_load_2addr_b64 v[38:41], v22 offset1:16
	ds_load_b128 v[42:45], v23 offset:1024
	ds_load_b128 v[46:49], v23 offset:16
	;; [unrolled: 1-line block ×4, first 2 shown]
	ds_load_2addr_b64 v[58:61], v22 offset0:32 offset1:48
	ds_load_b128 v[62:65], v23 offset:1040
	s_add_nc_u64 s[2:3], s[2:3], 8
	s_wait_alu 0xfffe
	v_cmp_gt_i64_e64 s23, s[12:13], s[2:3]
	s_and_b32 vcc_lo, exec_lo, s23
	s_wait_dscnt 0x6
	v_mul_f32_e32 v0, v35, v39
	v_dual_mul_f32 v66, v34, v39 :: v_dual_mul_f32 v67, v35, v41
	s_wait_dscnt 0x5
	v_dual_mul_f32 v68, v34, v41 :: v_dual_mul_f32 v69, v43, v39
	v_dual_mul_f32 v39, v42, v39 :: v_dual_mul_f32 v70, v43, v41
	v_mul_f32_e32 v41, v42, v41
	v_fma_f32 v0, v34, v38, -v0
	v_fma_f32 v34, v34, v40, -v67
	v_fmac_f32_e32 v68, v35, v40
	v_fmac_f32_e32 v39, v43, v38
	;; [unrolled: 1-line block ×3, first 2 shown]
	v_add_f32_e32 v0, v32, v0
	v_fmac_f32_e32 v66, v35, v38
	v_fma_f32 v35, v42, v38, -v69
	v_fma_f32 v38, v42, v40, -v70
	v_add_f32_e32 v26, v26, v41
	s_delay_alu instid0(VALU_DEP_4) | instskip(NEXT) | instid1(VALU_DEP_4)
	v_add_f32_e32 v32, v33, v66
	v_dual_add_f32 v33, v30, v34 :: v_dual_add_f32 v34, v28, v35
	v_add_f32_e32 v35, v29, v39
	s_wait_dscnt 0x1
	v_dual_mul_f32 v39, v37, v59 :: v_dual_add_f32 v38, v27, v38
	ds_load_2addr_b64 v[27:30], v22 offset0:64 offset1:80
	v_mul_f32_e32 v42, v37, v61
	v_mul_f32_e32 v41, v36, v61
	v_mul_f32_e32 v40, v36, v59
	v_fma_f32 v39, v36, v58, -v39
	v_add_f32_e32 v31, v31, v68
	v_fma_f32 v36, v36, v60, -v42
	s_delay_alu instid0(VALU_DEP_3) | instskip(SKIP_1) | instid1(VALU_DEP_3)
	v_add_f32_e32 v0, v0, v39
	v_mul_f32_e32 v39, v45, v59
	v_add_f32_e32 v36, v33, v36
	v_fmac_f32_e32 v41, v37, v60
	v_fmac_f32_e32 v40, v37, v58
	v_mul_f32_e32 v37, v45, v61
	v_fma_f32 v33, v44, v58, -v39
	s_delay_alu instid0(VALU_DEP_4) | instskip(NEXT) | instid1(VALU_DEP_3)
	v_add_f32_e32 v39, v31, v41
	v_fma_f32 v31, v44, v60, -v37
	v_mul_f32_e32 v41, v44, v61
	s_wait_dscnt 0x0
	v_mul_f32_e32 v37, v46, v28
	v_add_f32_e32 v40, v32, v40
	v_add_f32_e32 v38, v38, v31
	v_dual_mul_f32 v32, v44, v59 :: v_dual_fmac_f32 v41, v45, v60
	v_mul_f32_e32 v44, v47, v30
	s_delay_alu instid0(VALU_DEP_2) | instskip(NEXT) | instid1(VALU_DEP_3)
	v_dual_fmac_f32 v37, v47, v27 :: v_dual_fmac_f32 v32, v45, v58
	v_add_f32_e32 v41, v26, v41
	v_dual_add_f32 v42, v34, v33 :: v_dual_mul_f32 v33, v47, v28
	s_delay_alu instid0(VALU_DEP_3) | instskip(NEXT) | instid1(VALU_DEP_4)
	v_dual_mul_f32 v26, v46, v30 :: v_dual_add_f32 v37, v40, v37
	v_add_f32_e32 v35, v35, v32
	s_delay_alu instid0(VALU_DEP_3) | instskip(SKIP_4) | instid1(VALU_DEP_1)
	v_fma_f32 v43, v46, v27, -v33
	ds_load_2addr_b64 v[31:34], v22 offset0:96 offset1:112
	v_fmac_f32_e32 v26, v47, v29
	v_add_f32_e32 v0, v0, v43
	v_fma_f32 v43, v46, v29, -v44
	v_dual_add_f32 v39, v39, v26 :: v_dual_add_f32 v36, v36, v43
	v_mul_f32_e32 v43, v63, v30
	v_mul_f32_e32 v30, v62, v30
	s_delay_alu instid0(VALU_DEP_2) | instskip(SKIP_1) | instid1(VALU_DEP_3)
	v_fma_f32 v26, v62, v29, -v43
	v_mul_f32_e32 v40, v63, v28
	v_fmac_f32_e32 v30, v63, v29
	s_wait_dscnt 0x0
	v_dual_mul_f32 v28, v62, v28 :: v_dual_mul_f32 v47, v65, v34
	v_add_f32_e32 v43, v38, v26
	v_fma_f32 v40, v62, v27, -v40
	v_dual_mul_f32 v38, v48, v32 :: v_dual_add_f32 v41, v41, v30
	s_delay_alu instid0(VALU_DEP_4) | instskip(SKIP_1) | instid1(VALU_DEP_3)
	v_fmac_f32_e32 v28, v63, v27
	v_mul_f32_e32 v30, v48, v34
	v_fmac_f32_e32 v38, v49, v31
	v_add_f32_e32 v40, v42, v40
	s_delay_alu instid0(VALU_DEP_4)
	v_add_f32_e32 v42, v35, v28
	ds_load_2addr_b64 v[26:29], v22 offset0:128 offset1:144
	v_mul_f32_e32 v35, v49, v32
	v_mul_f32_e32 v44, v49, v34
	v_fmac_f32_e32 v30, v49, v33
	v_mul_f32_e32 v34, v64, v34
	s_delay_alu instid0(VALU_DEP_4)
	v_fma_f32 v35, v48, v31, -v35
	s_wait_dscnt 0x0
	v_mul_f32_e32 v49, v50, v27
	v_fma_f32 v44, v48, v33, -v44
	v_add_f32_e32 v48, v39, v30
	v_fma_f32 v30, v64, v33, -v47
	s_delay_alu instid0(VALU_DEP_4) | instskip(NEXT) | instid1(VALU_DEP_4)
	v_fmac_f32_e32 v49, v51, v26
	v_dual_add_f32 v45, v37, v38 :: v_dual_add_f32 v44, v36, v44
	s_delay_alu instid0(VALU_DEP_3) | instskip(SKIP_1) | instid1(VALU_DEP_3)
	v_dual_add_f32 v43, v43, v30 :: v_dual_add_f32 v0, v0, v35
	v_mul_f32_e32 v35, v65, v32
	v_dual_mul_f32 v32, v64, v32 :: v_dual_add_f32 v45, v45, v49
	s_delay_alu instid0(VALU_DEP_2) | instskip(SKIP_3) | instid1(VALU_DEP_2)
	v_fma_f32 v46, v64, v31, -v35
	ds_load_b128 v[35:38], v23 offset:1056
	v_fmac_f32_e32 v32, v65, v31
	v_dual_mul_f32 v31, v51, v27 :: v_dual_fmac_f32 v34, v65, v33
	v_add_f32_e32 v47, v42, v32
	s_delay_alu instid0(VALU_DEP_2)
	v_fma_f32 v39, v50, v26, -v31
	ds_load_2addr_b64 v[30:33], v22 offset0:160 offset1:176
	v_add_f32_e32 v46, v40, v46
	v_mul_f32_e32 v40, v51, v29
	v_add_f32_e32 v34, v41, v34
	v_add_f32_e32 v0, v0, v39
	s_delay_alu instid0(VALU_DEP_3) | instskip(SKIP_4) | instid1(VALU_DEP_2)
	v_fma_f32 v58, v50, v28, -v40
	ds_load_b128 v[39:42], v23 offset:1072
	s_wait_dscnt 0x2
	v_dual_mul_f32 v50, v50, v29 :: v_dual_mul_f32 v59, v36, v27
	v_mul_f32_e32 v27, v35, v27
	v_dual_fmac_f32 v50, v51, v28 :: v_dual_mul_f32 v51, v36, v29
	s_delay_alu instid0(VALU_DEP_3) | instskip(NEXT) | instid1(VALU_DEP_3)
	v_fma_f32 v49, v35, v26, -v59
	v_fmac_f32_e32 v27, v36, v26
	s_delay_alu instid0(VALU_DEP_3) | instskip(SKIP_2) | instid1(VALU_DEP_4)
	v_add_f32_e32 v48, v48, v50
	v_mul_f32_e32 v50, v35, v29
	v_fma_f32 v26, v35, v28, -v51
	v_add_f32_e32 v35, v47, v27
	s_wait_dscnt 0x1
	s_delay_alu instid0(VALU_DEP_3) | instskip(NEXT) | instid1(VALU_DEP_3)
	v_dual_mul_f32 v47, v53, v31 :: v_dual_fmac_f32 v50, v36, v28
	v_add_f32_e32 v43, v43, v26
	ds_load_2addr_b64 v[26:29], v22 offset0:192 offset1:208
	v_mul_f32_e32 v36, v52, v31
	v_add_f32_e32 v46, v46, v49
	v_fma_f32 v47, v52, v30, -v47
	v_mul_f32_e32 v49, v53, v33
	s_delay_alu instid0(VALU_DEP_4) | instskip(NEXT) | instid1(VALU_DEP_3)
	v_fmac_f32_e32 v36, v53, v30
	v_add_f32_e32 v0, v0, v47
	s_delay_alu instid0(VALU_DEP_3) | instskip(NEXT) | instid1(VALU_DEP_3)
	v_fma_f32 v47, v52, v32, -v49
	v_dual_add_f32 v45, v45, v36 :: v_dual_mul_f32 v36, v38, v31
	v_mul_f32_e32 v31, v37, v31
	s_delay_alu instid0(VALU_DEP_2) | instskip(NEXT) | instid1(VALU_DEP_2)
	v_fma_f32 v36, v37, v30, -v36
	v_fmac_f32_e32 v31, v38, v30
	v_add_f32_e32 v44, v44, v58
	s_delay_alu instid0(VALU_DEP_2) | instskip(NEXT) | instid1(VALU_DEP_2)
	v_dual_mul_f32 v30, v37, v33 :: v_dual_add_f32 v31, v35, v31
	v_dual_add_f32 v44, v44, v47 :: v_dual_mul_f32 v47, v38, v33
	v_add_f32_e32 v50, v34, v50
	v_mul_f32_e32 v34, v52, v33
	s_delay_alu instid0(VALU_DEP_4) | instskip(NEXT) | instid1(VALU_DEP_4)
	v_fmac_f32_e32 v30, v38, v32
	v_fma_f32 v33, v37, v32, -v47
	s_wait_dscnt 0x0
	s_delay_alu instid0(VALU_DEP_3) | instskip(NEXT) | instid1(VALU_DEP_2)
	v_dual_mul_f32 v47, v40, v27 :: v_dual_fmac_f32 v34, v53, v32
	v_dual_add_f32 v32, v43, v33 :: v_dual_mul_f32 v33, v54, v27
	v_mul_f32_e32 v43, v55, v29
	s_delay_alu instid0(VALU_DEP_2) | instskip(NEXT) | instid1(VALU_DEP_2)
	v_dual_fmac_f32 v33, v55, v26 :: v_dual_add_f32 v46, v46, v36
	v_fma_f32 v43, v54, v28, -v43
	s_delay_alu instid0(VALU_DEP_2) | instskip(SKIP_3) | instid1(VALU_DEP_3)
	v_dual_add_f32 v33, v45, v33 :: v_dual_add_f32 v48, v48, v34
	v_mul_f32_e32 v34, v55, v27
	v_mul_f32_e32 v27, v39, v27
	;; [unrolled: 1-line block ×3, first 2 shown]
	v_fma_f32 v38, v54, v26, -v34
	ds_load_2addr_b64 v[34:37], v22 offset0:224 offset1:240
	v_fmac_f32_e32 v27, v40, v26
	v_add_f32_e32 v30, v50, v30
	s_wait_loadcnt_dscnt 0x0
	v_add_f32_e32 v0, v0, v38
	s_barrier_signal -1
	v_dual_add_f32 v27, v31, v27 :: v_dual_mul_f32 v38, v54, v29
	v_mul_f32_e32 v29, v39, v29
	s_barrier_wait -1
	global_inv scope:SCOPE_SE
	v_fmac_f32_e32 v38, v55, v28
	v_fmac_f32_e32 v29, v40, v28
	s_delay_alu instid0(VALU_DEP_1) | instskip(SKIP_2) | instid1(VALU_DEP_2)
	v_add_f32_e32 v40, v30, v29
	v_mul_f32_e32 v29, v56, v37
	v_mul_f32_e32 v31, v57, v35
	v_fmac_f32_e32 v29, v57, v36
	v_add_f32_e32 v43, v44, v43
	v_fma_f32 v44, v39, v26, -v47
	v_fma_f32 v39, v39, v28, -v45
	;; [unrolled: 1-line block ×3, first 2 shown]
	s_delay_alu instid0(VALU_DEP_2) | instskip(SKIP_1) | instid1(VALU_DEP_2)
	v_dual_add_f32 v39, v32, v39 :: v_dual_mul_f32 v32, v57, v37
	v_mul_f32_e32 v28, v56, v35
	v_fma_f32 v30, v56, v36, -v32
	s_delay_alu instid0(VALU_DEP_4) | instskip(SKIP_1) | instid1(VALU_DEP_4)
	v_add_f32_e32 v32, v0, v31
	v_mul_f32_e32 v0, v42, v35
	v_fmac_f32_e32 v28, v57, v34
	s_delay_alu instid0(VALU_DEP_4) | instskip(SKIP_1) | instid1(VALU_DEP_4)
	v_dual_mul_f32 v35, v41, v35 :: v_dual_add_f32 v30, v43, v30
	v_mul_f32_e32 v43, v42, v37
	v_fma_f32 v0, v41, v34, -v0
	v_dual_mul_f32 v37, v41, v37 :: v_dual_add_f32 v26, v48, v38
	v_add_f32_e32 v38, v46, v44
	v_add_f32_e32 v33, v33, v28
	v_fmac_f32_e32 v35, v42, v34
	s_delay_alu instid0(VALU_DEP_4) | instskip(SKIP_3) | instid1(VALU_DEP_4)
	v_fmac_f32_e32 v37, v42, v36
	v_add_f32_e32 v31, v26, v29
	v_add_f32_e32 v28, v38, v0
	v_fma_f32 v0, v41, v36, -v43
	v_dual_add_f32 v29, v27, v35 :: v_dual_add_f32 v26, v40, v37
	s_delay_alu instid0(VALU_DEP_2)
	v_add_f32_e32 v27, v39, v0
	s_wait_alu 0xfffe
	s_cbranch_vccz .LBB241_22
.LBB241_11:                             ;   Parent Loop BB241_8 Depth=1
                                        ; =>  This Inner Loop Header: Depth=2
	s_mov_b32 s23, 0
	s_mov_b32 s33, s6
	s_and_saveexec_b32 s31, s0
	s_cbranch_execnz .LBB241_19
; %bb.12:                               ;   in Loop: Header=BB241_11 Depth=2
	s_or_b32 exec_lo, exec_lo, s31
	s_wait_alu 0xfffe
	s_and_saveexec_b32 s31, s33
	s_delay_alu instid0(SALU_CYCLE_1)
	s_xor_b32 s31, exec_lo, s31
	s_cbranch_execnz .LBB241_20
.LBB241_13:                             ;   in Loop: Header=BB241_11 Depth=2
	s_or_b32 exec_lo, exec_lo, s31
	v_mov_b32_e32 v34, 0
	s_and_saveexec_b32 s31, s23
	s_cbranch_execz .LBB241_15
.LBB241_14:                             ;   in Loop: Header=BB241_11 Depth=2
	v_lshlrev_b64_e32 v[34:35], 3, v[10:11]
	s_delay_alu instid0(VALU_DEP_1) | instskip(SKIP_1) | instid1(VALU_DEP_2)
	v_add_co_u32 v34, vcc_lo, v12, v34
	s_wait_alu 0xfffd
	v_add_co_ci_u32_e64 v35, null, v13, v35, vcc_lo
	global_load_b64 v[35:36], v[34:35], off
	s_wait_loadcnt 0x0
	v_xor_b32_e32 v34, 0x80000000, v36
	ds_store_b32 v16, v35
.LBB241_15:                             ;   in Loop: Header=BB241_11 Depth=2
	s_or_b32 exec_lo, exec_lo, s31
	v_add_nc_u32_e32 v0, s2, v14
	ds_store_b32 v16, v34 offset:4
	v_cmp_le_u64_e32 vcc_lo, s[12:13], v[0:1]
	s_or_b32 s23, vcc_lo, s22
	s_wait_alu 0xfffe
	s_and_saveexec_b32 s31, s23
	s_delay_alu instid0(SALU_CYCLE_1)
	s_xor_b32 s23, exec_lo, s31
; %bb.16:                               ;   in Loop: Header=BB241_11 Depth=2
	v_mov_b32_e32 v0, v1
	ds_store_b64 v19, v[0:1]
; %bb.17:                               ;   in Loop: Header=BB241_11 Depth=2
	s_wait_alu 0xfffe
	s_and_not1_saveexec_b32 s23, s23
	s_cbranch_execz .LBB241_10
; %bb.18:                               ;   in Loop: Header=BB241_11 Depth=2
	v_mad_co_u64_u32 v[34:35], null, s16, v0, 0
	s_delay_alu instid0(VALU_DEP_1) | instskip(NEXT) | instid1(VALU_DEP_1)
	v_mad_co_u64_u32 v[35:36], null, s17, v0, v[35:36]
	v_lshlrev_b64_e32 v[34:35], 3, v[34:35]
	s_delay_alu instid0(VALU_DEP_1) | instskip(SKIP_1) | instid1(VALU_DEP_2)
	v_add_co_u32 v34, vcc_lo, v24, v34
	s_wait_alu 0xfffd
	v_add_co_ci_u32_e64 v35, null, v25, v35, vcc_lo
	global_load_b64 v[34:35], v[34:35], off
	s_wait_loadcnt 0x0
	ds_store_b64 v19, v[34:35]
	s_branch .LBB241_10
.LBB241_19:                             ;   in Loop: Header=BB241_11 Depth=2
	s_wait_alu 0xfffe
	v_add_nc_u32_e32 v0, s2, v15
	v_mov_b32_e32 v11, v1
	s_and_not1_b32 s33, s6, exec_lo
	s_mov_b32 s23, exec_lo
	s_delay_alu instid0(VALU_DEP_2)
	v_cmp_le_u64_e32 vcc_lo, s[12:13], v[0:1]
	v_mov_b32_e32 v10, v0
	s_and_b32 s34, vcc_lo, exec_lo
	s_wait_alu 0xfffe
	s_or_b32 s33, s33, s34
	s_or_b32 exec_lo, exec_lo, s31
	s_wait_alu 0xfffe
	s_and_saveexec_b32 s31, s33
	s_delay_alu instid0(SALU_CYCLE_1)
	s_xor_b32 s31, exec_lo, s31
	s_cbranch_execz .LBB241_13
.LBB241_20:                             ;   in Loop: Header=BB241_11 Depth=2
	s_and_not1_b32 s23, s23, exec_lo
	ds_store_b32 v16, v1
	s_or_b32 exec_lo, exec_lo, s31
	v_mov_b32_e32 v34, 0
	s_wait_alu 0xfffe
	s_and_saveexec_b32 s31, s23
	s_cbranch_execnz .LBB241_14
	s_branch .LBB241_15
.LBB241_21:                             ;   in Loop: Header=BB241_8 Depth=1
	v_dual_mov_b32 v32, v1 :: v_dual_mov_b32 v33, v1
	v_dual_mov_b32 v30, v1 :: v_dual_mov_b32 v31, v1
	;; [unrolled: 1-line block ×4, first 2 shown]
.LBB241_22:                             ;   in Loop: Header=BB241_8 Depth=1
	s_mul_u64 s[2:3], s[28:29], s[26:27]
	s_wait_alu 0xfffe
	s_lshl_b64 s[2:3], s[2:3], 3
	s_wait_alu 0xfffe
	s_add_nc_u64 s[2:3], s[20:21], s[2:3]
	s_wait_alu 0xfffe
	v_add_co_u32 v0, vcc_lo, s2, v2
	s_wait_alu 0xfffd
	v_add_co_ci_u32_e64 v24, null, s3, v3, vcc_lo
	s_and_saveexec_b32 s23, s4
	s_cbranch_execz .LBB241_27
; %bb.23:                               ;   in Loop: Header=BB241_8 Depth=1
	v_mul_f32_e32 v13, s14, v33
	v_mul_f32_e32 v12, s15, v33
	s_and_b32 vcc_lo, exec_lo, s10
	s_mov_b32 s31, -1
	s_delay_alu instid0(VALU_DEP_2) | instskip(NEXT) | instid1(VALU_DEP_2)
	v_fmac_f32_e32 v13, s15, v32
	v_fma_f32 v12, v32, s14, -v12
	s_wait_alu 0xfffe
	s_cbranch_vccz .LBB241_25
; %bb.24:                               ;   in Loop: Header=BB241_8 Depth=1
	v_add_co_u32 v32, vcc_lo, v0, v6
	s_wait_alu 0xfffd
	v_add_co_ci_u32_e64 v33, null, v24, v7, vcc_lo
	s_mov_b32 s31, 0
	global_load_b64 v[34:35], v[32:33], off
	s_wait_loadcnt 0x0
	v_mul_f32_e32 v25, s25, v35
	s_delay_alu instid0(VALU_DEP_1) | instskip(SKIP_1) | instid1(VALU_DEP_1)
	v_fma_f32 v25, v34, s24, -v25
	v_mul_f32_e32 v35, s24, v35
	v_dual_fmac_f32 v35, s25, v34 :: v_dual_add_f32 v34, v12, v25
	s_delay_alu instid0(VALU_DEP_1)
	v_add_f32_e32 v35, v13, v35
	global_store_b64 v[32:33], v[34:35], off
.LBB241_25:                             ;   in Loop: Header=BB241_8 Depth=1
	s_and_not1_b32 vcc_lo, exec_lo, s31
	s_wait_alu 0xfffe
	s_cbranch_vccnz .LBB241_27
; %bb.26:                               ;   in Loop: Header=BB241_8 Depth=1
	v_add_co_u32 v32, vcc_lo, v0, v6
	s_wait_alu 0xfffd
	v_add_co_ci_u32_e64 v33, null, v24, v7, vcc_lo
	global_store_b64 v[32:33], v[12:13], off
.LBB241_27:                             ;   in Loop: Header=BB241_8 Depth=1
	s_wait_alu 0xfffe
	s_or_b32 exec_lo, exec_lo, s23
	s_and_saveexec_b32 s23, s5
	s_cbranch_execz .LBB241_32
; %bb.28:                               ;   in Loop: Header=BB241_8 Depth=1
	v_mul_f32_e32 v13, s14, v31
	v_mul_f32_e32 v12, s15, v31
	s_and_not1_b32 vcc_lo, exec_lo, s10
	s_mov_b32 s31, -1
	s_delay_alu instid0(VALU_DEP_2) | instskip(NEXT) | instid1(VALU_DEP_2)
	v_fmac_f32_e32 v13, s15, v30
	v_fma_f32 v12, v30, s14, -v12
	s_wait_alu 0xfffe
	s_cbranch_vccnz .LBB241_30
; %bb.29:                               ;   in Loop: Header=BB241_8 Depth=1
	v_add_co_u32 v30, vcc_lo, v0, v8
	s_wait_alu 0xfffd
	v_add_co_ci_u32_e64 v31, null, v24, v9, vcc_lo
	s_mov_b32 s31, 0
	global_load_b64 v[32:33], v[30:31], off
	s_wait_loadcnt 0x0
	v_mul_f32_e32 v25, s25, v33
	v_mul_f32_e32 v33, s24, v33
	s_delay_alu instid0(VALU_DEP_2) | instskip(NEXT) | instid1(VALU_DEP_1)
	v_fma_f32 v25, v32, s24, -v25
	v_dual_fmac_f32 v33, s25, v32 :: v_dual_add_f32 v32, v12, v25
	s_delay_alu instid0(VALU_DEP_1)
	v_add_f32_e32 v33, v13, v33
	global_store_b64 v[30:31], v[32:33], off
.LBB241_30:                             ;   in Loop: Header=BB241_8 Depth=1
	s_and_not1_b32 vcc_lo, exec_lo, s31
	s_wait_alu 0xfffe
	s_cbranch_vccnz .LBB241_32
; %bb.31:                               ;   in Loop: Header=BB241_8 Depth=1
	v_add_co_u32 v30, vcc_lo, v0, v8
	s_wait_alu 0xfffd
	v_add_co_ci_u32_e64 v31, null, v24, v9, vcc_lo
	global_store_b64 v[30:31], v[12:13], off
.LBB241_32:                             ;   in Loop: Header=BB241_8 Depth=1
	s_wait_alu 0xfffe
	s_or_b32 exec_lo, exec_lo, s23
	v_add_co_u32 v0, vcc_lo, s2, v4
	s_wait_alu 0xfffd
	v_add_co_ci_u32_e64 v24, null, s3, v5, vcc_lo
	s_and_saveexec_b32 s2, s11
	s_cbranch_execz .LBB241_37
; %bb.33:                               ;   in Loop: Header=BB241_8 Depth=1
	v_mul_f32_e32 v13, s14, v29
	v_mul_f32_e32 v12, s15, v29
	s_and_not1_b32 vcc_lo, exec_lo, s10
	s_mov_b32 s3, -1
	s_delay_alu instid0(VALU_DEP_2) | instskip(NEXT) | instid1(VALU_DEP_2)
	v_fmac_f32_e32 v13, s15, v28
	v_fma_f32 v12, v28, s14, -v12
	s_wait_alu 0xfffe
	s_cbranch_vccnz .LBB241_35
; %bb.34:                               ;   in Loop: Header=BB241_8 Depth=1
	v_add_co_u32 v28, vcc_lo, v0, v6
	s_wait_alu 0xfffd
	v_add_co_ci_u32_e64 v29, null, v24, v7, vcc_lo
	s_mov_b32 s3, 0
	global_load_b64 v[30:31], v[28:29], off
	s_wait_loadcnt 0x0
	v_mul_f32_e32 v25, s25, v31
	s_delay_alu instid0(VALU_DEP_1) | instskip(SKIP_1) | instid1(VALU_DEP_1)
	v_fma_f32 v25, v30, s24, -v25
	v_mul_f32_e32 v31, s24, v31
	v_dual_fmac_f32 v31, s25, v30 :: v_dual_add_f32 v30, v12, v25
	s_delay_alu instid0(VALU_DEP_1)
	v_add_f32_e32 v31, v13, v31
	global_store_b64 v[28:29], v[30:31], off
.LBB241_35:                             ;   in Loop: Header=BB241_8 Depth=1
	s_wait_alu 0xfffe
	s_and_not1_b32 vcc_lo, exec_lo, s3
	s_wait_alu 0xfffe
	s_cbranch_vccnz .LBB241_37
; %bb.36:                               ;   in Loop: Header=BB241_8 Depth=1
	v_add_co_u32 v28, vcc_lo, v0, v6
	s_wait_alu 0xfffd
	v_add_co_ci_u32_e64 v29, null, v24, v7, vcc_lo
	global_store_b64 v[28:29], v[12:13], off
.LBB241_37:                             ;   in Loop: Header=BB241_8 Depth=1
	s_wait_alu 0xfffe
	s_or_b32 exec_lo, exec_lo, s2
	s_and_saveexec_b32 s2, s1
	s_cbranch_execz .LBB241_7
; %bb.38:                               ;   in Loop: Header=BB241_8 Depth=1
	v_mul_f32_e32 v13, s14, v26
	v_mul_f32_e32 v12, s15, v26
	s_and_not1_b32 vcc_lo, exec_lo, s10
	s_mov_b32 s3, -1
	s_delay_alu instid0(VALU_DEP_2) | instskip(NEXT) | instid1(VALU_DEP_2)
	v_fmac_f32_e32 v13, s15, v27
	v_fma_f32 v12, v27, s14, -v12
	s_wait_alu 0xfffe
	s_cbranch_vccnz .LBB241_40
; %bb.39:                               ;   in Loop: Header=BB241_8 Depth=1
	v_add_co_u32 v25, vcc_lo, v0, v8
	s_wait_alu 0xfffd
	v_add_co_ci_u32_e64 v26, null, v24, v9, vcc_lo
	s_mov_b32 s3, 0
	global_load_b64 v[27:28], v[25:26], off
	s_wait_loadcnt 0x0
	v_mul_f32_e32 v29, s25, v28
	v_mul_f32_e32 v28, s24, v28
	s_delay_alu instid0(VALU_DEP_1) | instskip(NEXT) | instid1(VALU_DEP_3)
	v_fmac_f32_e32 v28, s25, v27
	v_fma_f32 v29, v27, s24, -v29
	s_delay_alu instid0(VALU_DEP_1)
	v_dual_add_f32 v28, v13, v28 :: v_dual_add_f32 v27, v12, v29
	global_store_b64 v[25:26], v[27:28], off
.LBB241_40:                             ;   in Loop: Header=BB241_8 Depth=1
	s_wait_alu 0xfffe
	s_and_not1_b32 vcc_lo, exec_lo, s3
	s_wait_alu 0xfffe
	s_cbranch_vccnz .LBB241_7
; %bb.41:                               ;   in Loop: Header=BB241_8 Depth=1
	v_add_co_u32 v25, vcc_lo, v0, v8
	s_wait_alu 0xfffd
	v_add_co_ci_u32_e64 v26, null, v24, v9, vcc_lo
	global_store_b64 v[25:26], v[12:13], off
	s_branch .LBB241_7
.LBB241_42:
	s_endpgm
	.section	.rodata,"a",@progbits
	.p2align	6, 0x0
	.amdhsa_kernel _ZL29rocblas_internal_gemmt_kernelIlLi16ELi32ELi8ELc67ELc84ELc85ELb1ELb0E19rocblas_complex_numIfES1_PKS1_PS1_EviT_T9_T10_S5_lS7_S5_lS6_T11_S5_li
		.amdhsa_group_segment_fixed_size 4096
		.amdhsa_private_segment_fixed_size 0
		.amdhsa_kernarg_size 108
		.amdhsa_user_sgpr_count 2
		.amdhsa_user_sgpr_dispatch_ptr 0
		.amdhsa_user_sgpr_queue_ptr 0
		.amdhsa_user_sgpr_kernarg_segment_ptr 1
		.amdhsa_user_sgpr_dispatch_id 0
		.amdhsa_user_sgpr_private_segment_size 0
		.amdhsa_wavefront_size32 1
		.amdhsa_uses_dynamic_stack 0
		.amdhsa_enable_private_segment 0
		.amdhsa_system_sgpr_workgroup_id_x 1
		.amdhsa_system_sgpr_workgroup_id_y 1
		.amdhsa_system_sgpr_workgroup_id_z 1
		.amdhsa_system_sgpr_workgroup_info 0
		.amdhsa_system_vgpr_workitem_id 1
		.amdhsa_next_free_vgpr 71
		.amdhsa_next_free_sgpr 36
		.amdhsa_reserve_vcc 1
		.amdhsa_float_round_mode_32 0
		.amdhsa_float_round_mode_16_64 0
		.amdhsa_float_denorm_mode_32 3
		.amdhsa_float_denorm_mode_16_64 3
		.amdhsa_fp16_overflow 0
		.amdhsa_workgroup_processor_mode 1
		.amdhsa_memory_ordered 1
		.amdhsa_forward_progress 1
		.amdhsa_inst_pref_size 26
		.amdhsa_round_robin_scheduling 0
		.amdhsa_exception_fp_ieee_invalid_op 0
		.amdhsa_exception_fp_denorm_src 0
		.amdhsa_exception_fp_ieee_div_zero 0
		.amdhsa_exception_fp_ieee_overflow 0
		.amdhsa_exception_fp_ieee_underflow 0
		.amdhsa_exception_fp_ieee_inexact 0
		.amdhsa_exception_int_div_zero 0
	.end_amdhsa_kernel
	.section	.text._ZL29rocblas_internal_gemmt_kernelIlLi16ELi32ELi8ELc67ELc84ELc85ELb1ELb0E19rocblas_complex_numIfES1_PKS1_PS1_EviT_T9_T10_S5_lS7_S5_lS6_T11_S5_li,"axG",@progbits,_ZL29rocblas_internal_gemmt_kernelIlLi16ELi32ELi8ELc67ELc84ELc85ELb1ELb0E19rocblas_complex_numIfES1_PKS1_PS1_EviT_T9_T10_S5_lS7_S5_lS6_T11_S5_li,comdat
.Lfunc_end241:
	.size	_ZL29rocblas_internal_gemmt_kernelIlLi16ELi32ELi8ELc67ELc84ELc85ELb1ELb0E19rocblas_complex_numIfES1_PKS1_PS1_EviT_T9_T10_S5_lS7_S5_lS6_T11_S5_li, .Lfunc_end241-_ZL29rocblas_internal_gemmt_kernelIlLi16ELi32ELi8ELc67ELc84ELc85ELb1ELb0E19rocblas_complex_numIfES1_PKS1_PS1_EviT_T9_T10_S5_lS7_S5_lS6_T11_S5_li
                                        ; -- End function
	.set _ZL29rocblas_internal_gemmt_kernelIlLi16ELi32ELi8ELc67ELc84ELc85ELb1ELb0E19rocblas_complex_numIfES1_PKS1_PS1_EviT_T9_T10_S5_lS7_S5_lS6_T11_S5_li.num_vgpr, 71
	.set _ZL29rocblas_internal_gemmt_kernelIlLi16ELi32ELi8ELc67ELc84ELc85ELb1ELb0E19rocblas_complex_numIfES1_PKS1_PS1_EviT_T9_T10_S5_lS7_S5_lS6_T11_S5_li.num_agpr, 0
	.set _ZL29rocblas_internal_gemmt_kernelIlLi16ELi32ELi8ELc67ELc84ELc85ELb1ELb0E19rocblas_complex_numIfES1_PKS1_PS1_EviT_T9_T10_S5_lS7_S5_lS6_T11_S5_li.numbered_sgpr, 36
	.set _ZL29rocblas_internal_gemmt_kernelIlLi16ELi32ELi8ELc67ELc84ELc85ELb1ELb0E19rocblas_complex_numIfES1_PKS1_PS1_EviT_T9_T10_S5_lS7_S5_lS6_T11_S5_li.num_named_barrier, 0
	.set _ZL29rocblas_internal_gemmt_kernelIlLi16ELi32ELi8ELc67ELc84ELc85ELb1ELb0E19rocblas_complex_numIfES1_PKS1_PS1_EviT_T9_T10_S5_lS7_S5_lS6_T11_S5_li.private_seg_size, 0
	.set _ZL29rocblas_internal_gemmt_kernelIlLi16ELi32ELi8ELc67ELc84ELc85ELb1ELb0E19rocblas_complex_numIfES1_PKS1_PS1_EviT_T9_T10_S5_lS7_S5_lS6_T11_S5_li.uses_vcc, 1
	.set _ZL29rocblas_internal_gemmt_kernelIlLi16ELi32ELi8ELc67ELc84ELc85ELb1ELb0E19rocblas_complex_numIfES1_PKS1_PS1_EviT_T9_T10_S5_lS7_S5_lS6_T11_S5_li.uses_flat_scratch, 0
	.set _ZL29rocblas_internal_gemmt_kernelIlLi16ELi32ELi8ELc67ELc84ELc85ELb1ELb0E19rocblas_complex_numIfES1_PKS1_PS1_EviT_T9_T10_S5_lS7_S5_lS6_T11_S5_li.has_dyn_sized_stack, 0
	.set _ZL29rocblas_internal_gemmt_kernelIlLi16ELi32ELi8ELc67ELc84ELc85ELb1ELb0E19rocblas_complex_numIfES1_PKS1_PS1_EviT_T9_T10_S5_lS7_S5_lS6_T11_S5_li.has_recursion, 0
	.set _ZL29rocblas_internal_gemmt_kernelIlLi16ELi32ELi8ELc67ELc84ELc85ELb1ELb0E19rocblas_complex_numIfES1_PKS1_PS1_EviT_T9_T10_S5_lS7_S5_lS6_T11_S5_li.has_indirect_call, 0
	.section	.AMDGPU.csdata,"",@progbits
; Kernel info:
; codeLenInByte = 3272
; TotalNumSgprs: 38
; NumVgprs: 71
; ScratchSize: 0
; MemoryBound: 0
; FloatMode: 240
; IeeeMode: 1
; LDSByteSize: 4096 bytes/workgroup (compile time only)
; SGPRBlocks: 0
; VGPRBlocks: 8
; NumSGPRsForWavesPerEU: 38
; NumVGPRsForWavesPerEU: 71
; Occupancy: 16
; WaveLimiterHint : 0
; COMPUTE_PGM_RSRC2:SCRATCH_EN: 0
; COMPUTE_PGM_RSRC2:USER_SGPR: 2
; COMPUTE_PGM_RSRC2:TRAP_HANDLER: 0
; COMPUTE_PGM_RSRC2:TGID_X_EN: 1
; COMPUTE_PGM_RSRC2:TGID_Y_EN: 1
; COMPUTE_PGM_RSRC2:TGID_Z_EN: 1
; COMPUTE_PGM_RSRC2:TIDIG_COMP_CNT: 1
	.section	.text._ZL29rocblas_internal_gemmt_kernelIlLi16ELi32ELi8ELc67ELc67ELc85ELb1ELb1E19rocblas_complex_numIfES1_PKS1_PS1_EviT_T9_T10_S5_lS7_S5_lS6_T11_S5_li,"axG",@progbits,_ZL29rocblas_internal_gemmt_kernelIlLi16ELi32ELi8ELc67ELc67ELc85ELb1ELb1E19rocblas_complex_numIfES1_PKS1_PS1_EviT_T9_T10_S5_lS7_S5_lS6_T11_S5_li,comdat
	.globl	_ZL29rocblas_internal_gemmt_kernelIlLi16ELi32ELi8ELc67ELc67ELc85ELb1ELb1E19rocblas_complex_numIfES1_PKS1_PS1_EviT_T9_T10_S5_lS7_S5_lS6_T11_S5_li ; -- Begin function _ZL29rocblas_internal_gemmt_kernelIlLi16ELi32ELi8ELc67ELc67ELc85ELb1ELb1E19rocblas_complex_numIfES1_PKS1_PS1_EviT_T9_T10_S5_lS7_S5_lS6_T11_S5_li
	.p2align	8
	.type	_ZL29rocblas_internal_gemmt_kernelIlLi16ELi32ELi8ELc67ELc67ELc85ELb1ELb1E19rocblas_complex_numIfES1_PKS1_PS1_EviT_T9_T10_S5_lS7_S5_lS6_T11_S5_li,@function
_ZL29rocblas_internal_gemmt_kernelIlLi16ELi32ELi8ELc67ELc67ELc85ELb1ELb1E19rocblas_complex_numIfES1_PKS1_PS1_EviT_T9_T10_S5_lS7_S5_lS6_T11_S5_li: ; @_ZL29rocblas_internal_gemmt_kernelIlLi16ELi32ELi8ELc67ELc67ELc85ELb1ELb1E19rocblas_complex_numIfES1_PKS1_PS1_EviT_T9_T10_S5_lS7_S5_lS6_T11_S5_li
; %bb.0:
	s_clause 0x1
	s_load_b64 s[24:25], s[0:1], 0x48
	s_load_b128 s[12:15], s[0:1], 0x8
	s_wait_kmcnt 0x0
	s_cmp_eq_f32 s24, 1.0
	s_cselect_b32 s2, -1, 0
	s_and_b32 s3, s25, 0x7fffffff
	s_delay_alu instid0(SALU_CYCLE_1) | instskip(SKIP_1) | instid1(SALU_CYCLE_1)
	s_cmp_eq_u32 s3, 0
	s_cselect_b32 s31, -1, 0
	s_and_b32 s3, s2, s31
	s_mov_b32 s2, 0
	s_and_not1_b32 vcc_lo, exec_lo, s3
	s_mov_b32 s3, -1
	s_cbranch_vccnz .LBB242_4
; %bb.1:
	s_cmp_lg_u64 s[12:13], 0
	s_cbranch_scc0 .LBB242_3
; %bb.2:
	s_cmp_neq_f32 s14, 0
	s_cselect_b32 s2, -1, 0
	s_cmp_neq_f32 s15, 0
	s_cselect_b32 s3, -1, 0
	s_delay_alu instid0(SALU_CYCLE_1)
	s_or_b32 s2, s2, s3
.LBB242_3:
	s_delay_alu instid0(SALU_CYCLE_1)
	s_mov_b32 s3, s2
.LBB242_4:
	s_delay_alu instid0(SALU_CYCLE_1)
	s_and_b32 vcc_lo, exec_lo, s3
	s_cbranch_vccz .LBB242_42
; %bb.5:
	s_load_b32 s30, s[0:1], 0x68
	s_lshr_b32 s26, ttmp7, 16
	s_wait_kmcnt 0x0
	s_cmp_ge_u32 s26, s30
	s_cbranch_scc1 .LBB242_42
; %bb.6:
	v_and_b32_e32 v7, 0x3ff, v0
	v_bfe_u32 v8, v0, 10, 10
	s_load_b256 s[4:11], s[0:1], 0x18
	s_lshl_b32 s2, ttmp7, 5
	s_lshl_b32 s3, ttmp9, 5
	s_and_b32 s2, s2, 0x1fffe0
	v_lshl_add_u32 v2, v8, 4, v7
	s_cmp_neq_f32 s14, 0
	v_and_b32_e32 v14, 7, v0
	s_clause 0x3
	s_load_b32 s33, s[0:1], 0x0
	s_load_b128 s[16:19], s[0:1], 0x38
	s_load_b128 s[20:23], s[0:1], 0x50
	s_load_b64 s[28:29], s[0:1], 0x60
	v_and_b32_e32 v3, 31, v2
	s_cselect_b32 s0, -1, 0
	s_cmp_neq_f32 s15, 0
	v_lshrrev_b32_e32 v6, 3, v2
	v_lshrrev_b32_e32 v15, 5, v2
	v_or_b32_e32 v4, s3, v3
	s_cselect_b32 s1, -1, 0
	s_ashr_i32 s34, s3, 31
	v_add_nc_u32_e32 v2, s2, v6
	v_lshlrev_b32_e32 v3, 3, v3
	v_add_nc_u32_e32 v11, s2, v8
	s_wait_kmcnt 0x0
	v_mul_lo_u32 v5, s7, v4
	v_mad_co_u64_u32 v[0:1], null, s6, v4, 0
	s_mul_i32 s6, s6, s34
	v_lshl_or_b32 v16, v15, 8, v3
	v_add_nc_u32_e32 v12, 16, v11
	s_or_b32 s34, s0, s1
	v_cmp_gt_i32_e64 s0, s33, v4
	v_lshl_add_u32 v23, v8, 6, 0x800
	s_wait_alu 0xfffe
	v_add3_u32 v1, v1, s6, v5
	v_cmp_le_i32_e64 s6, s33, v4
	s_cmp_neq_f32 s24, 0
	v_cmp_gt_i64_e64 s7, s[12:13], 0
	s_mov_b32 s27, 0
	v_lshlrev_b64_e32 v[0:1], 3, v[0:1]
	s_delay_alu instid0(VALU_DEP_1) | instskip(NEXT) | instid1(VALU_DEP_1)
	v_add_co_u32 v17, vcc_lo, s4, v0
	v_add_co_ci_u32_e64 v18, null, s5, v1, vcc_lo
	v_mov_b32_e32 v1, 0
	v_lshlrev_b32_e32 v9, 3, v14
	v_cmp_gt_i32_e32 vcc_lo, s33, v2
	v_lshlrev_b32_e32 v0, 3, v2
	v_mad_co_u64_u32 v[2:3], null, s22, v11, 0
	s_delay_alu instid0(VALU_DEP_4) | instskip(NEXT) | instid1(VALU_DEP_3)
	v_lshl_or_b32 v5, v6, 6, v9
	v_add_co_u32 v20, s1, s10, v0
	s_delay_alu instid0(VALU_DEP_1) | instskip(NEXT) | instid1(VALU_DEP_3)
	v_add_co_ci_u32_e64 v21, null, s11, 0, s1
	v_add_nc_u32_e32 v19, 0x800, v5
	v_mad_co_u64_u32 v[4:5], null, s22, v12, 0
	v_mov_b32_e32 v0, v3
	v_add_nc_u32_e32 v6, s3, v7
	v_cmp_gt_i32_e64 s1, s33, v11
	v_lshlrev_b32_e32 v22, 3, v7
	s_cselect_b32 s10, -1, 0
	v_mad_co_u64_u32 v[9:10], null, s23, v11, v[0:1]
	v_add_nc_u32_e32 v8, 16, v6
	v_mov_b32_e32 v0, v5
	v_cmp_le_i32_e64 s2, v6, v11
	v_ashrrev_i32_e32 v7, 31, v6
	s_xor_b32 s11, s31, -1
	v_cmp_le_i32_e64 s3, v8, v11
	v_mad_co_u64_u32 v[10:11], null, s23, v12, v[0:1]
	v_mov_b32_e32 v3, v9
	v_ashrrev_i32_e32 v9, 31, v8
	s_and_b32 s4, s1, s2
	s_and_b32 s5, s1, s3
	v_cmp_gt_i32_e64 s1, s33, v12
	v_cmp_le_i32_e64 s2, v6, v12
	v_mov_b32_e32 v5, v10
	v_cmp_le_i32_e64 s3, v8, v12
	v_lshlrev_b64_e32 v[2:3], 3, v[2:3]
	v_lshlrev_b64_e32 v[6:7], 3, v[6:7]
	;; [unrolled: 1-line block ×4, first 2 shown]
	s_and_b32 s7, s34, s7
	s_wait_alu 0xfffe
	s_or_b32 s10, s10, s11
	s_and_b32 s11, s1, s2
	s_and_b32 s1, s1, s3
	s_xor_b32 s22, vcc_lo, -1
                                        ; implicit-def: $vgpr10_vgpr11
	s_branch .LBB242_8
.LBB242_7:                              ;   in Loop: Header=BB242_8 Depth=1
	s_wait_alu 0xfffe
	s_or_b32 exec_lo, exec_lo, s2
	s_add_co_i32 s26, s26, 0x10000
	s_delay_alu instid0(SALU_CYCLE_1)
	s_cmp_lt_u32 s26, s30
	s_cbranch_scc0 .LBB242_42
.LBB242_8:                              ; =>This Loop Header: Depth=1
                                        ;     Child Loop BB242_11 Depth 2
	s_and_not1_b32 vcc_lo, exec_lo, s7
	s_wait_alu 0xfffe
	s_cbranch_vccnz .LBB242_21
; %bb.9:                                ;   in Loop: Header=BB242_8 Depth=1
	s_mul_u64 s[2:3], s[8:9], s[26:27]
	s_mul_u64 s[34:35], s[18:19], s[26:27]
	s_wait_alu 0xfffe
	s_lshl_b64 s[2:3], s[2:3], 3
	v_dual_mov_b32 v26, 0 :: v_dual_mov_b32 v27, 0
	s_wait_alu 0xfffe
	v_add_co_u32 v12, vcc_lo, v17, s2
	s_wait_alu 0xfffd
	v_add_co_ci_u32_e64 v13, null, s3, v18, vcc_lo
	s_lshl_b64 s[2:3], s[34:35], 3
	v_dual_mov_b32 v29, 0 :: v_dual_mov_b32 v28, 0
	s_wait_alu 0xfffe
	v_add_co_u32 v24, vcc_lo, v20, s2
	s_wait_alu 0xfffd
	v_add_co_ci_u32_e64 v25, null, s3, v21, vcc_lo
	v_dual_mov_b32 v31, 0 :: v_dual_mov_b32 v30, 0
	v_dual_mov_b32 v33, 0 :: v_dual_mov_b32 v32, 0
	s_mov_b64 s[2:3], 0
	s_branch .LBB242_11
.LBB242_10:                             ;   in Loop: Header=BB242_11 Depth=2
	s_or_b32 exec_lo, exec_lo, s23
	ds_store_b32 v19, v34 offset:4
	s_wait_dscnt 0x0
	s_barrier_signal -1
	s_barrier_wait -1
	global_inv scope:SCOPE_SE
	ds_load_b128 v[34:37], v23
	ds_load_2addr_b64 v[38:41], v22 offset1:16
	ds_load_b128 v[42:45], v23 offset:1024
	ds_load_b128 v[46:49], v23 offset:16
	;; [unrolled: 1-line block ×4, first 2 shown]
	ds_load_2addr_b64 v[58:61], v22 offset0:32 offset1:48
	ds_load_b128 v[62:65], v23 offset:1040
	s_add_nc_u64 s[2:3], s[2:3], 8
	s_wait_alu 0xfffe
	v_cmp_gt_i64_e64 s23, s[12:13], s[2:3]
	s_and_b32 vcc_lo, exec_lo, s23
	s_wait_dscnt 0x6
	v_mul_f32_e32 v0, v35, v39
	v_dual_mul_f32 v66, v34, v39 :: v_dual_mul_f32 v67, v35, v41
	s_wait_dscnt 0x5
	v_dual_mul_f32 v68, v34, v41 :: v_dual_mul_f32 v69, v43, v39
	v_dual_mul_f32 v39, v42, v39 :: v_dual_mul_f32 v70, v43, v41
	v_mul_f32_e32 v41, v42, v41
	v_fma_f32 v0, v34, v38, -v0
	v_fma_f32 v34, v34, v40, -v67
	s_delay_alu instid0(VALU_DEP_4)
	v_fmac_f32_e32 v39, v43, v38
	v_fmac_f32_e32 v68, v35, v40
	;; [unrolled: 1-line block ×3, first 2 shown]
	v_add_f32_e32 v0, v32, v0
	v_fmac_f32_e32 v66, v35, v38
	v_fma_f32 v35, v42, v38, -v69
	s_delay_alu instid0(VALU_DEP_2)
	v_add_f32_e32 v32, v33, v66
	v_add_f32_e32 v33, v30, v34
	v_fma_f32 v30, v42, v40, -v70
	s_wait_dscnt 0x1
	v_mul_f32_e32 v38, v37, v59
	v_add_f32_e32 v34, v28, v35
	v_dual_add_f32 v35, v29, v39 :: v_dual_add_f32 v26, v26, v41
	v_add_f32_e32 v39, v27, v30
	ds_load_2addr_b64 v[27:30], v22 offset0:64 offset1:80
	v_fma_f32 v38, v36, v58, -v38
	v_mul_f32_e32 v42, v37, v61
	v_mul_f32_e32 v41, v36, v61
	s_delay_alu instid0(VALU_DEP_3) | instskip(SKIP_1) | instid1(VALU_DEP_3)
	v_dual_add_f32 v31, v31, v68 :: v_dual_add_f32 v0, v0, v38
	v_mul_f32_e32 v38, v45, v59
	v_dual_mul_f32 v40, v36, v59 :: v_dual_fmac_f32 v41, v37, v60
	v_fma_f32 v36, v36, v60, -v42
	s_delay_alu instid0(VALU_DEP_2) | instskip(SKIP_1) | instid1(VALU_DEP_3)
	v_fmac_f32_e32 v40, v37, v58
	v_mul_f32_e32 v37, v45, v61
	v_add_f32_e32 v36, v33, v36
	v_fma_f32 v33, v44, v58, -v38
	v_add_f32_e32 v38, v31, v41
	v_mul_f32_e32 v41, v44, v61
	v_fma_f32 v31, v44, v60, -v37
	v_add_f32_e32 v40, v32, v40
	v_mul_f32_e32 v32, v44, v59
	s_wait_dscnt 0x0
	v_dual_add_f32 v42, v34, v33 :: v_dual_mul_f32 v33, v47, v28
	v_fmac_f32_e32 v41, v45, v60
	s_delay_alu instid0(VALU_DEP_3) | instskip(SKIP_1) | instid1(VALU_DEP_4)
	v_dual_mul_f32 v37, v46, v28 :: v_dual_fmac_f32 v32, v45, v58
	v_add_f32_e32 v39, v39, v31
	v_fma_f32 v43, v46, v27, -v33
	s_delay_alu instid0(VALU_DEP_3) | instskip(NEXT) | instid1(VALU_DEP_4)
	v_fmac_f32_e32 v37, v47, v27
	v_add_f32_e32 v35, v35, v32
	ds_load_2addr_b64 v[31:34], v22 offset0:96 offset1:112
	v_mul_f32_e32 v44, v47, v30
	v_add_f32_e32 v0, v0, v43
	v_dual_add_f32 v37, v40, v37 :: v_dual_mul_f32 v40, v63, v28
	v_mul_f32_e32 v28, v62, v28
	s_delay_alu instid0(VALU_DEP_4)
	v_fma_f32 v43, v46, v29, -v44
	v_add_f32_e32 v41, v26, v41
	v_mul_f32_e32 v26, v46, v30
	v_fma_f32 v40, v62, v27, -v40
	v_fmac_f32_e32 v28, v63, v27
	v_dual_add_f32 v36, v36, v43 :: v_dual_mul_f32 v43, v63, v30
	v_mul_f32_e32 v30, v62, v30
	s_delay_alu instid0(VALU_DEP_4) | instskip(NEXT) | instid1(VALU_DEP_4)
	v_add_f32_e32 v40, v42, v40
	v_add_f32_e32 v42, v35, v28
	s_wait_dscnt 0x0
	s_delay_alu instid0(VALU_DEP_3) | instskip(NEXT) | instid1(VALU_DEP_1)
	v_dual_fmac_f32 v30, v63, v29 :: v_dual_mul_f32 v35, v49, v32
	v_add_f32_e32 v41, v41, v30
	s_delay_alu instid0(VALU_DEP_2) | instskip(NEXT) | instid1(VALU_DEP_1)
	v_fma_f32 v35, v48, v31, -v35
	v_dual_add_f32 v0, v0, v35 :: v_dual_mul_f32 v35, v65, v32
	v_dual_fmac_f32 v26, v47, v29 :: v_dual_mul_f32 v47, v65, v34
	s_delay_alu instid0(VALU_DEP_2) | instskip(NEXT) | instid1(VALU_DEP_2)
	v_fma_f32 v46, v64, v31, -v35
	v_add_f32_e32 v44, v38, v26
	v_fma_f32 v26, v62, v29, -v43
	v_dual_mul_f32 v38, v48, v32 :: v_dual_mul_f32 v43, v49, v34
	s_delay_alu instid0(VALU_DEP_2) | instskip(SKIP_3) | instid1(VALU_DEP_2)
	v_dual_mul_f32 v32, v64, v32 :: v_dual_add_f32 v39, v39, v26
	ds_load_2addr_b64 v[26:29], v22 offset0:128 offset1:144
	v_fmac_f32_e32 v38, v49, v31
	v_fma_f32 v43, v48, v33, -v43
	v_add_f32_e32 v45, v37, v38
	s_delay_alu instid0(VALU_DEP_2) | instskip(SKIP_4) | instid1(VALU_DEP_2)
	v_add_f32_e32 v43, v36, v43
	ds_load_b128 v[35:38], v23 offset:1056
	v_mul_f32_e32 v30, v48, v34
	v_fmac_f32_e32 v32, v65, v31
	s_wait_dscnt 0x1
	v_dual_fmac_f32 v30, v49, v33 :: v_dual_mul_f32 v49, v50, v27
	s_delay_alu instid0(VALU_DEP_1) | instskip(SKIP_2) | instid1(VALU_DEP_4)
	v_dual_mul_f32 v31, v51, v27 :: v_dual_add_f32 v44, v44, v30
	v_fma_f32 v30, v64, v33, -v47
	v_add_f32_e32 v47, v42, v32
	v_fmac_f32_e32 v49, v51, v26
	s_delay_alu instid0(VALU_DEP_3) | instskip(SKIP_1) | instid1(VALU_DEP_3)
	v_add_f32_e32 v48, v39, v30
	v_fma_f32 v39, v50, v26, -v31
	v_dual_add_f32 v45, v45, v49 :: v_dual_mul_f32 v34, v64, v34
	s_delay_alu instid0(VALU_DEP_2) | instskip(NEXT) | instid1(VALU_DEP_2)
	v_add_f32_e32 v0, v0, v39
	v_fmac_f32_e32 v34, v65, v33
	ds_load_2addr_b64 v[30:33], v22 offset0:160 offset1:176
	v_add_f32_e32 v46, v40, v46
	v_mul_f32_e32 v40, v51, v29
	s_delay_alu instid0(VALU_DEP_1) | instskip(NEXT) | instid1(VALU_DEP_1)
	v_fma_f32 v58, v50, v28, -v40
	v_dual_mul_f32 v50, v50, v29 :: v_dual_add_f32 v43, v43, v58
	s_delay_alu instid0(VALU_DEP_1)
	v_fmac_f32_e32 v50, v51, v28
	v_add_f32_e32 v34, v41, v34
	ds_load_b128 v[39:42], v23 offset:1072
	s_wait_dscnt 0x2
	v_mul_f32_e32 v59, v36, v27
	v_dual_mul_f32 v27, v35, v27 :: v_dual_add_f32 v44, v44, v50
	v_mul_f32_e32 v50, v35, v29
	v_mul_f32_e32 v51, v36, v29
	s_delay_alu instid0(VALU_DEP_4) | instskip(NEXT) | instid1(VALU_DEP_4)
	v_fma_f32 v49, v35, v26, -v59
	v_fmac_f32_e32 v27, v36, v26
	s_delay_alu instid0(VALU_DEP_4)
	v_fmac_f32_e32 v50, v36, v28
	s_wait_dscnt 0x1
	v_mul_f32_e32 v36, v52, v31
	v_fma_f32 v26, v35, v28, -v51
	v_add_f32_e32 v35, v47, v27
	v_mul_f32_e32 v47, v53, v31
	s_delay_alu instid0(VALU_DEP_4) | instskip(NEXT) | instid1(VALU_DEP_2)
	v_fmac_f32_e32 v36, v53, v30
	v_fma_f32 v47, v52, v30, -v47
	s_delay_alu instid0(VALU_DEP_2) | instskip(SKIP_1) | instid1(VALU_DEP_3)
	v_dual_add_f32 v45, v45, v36 :: v_dual_mul_f32 v36, v38, v31
	v_dual_mul_f32 v31, v37, v31 :: v_dual_add_f32 v46, v46, v49
	v_dual_mul_f32 v49, v53, v33 :: v_dual_add_f32 v0, v0, v47
	s_delay_alu instid0(VALU_DEP_3) | instskip(NEXT) | instid1(VALU_DEP_3)
	v_fma_f32 v36, v37, v30, -v36
	v_dual_fmac_f32 v31, v38, v30 :: v_dual_mul_f32 v30, v37, v33
	s_delay_alu instid0(VALU_DEP_3) | instskip(NEXT) | instid1(VALU_DEP_2)
	v_fma_f32 v47, v52, v32, -v49
	v_dual_add_f32 v31, v35, v31 :: v_dual_fmac_f32 v30, v38, v32
	s_delay_alu instid0(VALU_DEP_2)
	v_add_f32_e32 v43, v43, v47
	v_dual_mul_f32 v47, v38, v33 :: v_dual_add_f32 v48, v48, v26
	ds_load_2addr_b64 v[26:29], v22 offset0:192 offset1:208
	v_add_f32_e32 v50, v34, v50
	v_mul_f32_e32 v34, v52, v33
	v_fma_f32 v33, v37, v32, -v47
	s_wait_dscnt 0x0
	s_delay_alu instid0(VALU_DEP_2) | instskip(NEXT) | instid1(VALU_DEP_1)
	v_dual_fmac_f32 v34, v53, v32 :: v_dual_mul_f32 v47, v55, v29
	v_fma_f32 v47, v54, v28, -v47
	s_delay_alu instid0(VALU_DEP_1) | instskip(SKIP_3) | instid1(VALU_DEP_3)
	v_dual_add_f32 v43, v43, v47 :: v_dual_add_f32 v32, v48, v33
	v_mul_f32_e32 v33, v54, v27
	v_mul_f32_e32 v48, v40, v27
	;; [unrolled: 1-line block ×3, first 2 shown]
	v_dual_fmac_f32 v33, v55, v26 :: v_dual_add_f32 v46, v46, v36
	s_delay_alu instid0(VALU_DEP_1) | instskip(SKIP_3) | instid1(VALU_DEP_3)
	v_dual_add_f32 v33, v45, v33 :: v_dual_add_f32 v44, v44, v34
	v_mul_f32_e32 v34, v55, v27
	v_mul_f32_e32 v27, v39, v27
	v_fma_f32 v45, v39, v26, -v48
	v_fma_f32 v38, v54, v26, -v34
	ds_load_2addr_b64 v[34:37], v22 offset0:224 offset1:240
	v_fmac_f32_e32 v27, v40, v26
	s_wait_loadcnt_dscnt 0x0
	s_barrier_signal -1
	v_add_f32_e32 v0, v0, v38
	s_barrier_wait -1
	v_dual_add_f32 v27, v31, v27 :: v_dual_mul_f32 v38, v54, v29
	v_mul_f32_e32 v29, v39, v29
	v_fma_f32 v39, v39, v28, -v47
	v_add_f32_e32 v30, v50, v30
	global_inv scope:SCOPE_SE
	v_fmac_f32_e32 v38, v55, v28
	v_fmac_f32_e32 v29, v40, v28
	s_delay_alu instid0(VALU_DEP_1) | instskip(SKIP_4) | instid1(VALU_DEP_4)
	v_dual_add_f32 v39, v32, v39 :: v_dual_add_f32 v40, v30, v29
	v_mul_f32_e32 v31, v57, v35
	v_mul_f32_e32 v32, v57, v37
	v_mul_f32_e32 v28, v56, v35
	v_mul_f32_e32 v29, v56, v37
	v_fma_f32 v31, v56, v34, -v31
	s_delay_alu instid0(VALU_DEP_4) | instskip(NEXT) | instid1(VALU_DEP_4)
	v_fma_f32 v30, v56, v36, -v32
	v_fmac_f32_e32 v28, v57, v34
	s_delay_alu instid0(VALU_DEP_4) | instskip(NEXT) | instid1(VALU_DEP_4)
	v_dual_fmac_f32 v29, v57, v36 :: v_dual_add_f32 v26, v44, v38
	v_add_f32_e32 v32, v0, v31
	v_mul_f32_e32 v0, v42, v35
	v_add_f32_e32 v38, v46, v45
	v_dual_add_f32 v30, v43, v30 :: v_dual_mul_f32 v35, v41, v35
	v_mul_f32_e32 v43, v42, v37
	s_delay_alu instid0(VALU_DEP_4)
	v_fma_f32 v0, v41, v34, -v0
	v_mul_f32_e32 v37, v41, v37
	v_add_f32_e32 v33, v33, v28
	v_fmac_f32_e32 v35, v42, v34
	v_add_f32_e32 v31, v26, v29
	v_add_f32_e32 v28, v38, v0
	v_fma_f32 v0, v41, v36, -v43
	v_fmac_f32_e32 v37, v42, v36
	v_add_f32_e32 v29, v27, v35
	s_delay_alu instid0(VALU_DEP_2)
	v_dual_add_f32 v27, v39, v0 :: v_dual_add_f32 v26, v40, v37
	s_wait_alu 0xfffe
	s_cbranch_vccz .LBB242_22
.LBB242_11:                             ;   Parent Loop BB242_8 Depth=1
                                        ; =>  This Inner Loop Header: Depth=2
	s_mov_b32 s23, 0
	s_mov_b32 s33, s6
	s_and_saveexec_b32 s31, s0
	s_cbranch_execnz .LBB242_19
; %bb.12:                               ;   in Loop: Header=BB242_11 Depth=2
	s_or_b32 exec_lo, exec_lo, s31
	s_wait_alu 0xfffe
	s_and_saveexec_b32 s31, s33
	s_delay_alu instid0(SALU_CYCLE_1)
	s_xor_b32 s31, exec_lo, s31
	s_cbranch_execnz .LBB242_20
.LBB242_13:                             ;   in Loop: Header=BB242_11 Depth=2
	s_or_b32 exec_lo, exec_lo, s31
	v_mov_b32_e32 v34, 0
	s_and_saveexec_b32 s31, s23
	s_cbranch_execz .LBB242_15
.LBB242_14:                             ;   in Loop: Header=BB242_11 Depth=2
	v_lshlrev_b64_e32 v[34:35], 3, v[10:11]
	s_delay_alu instid0(VALU_DEP_1) | instskip(SKIP_1) | instid1(VALU_DEP_2)
	v_add_co_u32 v34, vcc_lo, v12, v34
	s_wait_alu 0xfffd
	v_add_co_ci_u32_e64 v35, null, v13, v35, vcc_lo
	global_load_b64 v[35:36], v[34:35], off
	s_wait_loadcnt 0x0
	v_xor_b32_e32 v34, 0x80000000, v36
	ds_store_b32 v16, v35
.LBB242_15:                             ;   in Loop: Header=BB242_11 Depth=2
	s_or_b32 exec_lo, exec_lo, s31
	v_add_nc_u32_e32 v0, s2, v14
	ds_store_b32 v16, v34 offset:4
	v_cmp_le_u64_e32 vcc_lo, s[12:13], v[0:1]
	s_or_b32 s23, vcc_lo, s22
	s_wait_alu 0xfffe
	s_and_saveexec_b32 s31, s23
	s_delay_alu instid0(SALU_CYCLE_1)
	s_xor_b32 s23, exec_lo, s31
; %bb.16:                               ;   in Loop: Header=BB242_11 Depth=2
	ds_store_b32 v19, v1
; %bb.17:                               ;   in Loop: Header=BB242_11 Depth=2
	s_wait_alu 0xfffe
	s_or_saveexec_b32 s23, s23
	v_mov_b32_e32 v34, 0
	s_wait_alu 0xfffe
	s_xor_b32 exec_lo, exec_lo, s23
	s_cbranch_execz .LBB242_10
; %bb.18:                               ;   in Loop: Header=BB242_11 Depth=2
	v_mad_co_u64_u32 v[34:35], null, s16, v0, 0
	s_delay_alu instid0(VALU_DEP_1) | instskip(NEXT) | instid1(VALU_DEP_1)
	v_mad_co_u64_u32 v[35:36], null, s17, v0, v[35:36]
	v_lshlrev_b64_e32 v[34:35], 3, v[34:35]
	s_delay_alu instid0(VALU_DEP_1) | instskip(SKIP_1) | instid1(VALU_DEP_2)
	v_add_co_u32 v34, vcc_lo, v24, v34
	s_wait_alu 0xfffd
	v_add_co_ci_u32_e64 v35, null, v25, v35, vcc_lo
	global_load_b64 v[35:36], v[34:35], off
	s_wait_loadcnt 0x0
	v_xor_b32_e32 v34, 0x80000000, v36
	ds_store_b32 v19, v35
	s_branch .LBB242_10
.LBB242_19:                             ;   in Loop: Header=BB242_11 Depth=2
	s_wait_alu 0xfffe
	v_add_nc_u32_e32 v0, s2, v15
	v_mov_b32_e32 v11, v1
	s_and_not1_b32 s33, s6, exec_lo
	s_mov_b32 s23, exec_lo
	s_delay_alu instid0(VALU_DEP_2)
	v_cmp_le_u64_e32 vcc_lo, s[12:13], v[0:1]
	v_mov_b32_e32 v10, v0
	s_and_b32 s34, vcc_lo, exec_lo
	s_wait_alu 0xfffe
	s_or_b32 s33, s33, s34
	s_or_b32 exec_lo, exec_lo, s31
	s_wait_alu 0xfffe
	s_and_saveexec_b32 s31, s33
	s_delay_alu instid0(SALU_CYCLE_1)
	s_xor_b32 s31, exec_lo, s31
	s_cbranch_execz .LBB242_13
.LBB242_20:                             ;   in Loop: Header=BB242_11 Depth=2
	s_and_not1_b32 s23, s23, exec_lo
	ds_store_b32 v16, v1
	s_or_b32 exec_lo, exec_lo, s31
	v_mov_b32_e32 v34, 0
	s_wait_alu 0xfffe
	s_and_saveexec_b32 s31, s23
	s_cbranch_execnz .LBB242_14
	s_branch .LBB242_15
.LBB242_21:                             ;   in Loop: Header=BB242_8 Depth=1
	v_dual_mov_b32 v32, v1 :: v_dual_mov_b32 v33, v1
	v_dual_mov_b32 v30, v1 :: v_dual_mov_b32 v31, v1
	v_dual_mov_b32 v28, v1 :: v_dual_mov_b32 v29, v1
	v_dual_mov_b32 v27, v1 :: v_dual_mov_b32 v26, v1
.LBB242_22:                             ;   in Loop: Header=BB242_8 Depth=1
	s_mul_u64 s[2:3], s[28:29], s[26:27]
	s_wait_alu 0xfffe
	s_lshl_b64 s[2:3], s[2:3], 3
	s_wait_alu 0xfffe
	s_add_nc_u64 s[2:3], s[20:21], s[2:3]
	s_wait_alu 0xfffe
	v_add_co_u32 v0, vcc_lo, s2, v2
	s_wait_alu 0xfffd
	v_add_co_ci_u32_e64 v24, null, s3, v3, vcc_lo
	s_and_saveexec_b32 s23, s4
	s_cbranch_execz .LBB242_27
; %bb.23:                               ;   in Loop: Header=BB242_8 Depth=1
	v_mul_f32_e32 v13, s14, v33
	v_mul_f32_e32 v12, s15, v33
	s_and_b32 vcc_lo, exec_lo, s10
	s_mov_b32 s31, -1
	s_delay_alu instid0(VALU_DEP_2) | instskip(NEXT) | instid1(VALU_DEP_2)
	v_fmac_f32_e32 v13, s15, v32
	v_fma_f32 v12, v32, s14, -v12
	s_wait_alu 0xfffe
	s_cbranch_vccz .LBB242_25
; %bb.24:                               ;   in Loop: Header=BB242_8 Depth=1
	v_add_co_u32 v32, vcc_lo, v0, v6
	s_wait_alu 0xfffd
	v_add_co_ci_u32_e64 v33, null, v24, v7, vcc_lo
	s_mov_b32 s31, 0
	global_load_b64 v[34:35], v[32:33], off
	s_wait_loadcnt 0x0
	v_mul_f32_e32 v25, s25, v35
	s_delay_alu instid0(VALU_DEP_1) | instskip(SKIP_1) | instid1(VALU_DEP_1)
	v_fma_f32 v25, v34, s24, -v25
	v_mul_f32_e32 v35, s24, v35
	v_dual_fmac_f32 v35, s25, v34 :: v_dual_add_f32 v34, v12, v25
	s_delay_alu instid0(VALU_DEP_1)
	v_add_f32_e32 v35, v13, v35
	global_store_b64 v[32:33], v[34:35], off
.LBB242_25:                             ;   in Loop: Header=BB242_8 Depth=1
	s_and_not1_b32 vcc_lo, exec_lo, s31
	s_wait_alu 0xfffe
	s_cbranch_vccnz .LBB242_27
; %bb.26:                               ;   in Loop: Header=BB242_8 Depth=1
	v_add_co_u32 v32, vcc_lo, v0, v6
	s_wait_alu 0xfffd
	v_add_co_ci_u32_e64 v33, null, v24, v7, vcc_lo
	global_store_b64 v[32:33], v[12:13], off
.LBB242_27:                             ;   in Loop: Header=BB242_8 Depth=1
	s_wait_alu 0xfffe
	s_or_b32 exec_lo, exec_lo, s23
	s_and_saveexec_b32 s23, s5
	s_cbranch_execz .LBB242_32
; %bb.28:                               ;   in Loop: Header=BB242_8 Depth=1
	v_mul_f32_e32 v13, s14, v31
	v_mul_f32_e32 v12, s15, v31
	s_and_not1_b32 vcc_lo, exec_lo, s10
	s_mov_b32 s31, -1
	s_delay_alu instid0(VALU_DEP_2) | instskip(NEXT) | instid1(VALU_DEP_2)
	v_fmac_f32_e32 v13, s15, v30
	v_fma_f32 v12, v30, s14, -v12
	s_wait_alu 0xfffe
	s_cbranch_vccnz .LBB242_30
; %bb.29:                               ;   in Loop: Header=BB242_8 Depth=1
	v_add_co_u32 v30, vcc_lo, v0, v8
	s_wait_alu 0xfffd
	v_add_co_ci_u32_e64 v31, null, v24, v9, vcc_lo
	s_mov_b32 s31, 0
	global_load_b64 v[32:33], v[30:31], off
	s_wait_loadcnt 0x0
	v_mul_f32_e32 v25, s25, v33
	v_mul_f32_e32 v33, s24, v33
	s_delay_alu instid0(VALU_DEP_2) | instskip(NEXT) | instid1(VALU_DEP_1)
	v_fma_f32 v25, v32, s24, -v25
	v_dual_fmac_f32 v33, s25, v32 :: v_dual_add_f32 v32, v12, v25
	s_delay_alu instid0(VALU_DEP_1)
	v_add_f32_e32 v33, v13, v33
	global_store_b64 v[30:31], v[32:33], off
.LBB242_30:                             ;   in Loop: Header=BB242_8 Depth=1
	s_and_not1_b32 vcc_lo, exec_lo, s31
	s_wait_alu 0xfffe
	s_cbranch_vccnz .LBB242_32
; %bb.31:                               ;   in Loop: Header=BB242_8 Depth=1
	v_add_co_u32 v30, vcc_lo, v0, v8
	s_wait_alu 0xfffd
	v_add_co_ci_u32_e64 v31, null, v24, v9, vcc_lo
	global_store_b64 v[30:31], v[12:13], off
.LBB242_32:                             ;   in Loop: Header=BB242_8 Depth=1
	s_wait_alu 0xfffe
	s_or_b32 exec_lo, exec_lo, s23
	v_add_co_u32 v0, vcc_lo, s2, v4
	s_wait_alu 0xfffd
	v_add_co_ci_u32_e64 v24, null, s3, v5, vcc_lo
	s_and_saveexec_b32 s2, s11
	s_cbranch_execz .LBB242_37
; %bb.33:                               ;   in Loop: Header=BB242_8 Depth=1
	v_mul_f32_e32 v13, s14, v29
	v_mul_f32_e32 v12, s15, v29
	s_and_not1_b32 vcc_lo, exec_lo, s10
	s_mov_b32 s3, -1
	s_delay_alu instid0(VALU_DEP_2) | instskip(NEXT) | instid1(VALU_DEP_2)
	v_fmac_f32_e32 v13, s15, v28
	v_fma_f32 v12, v28, s14, -v12
	s_wait_alu 0xfffe
	s_cbranch_vccnz .LBB242_35
; %bb.34:                               ;   in Loop: Header=BB242_8 Depth=1
	v_add_co_u32 v28, vcc_lo, v0, v6
	s_wait_alu 0xfffd
	v_add_co_ci_u32_e64 v29, null, v24, v7, vcc_lo
	s_mov_b32 s3, 0
	global_load_b64 v[30:31], v[28:29], off
	s_wait_loadcnt 0x0
	v_mul_f32_e32 v25, s25, v31
	s_delay_alu instid0(VALU_DEP_1) | instskip(SKIP_1) | instid1(VALU_DEP_1)
	v_fma_f32 v25, v30, s24, -v25
	v_mul_f32_e32 v31, s24, v31
	v_dual_fmac_f32 v31, s25, v30 :: v_dual_add_f32 v30, v12, v25
	s_delay_alu instid0(VALU_DEP_1)
	v_add_f32_e32 v31, v13, v31
	global_store_b64 v[28:29], v[30:31], off
.LBB242_35:                             ;   in Loop: Header=BB242_8 Depth=1
	s_wait_alu 0xfffe
	s_and_not1_b32 vcc_lo, exec_lo, s3
	s_wait_alu 0xfffe
	s_cbranch_vccnz .LBB242_37
; %bb.36:                               ;   in Loop: Header=BB242_8 Depth=1
	v_add_co_u32 v28, vcc_lo, v0, v6
	s_wait_alu 0xfffd
	v_add_co_ci_u32_e64 v29, null, v24, v7, vcc_lo
	global_store_b64 v[28:29], v[12:13], off
.LBB242_37:                             ;   in Loop: Header=BB242_8 Depth=1
	s_wait_alu 0xfffe
	s_or_b32 exec_lo, exec_lo, s2
	s_and_saveexec_b32 s2, s1
	s_cbranch_execz .LBB242_7
; %bb.38:                               ;   in Loop: Header=BB242_8 Depth=1
	v_mul_f32_e32 v13, s14, v26
	v_mul_f32_e32 v12, s15, v26
	s_and_not1_b32 vcc_lo, exec_lo, s10
	s_mov_b32 s3, -1
	s_delay_alu instid0(VALU_DEP_2) | instskip(NEXT) | instid1(VALU_DEP_2)
	v_fmac_f32_e32 v13, s15, v27
	v_fma_f32 v12, v27, s14, -v12
	s_wait_alu 0xfffe
	s_cbranch_vccnz .LBB242_40
; %bb.39:                               ;   in Loop: Header=BB242_8 Depth=1
	v_add_co_u32 v25, vcc_lo, v0, v8
	s_wait_alu 0xfffd
	v_add_co_ci_u32_e64 v26, null, v24, v9, vcc_lo
	s_mov_b32 s3, 0
	global_load_b64 v[27:28], v[25:26], off
	s_wait_loadcnt 0x0
	v_mul_f32_e32 v29, s25, v28
	v_mul_f32_e32 v28, s24, v28
	s_delay_alu instid0(VALU_DEP_1) | instskip(NEXT) | instid1(VALU_DEP_3)
	v_fmac_f32_e32 v28, s25, v27
	v_fma_f32 v29, v27, s24, -v29
	s_delay_alu instid0(VALU_DEP_1)
	v_dual_add_f32 v28, v13, v28 :: v_dual_add_f32 v27, v12, v29
	global_store_b64 v[25:26], v[27:28], off
.LBB242_40:                             ;   in Loop: Header=BB242_8 Depth=1
	s_wait_alu 0xfffe
	s_and_not1_b32 vcc_lo, exec_lo, s3
	s_wait_alu 0xfffe
	s_cbranch_vccnz .LBB242_7
; %bb.41:                               ;   in Loop: Header=BB242_8 Depth=1
	v_add_co_u32 v25, vcc_lo, v0, v8
	s_wait_alu 0xfffd
	v_add_co_ci_u32_e64 v26, null, v24, v9, vcc_lo
	global_store_b64 v[25:26], v[12:13], off
	s_branch .LBB242_7
.LBB242_42:
	s_endpgm
	.section	.rodata,"a",@progbits
	.p2align	6, 0x0
	.amdhsa_kernel _ZL29rocblas_internal_gemmt_kernelIlLi16ELi32ELi8ELc67ELc67ELc85ELb1ELb1E19rocblas_complex_numIfES1_PKS1_PS1_EviT_T9_T10_S5_lS7_S5_lS6_T11_S5_li
		.amdhsa_group_segment_fixed_size 4096
		.amdhsa_private_segment_fixed_size 0
		.amdhsa_kernarg_size 108
		.amdhsa_user_sgpr_count 2
		.amdhsa_user_sgpr_dispatch_ptr 0
		.amdhsa_user_sgpr_queue_ptr 0
		.amdhsa_user_sgpr_kernarg_segment_ptr 1
		.amdhsa_user_sgpr_dispatch_id 0
		.amdhsa_user_sgpr_private_segment_size 0
		.amdhsa_wavefront_size32 1
		.amdhsa_uses_dynamic_stack 0
		.amdhsa_enable_private_segment 0
		.amdhsa_system_sgpr_workgroup_id_x 1
		.amdhsa_system_sgpr_workgroup_id_y 1
		.amdhsa_system_sgpr_workgroup_id_z 1
		.amdhsa_system_sgpr_workgroup_info 0
		.amdhsa_system_vgpr_workitem_id 1
		.amdhsa_next_free_vgpr 71
		.amdhsa_next_free_sgpr 36
		.amdhsa_reserve_vcc 1
		.amdhsa_float_round_mode_32 0
		.amdhsa_float_round_mode_16_64 0
		.amdhsa_float_denorm_mode_32 3
		.amdhsa_float_denorm_mode_16_64 3
		.amdhsa_fp16_overflow 0
		.amdhsa_workgroup_processor_mode 1
		.amdhsa_memory_ordered 1
		.amdhsa_forward_progress 1
		.amdhsa_inst_pref_size 26
		.amdhsa_round_robin_scheduling 0
		.amdhsa_exception_fp_ieee_invalid_op 0
		.amdhsa_exception_fp_denorm_src 0
		.amdhsa_exception_fp_ieee_div_zero 0
		.amdhsa_exception_fp_ieee_overflow 0
		.amdhsa_exception_fp_ieee_underflow 0
		.amdhsa_exception_fp_ieee_inexact 0
		.amdhsa_exception_int_div_zero 0
	.end_amdhsa_kernel
	.section	.text._ZL29rocblas_internal_gemmt_kernelIlLi16ELi32ELi8ELc67ELc67ELc85ELb1ELb1E19rocblas_complex_numIfES1_PKS1_PS1_EviT_T9_T10_S5_lS7_S5_lS6_T11_S5_li,"axG",@progbits,_ZL29rocblas_internal_gemmt_kernelIlLi16ELi32ELi8ELc67ELc67ELc85ELb1ELb1E19rocblas_complex_numIfES1_PKS1_PS1_EviT_T9_T10_S5_lS7_S5_lS6_T11_S5_li,comdat
.Lfunc_end242:
	.size	_ZL29rocblas_internal_gemmt_kernelIlLi16ELi32ELi8ELc67ELc67ELc85ELb1ELb1E19rocblas_complex_numIfES1_PKS1_PS1_EviT_T9_T10_S5_lS7_S5_lS6_T11_S5_li, .Lfunc_end242-_ZL29rocblas_internal_gemmt_kernelIlLi16ELi32ELi8ELc67ELc67ELc85ELb1ELb1E19rocblas_complex_numIfES1_PKS1_PS1_EviT_T9_T10_S5_lS7_S5_lS6_T11_S5_li
                                        ; -- End function
	.set _ZL29rocblas_internal_gemmt_kernelIlLi16ELi32ELi8ELc67ELc67ELc85ELb1ELb1E19rocblas_complex_numIfES1_PKS1_PS1_EviT_T9_T10_S5_lS7_S5_lS6_T11_S5_li.num_vgpr, 71
	.set _ZL29rocblas_internal_gemmt_kernelIlLi16ELi32ELi8ELc67ELc67ELc85ELb1ELb1E19rocblas_complex_numIfES1_PKS1_PS1_EviT_T9_T10_S5_lS7_S5_lS6_T11_S5_li.num_agpr, 0
	.set _ZL29rocblas_internal_gemmt_kernelIlLi16ELi32ELi8ELc67ELc67ELc85ELb1ELb1E19rocblas_complex_numIfES1_PKS1_PS1_EviT_T9_T10_S5_lS7_S5_lS6_T11_S5_li.numbered_sgpr, 36
	.set _ZL29rocblas_internal_gemmt_kernelIlLi16ELi32ELi8ELc67ELc67ELc85ELb1ELb1E19rocblas_complex_numIfES1_PKS1_PS1_EviT_T9_T10_S5_lS7_S5_lS6_T11_S5_li.num_named_barrier, 0
	.set _ZL29rocblas_internal_gemmt_kernelIlLi16ELi32ELi8ELc67ELc67ELc85ELb1ELb1E19rocblas_complex_numIfES1_PKS1_PS1_EviT_T9_T10_S5_lS7_S5_lS6_T11_S5_li.private_seg_size, 0
	.set _ZL29rocblas_internal_gemmt_kernelIlLi16ELi32ELi8ELc67ELc67ELc85ELb1ELb1E19rocblas_complex_numIfES1_PKS1_PS1_EviT_T9_T10_S5_lS7_S5_lS6_T11_S5_li.uses_vcc, 1
	.set _ZL29rocblas_internal_gemmt_kernelIlLi16ELi32ELi8ELc67ELc67ELc85ELb1ELb1E19rocblas_complex_numIfES1_PKS1_PS1_EviT_T9_T10_S5_lS7_S5_lS6_T11_S5_li.uses_flat_scratch, 0
	.set _ZL29rocblas_internal_gemmt_kernelIlLi16ELi32ELi8ELc67ELc67ELc85ELb1ELb1E19rocblas_complex_numIfES1_PKS1_PS1_EviT_T9_T10_S5_lS7_S5_lS6_T11_S5_li.has_dyn_sized_stack, 0
	.set _ZL29rocblas_internal_gemmt_kernelIlLi16ELi32ELi8ELc67ELc67ELc85ELb1ELb1E19rocblas_complex_numIfES1_PKS1_PS1_EviT_T9_T10_S5_lS7_S5_lS6_T11_S5_li.has_recursion, 0
	.set _ZL29rocblas_internal_gemmt_kernelIlLi16ELi32ELi8ELc67ELc67ELc85ELb1ELb1E19rocblas_complex_numIfES1_PKS1_PS1_EviT_T9_T10_S5_lS7_S5_lS6_T11_S5_li.has_indirect_call, 0
	.section	.AMDGPU.csdata,"",@progbits
; Kernel info:
; codeLenInByte = 3296
; TotalNumSgprs: 38
; NumVgprs: 71
; ScratchSize: 0
; MemoryBound: 0
; FloatMode: 240
; IeeeMode: 1
; LDSByteSize: 4096 bytes/workgroup (compile time only)
; SGPRBlocks: 0
; VGPRBlocks: 8
; NumSGPRsForWavesPerEU: 38
; NumVGPRsForWavesPerEU: 71
; Occupancy: 16
; WaveLimiterHint : 0
; COMPUTE_PGM_RSRC2:SCRATCH_EN: 0
; COMPUTE_PGM_RSRC2:USER_SGPR: 2
; COMPUTE_PGM_RSRC2:TRAP_HANDLER: 0
; COMPUTE_PGM_RSRC2:TGID_X_EN: 1
; COMPUTE_PGM_RSRC2:TGID_Y_EN: 1
; COMPUTE_PGM_RSRC2:TGID_Z_EN: 1
; COMPUTE_PGM_RSRC2:TIDIG_COMP_CNT: 1
	.section	.text._ZL29rocblas_internal_gemmt_kernelIlLi16ELi32ELi8ELc78ELc78ELc76ELb0ELb0E19rocblas_complex_numIfES1_PKS1_PS1_EviT_T9_T10_S5_lS7_S5_lS6_T11_S5_li,"axG",@progbits,_ZL29rocblas_internal_gemmt_kernelIlLi16ELi32ELi8ELc78ELc78ELc76ELb0ELb0E19rocblas_complex_numIfES1_PKS1_PS1_EviT_T9_T10_S5_lS7_S5_lS6_T11_S5_li,comdat
	.globl	_ZL29rocblas_internal_gemmt_kernelIlLi16ELi32ELi8ELc78ELc78ELc76ELb0ELb0E19rocblas_complex_numIfES1_PKS1_PS1_EviT_T9_T10_S5_lS7_S5_lS6_T11_S5_li ; -- Begin function _ZL29rocblas_internal_gemmt_kernelIlLi16ELi32ELi8ELc78ELc78ELc76ELb0ELb0E19rocblas_complex_numIfES1_PKS1_PS1_EviT_T9_T10_S5_lS7_S5_lS6_T11_S5_li
	.p2align	8
	.type	_ZL29rocblas_internal_gemmt_kernelIlLi16ELi32ELi8ELc78ELc78ELc76ELb0ELb0E19rocblas_complex_numIfES1_PKS1_PS1_EviT_T9_T10_S5_lS7_S5_lS6_T11_S5_li,@function
_ZL29rocblas_internal_gemmt_kernelIlLi16ELi32ELi8ELc78ELc78ELc76ELb0ELb0E19rocblas_complex_numIfES1_PKS1_PS1_EviT_T9_T10_S5_lS7_S5_lS6_T11_S5_li: ; @_ZL29rocblas_internal_gemmt_kernelIlLi16ELi32ELi8ELc78ELc78ELc76ELb0ELb0E19rocblas_complex_numIfES1_PKS1_PS1_EviT_T9_T10_S5_lS7_S5_lS6_T11_S5_li
; %bb.0:
	s_clause 0x1
	s_load_b64 s[24:25], s[0:1], 0x48
	s_load_b128 s[12:15], s[0:1], 0x8
	s_wait_kmcnt 0x0
	s_cmp_eq_f32 s24, 1.0
	s_cselect_b32 s2, -1, 0
	s_and_b32 s3, s25, 0x7fffffff
	s_delay_alu instid0(SALU_CYCLE_1) | instskip(SKIP_1) | instid1(SALU_CYCLE_1)
	s_cmp_eq_u32 s3, 0
	s_cselect_b32 s31, -1, 0
	s_and_b32 s3, s2, s31
	s_mov_b32 s2, 0
	s_and_not1_b32 vcc_lo, exec_lo, s3
	s_mov_b32 s3, -1
	s_cbranch_vccnz .LBB243_4
; %bb.1:
	s_cmp_lg_u64 s[12:13], 0
	s_cbranch_scc0 .LBB243_3
; %bb.2:
	s_cmp_neq_f32 s14, 0
	s_cselect_b32 s2, -1, 0
	s_cmp_neq_f32 s15, 0
	s_cselect_b32 s3, -1, 0
	s_delay_alu instid0(SALU_CYCLE_1)
	s_or_b32 s2, s2, s3
.LBB243_3:
	s_delay_alu instid0(SALU_CYCLE_1)
	s_mov_b32 s3, s2
.LBB243_4:
	s_delay_alu instid0(SALU_CYCLE_1)
	s_and_b32 vcc_lo, exec_lo, s3
	s_cbranch_vccz .LBB243_42
; %bb.5:
	s_load_b32 s30, s[0:1], 0x68
	s_lshr_b32 s26, ttmp7, 16
	s_wait_kmcnt 0x0
	s_cmp_ge_u32 s26, s30
	s_cbranch_scc1 .LBB243_42
; %bb.6:
	v_and_b32_e32 v7, 0x3ff, v0
	v_bfe_u32 v10, v0, 10, 10
	s_clause 0x1
	s_load_b128 s[16:19], s[0:1], 0x38
	s_load_b64 s[28:29], s[0:1], 0x60
	s_lshl_b32 s2, ttmp7, 5
	s_clause 0x2
	s_load_b32 s33, s[0:1], 0x0
	s_load_b256 s[4:11], s[0:1], 0x18
	s_load_b128 s[20:23], s[0:1], 0x50
	v_lshl_add_u32 v2, v10, 4, v7
	s_and_b32 s0, s2, 0x1fffe0
	v_and_b32_e32 v14, 7, v0
	s_lshl_b32 s2, ttmp9, 5
	s_cmp_neq_f32 s14, 0
	v_lshrrev_b32_e32 v3, 3, v2
	v_and_b32_e32 v9, 31, v2
	v_lshrrev_b32_e32 v15, 5, v2
	s_cselect_b32 s1, -1, 0
	s_cmp_neq_f32 s15, 0
	v_add_nc_u32_e32 v6, s0, v3
	v_or_b32_e32 v2, s2, v9
	v_add_nc_u32_e32 v11, s0, v10
	s_cselect_b32 s0, -1, 0
	v_lshl_add_u32 v23, v10, 6, 0x800
	s_wait_alu 0xfffe
	s_or_b32 s35, s1, s0
	s_wait_kmcnt 0x0
	v_mad_co_u64_u32 v[0:1], null, s16, v6, 0
	v_cmp_gt_i32_e64 s0, s33, v2
	v_cmp_le_i32_e64 s16, s33, v2
	v_add_nc_u32_e32 v12, 16, v11
	s_cmp_neq_f32 s24, 0
	v_cmp_gt_i64_e64 s34, s[12:13], 0
	s_mov_b32 s27, 0
	v_mad_co_u64_u32 v[4:5], null, s17, v6, v[1:2]
	v_lshlrev_b32_e32 v1, 3, v9
	s_cselect_b32 s17, -1, 0
	s_delay_alu instid0(VALU_DEP_1) | instskip(NEXT) | instid1(VALU_DEP_3)
	v_lshl_or_b32 v16, v15, 8, v1
	v_dual_mov_b32 v1, v4 :: v_dual_lshlrev_b32 v8, 3, v14
	s_delay_alu instid0(VALU_DEP_1) | instskip(NEXT) | instid1(VALU_DEP_2)
	v_lshlrev_b64_e32 v[0:1], 3, v[0:1]
	v_lshl_or_b32 v5, v3, 6, v8
	v_ashrrev_i32_e32 v3, 31, v2
	v_mad_co_u64_u32 v[8:9], null, s22, v12, 0
	s_delay_alu instid0(VALU_DEP_3) | instskip(NEXT) | instid1(VALU_DEP_3)
	v_add_nc_u32_e32 v17, 0x800, v5
	v_lshlrev_b64_e32 v[2:3], 3, v[2:3]
	v_mad_co_u64_u32 v[4:5], null, s22, v11, 0
	s_xor_b32 s22, s31, -1
	s_wait_alu 0xfffe
	s_or_b32 s17, s17, s22
	v_add_co_u32 v18, s1, s4, v2
	s_wait_alu 0xf1ff
	v_add_co_ci_u32_e64 v19, null, s5, v3, s1
	v_add_co_u32 v20, s1, s10, v0
	v_mov_b32_e32 v0, v5
	s_wait_alu 0xf1ff
	v_add_co_ci_u32_e64 v21, null, s11, v1, s1
	v_lshlrev_b32_e32 v22, 3, v7
	s_and_b32 s11, s35, s34
	v_mad_co_u64_u32 v[0:1], null, s23, v11, v[0:1]
	v_mov_b32_e32 v1, v9
	v_cmp_gt_i32_e32 vcc_lo, s33, v6
	v_add_nc_u32_e32 v6, s2, v7
	s_delay_alu instid0(VALU_DEP_3) | instskip(SKIP_2) | instid1(VALU_DEP_1)
	v_mad_co_u64_u32 v[1:2], null, s23, v12, v[1:2]
	v_mov_b32_e32 v5, v0
	s_xor_b32 s22, vcc_lo, -1
	v_lshlrev_b64_e32 v[2:3], 3, v[4:5]
	s_delay_alu instid0(VALU_DEP_3)
	v_mov_b32_e32 v9, v1
	v_dual_mov_b32 v1, 0 :: v_dual_add_nc_u32 v10, 16, v6
	v_cmp_le_i32_e64 s1, v11, v6
	v_cmp_gt_i32_e64 s2, s33, v6
	v_ashrrev_i32_e32 v7, 31, v6
	v_lshlrev_b64_e32 v[4:5], 3, v[8:9]
	v_cmp_le_i32_e64 s3, v11, v10
	v_cmp_gt_i32_e64 s4, s33, v10
	v_ashrrev_i32_e32 v11, 31, v10
	s_and_b32 s5, s1, s2
	v_cmp_le_i32_e64 s1, v12, v6
	v_lshlrev_b64_e32 v[6:7], 3, v[6:7]
	s_and_b32 s10, s3, s4
	v_cmp_le_i32_e64 s3, v12, v10
	v_lshlrev_b64_e32 v[8:9], 3, v[10:11]
	s_and_b32 s1, s1, s2
                                        ; implicit-def: $vgpr10_vgpr11
	s_and_b32 s4, s3, s4
	s_branch .LBB243_8
.LBB243_7:                              ;   in Loop: Header=BB243_8 Depth=1
	s_wait_alu 0xfffe
	s_or_b32 exec_lo, exec_lo, s2
	s_add_co_i32 s26, s26, 0x10000
	s_delay_alu instid0(SALU_CYCLE_1)
	s_cmp_lt_u32 s26, s30
	s_cbranch_scc0 .LBB243_42
.LBB243_8:                              ; =>This Loop Header: Depth=1
                                        ;     Child Loop BB243_11 Depth 2
	s_wait_alu 0xfffe
	s_and_not1_b32 vcc_lo, exec_lo, s11
	s_wait_alu 0xfffe
	s_cbranch_vccnz .LBB243_21
; %bb.9:                                ;   in Loop: Header=BB243_8 Depth=1
	s_mul_u64 s[2:3], s[8:9], s[26:27]
	s_mul_u64 s[34:35], s[18:19], s[26:27]
	s_wait_alu 0xfffe
	s_lshl_b64 s[2:3], s[2:3], 3
	v_dual_mov_b32 v26, 0 :: v_dual_mov_b32 v27, 0
	s_wait_alu 0xfffe
	v_add_co_u32 v12, vcc_lo, v18, s2
	s_wait_alu 0xfffd
	v_add_co_ci_u32_e64 v13, null, s3, v19, vcc_lo
	s_lshl_b64 s[2:3], s[34:35], 3
	v_dual_mov_b32 v29, 0 :: v_dual_mov_b32 v28, 0
	s_wait_alu 0xfffe
	v_add_co_u32 v24, vcc_lo, v20, s2
	s_wait_alu 0xfffd
	v_add_co_ci_u32_e64 v25, null, s3, v21, vcc_lo
	v_dual_mov_b32 v31, 0 :: v_dual_mov_b32 v30, 0
	v_dual_mov_b32 v33, 0 :: v_dual_mov_b32 v32, 0
	s_mov_b64 s[2:3], 0
	s_branch .LBB243_11
.LBB243_10:                             ;   in Loop: Header=BB243_11 Depth=2
	s_wait_alu 0xfffe
	s_or_b32 exec_lo, exec_lo, s23
	s_wait_dscnt 0x0
	s_barrier_signal -1
	s_barrier_wait -1
	global_inv scope:SCOPE_SE
	ds_load_b128 v[34:37], v23
	ds_load_2addr_b64 v[38:41], v22 offset1:16
	ds_load_b128 v[42:45], v23 offset:1024
	ds_load_b128 v[46:49], v23 offset:16
	;; [unrolled: 1-line block ×4, first 2 shown]
	ds_load_2addr_b64 v[58:61], v22 offset0:32 offset1:48
	ds_load_b128 v[62:65], v23 offset:1040
	s_add_nc_u64 s[2:3], s[2:3], 8
	s_wait_alu 0xfffe
	v_cmp_gt_i64_e64 s23, s[12:13], s[2:3]
	s_and_b32 vcc_lo, exec_lo, s23
	s_wait_dscnt 0x6
	v_mul_f32_e32 v0, v35, v39
	v_dual_mul_f32 v66, v34, v39 :: v_dual_mul_f32 v67, v35, v41
	s_wait_dscnt 0x5
	v_dual_mul_f32 v68, v34, v41 :: v_dual_mul_f32 v69, v43, v39
	v_dual_mul_f32 v39, v42, v39 :: v_dual_mul_f32 v70, v43, v41
	v_mul_f32_e32 v41, v42, v41
	v_fma_f32 v0, v34, v38, -v0
	v_fma_f32 v34, v34, v40, -v67
	v_fmac_f32_e32 v68, v35, v40
	v_fmac_f32_e32 v39, v43, v38
	;; [unrolled: 1-line block ×3, first 2 shown]
	v_add_f32_e32 v0, v32, v0
	v_fmac_f32_e32 v66, v35, v38
	v_fma_f32 v35, v42, v38, -v69
	v_fma_f32 v38, v42, v40, -v70
	v_add_f32_e32 v26, v26, v41
	s_delay_alu instid0(VALU_DEP_4) | instskip(NEXT) | instid1(VALU_DEP_4)
	v_add_f32_e32 v32, v33, v66
	v_dual_add_f32 v33, v30, v34 :: v_dual_add_f32 v34, v28, v35
	v_add_f32_e32 v35, v29, v39
	s_wait_dscnt 0x1
	v_dual_mul_f32 v39, v37, v59 :: v_dual_add_f32 v38, v27, v38
	ds_load_2addr_b64 v[27:30], v22 offset0:64 offset1:80
	v_mul_f32_e32 v42, v37, v61
	v_mul_f32_e32 v41, v36, v61
	;; [unrolled: 1-line block ×3, first 2 shown]
	v_fma_f32 v39, v36, v58, -v39
	v_add_f32_e32 v31, v31, v68
	v_fma_f32 v36, v36, v60, -v42
	s_delay_alu instid0(VALU_DEP_3) | instskip(SKIP_1) | instid1(VALU_DEP_3)
	v_add_f32_e32 v0, v0, v39
	v_mul_f32_e32 v39, v45, v59
	v_add_f32_e32 v36, v33, v36
	v_fmac_f32_e32 v41, v37, v60
	v_fmac_f32_e32 v40, v37, v58
	v_mul_f32_e32 v37, v45, v61
	v_fma_f32 v33, v44, v58, -v39
	s_delay_alu instid0(VALU_DEP_4) | instskip(NEXT) | instid1(VALU_DEP_3)
	v_add_f32_e32 v39, v31, v41
	v_fma_f32 v31, v44, v60, -v37
	v_mul_f32_e32 v41, v44, v61
	s_wait_dscnt 0x0
	v_mul_f32_e32 v37, v46, v28
	v_add_f32_e32 v40, v32, v40
	v_add_f32_e32 v38, v38, v31
	v_dual_mul_f32 v32, v44, v59 :: v_dual_fmac_f32 v41, v45, v60
	v_mul_f32_e32 v44, v47, v30
	s_delay_alu instid0(VALU_DEP_2) | instskip(NEXT) | instid1(VALU_DEP_3)
	v_dual_fmac_f32 v37, v47, v27 :: v_dual_fmac_f32 v32, v45, v58
	v_add_f32_e32 v41, v26, v41
	v_dual_add_f32 v42, v34, v33 :: v_dual_mul_f32 v33, v47, v28
	s_delay_alu instid0(VALU_DEP_3) | instskip(NEXT) | instid1(VALU_DEP_4)
	v_dual_mul_f32 v26, v46, v30 :: v_dual_add_f32 v37, v40, v37
	v_add_f32_e32 v35, v35, v32
	s_delay_alu instid0(VALU_DEP_3) | instskip(SKIP_4) | instid1(VALU_DEP_1)
	v_fma_f32 v43, v46, v27, -v33
	ds_load_2addr_b64 v[31:34], v22 offset0:96 offset1:112
	v_fmac_f32_e32 v26, v47, v29
	v_add_f32_e32 v0, v0, v43
	v_fma_f32 v43, v46, v29, -v44
	v_dual_add_f32 v39, v39, v26 :: v_dual_add_f32 v36, v36, v43
	v_mul_f32_e32 v43, v63, v30
	v_mul_f32_e32 v30, v62, v30
	s_delay_alu instid0(VALU_DEP_2) | instskip(SKIP_1) | instid1(VALU_DEP_3)
	v_fma_f32 v26, v62, v29, -v43
	v_mul_f32_e32 v40, v63, v28
	v_fmac_f32_e32 v30, v63, v29
	s_wait_dscnt 0x0
	v_dual_mul_f32 v28, v62, v28 :: v_dual_mul_f32 v47, v65, v34
	v_add_f32_e32 v43, v38, v26
	v_fma_f32 v40, v62, v27, -v40
	v_dual_mul_f32 v38, v48, v32 :: v_dual_add_f32 v41, v41, v30
	s_delay_alu instid0(VALU_DEP_4) | instskip(SKIP_1) | instid1(VALU_DEP_3)
	v_fmac_f32_e32 v28, v63, v27
	v_mul_f32_e32 v30, v48, v34
	v_fmac_f32_e32 v38, v49, v31
	v_add_f32_e32 v40, v42, v40
	s_delay_alu instid0(VALU_DEP_4)
	v_add_f32_e32 v42, v35, v28
	ds_load_2addr_b64 v[26:29], v22 offset0:128 offset1:144
	v_mul_f32_e32 v35, v49, v32
	v_mul_f32_e32 v44, v49, v34
	v_fmac_f32_e32 v30, v49, v33
	v_mul_f32_e32 v34, v64, v34
	s_delay_alu instid0(VALU_DEP_4)
	v_fma_f32 v35, v48, v31, -v35
	s_wait_dscnt 0x0
	v_mul_f32_e32 v49, v50, v27
	v_fma_f32 v44, v48, v33, -v44
	v_add_f32_e32 v48, v39, v30
	v_fma_f32 v30, v64, v33, -v47
	s_delay_alu instid0(VALU_DEP_4) | instskip(NEXT) | instid1(VALU_DEP_4)
	v_fmac_f32_e32 v49, v51, v26
	v_dual_add_f32 v45, v37, v38 :: v_dual_add_f32 v44, v36, v44
	s_delay_alu instid0(VALU_DEP_3) | instskip(SKIP_1) | instid1(VALU_DEP_3)
	v_dual_add_f32 v43, v43, v30 :: v_dual_add_f32 v0, v0, v35
	v_mul_f32_e32 v35, v65, v32
	v_dual_mul_f32 v32, v64, v32 :: v_dual_add_f32 v45, v45, v49
	s_delay_alu instid0(VALU_DEP_2) | instskip(SKIP_3) | instid1(VALU_DEP_2)
	v_fma_f32 v46, v64, v31, -v35
	ds_load_b128 v[35:38], v23 offset:1056
	v_fmac_f32_e32 v32, v65, v31
	v_dual_mul_f32 v31, v51, v27 :: v_dual_fmac_f32 v34, v65, v33
	v_add_f32_e32 v47, v42, v32
	s_delay_alu instid0(VALU_DEP_2)
	v_fma_f32 v39, v50, v26, -v31
	ds_load_2addr_b64 v[30:33], v22 offset0:160 offset1:176
	v_add_f32_e32 v46, v40, v46
	v_mul_f32_e32 v40, v51, v29
	v_add_f32_e32 v34, v41, v34
	v_add_f32_e32 v0, v0, v39
	s_delay_alu instid0(VALU_DEP_3) | instskip(SKIP_4) | instid1(VALU_DEP_2)
	v_fma_f32 v58, v50, v28, -v40
	ds_load_b128 v[39:42], v23 offset:1072
	s_wait_dscnt 0x2
	v_dual_mul_f32 v50, v50, v29 :: v_dual_mul_f32 v59, v36, v27
	v_mul_f32_e32 v27, v35, v27
	v_dual_fmac_f32 v50, v51, v28 :: v_dual_mul_f32 v51, v36, v29
	s_delay_alu instid0(VALU_DEP_3) | instskip(NEXT) | instid1(VALU_DEP_3)
	v_fma_f32 v49, v35, v26, -v59
	v_fmac_f32_e32 v27, v36, v26
	s_delay_alu instid0(VALU_DEP_3) | instskip(SKIP_2) | instid1(VALU_DEP_4)
	v_add_f32_e32 v48, v48, v50
	v_mul_f32_e32 v50, v35, v29
	v_fma_f32 v26, v35, v28, -v51
	v_add_f32_e32 v35, v47, v27
	s_wait_dscnt 0x1
	s_delay_alu instid0(VALU_DEP_3) | instskip(NEXT) | instid1(VALU_DEP_3)
	v_dual_mul_f32 v47, v53, v31 :: v_dual_fmac_f32 v50, v36, v28
	v_add_f32_e32 v43, v43, v26
	ds_load_2addr_b64 v[26:29], v22 offset0:192 offset1:208
	v_mul_f32_e32 v36, v52, v31
	v_add_f32_e32 v46, v46, v49
	v_fma_f32 v47, v52, v30, -v47
	v_mul_f32_e32 v49, v53, v33
	s_delay_alu instid0(VALU_DEP_4) | instskip(NEXT) | instid1(VALU_DEP_3)
	v_fmac_f32_e32 v36, v53, v30
	v_add_f32_e32 v0, v0, v47
	s_delay_alu instid0(VALU_DEP_3) | instskip(NEXT) | instid1(VALU_DEP_3)
	v_fma_f32 v47, v52, v32, -v49
	v_dual_add_f32 v45, v45, v36 :: v_dual_mul_f32 v36, v38, v31
	v_mul_f32_e32 v31, v37, v31
	s_delay_alu instid0(VALU_DEP_2) | instskip(NEXT) | instid1(VALU_DEP_2)
	v_fma_f32 v36, v37, v30, -v36
	v_fmac_f32_e32 v31, v38, v30
	v_add_f32_e32 v44, v44, v58
	s_delay_alu instid0(VALU_DEP_2) | instskip(NEXT) | instid1(VALU_DEP_2)
	v_dual_mul_f32 v30, v37, v33 :: v_dual_add_f32 v31, v35, v31
	v_dual_add_f32 v44, v44, v47 :: v_dual_mul_f32 v47, v38, v33
	v_add_f32_e32 v50, v34, v50
	v_mul_f32_e32 v34, v52, v33
	s_delay_alu instid0(VALU_DEP_4) | instskip(NEXT) | instid1(VALU_DEP_4)
	v_fmac_f32_e32 v30, v38, v32
	v_fma_f32 v33, v37, v32, -v47
	s_wait_dscnt 0x0
	s_delay_alu instid0(VALU_DEP_3) | instskip(NEXT) | instid1(VALU_DEP_2)
	v_dual_mul_f32 v47, v40, v27 :: v_dual_fmac_f32 v34, v53, v32
	v_dual_add_f32 v32, v43, v33 :: v_dual_mul_f32 v33, v54, v27
	v_mul_f32_e32 v43, v55, v29
	s_delay_alu instid0(VALU_DEP_2) | instskip(NEXT) | instid1(VALU_DEP_2)
	v_dual_fmac_f32 v33, v55, v26 :: v_dual_add_f32 v46, v46, v36
	v_fma_f32 v43, v54, v28, -v43
	s_delay_alu instid0(VALU_DEP_2) | instskip(SKIP_3) | instid1(VALU_DEP_3)
	v_dual_add_f32 v33, v45, v33 :: v_dual_add_f32 v48, v48, v34
	v_mul_f32_e32 v34, v55, v27
	v_mul_f32_e32 v27, v39, v27
	;; [unrolled: 1-line block ×3, first 2 shown]
	v_fma_f32 v38, v54, v26, -v34
	ds_load_2addr_b64 v[34:37], v22 offset0:224 offset1:240
	v_fmac_f32_e32 v27, v40, v26
	v_add_f32_e32 v30, v50, v30
	s_wait_loadcnt_dscnt 0x0
	v_add_f32_e32 v0, v0, v38
	s_barrier_signal -1
	v_dual_add_f32 v27, v31, v27 :: v_dual_mul_f32 v38, v54, v29
	v_mul_f32_e32 v29, v39, v29
	s_barrier_wait -1
	global_inv scope:SCOPE_SE
	v_fmac_f32_e32 v38, v55, v28
	v_fmac_f32_e32 v29, v40, v28
	s_delay_alu instid0(VALU_DEP_1) | instskip(SKIP_2) | instid1(VALU_DEP_2)
	v_add_f32_e32 v40, v30, v29
	v_mul_f32_e32 v29, v56, v37
	v_mul_f32_e32 v31, v57, v35
	v_fmac_f32_e32 v29, v57, v36
	v_add_f32_e32 v43, v44, v43
	v_fma_f32 v44, v39, v26, -v47
	v_fma_f32 v39, v39, v28, -v45
	v_fma_f32 v31, v56, v34, -v31
	s_delay_alu instid0(VALU_DEP_2) | instskip(SKIP_1) | instid1(VALU_DEP_2)
	v_dual_add_f32 v39, v32, v39 :: v_dual_mul_f32 v32, v57, v37
	v_mul_f32_e32 v28, v56, v35
	v_fma_f32 v30, v56, v36, -v32
	s_delay_alu instid0(VALU_DEP_4) | instskip(SKIP_1) | instid1(VALU_DEP_4)
	v_add_f32_e32 v32, v0, v31
	v_mul_f32_e32 v0, v42, v35
	v_fmac_f32_e32 v28, v57, v34
	s_delay_alu instid0(VALU_DEP_4) | instskip(SKIP_1) | instid1(VALU_DEP_4)
	v_dual_mul_f32 v35, v41, v35 :: v_dual_add_f32 v30, v43, v30
	v_mul_f32_e32 v43, v42, v37
	v_fma_f32 v0, v41, v34, -v0
	v_dual_mul_f32 v37, v41, v37 :: v_dual_add_f32 v26, v48, v38
	v_add_f32_e32 v38, v46, v44
	v_add_f32_e32 v33, v33, v28
	v_fmac_f32_e32 v35, v42, v34
	s_delay_alu instid0(VALU_DEP_4) | instskip(SKIP_3) | instid1(VALU_DEP_4)
	v_fmac_f32_e32 v37, v42, v36
	v_add_f32_e32 v31, v26, v29
	v_add_f32_e32 v28, v38, v0
	v_fma_f32 v0, v41, v36, -v43
	v_dual_add_f32 v29, v27, v35 :: v_dual_add_f32 v26, v40, v37
	s_delay_alu instid0(VALU_DEP_2)
	v_add_f32_e32 v27, v39, v0
	s_wait_alu 0xfffe
	s_cbranch_vccz .LBB243_22
.LBB243_11:                             ;   Parent Loop BB243_8 Depth=1
                                        ; =>  This Inner Loop Header: Depth=2
	s_mov_b32 s23, 0
	s_mov_b32 s33, s16
	s_and_saveexec_b32 s31, s0
	s_cbranch_execnz .LBB243_19
; %bb.12:                               ;   in Loop: Header=BB243_11 Depth=2
	s_or_b32 exec_lo, exec_lo, s31
	s_wait_alu 0xfffe
	s_and_saveexec_b32 s31, s33
	s_delay_alu instid0(SALU_CYCLE_1)
	s_xor_b32 s31, exec_lo, s31
	s_cbranch_execnz .LBB243_20
.LBB243_13:                             ;   in Loop: Header=BB243_11 Depth=2
	s_or_b32 exec_lo, exec_lo, s31
	s_and_saveexec_b32 s31, s23
	s_cbranch_execz .LBB243_15
.LBB243_14:                             ;   in Loop: Header=BB243_11 Depth=2
	v_mul_lo_u32 v0, s7, v10
	v_mul_lo_u32 v36, s6, v11
	v_mad_co_u64_u32 v[34:35], null, s6, v10, 0
	s_delay_alu instid0(VALU_DEP_1) | instskip(NEXT) | instid1(VALU_DEP_1)
	v_add3_u32 v35, v35, v36, v0
	v_lshlrev_b64_e32 v[34:35], 3, v[34:35]
	s_delay_alu instid0(VALU_DEP_1) | instskip(SKIP_1) | instid1(VALU_DEP_2)
	v_add_co_u32 v34, vcc_lo, v12, v34
	s_wait_alu 0xfffd
	v_add_co_ci_u32_e64 v35, null, v13, v35, vcc_lo
	global_load_b64 v[34:35], v[34:35], off
	s_wait_loadcnt 0x0
	ds_store_b64 v16, v[34:35]
.LBB243_15:                             ;   in Loop: Header=BB243_11 Depth=2
	s_or_b32 exec_lo, exec_lo, s31
	v_add_nc_u32_e32 v0, s2, v14
	s_delay_alu instid0(VALU_DEP_1) | instskip(SKIP_3) | instid1(SALU_CYCLE_1)
	v_cmp_le_u64_e32 vcc_lo, s[12:13], v[0:1]
	s_or_b32 s23, vcc_lo, s22
	s_wait_alu 0xfffe
	s_and_saveexec_b32 s31, s23
	s_xor_b32 s23, exec_lo, s31
; %bb.16:                               ;   in Loop: Header=BB243_11 Depth=2
	v_mov_b32_e32 v0, v1
	ds_store_b64 v17, v[0:1]
; %bb.17:                               ;   in Loop: Header=BB243_11 Depth=2
	s_wait_alu 0xfffe
	s_and_not1_saveexec_b32 s23, s23
	s_cbranch_execz .LBB243_10
; %bb.18:                               ;   in Loop: Header=BB243_11 Depth=2
	v_lshlrev_b64_e32 v[34:35], 3, v[0:1]
	s_delay_alu instid0(VALU_DEP_1) | instskip(SKIP_1) | instid1(VALU_DEP_2)
	v_add_co_u32 v34, vcc_lo, v24, v34
	s_wait_alu 0xfffd
	v_add_co_ci_u32_e64 v35, null, v25, v35, vcc_lo
	global_load_b64 v[34:35], v[34:35], off
	s_wait_loadcnt 0x0
	ds_store_b64 v17, v[34:35]
	s_branch .LBB243_10
.LBB243_19:                             ;   in Loop: Header=BB243_11 Depth=2
	s_wait_alu 0xfffe
	v_add_nc_u32_e32 v0, s2, v15
	v_mov_b32_e32 v11, v1
	s_and_not1_b32 s33, s16, exec_lo
	s_mov_b32 s23, exec_lo
	s_delay_alu instid0(VALU_DEP_2)
	v_cmp_le_u64_e32 vcc_lo, s[12:13], v[0:1]
	v_mov_b32_e32 v10, v0
	s_and_b32 s34, vcc_lo, exec_lo
	s_wait_alu 0xfffe
	s_or_b32 s33, s33, s34
	s_or_b32 exec_lo, exec_lo, s31
	s_wait_alu 0xfffe
	s_and_saveexec_b32 s31, s33
	s_delay_alu instid0(SALU_CYCLE_1)
	s_xor_b32 s31, exec_lo, s31
	s_cbranch_execz .LBB243_13
.LBB243_20:                             ;   in Loop: Header=BB243_11 Depth=2
	v_mov_b32_e32 v0, v1
	s_and_not1_b32 s23, s23, exec_lo
	ds_store_b64 v16, v[0:1]
	s_or_b32 exec_lo, exec_lo, s31
	s_wait_alu 0xfffe
	s_and_saveexec_b32 s31, s23
	s_cbranch_execnz .LBB243_14
	s_branch .LBB243_15
.LBB243_21:                             ;   in Loop: Header=BB243_8 Depth=1
	v_dual_mov_b32 v32, v1 :: v_dual_mov_b32 v33, v1
	v_dual_mov_b32 v30, v1 :: v_dual_mov_b32 v31, v1
	;; [unrolled: 1-line block ×4, first 2 shown]
.LBB243_22:                             ;   in Loop: Header=BB243_8 Depth=1
	s_mul_u64 s[2:3], s[28:29], s[26:27]
	s_wait_alu 0xfffe
	s_lshl_b64 s[2:3], s[2:3], 3
	s_wait_alu 0xfffe
	s_add_nc_u64 s[2:3], s[20:21], s[2:3]
	s_wait_alu 0xfffe
	v_add_co_u32 v0, vcc_lo, s2, v2
	s_wait_alu 0xfffd
	v_add_co_ci_u32_e64 v24, null, s3, v3, vcc_lo
	s_and_saveexec_b32 s23, s5
	s_cbranch_execz .LBB243_27
; %bb.23:                               ;   in Loop: Header=BB243_8 Depth=1
	v_mul_f32_e32 v13, s14, v33
	v_mul_f32_e32 v12, s15, v33
	s_and_b32 vcc_lo, exec_lo, s17
	s_mov_b32 s31, -1
	s_delay_alu instid0(VALU_DEP_2) | instskip(NEXT) | instid1(VALU_DEP_2)
	v_fmac_f32_e32 v13, s15, v32
	v_fma_f32 v12, v32, s14, -v12
	s_wait_alu 0xfffe
	s_cbranch_vccz .LBB243_25
; %bb.24:                               ;   in Loop: Header=BB243_8 Depth=1
	v_add_co_u32 v32, vcc_lo, v0, v6
	s_wait_alu 0xfffd
	v_add_co_ci_u32_e64 v33, null, v24, v7, vcc_lo
	s_mov_b32 s31, 0
	global_load_b64 v[34:35], v[32:33], off
	s_wait_loadcnt 0x0
	v_mul_f32_e32 v25, s25, v35
	s_delay_alu instid0(VALU_DEP_1) | instskip(SKIP_1) | instid1(VALU_DEP_1)
	v_fma_f32 v25, v34, s24, -v25
	v_mul_f32_e32 v35, s24, v35
	v_dual_fmac_f32 v35, s25, v34 :: v_dual_add_f32 v34, v12, v25
	s_delay_alu instid0(VALU_DEP_1)
	v_add_f32_e32 v35, v13, v35
	global_store_b64 v[32:33], v[34:35], off
.LBB243_25:                             ;   in Loop: Header=BB243_8 Depth=1
	s_and_not1_b32 vcc_lo, exec_lo, s31
	s_wait_alu 0xfffe
	s_cbranch_vccnz .LBB243_27
; %bb.26:                               ;   in Loop: Header=BB243_8 Depth=1
	v_add_co_u32 v32, vcc_lo, v0, v6
	s_wait_alu 0xfffd
	v_add_co_ci_u32_e64 v33, null, v24, v7, vcc_lo
	global_store_b64 v[32:33], v[12:13], off
.LBB243_27:                             ;   in Loop: Header=BB243_8 Depth=1
	s_wait_alu 0xfffe
	s_or_b32 exec_lo, exec_lo, s23
	s_and_saveexec_b32 s23, s10
	s_cbranch_execz .LBB243_32
; %bb.28:                               ;   in Loop: Header=BB243_8 Depth=1
	v_mul_f32_e32 v13, s14, v31
	v_mul_f32_e32 v12, s15, v31
	s_and_not1_b32 vcc_lo, exec_lo, s17
	s_mov_b32 s31, -1
	s_delay_alu instid0(VALU_DEP_2) | instskip(NEXT) | instid1(VALU_DEP_2)
	v_fmac_f32_e32 v13, s15, v30
	v_fma_f32 v12, v30, s14, -v12
	s_wait_alu 0xfffe
	s_cbranch_vccnz .LBB243_30
; %bb.29:                               ;   in Loop: Header=BB243_8 Depth=1
	v_add_co_u32 v30, vcc_lo, v0, v8
	s_wait_alu 0xfffd
	v_add_co_ci_u32_e64 v31, null, v24, v9, vcc_lo
	s_mov_b32 s31, 0
	global_load_b64 v[32:33], v[30:31], off
	s_wait_loadcnt 0x0
	v_mul_f32_e32 v25, s25, v33
	v_mul_f32_e32 v33, s24, v33
	s_delay_alu instid0(VALU_DEP_2) | instskip(NEXT) | instid1(VALU_DEP_1)
	v_fma_f32 v25, v32, s24, -v25
	v_dual_fmac_f32 v33, s25, v32 :: v_dual_add_f32 v32, v12, v25
	s_delay_alu instid0(VALU_DEP_1)
	v_add_f32_e32 v33, v13, v33
	global_store_b64 v[30:31], v[32:33], off
.LBB243_30:                             ;   in Loop: Header=BB243_8 Depth=1
	s_and_not1_b32 vcc_lo, exec_lo, s31
	s_wait_alu 0xfffe
	s_cbranch_vccnz .LBB243_32
; %bb.31:                               ;   in Loop: Header=BB243_8 Depth=1
	v_add_co_u32 v30, vcc_lo, v0, v8
	s_wait_alu 0xfffd
	v_add_co_ci_u32_e64 v31, null, v24, v9, vcc_lo
	global_store_b64 v[30:31], v[12:13], off
.LBB243_32:                             ;   in Loop: Header=BB243_8 Depth=1
	s_wait_alu 0xfffe
	s_or_b32 exec_lo, exec_lo, s23
	v_add_co_u32 v0, vcc_lo, s2, v4
	s_wait_alu 0xfffd
	v_add_co_ci_u32_e64 v24, null, s3, v5, vcc_lo
	s_and_saveexec_b32 s2, s1
	s_cbranch_execz .LBB243_37
; %bb.33:                               ;   in Loop: Header=BB243_8 Depth=1
	v_mul_f32_e32 v13, s14, v29
	v_mul_f32_e32 v12, s15, v29
	s_and_not1_b32 vcc_lo, exec_lo, s17
	s_mov_b32 s3, -1
	s_delay_alu instid0(VALU_DEP_2) | instskip(NEXT) | instid1(VALU_DEP_2)
	v_fmac_f32_e32 v13, s15, v28
	v_fma_f32 v12, v28, s14, -v12
	s_wait_alu 0xfffe
	s_cbranch_vccnz .LBB243_35
; %bb.34:                               ;   in Loop: Header=BB243_8 Depth=1
	v_add_co_u32 v28, vcc_lo, v0, v6
	s_wait_alu 0xfffd
	v_add_co_ci_u32_e64 v29, null, v24, v7, vcc_lo
	s_mov_b32 s3, 0
	global_load_b64 v[30:31], v[28:29], off
	s_wait_loadcnt 0x0
	v_mul_f32_e32 v25, s25, v31
	s_delay_alu instid0(VALU_DEP_1) | instskip(SKIP_1) | instid1(VALU_DEP_1)
	v_fma_f32 v25, v30, s24, -v25
	v_mul_f32_e32 v31, s24, v31
	v_dual_fmac_f32 v31, s25, v30 :: v_dual_add_f32 v30, v12, v25
	s_delay_alu instid0(VALU_DEP_1)
	v_add_f32_e32 v31, v13, v31
	global_store_b64 v[28:29], v[30:31], off
.LBB243_35:                             ;   in Loop: Header=BB243_8 Depth=1
	s_wait_alu 0xfffe
	s_and_not1_b32 vcc_lo, exec_lo, s3
	s_wait_alu 0xfffe
	s_cbranch_vccnz .LBB243_37
; %bb.36:                               ;   in Loop: Header=BB243_8 Depth=1
	v_add_co_u32 v28, vcc_lo, v0, v6
	s_wait_alu 0xfffd
	v_add_co_ci_u32_e64 v29, null, v24, v7, vcc_lo
	global_store_b64 v[28:29], v[12:13], off
.LBB243_37:                             ;   in Loop: Header=BB243_8 Depth=1
	s_wait_alu 0xfffe
	s_or_b32 exec_lo, exec_lo, s2
	s_and_saveexec_b32 s2, s4
	s_cbranch_execz .LBB243_7
; %bb.38:                               ;   in Loop: Header=BB243_8 Depth=1
	v_mul_f32_e32 v13, s14, v26
	v_mul_f32_e32 v12, s15, v26
	s_and_not1_b32 vcc_lo, exec_lo, s17
	s_mov_b32 s3, -1
	s_delay_alu instid0(VALU_DEP_2) | instskip(NEXT) | instid1(VALU_DEP_2)
	v_fmac_f32_e32 v13, s15, v27
	v_fma_f32 v12, v27, s14, -v12
	s_wait_alu 0xfffe
	s_cbranch_vccnz .LBB243_40
; %bb.39:                               ;   in Loop: Header=BB243_8 Depth=1
	v_add_co_u32 v25, vcc_lo, v0, v8
	s_wait_alu 0xfffd
	v_add_co_ci_u32_e64 v26, null, v24, v9, vcc_lo
	s_mov_b32 s3, 0
	global_load_b64 v[27:28], v[25:26], off
	s_wait_loadcnt 0x0
	v_mul_f32_e32 v29, s25, v28
	v_mul_f32_e32 v28, s24, v28
	s_delay_alu instid0(VALU_DEP_1) | instskip(NEXT) | instid1(VALU_DEP_3)
	v_fmac_f32_e32 v28, s25, v27
	v_fma_f32 v29, v27, s24, -v29
	s_delay_alu instid0(VALU_DEP_1)
	v_dual_add_f32 v28, v13, v28 :: v_dual_add_f32 v27, v12, v29
	global_store_b64 v[25:26], v[27:28], off
.LBB243_40:                             ;   in Loop: Header=BB243_8 Depth=1
	s_wait_alu 0xfffe
	s_and_not1_b32 vcc_lo, exec_lo, s3
	s_wait_alu 0xfffe
	s_cbranch_vccnz .LBB243_7
; %bb.41:                               ;   in Loop: Header=BB243_8 Depth=1
	v_add_co_u32 v25, vcc_lo, v0, v8
	s_wait_alu 0xfffd
	v_add_co_ci_u32_e64 v26, null, v24, v9, vcc_lo
	global_store_b64 v[25:26], v[12:13], off
	s_branch .LBB243_7
.LBB243_42:
	s_endpgm
	.section	.rodata,"a",@progbits
	.p2align	6, 0x0
	.amdhsa_kernel _ZL29rocblas_internal_gemmt_kernelIlLi16ELi32ELi8ELc78ELc78ELc76ELb0ELb0E19rocblas_complex_numIfES1_PKS1_PS1_EviT_T9_T10_S5_lS7_S5_lS6_T11_S5_li
		.amdhsa_group_segment_fixed_size 4096
		.amdhsa_private_segment_fixed_size 0
		.amdhsa_kernarg_size 108
		.amdhsa_user_sgpr_count 2
		.amdhsa_user_sgpr_dispatch_ptr 0
		.amdhsa_user_sgpr_queue_ptr 0
		.amdhsa_user_sgpr_kernarg_segment_ptr 1
		.amdhsa_user_sgpr_dispatch_id 0
		.amdhsa_user_sgpr_private_segment_size 0
		.amdhsa_wavefront_size32 1
		.amdhsa_uses_dynamic_stack 0
		.amdhsa_enable_private_segment 0
		.amdhsa_system_sgpr_workgroup_id_x 1
		.amdhsa_system_sgpr_workgroup_id_y 1
		.amdhsa_system_sgpr_workgroup_id_z 1
		.amdhsa_system_sgpr_workgroup_info 0
		.amdhsa_system_vgpr_workitem_id 1
		.amdhsa_next_free_vgpr 71
		.amdhsa_next_free_sgpr 36
		.amdhsa_reserve_vcc 1
		.amdhsa_float_round_mode_32 0
		.amdhsa_float_round_mode_16_64 0
		.amdhsa_float_denorm_mode_32 3
		.amdhsa_float_denorm_mode_16_64 3
		.amdhsa_fp16_overflow 0
		.amdhsa_workgroup_processor_mode 1
		.amdhsa_memory_ordered 1
		.amdhsa_forward_progress 1
		.amdhsa_inst_pref_size 26
		.amdhsa_round_robin_scheduling 0
		.amdhsa_exception_fp_ieee_invalid_op 0
		.amdhsa_exception_fp_denorm_src 0
		.amdhsa_exception_fp_ieee_div_zero 0
		.amdhsa_exception_fp_ieee_overflow 0
		.amdhsa_exception_fp_ieee_underflow 0
		.amdhsa_exception_fp_ieee_inexact 0
		.amdhsa_exception_int_div_zero 0
	.end_amdhsa_kernel
	.section	.text._ZL29rocblas_internal_gemmt_kernelIlLi16ELi32ELi8ELc78ELc78ELc76ELb0ELb0E19rocblas_complex_numIfES1_PKS1_PS1_EviT_T9_T10_S5_lS7_S5_lS6_T11_S5_li,"axG",@progbits,_ZL29rocblas_internal_gemmt_kernelIlLi16ELi32ELi8ELc78ELc78ELc76ELb0ELb0E19rocblas_complex_numIfES1_PKS1_PS1_EviT_T9_T10_S5_lS7_S5_lS6_T11_S5_li,comdat
.Lfunc_end243:
	.size	_ZL29rocblas_internal_gemmt_kernelIlLi16ELi32ELi8ELc78ELc78ELc76ELb0ELb0E19rocblas_complex_numIfES1_PKS1_PS1_EviT_T9_T10_S5_lS7_S5_lS6_T11_S5_li, .Lfunc_end243-_ZL29rocblas_internal_gemmt_kernelIlLi16ELi32ELi8ELc78ELc78ELc76ELb0ELb0E19rocblas_complex_numIfES1_PKS1_PS1_EviT_T9_T10_S5_lS7_S5_lS6_T11_S5_li
                                        ; -- End function
	.set _ZL29rocblas_internal_gemmt_kernelIlLi16ELi32ELi8ELc78ELc78ELc76ELb0ELb0E19rocblas_complex_numIfES1_PKS1_PS1_EviT_T9_T10_S5_lS7_S5_lS6_T11_S5_li.num_vgpr, 71
	.set _ZL29rocblas_internal_gemmt_kernelIlLi16ELi32ELi8ELc78ELc78ELc76ELb0ELb0E19rocblas_complex_numIfES1_PKS1_PS1_EviT_T9_T10_S5_lS7_S5_lS6_T11_S5_li.num_agpr, 0
	.set _ZL29rocblas_internal_gemmt_kernelIlLi16ELi32ELi8ELc78ELc78ELc76ELb0ELb0E19rocblas_complex_numIfES1_PKS1_PS1_EviT_T9_T10_S5_lS7_S5_lS6_T11_S5_li.numbered_sgpr, 36
	.set _ZL29rocblas_internal_gemmt_kernelIlLi16ELi32ELi8ELc78ELc78ELc76ELb0ELb0E19rocblas_complex_numIfES1_PKS1_PS1_EviT_T9_T10_S5_lS7_S5_lS6_T11_S5_li.num_named_barrier, 0
	.set _ZL29rocblas_internal_gemmt_kernelIlLi16ELi32ELi8ELc78ELc78ELc76ELb0ELb0E19rocblas_complex_numIfES1_PKS1_PS1_EviT_T9_T10_S5_lS7_S5_lS6_T11_S5_li.private_seg_size, 0
	.set _ZL29rocblas_internal_gemmt_kernelIlLi16ELi32ELi8ELc78ELc78ELc76ELb0ELb0E19rocblas_complex_numIfES1_PKS1_PS1_EviT_T9_T10_S5_lS7_S5_lS6_T11_S5_li.uses_vcc, 1
	.set _ZL29rocblas_internal_gemmt_kernelIlLi16ELi32ELi8ELc78ELc78ELc76ELb0ELb0E19rocblas_complex_numIfES1_PKS1_PS1_EviT_T9_T10_S5_lS7_S5_lS6_T11_S5_li.uses_flat_scratch, 0
	.set _ZL29rocblas_internal_gemmt_kernelIlLi16ELi32ELi8ELc78ELc78ELc76ELb0ELb0E19rocblas_complex_numIfES1_PKS1_PS1_EviT_T9_T10_S5_lS7_S5_lS6_T11_S5_li.has_dyn_sized_stack, 0
	.set _ZL29rocblas_internal_gemmt_kernelIlLi16ELi32ELi8ELc78ELc78ELc76ELb0ELb0E19rocblas_complex_numIfES1_PKS1_PS1_EviT_T9_T10_S5_lS7_S5_lS6_T11_S5_li.has_recursion, 0
	.set _ZL29rocblas_internal_gemmt_kernelIlLi16ELi32ELi8ELc78ELc78ELc76ELb0ELb0E19rocblas_complex_numIfES1_PKS1_PS1_EviT_T9_T10_S5_lS7_S5_lS6_T11_S5_li.has_indirect_call, 0
	.section	.AMDGPU.csdata,"",@progbits
; Kernel info:
; codeLenInByte = 3284
; TotalNumSgprs: 38
; NumVgprs: 71
; ScratchSize: 0
; MemoryBound: 0
; FloatMode: 240
; IeeeMode: 1
; LDSByteSize: 4096 bytes/workgroup (compile time only)
; SGPRBlocks: 0
; VGPRBlocks: 8
; NumSGPRsForWavesPerEU: 38
; NumVGPRsForWavesPerEU: 71
; Occupancy: 16
; WaveLimiterHint : 0
; COMPUTE_PGM_RSRC2:SCRATCH_EN: 0
; COMPUTE_PGM_RSRC2:USER_SGPR: 2
; COMPUTE_PGM_RSRC2:TRAP_HANDLER: 0
; COMPUTE_PGM_RSRC2:TGID_X_EN: 1
; COMPUTE_PGM_RSRC2:TGID_Y_EN: 1
; COMPUTE_PGM_RSRC2:TGID_Z_EN: 1
; COMPUTE_PGM_RSRC2:TIDIG_COMP_CNT: 1
	.section	.text._ZL29rocblas_internal_gemmt_kernelIlLi16ELi32ELi8ELc78ELc84ELc76ELb0ELb0E19rocblas_complex_numIfES1_PKS1_PS1_EviT_T9_T10_S5_lS7_S5_lS6_T11_S5_li,"axG",@progbits,_ZL29rocblas_internal_gemmt_kernelIlLi16ELi32ELi8ELc78ELc84ELc76ELb0ELb0E19rocblas_complex_numIfES1_PKS1_PS1_EviT_T9_T10_S5_lS7_S5_lS6_T11_S5_li,comdat
	.globl	_ZL29rocblas_internal_gemmt_kernelIlLi16ELi32ELi8ELc78ELc84ELc76ELb0ELb0E19rocblas_complex_numIfES1_PKS1_PS1_EviT_T9_T10_S5_lS7_S5_lS6_T11_S5_li ; -- Begin function _ZL29rocblas_internal_gemmt_kernelIlLi16ELi32ELi8ELc78ELc84ELc76ELb0ELb0E19rocblas_complex_numIfES1_PKS1_PS1_EviT_T9_T10_S5_lS7_S5_lS6_T11_S5_li
	.p2align	8
	.type	_ZL29rocblas_internal_gemmt_kernelIlLi16ELi32ELi8ELc78ELc84ELc76ELb0ELb0E19rocblas_complex_numIfES1_PKS1_PS1_EviT_T9_T10_S5_lS7_S5_lS6_T11_S5_li,@function
_ZL29rocblas_internal_gemmt_kernelIlLi16ELi32ELi8ELc78ELc84ELc76ELb0ELb0E19rocblas_complex_numIfES1_PKS1_PS1_EviT_T9_T10_S5_lS7_S5_lS6_T11_S5_li: ; @_ZL29rocblas_internal_gemmt_kernelIlLi16ELi32ELi8ELc78ELc84ELc76ELb0ELb0E19rocblas_complex_numIfES1_PKS1_PS1_EviT_T9_T10_S5_lS7_S5_lS6_T11_S5_li
; %bb.0:
	s_clause 0x1
	s_load_b64 s[24:25], s[0:1], 0x48
	s_load_b128 s[12:15], s[0:1], 0x8
	s_wait_kmcnt 0x0
	s_cmp_eq_f32 s24, 1.0
	s_cselect_b32 s2, -1, 0
	s_and_b32 s3, s25, 0x7fffffff
	s_delay_alu instid0(SALU_CYCLE_1) | instskip(SKIP_1) | instid1(SALU_CYCLE_1)
	s_cmp_eq_u32 s3, 0
	s_cselect_b32 s33, -1, 0
	s_and_b32 s3, s2, s33
	s_mov_b32 s2, 0
	s_and_not1_b32 vcc_lo, exec_lo, s3
	s_mov_b32 s3, -1
	s_cbranch_vccnz .LBB244_4
; %bb.1:
	s_cmp_lg_u64 s[12:13], 0
	s_cbranch_scc0 .LBB244_3
; %bb.2:
	s_cmp_neq_f32 s14, 0
	s_cselect_b32 s2, -1, 0
	s_cmp_neq_f32 s15, 0
	s_cselect_b32 s3, -1, 0
	s_delay_alu instid0(SALU_CYCLE_1)
	s_or_b32 s2, s2, s3
.LBB244_3:
	s_delay_alu instid0(SALU_CYCLE_1)
	s_mov_b32 s3, s2
.LBB244_4:
	s_delay_alu instid0(SALU_CYCLE_1)
	s_and_b32 vcc_lo, exec_lo, s3
	s_cbranch_vccz .LBB244_42
; %bb.5:
	s_load_b32 s30, s[0:1], 0x68
	s_lshr_b32 s26, ttmp7, 16
	s_wait_kmcnt 0x0
	s_cmp_ge_u32 s26, s30
	s_cbranch_scc1 .LBB244_42
; %bb.6:
	v_and_b32_e32 v7, 0x3ff, v0
	v_bfe_u32 v8, v0, 10, 10
	v_and_b32_e32 v14, 7, v0
	s_clause 0x1
	s_load_b32 s34, s[0:1], 0x0
	s_load_b256 s[4:11], s[0:1], 0x18
	s_lshl_b32 s2, ttmp9, 5
	s_clause 0x1
	s_load_b128 s[16:19], s[0:1], 0x38
	s_load_b128 s[20:23], s[0:1], 0x50
	v_lshl_add_u32 v0, v8, 4, v7
	s_lshl_b32 s3, ttmp7, 5
	s_load_b64 s[28:29], s[0:1], 0x60
	s_and_b32 s3, s3, 0x1fffe0
	s_cmp_neq_f32 s14, 0
	v_and_b32_e32 v2, 31, v0
	v_lshrrev_b32_e32 v15, 5, v0
	v_lshrrev_b32_e32 v3, 3, v0
	s_cselect_b32 s31, -1, 0
	s_cmp_neq_f32 s15, 0
	v_or_b32_e32 v0, s2, v2
	v_lshlrev_b32_e32 v5, 3, v2
	v_add_nc_u32_e32 v11, s3, v8
	s_cselect_b32 s0, -1, 0
	v_add_nc_u32_e32 v4, s3, v3
	v_ashrrev_i32_e32 v1, 31, v0
	s_or_b32 s35, s31, s0
	s_wait_kmcnt 0x0
	v_cmp_gt_i32_e64 s0, s34, v0
	v_cmp_le_i32_e64 s31, s34, v0
	v_add_nc_u32_e32 v12, 16, v11
	v_lshlrev_b64_e32 v[1:2], 3, v[0:1]
	v_lshl_or_b32 v16, v15, 8, v5
	v_lshl_add_u32 v23, v8, 6, 0x800
	s_cmp_neq_f32 s24, 0
	v_cmp_gt_i64_e64 s36, s[12:13], 0
	s_mov_b32 s27, 0
	v_add_co_u32 v17, vcc_lo, s4, v1
	v_dual_mov_b32 v1, 0 :: v_dual_lshlrev_b32 v6, 3, v14
	v_add_co_ci_u32_e64 v18, null, s5, v2, vcc_lo
	v_cmp_gt_i32_e32 vcc_lo, s34, v4
	s_delay_alu instid0(VALU_DEP_3) | instskip(SKIP_1) | instid1(VALU_DEP_2)
	v_lshl_or_b32 v0, v3, 6, v6
	v_mad_co_u64_u32 v[2:3], null, s22, v11, 0
	v_add_nc_u32_e32 v19, 0x800, v0
	v_lshlrev_b32_e32 v0, 3, v4
	v_mad_co_u64_u32 v[4:5], null, s22, v12, 0
	s_cselect_b32 s22, -1, 0
	v_add_co_u32 v20, s1, s10, v0
	v_mov_b32_e32 v0, v3
	v_add_nc_u32_e32 v6, s2, v7
	v_add_co_ci_u32_e64 v21, null, s11, 0, s1
	v_lshlrev_b32_e32 v22, 3, v7
	s_delay_alu instid0(VALU_DEP_4) | instskip(NEXT) | instid1(VALU_DEP_4)
	v_mad_co_u64_u32 v[9:10], null, s23, v11, v[0:1]
	v_add_nc_u32_e32 v8, 16, v6
	v_mov_b32_e32 v0, v5
	v_cmp_le_i32_e64 s1, v11, v6
	v_cmp_gt_i32_e64 s2, s34, v6
	v_ashrrev_i32_e32 v7, 31, v6
	v_cmp_le_i32_e64 s3, v11, v8
	v_mad_co_u64_u32 v[10:11], null, s23, v12, v[0:1]
	v_cmp_gt_i32_e64 s4, s34, v8
	v_mov_b32_e32 v3, v9
	v_ashrrev_i32_e32 v9, 31, v8
	s_and_b32 s5, s1, s2
	v_cmp_le_i32_e64 s1, v12, v6
	s_and_b32 s10, s3, s4
	v_mov_b32_e32 v5, v10
	v_cmp_le_i32_e64 s3, v12, v8
	v_lshlrev_b64_e32 v[2:3], 3, v[2:3]
	v_lshlrev_b64_e32 v[6:7], 3, v[6:7]
	;; [unrolled: 1-line block ×4, first 2 shown]
	s_xor_b32 s23, s33, -1
	s_and_b32 s11, s35, s36
	s_wait_alu 0xfffe
	s_or_b32 s22, s22, s23
	s_and_b32 s1, s1, s2
	s_and_b32 s4, s3, s4
	s_xor_b32 s23, vcc_lo, -1
                                        ; implicit-def: $vgpr10_vgpr11
	s_branch .LBB244_8
.LBB244_7:                              ;   in Loop: Header=BB244_8 Depth=1
	s_wait_alu 0xfffe
	s_or_b32 exec_lo, exec_lo, s2
	s_add_co_i32 s26, s26, 0x10000
	s_delay_alu instid0(SALU_CYCLE_1)
	s_cmp_lt_u32 s26, s30
	s_cbranch_scc0 .LBB244_42
.LBB244_8:                              ; =>This Loop Header: Depth=1
                                        ;     Child Loop BB244_11 Depth 2
	s_and_not1_b32 vcc_lo, exec_lo, s11
	s_wait_alu 0xfffe
	s_cbranch_vccnz .LBB244_21
; %bb.9:                                ;   in Loop: Header=BB244_8 Depth=1
	s_mul_u64 s[2:3], s[8:9], s[26:27]
	s_mul_u64 s[34:35], s[18:19], s[26:27]
	s_wait_alu 0xfffe
	s_lshl_b64 s[2:3], s[2:3], 3
	v_dual_mov_b32 v26, 0 :: v_dual_mov_b32 v27, 0
	s_wait_alu 0xfffe
	v_add_co_u32 v12, vcc_lo, v17, s2
	s_wait_alu 0xfffd
	v_add_co_ci_u32_e64 v13, null, s3, v18, vcc_lo
	s_lshl_b64 s[2:3], s[34:35], 3
	v_dual_mov_b32 v29, 0 :: v_dual_mov_b32 v28, 0
	s_wait_alu 0xfffe
	v_add_co_u32 v24, vcc_lo, v20, s2
	s_wait_alu 0xfffd
	v_add_co_ci_u32_e64 v25, null, s3, v21, vcc_lo
	v_dual_mov_b32 v31, 0 :: v_dual_mov_b32 v30, 0
	v_dual_mov_b32 v33, 0 :: v_dual_mov_b32 v32, 0
	s_mov_b64 s[2:3], 0
	s_branch .LBB244_11
.LBB244_10:                             ;   in Loop: Header=BB244_11 Depth=2
	s_or_b32 exec_lo, exec_lo, s33
	s_wait_dscnt 0x0
	s_barrier_signal -1
	s_barrier_wait -1
	global_inv scope:SCOPE_SE
	ds_load_b128 v[34:37], v23
	ds_load_2addr_b64 v[38:41], v22 offset1:16
	ds_load_b128 v[42:45], v23 offset:1024
	ds_load_b128 v[46:49], v23 offset:16
	;; [unrolled: 1-line block ×4, first 2 shown]
	ds_load_2addr_b64 v[58:61], v22 offset0:32 offset1:48
	ds_load_b128 v[62:65], v23 offset:1040
	s_add_nc_u64 s[2:3], s[2:3], 8
	s_wait_alu 0xfffe
	v_cmp_gt_i64_e64 s33, s[12:13], s[2:3]
	s_and_b32 vcc_lo, exec_lo, s33
	s_wait_dscnt 0x6
	v_mul_f32_e32 v0, v35, v39
	v_dual_mul_f32 v66, v34, v39 :: v_dual_mul_f32 v67, v35, v41
	s_wait_dscnt 0x5
	v_dual_mul_f32 v68, v34, v41 :: v_dual_mul_f32 v69, v43, v39
	v_dual_mul_f32 v39, v42, v39 :: v_dual_mul_f32 v70, v43, v41
	v_mul_f32_e32 v41, v42, v41
	v_fma_f32 v0, v34, v38, -v0
	v_fma_f32 v34, v34, v40, -v67
	v_fmac_f32_e32 v68, v35, v40
	v_fmac_f32_e32 v39, v43, v38
	;; [unrolled: 1-line block ×3, first 2 shown]
	v_add_f32_e32 v0, v32, v0
	v_fmac_f32_e32 v66, v35, v38
	v_fma_f32 v35, v42, v38, -v69
	v_fma_f32 v38, v42, v40, -v70
	v_add_f32_e32 v26, v26, v41
	s_delay_alu instid0(VALU_DEP_4) | instskip(NEXT) | instid1(VALU_DEP_4)
	v_add_f32_e32 v32, v33, v66
	v_dual_add_f32 v33, v30, v34 :: v_dual_add_f32 v34, v28, v35
	v_add_f32_e32 v35, v29, v39
	s_wait_dscnt 0x1
	v_dual_mul_f32 v39, v37, v59 :: v_dual_add_f32 v38, v27, v38
	ds_load_2addr_b64 v[27:30], v22 offset0:64 offset1:80
	v_mul_f32_e32 v42, v37, v61
	v_mul_f32_e32 v41, v36, v61
	;; [unrolled: 1-line block ×3, first 2 shown]
	v_fma_f32 v39, v36, v58, -v39
	v_add_f32_e32 v31, v31, v68
	v_fma_f32 v36, v36, v60, -v42
	s_delay_alu instid0(VALU_DEP_3) | instskip(SKIP_1) | instid1(VALU_DEP_3)
	v_add_f32_e32 v0, v0, v39
	v_mul_f32_e32 v39, v45, v59
	v_add_f32_e32 v36, v33, v36
	v_fmac_f32_e32 v41, v37, v60
	v_fmac_f32_e32 v40, v37, v58
	v_mul_f32_e32 v37, v45, v61
	v_fma_f32 v33, v44, v58, -v39
	s_delay_alu instid0(VALU_DEP_4) | instskip(NEXT) | instid1(VALU_DEP_3)
	v_add_f32_e32 v39, v31, v41
	v_fma_f32 v31, v44, v60, -v37
	v_mul_f32_e32 v41, v44, v61
	s_wait_dscnt 0x0
	v_mul_f32_e32 v37, v46, v28
	v_add_f32_e32 v40, v32, v40
	v_add_f32_e32 v38, v38, v31
	v_dual_mul_f32 v32, v44, v59 :: v_dual_fmac_f32 v41, v45, v60
	v_mul_f32_e32 v44, v47, v30
	s_delay_alu instid0(VALU_DEP_2) | instskip(NEXT) | instid1(VALU_DEP_3)
	v_dual_fmac_f32 v37, v47, v27 :: v_dual_fmac_f32 v32, v45, v58
	v_add_f32_e32 v41, v26, v41
	v_dual_add_f32 v42, v34, v33 :: v_dual_mul_f32 v33, v47, v28
	s_delay_alu instid0(VALU_DEP_3) | instskip(NEXT) | instid1(VALU_DEP_4)
	v_dual_mul_f32 v26, v46, v30 :: v_dual_add_f32 v37, v40, v37
	v_add_f32_e32 v35, v35, v32
	s_delay_alu instid0(VALU_DEP_3) | instskip(SKIP_4) | instid1(VALU_DEP_1)
	v_fma_f32 v43, v46, v27, -v33
	ds_load_2addr_b64 v[31:34], v22 offset0:96 offset1:112
	v_fmac_f32_e32 v26, v47, v29
	v_add_f32_e32 v0, v0, v43
	v_fma_f32 v43, v46, v29, -v44
	v_dual_add_f32 v39, v39, v26 :: v_dual_add_f32 v36, v36, v43
	v_mul_f32_e32 v43, v63, v30
	v_mul_f32_e32 v30, v62, v30
	s_delay_alu instid0(VALU_DEP_2) | instskip(SKIP_1) | instid1(VALU_DEP_3)
	v_fma_f32 v26, v62, v29, -v43
	v_mul_f32_e32 v40, v63, v28
	v_fmac_f32_e32 v30, v63, v29
	s_wait_dscnt 0x0
	v_dual_mul_f32 v28, v62, v28 :: v_dual_mul_f32 v47, v65, v34
	v_add_f32_e32 v43, v38, v26
	v_fma_f32 v40, v62, v27, -v40
	v_dual_mul_f32 v38, v48, v32 :: v_dual_add_f32 v41, v41, v30
	s_delay_alu instid0(VALU_DEP_4) | instskip(SKIP_1) | instid1(VALU_DEP_3)
	v_fmac_f32_e32 v28, v63, v27
	v_mul_f32_e32 v30, v48, v34
	v_fmac_f32_e32 v38, v49, v31
	v_add_f32_e32 v40, v42, v40
	s_delay_alu instid0(VALU_DEP_4)
	v_add_f32_e32 v42, v35, v28
	ds_load_2addr_b64 v[26:29], v22 offset0:128 offset1:144
	v_mul_f32_e32 v35, v49, v32
	v_mul_f32_e32 v44, v49, v34
	v_fmac_f32_e32 v30, v49, v33
	v_mul_f32_e32 v34, v64, v34
	s_delay_alu instid0(VALU_DEP_4)
	v_fma_f32 v35, v48, v31, -v35
	s_wait_dscnt 0x0
	v_mul_f32_e32 v49, v50, v27
	v_fma_f32 v44, v48, v33, -v44
	v_add_f32_e32 v48, v39, v30
	v_fma_f32 v30, v64, v33, -v47
	s_delay_alu instid0(VALU_DEP_4) | instskip(NEXT) | instid1(VALU_DEP_4)
	v_fmac_f32_e32 v49, v51, v26
	v_dual_add_f32 v45, v37, v38 :: v_dual_add_f32 v44, v36, v44
	s_delay_alu instid0(VALU_DEP_3) | instskip(SKIP_1) | instid1(VALU_DEP_3)
	v_dual_add_f32 v43, v43, v30 :: v_dual_add_f32 v0, v0, v35
	v_mul_f32_e32 v35, v65, v32
	v_dual_mul_f32 v32, v64, v32 :: v_dual_add_f32 v45, v45, v49
	s_delay_alu instid0(VALU_DEP_2) | instskip(SKIP_3) | instid1(VALU_DEP_2)
	v_fma_f32 v46, v64, v31, -v35
	ds_load_b128 v[35:38], v23 offset:1056
	v_fmac_f32_e32 v32, v65, v31
	v_dual_mul_f32 v31, v51, v27 :: v_dual_fmac_f32 v34, v65, v33
	v_add_f32_e32 v47, v42, v32
	s_delay_alu instid0(VALU_DEP_2)
	v_fma_f32 v39, v50, v26, -v31
	ds_load_2addr_b64 v[30:33], v22 offset0:160 offset1:176
	v_add_f32_e32 v46, v40, v46
	v_mul_f32_e32 v40, v51, v29
	v_add_f32_e32 v34, v41, v34
	v_add_f32_e32 v0, v0, v39
	s_delay_alu instid0(VALU_DEP_3) | instskip(SKIP_4) | instid1(VALU_DEP_2)
	v_fma_f32 v58, v50, v28, -v40
	ds_load_b128 v[39:42], v23 offset:1072
	s_wait_dscnt 0x2
	v_dual_mul_f32 v50, v50, v29 :: v_dual_mul_f32 v59, v36, v27
	v_mul_f32_e32 v27, v35, v27
	v_dual_fmac_f32 v50, v51, v28 :: v_dual_mul_f32 v51, v36, v29
	s_delay_alu instid0(VALU_DEP_3) | instskip(NEXT) | instid1(VALU_DEP_3)
	v_fma_f32 v49, v35, v26, -v59
	v_fmac_f32_e32 v27, v36, v26
	s_delay_alu instid0(VALU_DEP_3) | instskip(SKIP_2) | instid1(VALU_DEP_4)
	v_add_f32_e32 v48, v48, v50
	v_mul_f32_e32 v50, v35, v29
	v_fma_f32 v26, v35, v28, -v51
	v_add_f32_e32 v35, v47, v27
	s_wait_dscnt 0x1
	s_delay_alu instid0(VALU_DEP_3) | instskip(NEXT) | instid1(VALU_DEP_3)
	v_dual_mul_f32 v47, v53, v31 :: v_dual_fmac_f32 v50, v36, v28
	v_add_f32_e32 v43, v43, v26
	ds_load_2addr_b64 v[26:29], v22 offset0:192 offset1:208
	v_mul_f32_e32 v36, v52, v31
	v_add_f32_e32 v46, v46, v49
	v_fma_f32 v47, v52, v30, -v47
	v_mul_f32_e32 v49, v53, v33
	s_delay_alu instid0(VALU_DEP_4) | instskip(NEXT) | instid1(VALU_DEP_3)
	v_fmac_f32_e32 v36, v53, v30
	v_add_f32_e32 v0, v0, v47
	s_delay_alu instid0(VALU_DEP_3) | instskip(NEXT) | instid1(VALU_DEP_3)
	v_fma_f32 v47, v52, v32, -v49
	v_dual_add_f32 v45, v45, v36 :: v_dual_mul_f32 v36, v38, v31
	v_mul_f32_e32 v31, v37, v31
	s_delay_alu instid0(VALU_DEP_2) | instskip(NEXT) | instid1(VALU_DEP_2)
	v_fma_f32 v36, v37, v30, -v36
	v_fmac_f32_e32 v31, v38, v30
	v_add_f32_e32 v44, v44, v58
	s_delay_alu instid0(VALU_DEP_2) | instskip(NEXT) | instid1(VALU_DEP_2)
	v_dual_mul_f32 v30, v37, v33 :: v_dual_add_f32 v31, v35, v31
	v_dual_add_f32 v44, v44, v47 :: v_dual_mul_f32 v47, v38, v33
	v_add_f32_e32 v50, v34, v50
	v_mul_f32_e32 v34, v52, v33
	s_delay_alu instid0(VALU_DEP_4) | instskip(NEXT) | instid1(VALU_DEP_4)
	v_fmac_f32_e32 v30, v38, v32
	v_fma_f32 v33, v37, v32, -v47
	s_wait_dscnt 0x0
	s_delay_alu instid0(VALU_DEP_3) | instskip(NEXT) | instid1(VALU_DEP_2)
	v_dual_mul_f32 v47, v40, v27 :: v_dual_fmac_f32 v34, v53, v32
	v_dual_add_f32 v32, v43, v33 :: v_dual_mul_f32 v33, v54, v27
	v_mul_f32_e32 v43, v55, v29
	s_delay_alu instid0(VALU_DEP_2) | instskip(NEXT) | instid1(VALU_DEP_2)
	v_dual_fmac_f32 v33, v55, v26 :: v_dual_add_f32 v46, v46, v36
	v_fma_f32 v43, v54, v28, -v43
	s_delay_alu instid0(VALU_DEP_2) | instskip(SKIP_3) | instid1(VALU_DEP_3)
	v_dual_add_f32 v33, v45, v33 :: v_dual_add_f32 v48, v48, v34
	v_mul_f32_e32 v34, v55, v27
	v_mul_f32_e32 v27, v39, v27
	;; [unrolled: 1-line block ×3, first 2 shown]
	v_fma_f32 v38, v54, v26, -v34
	ds_load_2addr_b64 v[34:37], v22 offset0:224 offset1:240
	v_fmac_f32_e32 v27, v40, v26
	v_add_f32_e32 v30, v50, v30
	s_wait_loadcnt_dscnt 0x0
	v_add_f32_e32 v0, v0, v38
	s_barrier_signal -1
	v_dual_add_f32 v27, v31, v27 :: v_dual_mul_f32 v38, v54, v29
	v_mul_f32_e32 v29, v39, v29
	s_barrier_wait -1
	global_inv scope:SCOPE_SE
	v_fmac_f32_e32 v38, v55, v28
	v_fmac_f32_e32 v29, v40, v28
	s_delay_alu instid0(VALU_DEP_1) | instskip(SKIP_2) | instid1(VALU_DEP_2)
	v_add_f32_e32 v40, v30, v29
	v_mul_f32_e32 v29, v56, v37
	v_mul_f32_e32 v31, v57, v35
	v_fmac_f32_e32 v29, v57, v36
	v_add_f32_e32 v43, v44, v43
	v_fma_f32 v44, v39, v26, -v47
	v_fma_f32 v39, v39, v28, -v45
	;; [unrolled: 1-line block ×3, first 2 shown]
	s_delay_alu instid0(VALU_DEP_2) | instskip(SKIP_1) | instid1(VALU_DEP_2)
	v_dual_add_f32 v39, v32, v39 :: v_dual_mul_f32 v32, v57, v37
	v_mul_f32_e32 v28, v56, v35
	v_fma_f32 v30, v56, v36, -v32
	s_delay_alu instid0(VALU_DEP_4) | instskip(SKIP_1) | instid1(VALU_DEP_4)
	v_add_f32_e32 v32, v0, v31
	v_mul_f32_e32 v0, v42, v35
	v_fmac_f32_e32 v28, v57, v34
	s_delay_alu instid0(VALU_DEP_4) | instskip(SKIP_1) | instid1(VALU_DEP_4)
	v_dual_mul_f32 v35, v41, v35 :: v_dual_add_f32 v30, v43, v30
	v_mul_f32_e32 v43, v42, v37
	v_fma_f32 v0, v41, v34, -v0
	v_dual_mul_f32 v37, v41, v37 :: v_dual_add_f32 v26, v48, v38
	v_add_f32_e32 v38, v46, v44
	v_add_f32_e32 v33, v33, v28
	v_fmac_f32_e32 v35, v42, v34
	s_delay_alu instid0(VALU_DEP_4) | instskip(SKIP_3) | instid1(VALU_DEP_4)
	v_fmac_f32_e32 v37, v42, v36
	v_add_f32_e32 v31, v26, v29
	v_add_f32_e32 v28, v38, v0
	v_fma_f32 v0, v41, v36, -v43
	v_dual_add_f32 v29, v27, v35 :: v_dual_add_f32 v26, v40, v37
	s_delay_alu instid0(VALU_DEP_2)
	v_add_f32_e32 v27, v39, v0
	s_wait_alu 0xfffe
	s_cbranch_vccz .LBB244_22
.LBB244_11:                             ;   Parent Loop BB244_8 Depth=1
                                        ; =>  This Inner Loop Header: Depth=2
	s_mov_b32 s33, 0
	s_mov_b32 s35, s31
	s_and_saveexec_b32 s34, s0
	s_cbranch_execnz .LBB244_19
; %bb.12:                               ;   in Loop: Header=BB244_11 Depth=2
	s_wait_alu 0xfffe
	s_or_b32 exec_lo, exec_lo, s34
	s_and_saveexec_b32 s34, s35
	s_wait_alu 0xfffe
	s_xor_b32 s34, exec_lo, s34
	s_cbranch_execnz .LBB244_20
.LBB244_13:                             ;   in Loop: Header=BB244_11 Depth=2
	s_wait_alu 0xfffe
	s_or_b32 exec_lo, exec_lo, s34
	s_and_saveexec_b32 s34, s33
	s_cbranch_execz .LBB244_15
.LBB244_14:                             ;   in Loop: Header=BB244_11 Depth=2
	v_mul_lo_u32 v0, s7, v10
	v_mul_lo_u32 v36, s6, v11
	v_mad_co_u64_u32 v[34:35], null, s6, v10, 0
	s_delay_alu instid0(VALU_DEP_1) | instskip(NEXT) | instid1(VALU_DEP_1)
	v_add3_u32 v35, v35, v36, v0
	v_lshlrev_b64_e32 v[34:35], 3, v[34:35]
	s_delay_alu instid0(VALU_DEP_1) | instskip(SKIP_1) | instid1(VALU_DEP_2)
	v_add_co_u32 v34, vcc_lo, v12, v34
	s_wait_alu 0xfffd
	v_add_co_ci_u32_e64 v35, null, v13, v35, vcc_lo
	global_load_b64 v[34:35], v[34:35], off
	s_wait_loadcnt 0x0
	ds_store_b64 v16, v[34:35]
.LBB244_15:                             ;   in Loop: Header=BB244_11 Depth=2
	s_wait_alu 0xfffe
	s_or_b32 exec_lo, exec_lo, s34
	v_add_nc_u32_e32 v0, s2, v14
	s_delay_alu instid0(VALU_DEP_1) | instskip(SKIP_1) | instid1(SALU_CYCLE_1)
	v_cmp_le_u64_e32 vcc_lo, s[12:13], v[0:1]
	s_or_b32 s33, vcc_lo, s23
	s_and_saveexec_b32 s34, s33
	s_wait_alu 0xfffe
	s_xor_b32 s33, exec_lo, s34
; %bb.16:                               ;   in Loop: Header=BB244_11 Depth=2
	v_mov_b32_e32 v0, v1
	ds_store_b64 v19, v[0:1]
; %bb.17:                               ;   in Loop: Header=BB244_11 Depth=2
	s_and_not1_saveexec_b32 s33, s33
	s_cbranch_execz .LBB244_10
; %bb.18:                               ;   in Loop: Header=BB244_11 Depth=2
	v_mad_co_u64_u32 v[34:35], null, s16, v0, 0
	s_delay_alu instid0(VALU_DEP_1) | instskip(NEXT) | instid1(VALU_DEP_1)
	v_mad_co_u64_u32 v[35:36], null, s17, v0, v[35:36]
	v_lshlrev_b64_e32 v[34:35], 3, v[34:35]
	s_delay_alu instid0(VALU_DEP_1) | instskip(SKIP_1) | instid1(VALU_DEP_2)
	v_add_co_u32 v34, vcc_lo, v24, v34
	s_wait_alu 0xfffd
	v_add_co_ci_u32_e64 v35, null, v25, v35, vcc_lo
	global_load_b64 v[34:35], v[34:35], off
	s_wait_loadcnt 0x0
	ds_store_b64 v19, v[34:35]
	s_branch .LBB244_10
.LBB244_19:                             ;   in Loop: Header=BB244_11 Depth=2
	s_wait_alu 0xfffe
	v_add_nc_u32_e32 v0, s2, v15
	v_mov_b32_e32 v11, v1
	s_and_not1_b32 s35, s31, exec_lo
	s_mov_b32 s33, exec_lo
	s_delay_alu instid0(VALU_DEP_2)
	v_cmp_le_u64_e32 vcc_lo, s[12:13], v[0:1]
	v_mov_b32_e32 v10, v0
	s_and_b32 s36, vcc_lo, exec_lo
	s_wait_alu 0xfffe
	s_or_b32 s35, s35, s36
	s_or_b32 exec_lo, exec_lo, s34
	s_wait_alu 0xfffe
	s_and_saveexec_b32 s34, s35
	s_wait_alu 0xfffe
	s_xor_b32 s34, exec_lo, s34
	s_cbranch_execz .LBB244_13
.LBB244_20:                             ;   in Loop: Header=BB244_11 Depth=2
	v_mov_b32_e32 v0, v1
	s_and_not1_b32 s33, s33, exec_lo
	ds_store_b64 v16, v[0:1]
	s_wait_alu 0xfffe
	s_or_b32 exec_lo, exec_lo, s34
	s_and_saveexec_b32 s34, s33
	s_cbranch_execnz .LBB244_14
	s_branch .LBB244_15
.LBB244_21:                             ;   in Loop: Header=BB244_8 Depth=1
	v_dual_mov_b32 v32, v1 :: v_dual_mov_b32 v33, v1
	v_dual_mov_b32 v30, v1 :: v_dual_mov_b32 v31, v1
	;; [unrolled: 1-line block ×4, first 2 shown]
.LBB244_22:                             ;   in Loop: Header=BB244_8 Depth=1
	s_mul_u64 s[2:3], s[28:29], s[26:27]
	s_wait_alu 0xfffe
	s_lshl_b64 s[2:3], s[2:3], 3
	s_wait_alu 0xfffe
	s_add_nc_u64 s[2:3], s[20:21], s[2:3]
	s_wait_alu 0xfffe
	v_add_co_u32 v0, vcc_lo, s2, v2
	s_wait_alu 0xfffd
	v_add_co_ci_u32_e64 v24, null, s3, v3, vcc_lo
	s_and_saveexec_b32 s33, s5
	s_cbranch_execz .LBB244_27
; %bb.23:                               ;   in Loop: Header=BB244_8 Depth=1
	v_mul_f32_e32 v13, s14, v33
	v_mul_f32_e32 v12, s15, v33
	s_and_b32 vcc_lo, exec_lo, s22
	s_mov_b32 s34, -1
	s_delay_alu instid0(VALU_DEP_2) | instskip(NEXT) | instid1(VALU_DEP_2)
	v_fmac_f32_e32 v13, s15, v32
	v_fma_f32 v12, v32, s14, -v12
	s_wait_alu 0xfffe
	s_cbranch_vccz .LBB244_25
; %bb.24:                               ;   in Loop: Header=BB244_8 Depth=1
	v_add_co_u32 v32, vcc_lo, v0, v6
	s_wait_alu 0xfffd
	v_add_co_ci_u32_e64 v33, null, v24, v7, vcc_lo
	s_mov_b32 s34, 0
	global_load_b64 v[34:35], v[32:33], off
	s_wait_loadcnt 0x0
	v_mul_f32_e32 v25, s25, v35
	s_delay_alu instid0(VALU_DEP_1) | instskip(SKIP_1) | instid1(VALU_DEP_1)
	v_fma_f32 v25, v34, s24, -v25
	v_mul_f32_e32 v35, s24, v35
	v_dual_fmac_f32 v35, s25, v34 :: v_dual_add_f32 v34, v12, v25
	s_delay_alu instid0(VALU_DEP_1)
	v_add_f32_e32 v35, v13, v35
	global_store_b64 v[32:33], v[34:35], off
.LBB244_25:                             ;   in Loop: Header=BB244_8 Depth=1
	s_wait_alu 0xfffe
	s_and_not1_b32 vcc_lo, exec_lo, s34
	s_wait_alu 0xfffe
	s_cbranch_vccnz .LBB244_27
; %bb.26:                               ;   in Loop: Header=BB244_8 Depth=1
	v_add_co_u32 v32, vcc_lo, v0, v6
	s_wait_alu 0xfffd
	v_add_co_ci_u32_e64 v33, null, v24, v7, vcc_lo
	global_store_b64 v[32:33], v[12:13], off
.LBB244_27:                             ;   in Loop: Header=BB244_8 Depth=1
	s_or_b32 exec_lo, exec_lo, s33
	s_and_saveexec_b32 s33, s10
	s_cbranch_execz .LBB244_32
; %bb.28:                               ;   in Loop: Header=BB244_8 Depth=1
	v_mul_f32_e32 v13, s14, v31
	v_mul_f32_e32 v12, s15, v31
	s_and_not1_b32 vcc_lo, exec_lo, s22
	s_mov_b32 s34, -1
	s_delay_alu instid0(VALU_DEP_2) | instskip(NEXT) | instid1(VALU_DEP_2)
	v_fmac_f32_e32 v13, s15, v30
	v_fma_f32 v12, v30, s14, -v12
	s_wait_alu 0xfffe
	s_cbranch_vccnz .LBB244_30
; %bb.29:                               ;   in Loop: Header=BB244_8 Depth=1
	v_add_co_u32 v30, vcc_lo, v0, v8
	s_wait_alu 0xfffd
	v_add_co_ci_u32_e64 v31, null, v24, v9, vcc_lo
	s_mov_b32 s34, 0
	global_load_b64 v[32:33], v[30:31], off
	s_wait_loadcnt 0x0
	v_mul_f32_e32 v25, s25, v33
	v_mul_f32_e32 v33, s24, v33
	s_delay_alu instid0(VALU_DEP_2) | instskip(NEXT) | instid1(VALU_DEP_1)
	v_fma_f32 v25, v32, s24, -v25
	v_dual_fmac_f32 v33, s25, v32 :: v_dual_add_f32 v32, v12, v25
	s_delay_alu instid0(VALU_DEP_1)
	v_add_f32_e32 v33, v13, v33
	global_store_b64 v[30:31], v[32:33], off
.LBB244_30:                             ;   in Loop: Header=BB244_8 Depth=1
	s_wait_alu 0xfffe
	s_and_not1_b32 vcc_lo, exec_lo, s34
	s_wait_alu 0xfffe
	s_cbranch_vccnz .LBB244_32
; %bb.31:                               ;   in Loop: Header=BB244_8 Depth=1
	v_add_co_u32 v30, vcc_lo, v0, v8
	s_wait_alu 0xfffd
	v_add_co_ci_u32_e64 v31, null, v24, v9, vcc_lo
	global_store_b64 v[30:31], v[12:13], off
.LBB244_32:                             ;   in Loop: Header=BB244_8 Depth=1
	s_or_b32 exec_lo, exec_lo, s33
	v_add_co_u32 v0, vcc_lo, s2, v4
	s_wait_alu 0xfffd
	v_add_co_ci_u32_e64 v24, null, s3, v5, vcc_lo
	s_and_saveexec_b32 s2, s1
	s_cbranch_execz .LBB244_37
; %bb.33:                               ;   in Loop: Header=BB244_8 Depth=1
	v_mul_f32_e32 v13, s14, v29
	v_mul_f32_e32 v12, s15, v29
	s_and_not1_b32 vcc_lo, exec_lo, s22
	s_mov_b32 s3, -1
	s_delay_alu instid0(VALU_DEP_2) | instskip(NEXT) | instid1(VALU_DEP_2)
	v_fmac_f32_e32 v13, s15, v28
	v_fma_f32 v12, v28, s14, -v12
	s_wait_alu 0xfffe
	s_cbranch_vccnz .LBB244_35
; %bb.34:                               ;   in Loop: Header=BB244_8 Depth=1
	v_add_co_u32 v28, vcc_lo, v0, v6
	s_wait_alu 0xfffd
	v_add_co_ci_u32_e64 v29, null, v24, v7, vcc_lo
	s_mov_b32 s3, 0
	global_load_b64 v[30:31], v[28:29], off
	s_wait_loadcnt 0x0
	v_mul_f32_e32 v25, s25, v31
	s_delay_alu instid0(VALU_DEP_1) | instskip(SKIP_1) | instid1(VALU_DEP_1)
	v_fma_f32 v25, v30, s24, -v25
	v_mul_f32_e32 v31, s24, v31
	v_dual_fmac_f32 v31, s25, v30 :: v_dual_add_f32 v30, v12, v25
	s_delay_alu instid0(VALU_DEP_1)
	v_add_f32_e32 v31, v13, v31
	global_store_b64 v[28:29], v[30:31], off
.LBB244_35:                             ;   in Loop: Header=BB244_8 Depth=1
	s_wait_alu 0xfffe
	s_and_not1_b32 vcc_lo, exec_lo, s3
	s_wait_alu 0xfffe
	s_cbranch_vccnz .LBB244_37
; %bb.36:                               ;   in Loop: Header=BB244_8 Depth=1
	v_add_co_u32 v28, vcc_lo, v0, v6
	s_wait_alu 0xfffd
	v_add_co_ci_u32_e64 v29, null, v24, v7, vcc_lo
	global_store_b64 v[28:29], v[12:13], off
.LBB244_37:                             ;   in Loop: Header=BB244_8 Depth=1
	s_wait_alu 0xfffe
	s_or_b32 exec_lo, exec_lo, s2
	s_and_saveexec_b32 s2, s4
	s_cbranch_execz .LBB244_7
; %bb.38:                               ;   in Loop: Header=BB244_8 Depth=1
	v_mul_f32_e32 v13, s14, v26
	v_mul_f32_e32 v12, s15, v26
	s_and_not1_b32 vcc_lo, exec_lo, s22
	s_mov_b32 s3, -1
	s_delay_alu instid0(VALU_DEP_2) | instskip(NEXT) | instid1(VALU_DEP_2)
	v_fmac_f32_e32 v13, s15, v27
	v_fma_f32 v12, v27, s14, -v12
	s_wait_alu 0xfffe
	s_cbranch_vccnz .LBB244_40
; %bb.39:                               ;   in Loop: Header=BB244_8 Depth=1
	v_add_co_u32 v25, vcc_lo, v0, v8
	s_wait_alu 0xfffd
	v_add_co_ci_u32_e64 v26, null, v24, v9, vcc_lo
	s_mov_b32 s3, 0
	global_load_b64 v[27:28], v[25:26], off
	s_wait_loadcnt 0x0
	v_mul_f32_e32 v29, s25, v28
	v_mul_f32_e32 v28, s24, v28
	s_delay_alu instid0(VALU_DEP_1) | instskip(NEXT) | instid1(VALU_DEP_3)
	v_fmac_f32_e32 v28, s25, v27
	v_fma_f32 v29, v27, s24, -v29
	s_delay_alu instid0(VALU_DEP_1)
	v_dual_add_f32 v28, v13, v28 :: v_dual_add_f32 v27, v12, v29
	global_store_b64 v[25:26], v[27:28], off
.LBB244_40:                             ;   in Loop: Header=BB244_8 Depth=1
	s_wait_alu 0xfffe
	s_and_not1_b32 vcc_lo, exec_lo, s3
	s_wait_alu 0xfffe
	s_cbranch_vccnz .LBB244_7
; %bb.41:                               ;   in Loop: Header=BB244_8 Depth=1
	v_add_co_u32 v25, vcc_lo, v0, v8
	s_wait_alu 0xfffd
	v_add_co_ci_u32_e64 v26, null, v24, v9, vcc_lo
	global_store_b64 v[25:26], v[12:13], off
	s_branch .LBB244_7
.LBB244_42:
	s_endpgm
	.section	.rodata,"a",@progbits
	.p2align	6, 0x0
	.amdhsa_kernel _ZL29rocblas_internal_gemmt_kernelIlLi16ELi32ELi8ELc78ELc84ELc76ELb0ELb0E19rocblas_complex_numIfES1_PKS1_PS1_EviT_T9_T10_S5_lS7_S5_lS6_T11_S5_li
		.amdhsa_group_segment_fixed_size 4096
		.amdhsa_private_segment_fixed_size 0
		.amdhsa_kernarg_size 108
		.amdhsa_user_sgpr_count 2
		.amdhsa_user_sgpr_dispatch_ptr 0
		.amdhsa_user_sgpr_queue_ptr 0
		.amdhsa_user_sgpr_kernarg_segment_ptr 1
		.amdhsa_user_sgpr_dispatch_id 0
		.amdhsa_user_sgpr_private_segment_size 0
		.amdhsa_wavefront_size32 1
		.amdhsa_uses_dynamic_stack 0
		.amdhsa_enable_private_segment 0
		.amdhsa_system_sgpr_workgroup_id_x 1
		.amdhsa_system_sgpr_workgroup_id_y 1
		.amdhsa_system_sgpr_workgroup_id_z 1
		.amdhsa_system_sgpr_workgroup_info 0
		.amdhsa_system_vgpr_workitem_id 1
		.amdhsa_next_free_vgpr 71
		.amdhsa_next_free_sgpr 37
		.amdhsa_reserve_vcc 1
		.amdhsa_float_round_mode_32 0
		.amdhsa_float_round_mode_16_64 0
		.amdhsa_float_denorm_mode_32 3
		.amdhsa_float_denorm_mode_16_64 3
		.amdhsa_fp16_overflow 0
		.amdhsa_workgroup_processor_mode 1
		.amdhsa_memory_ordered 1
		.amdhsa_forward_progress 1
		.amdhsa_inst_pref_size 26
		.amdhsa_round_robin_scheduling 0
		.amdhsa_exception_fp_ieee_invalid_op 0
		.amdhsa_exception_fp_denorm_src 0
		.amdhsa_exception_fp_ieee_div_zero 0
		.amdhsa_exception_fp_ieee_overflow 0
		.amdhsa_exception_fp_ieee_underflow 0
		.amdhsa_exception_fp_ieee_inexact 0
		.amdhsa_exception_int_div_zero 0
	.end_amdhsa_kernel
	.section	.text._ZL29rocblas_internal_gemmt_kernelIlLi16ELi32ELi8ELc78ELc84ELc76ELb0ELb0E19rocblas_complex_numIfES1_PKS1_PS1_EviT_T9_T10_S5_lS7_S5_lS6_T11_S5_li,"axG",@progbits,_ZL29rocblas_internal_gemmt_kernelIlLi16ELi32ELi8ELc78ELc84ELc76ELb0ELb0E19rocblas_complex_numIfES1_PKS1_PS1_EviT_T9_T10_S5_lS7_S5_lS6_T11_S5_li,comdat
.Lfunc_end244:
	.size	_ZL29rocblas_internal_gemmt_kernelIlLi16ELi32ELi8ELc78ELc84ELc76ELb0ELb0E19rocblas_complex_numIfES1_PKS1_PS1_EviT_T9_T10_S5_lS7_S5_lS6_T11_S5_li, .Lfunc_end244-_ZL29rocblas_internal_gemmt_kernelIlLi16ELi32ELi8ELc78ELc84ELc76ELb0ELb0E19rocblas_complex_numIfES1_PKS1_PS1_EviT_T9_T10_S5_lS7_S5_lS6_T11_S5_li
                                        ; -- End function
	.set _ZL29rocblas_internal_gemmt_kernelIlLi16ELi32ELi8ELc78ELc84ELc76ELb0ELb0E19rocblas_complex_numIfES1_PKS1_PS1_EviT_T9_T10_S5_lS7_S5_lS6_T11_S5_li.num_vgpr, 71
	.set _ZL29rocblas_internal_gemmt_kernelIlLi16ELi32ELi8ELc78ELc84ELc76ELb0ELb0E19rocblas_complex_numIfES1_PKS1_PS1_EviT_T9_T10_S5_lS7_S5_lS6_T11_S5_li.num_agpr, 0
	.set _ZL29rocblas_internal_gemmt_kernelIlLi16ELi32ELi8ELc78ELc84ELc76ELb0ELb0E19rocblas_complex_numIfES1_PKS1_PS1_EviT_T9_T10_S5_lS7_S5_lS6_T11_S5_li.numbered_sgpr, 37
	.set _ZL29rocblas_internal_gemmt_kernelIlLi16ELi32ELi8ELc78ELc84ELc76ELb0ELb0E19rocblas_complex_numIfES1_PKS1_PS1_EviT_T9_T10_S5_lS7_S5_lS6_T11_S5_li.num_named_barrier, 0
	.set _ZL29rocblas_internal_gemmt_kernelIlLi16ELi32ELi8ELc78ELc84ELc76ELb0ELb0E19rocblas_complex_numIfES1_PKS1_PS1_EviT_T9_T10_S5_lS7_S5_lS6_T11_S5_li.private_seg_size, 0
	.set _ZL29rocblas_internal_gemmt_kernelIlLi16ELi32ELi8ELc78ELc84ELc76ELb0ELb0E19rocblas_complex_numIfES1_PKS1_PS1_EviT_T9_T10_S5_lS7_S5_lS6_T11_S5_li.uses_vcc, 1
	.set _ZL29rocblas_internal_gemmt_kernelIlLi16ELi32ELi8ELc78ELc84ELc76ELb0ELb0E19rocblas_complex_numIfES1_PKS1_PS1_EviT_T9_T10_S5_lS7_S5_lS6_T11_S5_li.uses_flat_scratch, 0
	.set _ZL29rocblas_internal_gemmt_kernelIlLi16ELi32ELi8ELc78ELc84ELc76ELb0ELb0E19rocblas_complex_numIfES1_PKS1_PS1_EviT_T9_T10_S5_lS7_S5_lS6_T11_S5_li.has_dyn_sized_stack, 0
	.set _ZL29rocblas_internal_gemmt_kernelIlLi16ELi32ELi8ELc78ELc84ELc76ELb0ELb0E19rocblas_complex_numIfES1_PKS1_PS1_EviT_T9_T10_S5_lS7_S5_lS6_T11_S5_li.has_recursion, 0
	.set _ZL29rocblas_internal_gemmt_kernelIlLi16ELi32ELi8ELc78ELc84ELc76ELb0ELb0E19rocblas_complex_numIfES1_PKS1_PS1_EviT_T9_T10_S5_lS7_S5_lS6_T11_S5_li.has_indirect_call, 0
	.section	.AMDGPU.csdata,"",@progbits
; Kernel info:
; codeLenInByte = 3256
; TotalNumSgprs: 39
; NumVgprs: 71
; ScratchSize: 0
; MemoryBound: 0
; FloatMode: 240
; IeeeMode: 1
; LDSByteSize: 4096 bytes/workgroup (compile time only)
; SGPRBlocks: 0
; VGPRBlocks: 8
; NumSGPRsForWavesPerEU: 39
; NumVGPRsForWavesPerEU: 71
; Occupancy: 16
; WaveLimiterHint : 0
; COMPUTE_PGM_RSRC2:SCRATCH_EN: 0
; COMPUTE_PGM_RSRC2:USER_SGPR: 2
; COMPUTE_PGM_RSRC2:TRAP_HANDLER: 0
; COMPUTE_PGM_RSRC2:TGID_X_EN: 1
; COMPUTE_PGM_RSRC2:TGID_Y_EN: 1
; COMPUTE_PGM_RSRC2:TGID_Z_EN: 1
; COMPUTE_PGM_RSRC2:TIDIG_COMP_CNT: 1
	.section	.text._ZL29rocblas_internal_gemmt_kernelIlLi16ELi32ELi8ELc78ELc67ELc76ELb0ELb1E19rocblas_complex_numIfES1_PKS1_PS1_EviT_T9_T10_S5_lS7_S5_lS6_T11_S5_li,"axG",@progbits,_ZL29rocblas_internal_gemmt_kernelIlLi16ELi32ELi8ELc78ELc67ELc76ELb0ELb1E19rocblas_complex_numIfES1_PKS1_PS1_EviT_T9_T10_S5_lS7_S5_lS6_T11_S5_li,comdat
	.globl	_ZL29rocblas_internal_gemmt_kernelIlLi16ELi32ELi8ELc78ELc67ELc76ELb0ELb1E19rocblas_complex_numIfES1_PKS1_PS1_EviT_T9_T10_S5_lS7_S5_lS6_T11_S5_li ; -- Begin function _ZL29rocblas_internal_gemmt_kernelIlLi16ELi32ELi8ELc78ELc67ELc76ELb0ELb1E19rocblas_complex_numIfES1_PKS1_PS1_EviT_T9_T10_S5_lS7_S5_lS6_T11_S5_li
	.p2align	8
	.type	_ZL29rocblas_internal_gemmt_kernelIlLi16ELi32ELi8ELc78ELc67ELc76ELb0ELb1E19rocblas_complex_numIfES1_PKS1_PS1_EviT_T9_T10_S5_lS7_S5_lS6_T11_S5_li,@function
_ZL29rocblas_internal_gemmt_kernelIlLi16ELi32ELi8ELc78ELc67ELc76ELb0ELb1E19rocblas_complex_numIfES1_PKS1_PS1_EviT_T9_T10_S5_lS7_S5_lS6_T11_S5_li: ; @_ZL29rocblas_internal_gemmt_kernelIlLi16ELi32ELi8ELc78ELc67ELc76ELb0ELb1E19rocblas_complex_numIfES1_PKS1_PS1_EviT_T9_T10_S5_lS7_S5_lS6_T11_S5_li
; %bb.0:
	s_clause 0x1
	s_load_b64 s[24:25], s[0:1], 0x48
	s_load_b128 s[12:15], s[0:1], 0x8
	s_wait_kmcnt 0x0
	s_cmp_eq_f32 s24, 1.0
	s_cselect_b32 s2, -1, 0
	s_and_b32 s3, s25, 0x7fffffff
	s_delay_alu instid0(SALU_CYCLE_1) | instskip(SKIP_1) | instid1(SALU_CYCLE_1)
	s_cmp_eq_u32 s3, 0
	s_cselect_b32 s33, -1, 0
	s_and_b32 s3, s2, s33
	s_mov_b32 s2, 0
	s_and_not1_b32 vcc_lo, exec_lo, s3
	s_mov_b32 s3, -1
	s_cbranch_vccnz .LBB245_4
; %bb.1:
	s_cmp_lg_u64 s[12:13], 0
	s_cbranch_scc0 .LBB245_3
; %bb.2:
	s_cmp_neq_f32 s14, 0
	s_cselect_b32 s2, -1, 0
	s_cmp_neq_f32 s15, 0
	s_cselect_b32 s3, -1, 0
	s_delay_alu instid0(SALU_CYCLE_1)
	s_or_b32 s2, s2, s3
.LBB245_3:
	s_delay_alu instid0(SALU_CYCLE_1)
	s_mov_b32 s3, s2
.LBB245_4:
	s_delay_alu instid0(SALU_CYCLE_1)
	s_and_b32 vcc_lo, exec_lo, s3
	s_cbranch_vccz .LBB245_42
; %bb.5:
	s_load_b32 s30, s[0:1], 0x68
	s_lshr_b32 s26, ttmp7, 16
	s_wait_kmcnt 0x0
	s_cmp_ge_u32 s26, s30
	s_cbranch_scc1 .LBB245_42
; %bb.6:
	v_and_b32_e32 v7, 0x3ff, v0
	v_bfe_u32 v8, v0, 10, 10
	v_and_b32_e32 v14, 7, v0
	s_clause 0x1
	s_load_b32 s34, s[0:1], 0x0
	s_load_b256 s[4:11], s[0:1], 0x18
	s_lshl_b32 s2, ttmp9, 5
	s_clause 0x1
	s_load_b128 s[16:19], s[0:1], 0x38
	s_load_b128 s[20:23], s[0:1], 0x50
	v_lshl_add_u32 v0, v8, 4, v7
	s_lshl_b32 s3, ttmp7, 5
	s_load_b64 s[28:29], s[0:1], 0x60
	s_and_b32 s3, s3, 0x1fffe0
	s_cmp_neq_f32 s14, 0
	v_and_b32_e32 v2, 31, v0
	v_lshrrev_b32_e32 v15, 5, v0
	v_lshrrev_b32_e32 v3, 3, v0
	s_cselect_b32 s31, -1, 0
	s_cmp_neq_f32 s15, 0
	v_or_b32_e32 v0, s2, v2
	v_lshlrev_b32_e32 v5, 3, v2
	v_add_nc_u32_e32 v11, s3, v8
	s_cselect_b32 s0, -1, 0
	v_add_nc_u32_e32 v4, s3, v3
	v_ashrrev_i32_e32 v1, 31, v0
	s_or_b32 s35, s31, s0
	s_wait_kmcnt 0x0
	v_cmp_gt_i32_e64 s0, s34, v0
	v_cmp_le_i32_e64 s31, s34, v0
	v_add_nc_u32_e32 v12, 16, v11
	v_lshlrev_b64_e32 v[1:2], 3, v[0:1]
	v_lshl_or_b32 v16, v15, 8, v5
	v_lshl_add_u32 v23, v8, 6, 0x800
	s_cmp_neq_f32 s24, 0
	v_cmp_gt_i64_e64 s36, s[12:13], 0
	s_mov_b32 s27, 0
	v_add_co_u32 v17, vcc_lo, s4, v1
	v_dual_mov_b32 v1, 0 :: v_dual_lshlrev_b32 v6, 3, v14
	v_add_co_ci_u32_e64 v18, null, s5, v2, vcc_lo
	v_cmp_gt_i32_e32 vcc_lo, s34, v4
	s_delay_alu instid0(VALU_DEP_3) | instskip(SKIP_1) | instid1(VALU_DEP_2)
	v_lshl_or_b32 v0, v3, 6, v6
	v_mad_co_u64_u32 v[2:3], null, s22, v11, 0
	v_add_nc_u32_e32 v19, 0x800, v0
	v_lshlrev_b32_e32 v0, 3, v4
	v_mad_co_u64_u32 v[4:5], null, s22, v12, 0
	s_cselect_b32 s22, -1, 0
	v_add_co_u32 v20, s1, s10, v0
	v_mov_b32_e32 v0, v3
	v_add_nc_u32_e32 v6, s2, v7
	v_add_co_ci_u32_e64 v21, null, s11, 0, s1
	v_lshlrev_b32_e32 v22, 3, v7
	s_delay_alu instid0(VALU_DEP_4) | instskip(NEXT) | instid1(VALU_DEP_4)
	v_mad_co_u64_u32 v[9:10], null, s23, v11, v[0:1]
	v_add_nc_u32_e32 v8, 16, v6
	v_mov_b32_e32 v0, v5
	v_cmp_le_i32_e64 s1, v11, v6
	v_cmp_gt_i32_e64 s2, s34, v6
	v_ashrrev_i32_e32 v7, 31, v6
	v_cmp_le_i32_e64 s3, v11, v8
	v_mad_co_u64_u32 v[10:11], null, s23, v12, v[0:1]
	v_cmp_gt_i32_e64 s4, s34, v8
	v_mov_b32_e32 v3, v9
	v_ashrrev_i32_e32 v9, 31, v8
	s_and_b32 s5, s1, s2
	v_cmp_le_i32_e64 s1, v12, v6
	s_and_b32 s10, s3, s4
	v_mov_b32_e32 v5, v10
	v_cmp_le_i32_e64 s3, v12, v8
	v_lshlrev_b64_e32 v[2:3], 3, v[2:3]
	v_lshlrev_b64_e32 v[6:7], 3, v[6:7]
	;; [unrolled: 1-line block ×4, first 2 shown]
	s_xor_b32 s23, s33, -1
	s_and_b32 s11, s35, s36
	s_wait_alu 0xfffe
	s_or_b32 s22, s22, s23
	s_and_b32 s1, s1, s2
	s_and_b32 s4, s3, s4
	s_xor_b32 s23, vcc_lo, -1
                                        ; implicit-def: $vgpr10_vgpr11
	s_branch .LBB245_8
.LBB245_7:                              ;   in Loop: Header=BB245_8 Depth=1
	s_wait_alu 0xfffe
	s_or_b32 exec_lo, exec_lo, s2
	s_add_co_i32 s26, s26, 0x10000
	s_delay_alu instid0(SALU_CYCLE_1)
	s_cmp_lt_u32 s26, s30
	s_cbranch_scc0 .LBB245_42
.LBB245_8:                              ; =>This Loop Header: Depth=1
                                        ;     Child Loop BB245_11 Depth 2
	s_and_not1_b32 vcc_lo, exec_lo, s11
	s_wait_alu 0xfffe
	s_cbranch_vccnz .LBB245_21
; %bb.9:                                ;   in Loop: Header=BB245_8 Depth=1
	s_mul_u64 s[2:3], s[8:9], s[26:27]
	s_mul_u64 s[34:35], s[18:19], s[26:27]
	s_wait_alu 0xfffe
	s_lshl_b64 s[2:3], s[2:3], 3
	v_dual_mov_b32 v26, 0 :: v_dual_mov_b32 v27, 0
	s_wait_alu 0xfffe
	v_add_co_u32 v12, vcc_lo, v17, s2
	s_wait_alu 0xfffd
	v_add_co_ci_u32_e64 v13, null, s3, v18, vcc_lo
	s_lshl_b64 s[2:3], s[34:35], 3
	v_dual_mov_b32 v29, 0 :: v_dual_mov_b32 v28, 0
	s_wait_alu 0xfffe
	v_add_co_u32 v24, vcc_lo, v20, s2
	s_wait_alu 0xfffd
	v_add_co_ci_u32_e64 v25, null, s3, v21, vcc_lo
	v_dual_mov_b32 v31, 0 :: v_dual_mov_b32 v30, 0
	v_dual_mov_b32 v33, 0 :: v_dual_mov_b32 v32, 0
	s_mov_b64 s[2:3], 0
	s_branch .LBB245_11
.LBB245_10:                             ;   in Loop: Header=BB245_11 Depth=2
	s_or_b32 exec_lo, exec_lo, s33
	ds_store_b32 v19, v34 offset:4
	s_wait_dscnt 0x0
	s_barrier_signal -1
	s_barrier_wait -1
	global_inv scope:SCOPE_SE
	ds_load_b128 v[34:37], v23
	ds_load_2addr_b64 v[38:41], v22 offset1:16
	ds_load_b128 v[42:45], v23 offset:1024
	ds_load_b128 v[46:49], v23 offset:16
	;; [unrolled: 1-line block ×4, first 2 shown]
	ds_load_2addr_b64 v[58:61], v22 offset0:32 offset1:48
	ds_load_b128 v[62:65], v23 offset:1040
	s_add_nc_u64 s[2:3], s[2:3], 8
	s_wait_alu 0xfffe
	v_cmp_gt_i64_e64 s33, s[12:13], s[2:3]
	s_and_b32 vcc_lo, exec_lo, s33
	s_wait_dscnt 0x6
	v_mul_f32_e32 v0, v35, v39
	v_dual_mul_f32 v66, v34, v39 :: v_dual_mul_f32 v67, v35, v41
	s_wait_dscnt 0x5
	v_dual_mul_f32 v68, v34, v41 :: v_dual_mul_f32 v69, v43, v39
	v_dual_mul_f32 v39, v42, v39 :: v_dual_mul_f32 v70, v43, v41
	v_mul_f32_e32 v41, v42, v41
	v_fma_f32 v0, v34, v38, -v0
	v_fma_f32 v34, v34, v40, -v67
	s_delay_alu instid0(VALU_DEP_4)
	v_fmac_f32_e32 v39, v43, v38
	v_fmac_f32_e32 v68, v35, v40
	;; [unrolled: 1-line block ×3, first 2 shown]
	v_add_f32_e32 v0, v32, v0
	v_fmac_f32_e32 v66, v35, v38
	v_fma_f32 v35, v42, v38, -v69
	s_delay_alu instid0(VALU_DEP_2)
	v_add_f32_e32 v32, v33, v66
	v_add_f32_e32 v33, v30, v34
	v_fma_f32 v30, v42, v40, -v70
	s_wait_dscnt 0x1
	v_mul_f32_e32 v38, v37, v59
	v_add_f32_e32 v34, v28, v35
	v_dual_add_f32 v35, v29, v39 :: v_dual_add_f32 v26, v26, v41
	v_add_f32_e32 v39, v27, v30
	ds_load_2addr_b64 v[27:30], v22 offset0:64 offset1:80
	v_fma_f32 v38, v36, v58, -v38
	v_mul_f32_e32 v42, v37, v61
	v_mul_f32_e32 v41, v36, v61
	s_delay_alu instid0(VALU_DEP_3) | instskip(SKIP_1) | instid1(VALU_DEP_3)
	v_dual_add_f32 v31, v31, v68 :: v_dual_add_f32 v0, v0, v38
	v_mul_f32_e32 v38, v45, v59
	v_dual_mul_f32 v40, v36, v59 :: v_dual_fmac_f32 v41, v37, v60
	v_fma_f32 v36, v36, v60, -v42
	s_delay_alu instid0(VALU_DEP_2) | instskip(SKIP_1) | instid1(VALU_DEP_3)
	v_fmac_f32_e32 v40, v37, v58
	v_mul_f32_e32 v37, v45, v61
	v_add_f32_e32 v36, v33, v36
	v_fma_f32 v33, v44, v58, -v38
	v_add_f32_e32 v38, v31, v41
	v_mul_f32_e32 v41, v44, v61
	v_fma_f32 v31, v44, v60, -v37
	v_add_f32_e32 v40, v32, v40
	v_mul_f32_e32 v32, v44, v59
	s_wait_dscnt 0x0
	v_dual_add_f32 v42, v34, v33 :: v_dual_mul_f32 v33, v47, v28
	v_fmac_f32_e32 v41, v45, v60
	s_delay_alu instid0(VALU_DEP_3) | instskip(SKIP_1) | instid1(VALU_DEP_4)
	v_dual_mul_f32 v37, v46, v28 :: v_dual_fmac_f32 v32, v45, v58
	v_add_f32_e32 v39, v39, v31
	v_fma_f32 v43, v46, v27, -v33
	s_delay_alu instid0(VALU_DEP_3) | instskip(NEXT) | instid1(VALU_DEP_4)
	v_fmac_f32_e32 v37, v47, v27
	v_add_f32_e32 v35, v35, v32
	ds_load_2addr_b64 v[31:34], v22 offset0:96 offset1:112
	v_mul_f32_e32 v44, v47, v30
	v_add_f32_e32 v0, v0, v43
	v_dual_add_f32 v37, v40, v37 :: v_dual_mul_f32 v40, v63, v28
	v_mul_f32_e32 v28, v62, v28
	s_delay_alu instid0(VALU_DEP_4)
	v_fma_f32 v43, v46, v29, -v44
	v_add_f32_e32 v41, v26, v41
	v_mul_f32_e32 v26, v46, v30
	v_fma_f32 v40, v62, v27, -v40
	v_fmac_f32_e32 v28, v63, v27
	v_dual_add_f32 v36, v36, v43 :: v_dual_mul_f32 v43, v63, v30
	v_mul_f32_e32 v30, v62, v30
	s_delay_alu instid0(VALU_DEP_4) | instskip(NEXT) | instid1(VALU_DEP_4)
	v_add_f32_e32 v40, v42, v40
	v_add_f32_e32 v42, v35, v28
	s_wait_dscnt 0x0
	s_delay_alu instid0(VALU_DEP_3) | instskip(NEXT) | instid1(VALU_DEP_1)
	v_dual_fmac_f32 v30, v63, v29 :: v_dual_mul_f32 v35, v49, v32
	v_add_f32_e32 v41, v41, v30
	s_delay_alu instid0(VALU_DEP_2) | instskip(NEXT) | instid1(VALU_DEP_1)
	v_fma_f32 v35, v48, v31, -v35
	v_dual_add_f32 v0, v0, v35 :: v_dual_mul_f32 v35, v65, v32
	v_dual_fmac_f32 v26, v47, v29 :: v_dual_mul_f32 v47, v65, v34
	s_delay_alu instid0(VALU_DEP_2) | instskip(NEXT) | instid1(VALU_DEP_2)
	v_fma_f32 v46, v64, v31, -v35
	v_add_f32_e32 v44, v38, v26
	v_fma_f32 v26, v62, v29, -v43
	v_dual_mul_f32 v38, v48, v32 :: v_dual_mul_f32 v43, v49, v34
	s_delay_alu instid0(VALU_DEP_2) | instskip(SKIP_3) | instid1(VALU_DEP_2)
	v_dual_mul_f32 v32, v64, v32 :: v_dual_add_f32 v39, v39, v26
	ds_load_2addr_b64 v[26:29], v22 offset0:128 offset1:144
	v_fmac_f32_e32 v38, v49, v31
	v_fma_f32 v43, v48, v33, -v43
	v_add_f32_e32 v45, v37, v38
	s_delay_alu instid0(VALU_DEP_2) | instskip(SKIP_4) | instid1(VALU_DEP_2)
	v_add_f32_e32 v43, v36, v43
	ds_load_b128 v[35:38], v23 offset:1056
	v_mul_f32_e32 v30, v48, v34
	v_fmac_f32_e32 v32, v65, v31
	s_wait_dscnt 0x1
	v_dual_fmac_f32 v30, v49, v33 :: v_dual_mul_f32 v49, v50, v27
	s_delay_alu instid0(VALU_DEP_1) | instskip(SKIP_2) | instid1(VALU_DEP_4)
	v_dual_mul_f32 v31, v51, v27 :: v_dual_add_f32 v44, v44, v30
	v_fma_f32 v30, v64, v33, -v47
	v_add_f32_e32 v47, v42, v32
	v_fmac_f32_e32 v49, v51, v26
	s_delay_alu instid0(VALU_DEP_3) | instskip(SKIP_1) | instid1(VALU_DEP_3)
	v_add_f32_e32 v48, v39, v30
	v_fma_f32 v39, v50, v26, -v31
	v_dual_add_f32 v45, v45, v49 :: v_dual_mul_f32 v34, v64, v34
	s_delay_alu instid0(VALU_DEP_2) | instskip(NEXT) | instid1(VALU_DEP_2)
	v_add_f32_e32 v0, v0, v39
	v_fmac_f32_e32 v34, v65, v33
	ds_load_2addr_b64 v[30:33], v22 offset0:160 offset1:176
	v_add_f32_e32 v46, v40, v46
	v_mul_f32_e32 v40, v51, v29
	s_delay_alu instid0(VALU_DEP_1) | instskip(NEXT) | instid1(VALU_DEP_1)
	v_fma_f32 v58, v50, v28, -v40
	v_dual_mul_f32 v50, v50, v29 :: v_dual_add_f32 v43, v43, v58
	s_delay_alu instid0(VALU_DEP_1)
	v_fmac_f32_e32 v50, v51, v28
	v_add_f32_e32 v34, v41, v34
	ds_load_b128 v[39:42], v23 offset:1072
	s_wait_dscnt 0x2
	v_mul_f32_e32 v59, v36, v27
	v_dual_mul_f32 v27, v35, v27 :: v_dual_add_f32 v44, v44, v50
	v_mul_f32_e32 v50, v35, v29
	v_mul_f32_e32 v51, v36, v29
	s_delay_alu instid0(VALU_DEP_4) | instskip(NEXT) | instid1(VALU_DEP_4)
	v_fma_f32 v49, v35, v26, -v59
	v_fmac_f32_e32 v27, v36, v26
	s_delay_alu instid0(VALU_DEP_4)
	v_fmac_f32_e32 v50, v36, v28
	s_wait_dscnt 0x1
	v_mul_f32_e32 v36, v52, v31
	v_fma_f32 v26, v35, v28, -v51
	v_add_f32_e32 v35, v47, v27
	v_mul_f32_e32 v47, v53, v31
	s_delay_alu instid0(VALU_DEP_4) | instskip(NEXT) | instid1(VALU_DEP_2)
	v_fmac_f32_e32 v36, v53, v30
	v_fma_f32 v47, v52, v30, -v47
	s_delay_alu instid0(VALU_DEP_2) | instskip(SKIP_1) | instid1(VALU_DEP_3)
	v_dual_add_f32 v45, v45, v36 :: v_dual_mul_f32 v36, v38, v31
	v_dual_mul_f32 v31, v37, v31 :: v_dual_add_f32 v46, v46, v49
	v_dual_mul_f32 v49, v53, v33 :: v_dual_add_f32 v0, v0, v47
	s_delay_alu instid0(VALU_DEP_3) | instskip(NEXT) | instid1(VALU_DEP_3)
	v_fma_f32 v36, v37, v30, -v36
	v_dual_fmac_f32 v31, v38, v30 :: v_dual_mul_f32 v30, v37, v33
	s_delay_alu instid0(VALU_DEP_3) | instskip(NEXT) | instid1(VALU_DEP_2)
	v_fma_f32 v47, v52, v32, -v49
	v_dual_add_f32 v31, v35, v31 :: v_dual_fmac_f32 v30, v38, v32
	s_delay_alu instid0(VALU_DEP_2)
	v_add_f32_e32 v43, v43, v47
	v_dual_mul_f32 v47, v38, v33 :: v_dual_add_f32 v48, v48, v26
	ds_load_2addr_b64 v[26:29], v22 offset0:192 offset1:208
	v_add_f32_e32 v50, v34, v50
	v_mul_f32_e32 v34, v52, v33
	v_fma_f32 v33, v37, v32, -v47
	s_wait_dscnt 0x0
	s_delay_alu instid0(VALU_DEP_2) | instskip(NEXT) | instid1(VALU_DEP_1)
	v_dual_fmac_f32 v34, v53, v32 :: v_dual_mul_f32 v47, v55, v29
	v_fma_f32 v47, v54, v28, -v47
	s_delay_alu instid0(VALU_DEP_1) | instskip(SKIP_3) | instid1(VALU_DEP_3)
	v_dual_add_f32 v43, v43, v47 :: v_dual_add_f32 v32, v48, v33
	v_mul_f32_e32 v33, v54, v27
	v_mul_f32_e32 v48, v40, v27
	;; [unrolled: 1-line block ×3, first 2 shown]
	v_dual_fmac_f32 v33, v55, v26 :: v_dual_add_f32 v46, v46, v36
	s_delay_alu instid0(VALU_DEP_1) | instskip(SKIP_3) | instid1(VALU_DEP_3)
	v_dual_add_f32 v33, v45, v33 :: v_dual_add_f32 v44, v44, v34
	v_mul_f32_e32 v34, v55, v27
	v_mul_f32_e32 v27, v39, v27
	v_fma_f32 v45, v39, v26, -v48
	v_fma_f32 v38, v54, v26, -v34
	ds_load_2addr_b64 v[34:37], v22 offset0:224 offset1:240
	v_fmac_f32_e32 v27, v40, v26
	s_wait_loadcnt_dscnt 0x0
	s_barrier_signal -1
	v_add_f32_e32 v0, v0, v38
	s_barrier_wait -1
	v_dual_add_f32 v27, v31, v27 :: v_dual_mul_f32 v38, v54, v29
	v_mul_f32_e32 v29, v39, v29
	v_fma_f32 v39, v39, v28, -v47
	v_add_f32_e32 v30, v50, v30
	global_inv scope:SCOPE_SE
	v_fmac_f32_e32 v38, v55, v28
	v_fmac_f32_e32 v29, v40, v28
	s_delay_alu instid0(VALU_DEP_1) | instskip(SKIP_4) | instid1(VALU_DEP_4)
	v_dual_add_f32 v39, v32, v39 :: v_dual_add_f32 v40, v30, v29
	v_mul_f32_e32 v31, v57, v35
	v_mul_f32_e32 v32, v57, v37
	;; [unrolled: 1-line block ×4, first 2 shown]
	v_fma_f32 v31, v56, v34, -v31
	s_delay_alu instid0(VALU_DEP_4) | instskip(NEXT) | instid1(VALU_DEP_4)
	v_fma_f32 v30, v56, v36, -v32
	v_fmac_f32_e32 v28, v57, v34
	s_delay_alu instid0(VALU_DEP_4) | instskip(NEXT) | instid1(VALU_DEP_4)
	v_dual_fmac_f32 v29, v57, v36 :: v_dual_add_f32 v26, v44, v38
	v_add_f32_e32 v32, v0, v31
	v_mul_f32_e32 v0, v42, v35
	v_add_f32_e32 v38, v46, v45
	v_dual_add_f32 v30, v43, v30 :: v_dual_mul_f32 v35, v41, v35
	v_mul_f32_e32 v43, v42, v37
	s_delay_alu instid0(VALU_DEP_4)
	v_fma_f32 v0, v41, v34, -v0
	v_mul_f32_e32 v37, v41, v37
	v_add_f32_e32 v33, v33, v28
	v_fmac_f32_e32 v35, v42, v34
	v_add_f32_e32 v31, v26, v29
	v_add_f32_e32 v28, v38, v0
	v_fma_f32 v0, v41, v36, -v43
	v_fmac_f32_e32 v37, v42, v36
	v_add_f32_e32 v29, v27, v35
	s_delay_alu instid0(VALU_DEP_2)
	v_dual_add_f32 v27, v39, v0 :: v_dual_add_f32 v26, v40, v37
	s_wait_alu 0xfffe
	s_cbranch_vccz .LBB245_22
.LBB245_11:                             ;   Parent Loop BB245_8 Depth=1
                                        ; =>  This Inner Loop Header: Depth=2
	s_mov_b32 s33, 0
	s_mov_b32 s35, s31
	s_and_saveexec_b32 s34, s0
	s_cbranch_execnz .LBB245_19
; %bb.12:                               ;   in Loop: Header=BB245_11 Depth=2
	s_wait_alu 0xfffe
	s_or_b32 exec_lo, exec_lo, s34
	s_and_saveexec_b32 s34, s35
	s_wait_alu 0xfffe
	s_xor_b32 s34, exec_lo, s34
	s_cbranch_execnz .LBB245_20
.LBB245_13:                             ;   in Loop: Header=BB245_11 Depth=2
	s_wait_alu 0xfffe
	s_or_b32 exec_lo, exec_lo, s34
	s_and_saveexec_b32 s34, s33
	s_cbranch_execz .LBB245_15
.LBB245_14:                             ;   in Loop: Header=BB245_11 Depth=2
	v_mul_lo_u32 v0, s7, v10
	v_mul_lo_u32 v36, s6, v11
	v_mad_co_u64_u32 v[34:35], null, s6, v10, 0
	s_delay_alu instid0(VALU_DEP_1) | instskip(NEXT) | instid1(VALU_DEP_1)
	v_add3_u32 v35, v35, v36, v0
	v_lshlrev_b64_e32 v[34:35], 3, v[34:35]
	s_delay_alu instid0(VALU_DEP_1) | instskip(SKIP_1) | instid1(VALU_DEP_2)
	v_add_co_u32 v34, vcc_lo, v12, v34
	s_wait_alu 0xfffd
	v_add_co_ci_u32_e64 v35, null, v13, v35, vcc_lo
	global_load_b64 v[34:35], v[34:35], off
	s_wait_loadcnt 0x0
	ds_store_b64 v16, v[34:35]
.LBB245_15:                             ;   in Loop: Header=BB245_11 Depth=2
	s_wait_alu 0xfffe
	s_or_b32 exec_lo, exec_lo, s34
	v_add_nc_u32_e32 v0, s2, v14
	s_delay_alu instid0(VALU_DEP_1) | instskip(SKIP_1) | instid1(SALU_CYCLE_1)
	v_cmp_le_u64_e32 vcc_lo, s[12:13], v[0:1]
	s_or_b32 s33, vcc_lo, s23
	s_and_saveexec_b32 s34, s33
	s_wait_alu 0xfffe
	s_xor_b32 s33, exec_lo, s34
; %bb.16:                               ;   in Loop: Header=BB245_11 Depth=2
	ds_store_b32 v19, v1
; %bb.17:                               ;   in Loop: Header=BB245_11 Depth=2
	s_or_saveexec_b32 s33, s33
	v_mov_b32_e32 v34, 0
	s_xor_b32 exec_lo, exec_lo, s33
	s_cbranch_execz .LBB245_10
; %bb.18:                               ;   in Loop: Header=BB245_11 Depth=2
	v_mad_co_u64_u32 v[34:35], null, s16, v0, 0
	s_delay_alu instid0(VALU_DEP_1) | instskip(NEXT) | instid1(VALU_DEP_1)
	v_mad_co_u64_u32 v[35:36], null, s17, v0, v[35:36]
	v_lshlrev_b64_e32 v[34:35], 3, v[34:35]
	s_delay_alu instid0(VALU_DEP_1) | instskip(SKIP_1) | instid1(VALU_DEP_2)
	v_add_co_u32 v34, vcc_lo, v24, v34
	s_wait_alu 0xfffd
	v_add_co_ci_u32_e64 v35, null, v25, v35, vcc_lo
	global_load_b64 v[35:36], v[34:35], off
	s_wait_loadcnt 0x0
	v_xor_b32_e32 v34, 0x80000000, v36
	ds_store_b32 v19, v35
	s_branch .LBB245_10
.LBB245_19:                             ;   in Loop: Header=BB245_11 Depth=2
	s_wait_alu 0xfffe
	v_add_nc_u32_e32 v0, s2, v15
	v_mov_b32_e32 v11, v1
	s_and_not1_b32 s35, s31, exec_lo
	s_mov_b32 s33, exec_lo
	s_delay_alu instid0(VALU_DEP_2)
	v_cmp_le_u64_e32 vcc_lo, s[12:13], v[0:1]
	v_mov_b32_e32 v10, v0
	s_and_b32 s36, vcc_lo, exec_lo
	s_wait_alu 0xfffe
	s_or_b32 s35, s35, s36
	s_or_b32 exec_lo, exec_lo, s34
	s_wait_alu 0xfffe
	s_and_saveexec_b32 s34, s35
	s_wait_alu 0xfffe
	s_xor_b32 s34, exec_lo, s34
	s_cbranch_execz .LBB245_13
.LBB245_20:                             ;   in Loop: Header=BB245_11 Depth=2
	v_mov_b32_e32 v0, v1
	s_and_not1_b32 s33, s33, exec_lo
	ds_store_b64 v16, v[0:1]
	s_wait_alu 0xfffe
	s_or_b32 exec_lo, exec_lo, s34
	s_and_saveexec_b32 s34, s33
	s_cbranch_execnz .LBB245_14
	s_branch .LBB245_15
.LBB245_21:                             ;   in Loop: Header=BB245_8 Depth=1
	v_dual_mov_b32 v32, v1 :: v_dual_mov_b32 v33, v1
	v_dual_mov_b32 v30, v1 :: v_dual_mov_b32 v31, v1
	v_dual_mov_b32 v28, v1 :: v_dual_mov_b32 v29, v1
	v_dual_mov_b32 v27, v1 :: v_dual_mov_b32 v26, v1
.LBB245_22:                             ;   in Loop: Header=BB245_8 Depth=1
	s_mul_u64 s[2:3], s[28:29], s[26:27]
	s_wait_alu 0xfffe
	s_lshl_b64 s[2:3], s[2:3], 3
	s_wait_alu 0xfffe
	s_add_nc_u64 s[2:3], s[20:21], s[2:3]
	s_wait_alu 0xfffe
	v_add_co_u32 v0, vcc_lo, s2, v2
	s_wait_alu 0xfffd
	v_add_co_ci_u32_e64 v24, null, s3, v3, vcc_lo
	s_and_saveexec_b32 s33, s5
	s_cbranch_execz .LBB245_27
; %bb.23:                               ;   in Loop: Header=BB245_8 Depth=1
	v_mul_f32_e32 v13, s14, v33
	v_mul_f32_e32 v12, s15, v33
	s_and_b32 vcc_lo, exec_lo, s22
	s_mov_b32 s34, -1
	s_delay_alu instid0(VALU_DEP_2) | instskip(NEXT) | instid1(VALU_DEP_2)
	v_fmac_f32_e32 v13, s15, v32
	v_fma_f32 v12, v32, s14, -v12
	s_wait_alu 0xfffe
	s_cbranch_vccz .LBB245_25
; %bb.24:                               ;   in Loop: Header=BB245_8 Depth=1
	v_add_co_u32 v32, vcc_lo, v0, v6
	s_wait_alu 0xfffd
	v_add_co_ci_u32_e64 v33, null, v24, v7, vcc_lo
	s_mov_b32 s34, 0
	global_load_b64 v[34:35], v[32:33], off
	s_wait_loadcnt 0x0
	v_mul_f32_e32 v25, s25, v35
	s_delay_alu instid0(VALU_DEP_1) | instskip(SKIP_1) | instid1(VALU_DEP_1)
	v_fma_f32 v25, v34, s24, -v25
	v_mul_f32_e32 v35, s24, v35
	v_dual_fmac_f32 v35, s25, v34 :: v_dual_add_f32 v34, v12, v25
	s_delay_alu instid0(VALU_DEP_1)
	v_add_f32_e32 v35, v13, v35
	global_store_b64 v[32:33], v[34:35], off
.LBB245_25:                             ;   in Loop: Header=BB245_8 Depth=1
	s_wait_alu 0xfffe
	s_and_not1_b32 vcc_lo, exec_lo, s34
	s_wait_alu 0xfffe
	s_cbranch_vccnz .LBB245_27
; %bb.26:                               ;   in Loop: Header=BB245_8 Depth=1
	v_add_co_u32 v32, vcc_lo, v0, v6
	s_wait_alu 0xfffd
	v_add_co_ci_u32_e64 v33, null, v24, v7, vcc_lo
	global_store_b64 v[32:33], v[12:13], off
.LBB245_27:                             ;   in Loop: Header=BB245_8 Depth=1
	s_or_b32 exec_lo, exec_lo, s33
	s_and_saveexec_b32 s33, s10
	s_cbranch_execz .LBB245_32
; %bb.28:                               ;   in Loop: Header=BB245_8 Depth=1
	v_mul_f32_e32 v13, s14, v31
	v_mul_f32_e32 v12, s15, v31
	s_and_not1_b32 vcc_lo, exec_lo, s22
	s_mov_b32 s34, -1
	s_delay_alu instid0(VALU_DEP_2) | instskip(NEXT) | instid1(VALU_DEP_2)
	v_fmac_f32_e32 v13, s15, v30
	v_fma_f32 v12, v30, s14, -v12
	s_wait_alu 0xfffe
	s_cbranch_vccnz .LBB245_30
; %bb.29:                               ;   in Loop: Header=BB245_8 Depth=1
	v_add_co_u32 v30, vcc_lo, v0, v8
	s_wait_alu 0xfffd
	v_add_co_ci_u32_e64 v31, null, v24, v9, vcc_lo
	s_mov_b32 s34, 0
	global_load_b64 v[32:33], v[30:31], off
	s_wait_loadcnt 0x0
	v_mul_f32_e32 v25, s25, v33
	v_mul_f32_e32 v33, s24, v33
	s_delay_alu instid0(VALU_DEP_2) | instskip(NEXT) | instid1(VALU_DEP_1)
	v_fma_f32 v25, v32, s24, -v25
	v_dual_fmac_f32 v33, s25, v32 :: v_dual_add_f32 v32, v12, v25
	s_delay_alu instid0(VALU_DEP_1)
	v_add_f32_e32 v33, v13, v33
	global_store_b64 v[30:31], v[32:33], off
.LBB245_30:                             ;   in Loop: Header=BB245_8 Depth=1
	s_wait_alu 0xfffe
	s_and_not1_b32 vcc_lo, exec_lo, s34
	s_wait_alu 0xfffe
	s_cbranch_vccnz .LBB245_32
; %bb.31:                               ;   in Loop: Header=BB245_8 Depth=1
	v_add_co_u32 v30, vcc_lo, v0, v8
	s_wait_alu 0xfffd
	v_add_co_ci_u32_e64 v31, null, v24, v9, vcc_lo
	global_store_b64 v[30:31], v[12:13], off
.LBB245_32:                             ;   in Loop: Header=BB245_8 Depth=1
	s_or_b32 exec_lo, exec_lo, s33
	v_add_co_u32 v0, vcc_lo, s2, v4
	s_wait_alu 0xfffd
	v_add_co_ci_u32_e64 v24, null, s3, v5, vcc_lo
	s_and_saveexec_b32 s2, s1
	s_cbranch_execz .LBB245_37
; %bb.33:                               ;   in Loop: Header=BB245_8 Depth=1
	v_mul_f32_e32 v13, s14, v29
	v_mul_f32_e32 v12, s15, v29
	s_and_not1_b32 vcc_lo, exec_lo, s22
	s_mov_b32 s3, -1
	s_delay_alu instid0(VALU_DEP_2) | instskip(NEXT) | instid1(VALU_DEP_2)
	v_fmac_f32_e32 v13, s15, v28
	v_fma_f32 v12, v28, s14, -v12
	s_wait_alu 0xfffe
	s_cbranch_vccnz .LBB245_35
; %bb.34:                               ;   in Loop: Header=BB245_8 Depth=1
	v_add_co_u32 v28, vcc_lo, v0, v6
	s_wait_alu 0xfffd
	v_add_co_ci_u32_e64 v29, null, v24, v7, vcc_lo
	s_mov_b32 s3, 0
	global_load_b64 v[30:31], v[28:29], off
	s_wait_loadcnt 0x0
	v_mul_f32_e32 v25, s25, v31
	s_delay_alu instid0(VALU_DEP_1) | instskip(SKIP_1) | instid1(VALU_DEP_1)
	v_fma_f32 v25, v30, s24, -v25
	v_mul_f32_e32 v31, s24, v31
	v_dual_fmac_f32 v31, s25, v30 :: v_dual_add_f32 v30, v12, v25
	s_delay_alu instid0(VALU_DEP_1)
	v_add_f32_e32 v31, v13, v31
	global_store_b64 v[28:29], v[30:31], off
.LBB245_35:                             ;   in Loop: Header=BB245_8 Depth=1
	s_wait_alu 0xfffe
	s_and_not1_b32 vcc_lo, exec_lo, s3
	s_wait_alu 0xfffe
	s_cbranch_vccnz .LBB245_37
; %bb.36:                               ;   in Loop: Header=BB245_8 Depth=1
	v_add_co_u32 v28, vcc_lo, v0, v6
	s_wait_alu 0xfffd
	v_add_co_ci_u32_e64 v29, null, v24, v7, vcc_lo
	global_store_b64 v[28:29], v[12:13], off
.LBB245_37:                             ;   in Loop: Header=BB245_8 Depth=1
	s_wait_alu 0xfffe
	s_or_b32 exec_lo, exec_lo, s2
	s_and_saveexec_b32 s2, s4
	s_cbranch_execz .LBB245_7
; %bb.38:                               ;   in Loop: Header=BB245_8 Depth=1
	v_mul_f32_e32 v13, s14, v26
	v_mul_f32_e32 v12, s15, v26
	s_and_not1_b32 vcc_lo, exec_lo, s22
	s_mov_b32 s3, -1
	s_delay_alu instid0(VALU_DEP_2) | instskip(NEXT) | instid1(VALU_DEP_2)
	v_fmac_f32_e32 v13, s15, v27
	v_fma_f32 v12, v27, s14, -v12
	s_wait_alu 0xfffe
	s_cbranch_vccnz .LBB245_40
; %bb.39:                               ;   in Loop: Header=BB245_8 Depth=1
	v_add_co_u32 v25, vcc_lo, v0, v8
	s_wait_alu 0xfffd
	v_add_co_ci_u32_e64 v26, null, v24, v9, vcc_lo
	s_mov_b32 s3, 0
	global_load_b64 v[27:28], v[25:26], off
	s_wait_loadcnt 0x0
	v_mul_f32_e32 v29, s25, v28
	v_mul_f32_e32 v28, s24, v28
	s_delay_alu instid0(VALU_DEP_1) | instskip(NEXT) | instid1(VALU_DEP_3)
	v_fmac_f32_e32 v28, s25, v27
	v_fma_f32 v29, v27, s24, -v29
	s_delay_alu instid0(VALU_DEP_1)
	v_dual_add_f32 v28, v13, v28 :: v_dual_add_f32 v27, v12, v29
	global_store_b64 v[25:26], v[27:28], off
.LBB245_40:                             ;   in Loop: Header=BB245_8 Depth=1
	s_wait_alu 0xfffe
	s_and_not1_b32 vcc_lo, exec_lo, s3
	s_wait_alu 0xfffe
	s_cbranch_vccnz .LBB245_7
; %bb.41:                               ;   in Loop: Header=BB245_8 Depth=1
	v_add_co_u32 v25, vcc_lo, v0, v8
	s_wait_alu 0xfffd
	v_add_co_ci_u32_e64 v26, null, v24, v9, vcc_lo
	global_store_b64 v[25:26], v[12:13], off
	s_branch .LBB245_7
.LBB245_42:
	s_endpgm
	.section	.rodata,"a",@progbits
	.p2align	6, 0x0
	.amdhsa_kernel _ZL29rocblas_internal_gemmt_kernelIlLi16ELi32ELi8ELc78ELc67ELc76ELb0ELb1E19rocblas_complex_numIfES1_PKS1_PS1_EviT_T9_T10_S5_lS7_S5_lS6_T11_S5_li
		.amdhsa_group_segment_fixed_size 4096
		.amdhsa_private_segment_fixed_size 0
		.amdhsa_kernarg_size 108
		.amdhsa_user_sgpr_count 2
		.amdhsa_user_sgpr_dispatch_ptr 0
		.amdhsa_user_sgpr_queue_ptr 0
		.amdhsa_user_sgpr_kernarg_segment_ptr 1
		.amdhsa_user_sgpr_dispatch_id 0
		.amdhsa_user_sgpr_private_segment_size 0
		.amdhsa_wavefront_size32 1
		.amdhsa_uses_dynamic_stack 0
		.amdhsa_enable_private_segment 0
		.amdhsa_system_sgpr_workgroup_id_x 1
		.amdhsa_system_sgpr_workgroup_id_y 1
		.amdhsa_system_sgpr_workgroup_id_z 1
		.amdhsa_system_sgpr_workgroup_info 0
		.amdhsa_system_vgpr_workitem_id 1
		.amdhsa_next_free_vgpr 71
		.amdhsa_next_free_sgpr 37
		.amdhsa_reserve_vcc 1
		.amdhsa_float_round_mode_32 0
		.amdhsa_float_round_mode_16_64 0
		.amdhsa_float_denorm_mode_32 3
		.amdhsa_float_denorm_mode_16_64 3
		.amdhsa_fp16_overflow 0
		.amdhsa_workgroup_processor_mode 1
		.amdhsa_memory_ordered 1
		.amdhsa_forward_progress 1
		.amdhsa_inst_pref_size 26
		.amdhsa_round_robin_scheduling 0
		.amdhsa_exception_fp_ieee_invalid_op 0
		.amdhsa_exception_fp_denorm_src 0
		.amdhsa_exception_fp_ieee_div_zero 0
		.amdhsa_exception_fp_ieee_overflow 0
		.amdhsa_exception_fp_ieee_underflow 0
		.amdhsa_exception_fp_ieee_inexact 0
		.amdhsa_exception_int_div_zero 0
	.end_amdhsa_kernel
	.section	.text._ZL29rocblas_internal_gemmt_kernelIlLi16ELi32ELi8ELc78ELc67ELc76ELb0ELb1E19rocblas_complex_numIfES1_PKS1_PS1_EviT_T9_T10_S5_lS7_S5_lS6_T11_S5_li,"axG",@progbits,_ZL29rocblas_internal_gemmt_kernelIlLi16ELi32ELi8ELc78ELc67ELc76ELb0ELb1E19rocblas_complex_numIfES1_PKS1_PS1_EviT_T9_T10_S5_lS7_S5_lS6_T11_S5_li,comdat
.Lfunc_end245:
	.size	_ZL29rocblas_internal_gemmt_kernelIlLi16ELi32ELi8ELc78ELc67ELc76ELb0ELb1E19rocblas_complex_numIfES1_PKS1_PS1_EviT_T9_T10_S5_lS7_S5_lS6_T11_S5_li, .Lfunc_end245-_ZL29rocblas_internal_gemmt_kernelIlLi16ELi32ELi8ELc78ELc67ELc76ELb0ELb1E19rocblas_complex_numIfES1_PKS1_PS1_EviT_T9_T10_S5_lS7_S5_lS6_T11_S5_li
                                        ; -- End function
	.set _ZL29rocblas_internal_gemmt_kernelIlLi16ELi32ELi8ELc78ELc67ELc76ELb0ELb1E19rocblas_complex_numIfES1_PKS1_PS1_EviT_T9_T10_S5_lS7_S5_lS6_T11_S5_li.num_vgpr, 71
	.set _ZL29rocblas_internal_gemmt_kernelIlLi16ELi32ELi8ELc78ELc67ELc76ELb0ELb1E19rocblas_complex_numIfES1_PKS1_PS1_EviT_T9_T10_S5_lS7_S5_lS6_T11_S5_li.num_agpr, 0
	.set _ZL29rocblas_internal_gemmt_kernelIlLi16ELi32ELi8ELc78ELc67ELc76ELb0ELb1E19rocblas_complex_numIfES1_PKS1_PS1_EviT_T9_T10_S5_lS7_S5_lS6_T11_S5_li.numbered_sgpr, 37
	.set _ZL29rocblas_internal_gemmt_kernelIlLi16ELi32ELi8ELc78ELc67ELc76ELb0ELb1E19rocblas_complex_numIfES1_PKS1_PS1_EviT_T9_T10_S5_lS7_S5_lS6_T11_S5_li.num_named_barrier, 0
	.set _ZL29rocblas_internal_gemmt_kernelIlLi16ELi32ELi8ELc78ELc67ELc76ELb0ELb1E19rocblas_complex_numIfES1_PKS1_PS1_EviT_T9_T10_S5_lS7_S5_lS6_T11_S5_li.private_seg_size, 0
	.set _ZL29rocblas_internal_gemmt_kernelIlLi16ELi32ELi8ELc78ELc67ELc76ELb0ELb1E19rocblas_complex_numIfES1_PKS1_PS1_EviT_T9_T10_S5_lS7_S5_lS6_T11_S5_li.uses_vcc, 1
	.set _ZL29rocblas_internal_gemmt_kernelIlLi16ELi32ELi8ELc78ELc67ELc76ELb0ELb1E19rocblas_complex_numIfES1_PKS1_PS1_EviT_T9_T10_S5_lS7_S5_lS6_T11_S5_li.uses_flat_scratch, 0
	.set _ZL29rocblas_internal_gemmt_kernelIlLi16ELi32ELi8ELc78ELc67ELc76ELb0ELb1E19rocblas_complex_numIfES1_PKS1_PS1_EviT_T9_T10_S5_lS7_S5_lS6_T11_S5_li.has_dyn_sized_stack, 0
	.set _ZL29rocblas_internal_gemmt_kernelIlLi16ELi32ELi8ELc78ELc67ELc76ELb0ELb1E19rocblas_complex_numIfES1_PKS1_PS1_EviT_T9_T10_S5_lS7_S5_lS6_T11_S5_li.has_recursion, 0
	.set _ZL29rocblas_internal_gemmt_kernelIlLi16ELi32ELi8ELc78ELc67ELc76ELb0ELb1E19rocblas_complex_numIfES1_PKS1_PS1_EviT_T9_T10_S5_lS7_S5_lS6_T11_S5_li.has_indirect_call, 0
	.section	.AMDGPU.csdata,"",@progbits
; Kernel info:
; codeLenInByte = 3280
; TotalNumSgprs: 39
; NumVgprs: 71
; ScratchSize: 0
; MemoryBound: 0
; FloatMode: 240
; IeeeMode: 1
; LDSByteSize: 4096 bytes/workgroup (compile time only)
; SGPRBlocks: 0
; VGPRBlocks: 8
; NumSGPRsForWavesPerEU: 39
; NumVGPRsForWavesPerEU: 71
; Occupancy: 16
; WaveLimiterHint : 0
; COMPUTE_PGM_RSRC2:SCRATCH_EN: 0
; COMPUTE_PGM_RSRC2:USER_SGPR: 2
; COMPUTE_PGM_RSRC2:TRAP_HANDLER: 0
; COMPUTE_PGM_RSRC2:TGID_X_EN: 1
; COMPUTE_PGM_RSRC2:TGID_Y_EN: 1
; COMPUTE_PGM_RSRC2:TGID_Z_EN: 1
; COMPUTE_PGM_RSRC2:TIDIG_COMP_CNT: 1
	.section	.text._ZL29rocblas_internal_gemmt_kernelIlLi16ELi32ELi8ELc84ELc78ELc76ELb0ELb0E19rocblas_complex_numIfES1_PKS1_PS1_EviT_T9_T10_S5_lS7_S5_lS6_T11_S5_li,"axG",@progbits,_ZL29rocblas_internal_gemmt_kernelIlLi16ELi32ELi8ELc84ELc78ELc76ELb0ELb0E19rocblas_complex_numIfES1_PKS1_PS1_EviT_T9_T10_S5_lS7_S5_lS6_T11_S5_li,comdat
	.globl	_ZL29rocblas_internal_gemmt_kernelIlLi16ELi32ELi8ELc84ELc78ELc76ELb0ELb0E19rocblas_complex_numIfES1_PKS1_PS1_EviT_T9_T10_S5_lS7_S5_lS6_T11_S5_li ; -- Begin function _ZL29rocblas_internal_gemmt_kernelIlLi16ELi32ELi8ELc84ELc78ELc76ELb0ELb0E19rocblas_complex_numIfES1_PKS1_PS1_EviT_T9_T10_S5_lS7_S5_lS6_T11_S5_li
	.p2align	8
	.type	_ZL29rocblas_internal_gemmt_kernelIlLi16ELi32ELi8ELc84ELc78ELc76ELb0ELb0E19rocblas_complex_numIfES1_PKS1_PS1_EviT_T9_T10_S5_lS7_S5_lS6_T11_S5_li,@function
_ZL29rocblas_internal_gemmt_kernelIlLi16ELi32ELi8ELc84ELc78ELc76ELb0ELb0E19rocblas_complex_numIfES1_PKS1_PS1_EviT_T9_T10_S5_lS7_S5_lS6_T11_S5_li: ; @_ZL29rocblas_internal_gemmt_kernelIlLi16ELi32ELi8ELc84ELc78ELc76ELb0ELb0E19rocblas_complex_numIfES1_PKS1_PS1_EviT_T9_T10_S5_lS7_S5_lS6_T11_S5_li
; %bb.0:
	s_clause 0x1
	s_load_b64 s[24:25], s[0:1], 0x48
	s_load_b128 s[12:15], s[0:1], 0x8
	s_wait_kmcnt 0x0
	s_cmp_eq_f32 s24, 1.0
	s_cselect_b32 s2, -1, 0
	s_and_b32 s3, s25, 0x7fffffff
	s_delay_alu instid0(SALU_CYCLE_1) | instskip(SKIP_1) | instid1(SALU_CYCLE_1)
	s_cmp_eq_u32 s3, 0
	s_cselect_b32 s31, -1, 0
	s_and_b32 s3, s2, s31
	s_mov_b32 s2, 0
	s_and_not1_b32 vcc_lo, exec_lo, s3
	s_mov_b32 s3, -1
	s_cbranch_vccnz .LBB246_4
; %bb.1:
	s_cmp_lg_u64 s[12:13], 0
	s_cbranch_scc0 .LBB246_3
; %bb.2:
	s_cmp_neq_f32 s14, 0
	s_cselect_b32 s2, -1, 0
	s_cmp_neq_f32 s15, 0
	s_cselect_b32 s3, -1, 0
	s_delay_alu instid0(SALU_CYCLE_1)
	s_or_b32 s2, s2, s3
.LBB246_3:
	s_delay_alu instid0(SALU_CYCLE_1)
	s_mov_b32 s3, s2
.LBB246_4:
	s_delay_alu instid0(SALU_CYCLE_1)
	s_and_b32 vcc_lo, exec_lo, s3
	s_cbranch_vccz .LBB246_42
; %bb.5:
	s_load_b32 s30, s[0:1], 0x68
	s_lshr_b32 s26, ttmp7, 16
	s_wait_kmcnt 0x0
	s_cmp_ge_u32 s26, s30
	s_cbranch_scc1 .LBB246_42
; %bb.6:
	v_and_b32_e32 v7, 0x3ff, v0
	v_bfe_u32 v8, v0, 10, 10
	s_clause 0x1
	s_load_b128 s[16:19], s[0:1], 0x38
	s_load_b256 s[4:11], s[0:1], 0x18
	s_lshl_b32 s2, ttmp7, 5
	s_lshl_b32 s3, ttmp9, 5
	s_and_b32 s2, s2, 0x1fffe0
	v_lshl_add_u32 v1, v8, 4, v7
	s_cmp_neq_f32 s14, 0
	s_clause 0x2
	s_load_b32 s33, s[0:1], 0x0
	s_load_b128 s[20:23], s[0:1], 0x50
	s_load_b64 s[28:29], s[0:1], 0x60
	v_and_b32_e32 v14, 7, v0
	v_and_b32_e32 v9, 31, v1
	v_lshrrev_b32_e32 v6, 3, v1
	s_cselect_b32 s0, -1, 0
	s_cmp_neq_f32 s15, 0
	v_lshrrev_b32_e32 v15, 5, v1
	v_or_b32_e32 v11, s3, v9
	v_add_nc_u32_e32 v10, s2, v6
	s_cselect_b32 s1, -1, 0
	v_lshl_add_u32 v23, v8, 6, 0x800
	v_cmp_gt_i64_e64 s34, s[12:13], 0
	s_mov_b32 s27, 0
	s_wait_kmcnt 0x0
	v_mul_lo_u32 v4, s7, v11
	v_mad_co_u64_u32 v[2:3], null, s6, v11, 0
	v_mad_co_u64_u32 v[0:1], null, s16, v10, 0
	s_or_b32 s16, s0, s1
	s_ashr_i32 s0, s3, 31
	s_cmp_neq_f32 s24, 0
	s_mul_i32 s0, s6, s0
	v_cmp_le_i32_e64 s6, s33, v11
	v_add3_u32 v3, v3, s0, v4
	v_mad_co_u64_u32 v[4:5], null, s17, v10, v[1:2]
	v_lshlrev_b32_e32 v1, 3, v9
	v_add_nc_u32_e32 v9, s2, v8
	s_delay_alu instid0(VALU_DEP_4) | instskip(SKIP_1) | instid1(VALU_DEP_4)
	v_lshlrev_b64_e32 v[2:3], 3, v[2:3]
	v_cmp_gt_i32_e64 s0, s33, v11
	v_lshl_or_b32 v16, v15, 8, v1
	v_mov_b32_e32 v1, v4
	v_lshlrev_b32_e32 v5, 3, v14
	v_add_co_u32 v17, vcc_lo, s4, v2
	s_delay_alu instid0(VALU_DEP_1) | instskip(SKIP_3) | instid1(VALU_DEP_2)
	v_add_co_ci_u32_e64 v18, null, s5, v3, vcc_lo
	v_mad_co_u64_u32 v[2:3], null, s22, v9, 0
	v_lshlrev_b64_e32 v[0:1], 3, v[0:1]
	v_lshl_or_b32 v5, v6, 6, v5
	v_add_co_u32 v20, s1, s10, v0
	s_delay_alu instid0(VALU_DEP_4) | instskip(SKIP_1) | instid1(VALU_DEP_4)
	v_mov_b32_e32 v0, v3
	s_wait_alu 0xf1ff
	v_add_co_ci_u32_e64 v21, null, s11, v1, s1
	v_add_nc_u32_e32 v19, 0x800, v5
	v_lshlrev_b32_e32 v22, 3, v7
	v_mad_co_u64_u32 v[0:1], null, s23, v9, v[0:1]
	v_add_nc_u32_e32 v12, 16, v9
	s_cselect_b32 s11, -1, 0
	s_xor_b32 s17, s31, -1
	s_wait_alu 0xfffe
	s_and_b32 s10, s16, s34
	s_or_b32 s11, s11, s17
	s_delay_alu instid0(VALU_DEP_2) | instskip(SKIP_1) | instid1(VALU_DEP_1)
	v_mov_b32_e32 v3, v0
	v_mad_co_u64_u32 v[4:5], null, s22, v12, 0
	v_mov_b32_e32 v1, v5
	v_cmp_gt_i32_e32 vcc_lo, s33, v10
	s_delay_alu instid0(VALU_DEP_2) | instskip(SKIP_4) | instid1(VALU_DEP_3)
	v_mad_co_u64_u32 v[10:11], null, s23, v12, v[1:2]
	v_add_nc_u32_e32 v6, s3, v7
	v_lshlrev_b64_e32 v[2:3], 3, v[2:3]
	v_mov_b32_e32 v1, 0
	s_xor_b32 s16, vcc_lo, -1
	v_dual_mov_b32 v5, v10 :: v_dual_add_nc_u32 v8, 16, v6
	v_cmp_le_i32_e64 s1, v9, v6
	v_cmp_gt_i32_e64 s2, s33, v6
	v_ashrrev_i32_e32 v7, 31, v6
	s_delay_alu instid0(VALU_DEP_4)
	v_lshlrev_b64_e32 v[4:5], 3, v[4:5]
	v_cmp_le_i32_e64 s3, v9, v8
	v_cmp_gt_i32_e64 s4, s33, v8
	v_ashrrev_i32_e32 v9, 31, v8
	s_and_b32 s5, s1, s2
	v_cmp_le_i32_e64 s1, v12, v6
	v_lshlrev_b64_e32 v[6:7], 3, v[6:7]
	s_and_b32 s7, s3, s4
	v_cmp_le_i32_e64 s3, v12, v8
	v_lshlrev_b64_e32 v[8:9], 3, v[8:9]
	s_and_b32 s1, s1, s2
                                        ; implicit-def: $vgpr10_vgpr11
	s_and_b32 s4, s3, s4
	s_branch .LBB246_8
.LBB246_7:                              ;   in Loop: Header=BB246_8 Depth=1
	s_wait_alu 0xfffe
	s_or_b32 exec_lo, exec_lo, s2
	s_add_co_i32 s26, s26, 0x10000
	s_delay_alu instid0(SALU_CYCLE_1)
	s_cmp_lt_u32 s26, s30
	s_cbranch_scc0 .LBB246_42
.LBB246_8:                              ; =>This Loop Header: Depth=1
                                        ;     Child Loop BB246_11 Depth 2
	s_wait_alu 0xfffe
	s_and_not1_b32 vcc_lo, exec_lo, s10
	s_wait_alu 0xfffe
	s_cbranch_vccnz .LBB246_21
; %bb.9:                                ;   in Loop: Header=BB246_8 Depth=1
	s_mul_u64 s[2:3], s[8:9], s[26:27]
	s_mul_u64 s[22:23], s[18:19], s[26:27]
	s_wait_alu 0xfffe
	s_lshl_b64 s[2:3], s[2:3], 3
	v_dual_mov_b32 v26, 0 :: v_dual_mov_b32 v27, 0
	s_wait_alu 0xfffe
	v_add_co_u32 v12, vcc_lo, v17, s2
	s_wait_alu 0xfffd
	v_add_co_ci_u32_e64 v13, null, s3, v18, vcc_lo
	s_lshl_b64 s[2:3], s[22:23], 3
	v_dual_mov_b32 v29, 0 :: v_dual_mov_b32 v28, 0
	s_wait_alu 0xfffe
	v_add_co_u32 v24, vcc_lo, v20, s2
	s_wait_alu 0xfffd
	v_add_co_ci_u32_e64 v25, null, s3, v21, vcc_lo
	v_dual_mov_b32 v31, 0 :: v_dual_mov_b32 v30, 0
	v_dual_mov_b32 v33, 0 :: v_dual_mov_b32 v32, 0
	s_mov_b64 s[2:3], 0
	s_branch .LBB246_11
.LBB246_10:                             ;   in Loop: Header=BB246_11 Depth=2
	s_wait_alu 0xfffe
	s_or_b32 exec_lo, exec_lo, s17
	s_wait_dscnt 0x0
	s_barrier_signal -1
	s_barrier_wait -1
	global_inv scope:SCOPE_SE
	ds_load_b128 v[34:37], v23
	ds_load_2addr_b64 v[38:41], v22 offset1:16
	ds_load_b128 v[42:45], v23 offset:1024
	ds_load_b128 v[46:49], v23 offset:16
	;; [unrolled: 1-line block ×4, first 2 shown]
	ds_load_2addr_b64 v[58:61], v22 offset0:32 offset1:48
	ds_load_b128 v[62:65], v23 offset:1040
	s_add_nc_u64 s[2:3], s[2:3], 8
	s_wait_alu 0xfffe
	v_cmp_gt_i64_e64 s17, s[12:13], s[2:3]
	s_and_b32 vcc_lo, exec_lo, s17
	s_wait_dscnt 0x6
	v_mul_f32_e32 v0, v35, v39
	v_dual_mul_f32 v66, v34, v39 :: v_dual_mul_f32 v67, v35, v41
	s_wait_dscnt 0x5
	v_dual_mul_f32 v68, v34, v41 :: v_dual_mul_f32 v69, v43, v39
	v_dual_mul_f32 v39, v42, v39 :: v_dual_mul_f32 v70, v43, v41
	v_mul_f32_e32 v41, v42, v41
	v_fma_f32 v0, v34, v38, -v0
	v_fma_f32 v34, v34, v40, -v67
	v_fmac_f32_e32 v68, v35, v40
	v_fmac_f32_e32 v39, v43, v38
	;; [unrolled: 1-line block ×3, first 2 shown]
	v_add_f32_e32 v0, v32, v0
	v_fmac_f32_e32 v66, v35, v38
	v_fma_f32 v35, v42, v38, -v69
	v_fma_f32 v38, v42, v40, -v70
	v_add_f32_e32 v26, v26, v41
	s_delay_alu instid0(VALU_DEP_4) | instskip(NEXT) | instid1(VALU_DEP_4)
	v_add_f32_e32 v32, v33, v66
	v_dual_add_f32 v33, v30, v34 :: v_dual_add_f32 v34, v28, v35
	v_add_f32_e32 v35, v29, v39
	s_wait_dscnt 0x1
	v_dual_mul_f32 v39, v37, v59 :: v_dual_add_f32 v38, v27, v38
	ds_load_2addr_b64 v[27:30], v22 offset0:64 offset1:80
	v_mul_f32_e32 v42, v37, v61
	v_mul_f32_e32 v41, v36, v61
	;; [unrolled: 1-line block ×3, first 2 shown]
	v_fma_f32 v39, v36, v58, -v39
	v_add_f32_e32 v31, v31, v68
	v_fma_f32 v36, v36, v60, -v42
	s_delay_alu instid0(VALU_DEP_3) | instskip(SKIP_1) | instid1(VALU_DEP_3)
	v_add_f32_e32 v0, v0, v39
	v_mul_f32_e32 v39, v45, v59
	v_add_f32_e32 v36, v33, v36
	v_fmac_f32_e32 v41, v37, v60
	v_fmac_f32_e32 v40, v37, v58
	v_mul_f32_e32 v37, v45, v61
	v_fma_f32 v33, v44, v58, -v39
	s_delay_alu instid0(VALU_DEP_4) | instskip(NEXT) | instid1(VALU_DEP_3)
	v_add_f32_e32 v39, v31, v41
	v_fma_f32 v31, v44, v60, -v37
	v_mul_f32_e32 v41, v44, v61
	s_wait_dscnt 0x0
	v_mul_f32_e32 v37, v46, v28
	v_add_f32_e32 v40, v32, v40
	v_add_f32_e32 v38, v38, v31
	v_dual_mul_f32 v32, v44, v59 :: v_dual_fmac_f32 v41, v45, v60
	v_mul_f32_e32 v44, v47, v30
	s_delay_alu instid0(VALU_DEP_2) | instskip(NEXT) | instid1(VALU_DEP_3)
	v_dual_fmac_f32 v37, v47, v27 :: v_dual_fmac_f32 v32, v45, v58
	v_add_f32_e32 v41, v26, v41
	v_dual_add_f32 v42, v34, v33 :: v_dual_mul_f32 v33, v47, v28
	s_delay_alu instid0(VALU_DEP_3) | instskip(NEXT) | instid1(VALU_DEP_4)
	v_dual_mul_f32 v26, v46, v30 :: v_dual_add_f32 v37, v40, v37
	v_add_f32_e32 v35, v35, v32
	s_delay_alu instid0(VALU_DEP_3) | instskip(SKIP_4) | instid1(VALU_DEP_1)
	v_fma_f32 v43, v46, v27, -v33
	ds_load_2addr_b64 v[31:34], v22 offset0:96 offset1:112
	v_fmac_f32_e32 v26, v47, v29
	v_add_f32_e32 v0, v0, v43
	v_fma_f32 v43, v46, v29, -v44
	v_dual_add_f32 v39, v39, v26 :: v_dual_add_f32 v36, v36, v43
	v_mul_f32_e32 v43, v63, v30
	v_mul_f32_e32 v30, v62, v30
	s_delay_alu instid0(VALU_DEP_2) | instskip(SKIP_1) | instid1(VALU_DEP_3)
	v_fma_f32 v26, v62, v29, -v43
	v_mul_f32_e32 v40, v63, v28
	v_fmac_f32_e32 v30, v63, v29
	s_wait_dscnt 0x0
	v_dual_mul_f32 v28, v62, v28 :: v_dual_mul_f32 v47, v65, v34
	v_add_f32_e32 v43, v38, v26
	v_fma_f32 v40, v62, v27, -v40
	v_dual_mul_f32 v38, v48, v32 :: v_dual_add_f32 v41, v41, v30
	s_delay_alu instid0(VALU_DEP_4) | instskip(SKIP_1) | instid1(VALU_DEP_3)
	v_fmac_f32_e32 v28, v63, v27
	v_mul_f32_e32 v30, v48, v34
	v_fmac_f32_e32 v38, v49, v31
	v_add_f32_e32 v40, v42, v40
	s_delay_alu instid0(VALU_DEP_4)
	v_add_f32_e32 v42, v35, v28
	ds_load_2addr_b64 v[26:29], v22 offset0:128 offset1:144
	v_mul_f32_e32 v35, v49, v32
	v_mul_f32_e32 v44, v49, v34
	v_fmac_f32_e32 v30, v49, v33
	v_mul_f32_e32 v34, v64, v34
	s_delay_alu instid0(VALU_DEP_4)
	v_fma_f32 v35, v48, v31, -v35
	s_wait_dscnt 0x0
	v_mul_f32_e32 v49, v50, v27
	v_fma_f32 v44, v48, v33, -v44
	v_add_f32_e32 v48, v39, v30
	v_fma_f32 v30, v64, v33, -v47
	s_delay_alu instid0(VALU_DEP_4) | instskip(NEXT) | instid1(VALU_DEP_4)
	v_fmac_f32_e32 v49, v51, v26
	v_dual_add_f32 v45, v37, v38 :: v_dual_add_f32 v44, v36, v44
	s_delay_alu instid0(VALU_DEP_3) | instskip(SKIP_1) | instid1(VALU_DEP_3)
	v_dual_add_f32 v43, v43, v30 :: v_dual_add_f32 v0, v0, v35
	v_mul_f32_e32 v35, v65, v32
	v_dual_mul_f32 v32, v64, v32 :: v_dual_add_f32 v45, v45, v49
	s_delay_alu instid0(VALU_DEP_2) | instskip(SKIP_3) | instid1(VALU_DEP_2)
	v_fma_f32 v46, v64, v31, -v35
	ds_load_b128 v[35:38], v23 offset:1056
	v_fmac_f32_e32 v32, v65, v31
	v_dual_mul_f32 v31, v51, v27 :: v_dual_fmac_f32 v34, v65, v33
	v_add_f32_e32 v47, v42, v32
	s_delay_alu instid0(VALU_DEP_2)
	v_fma_f32 v39, v50, v26, -v31
	ds_load_2addr_b64 v[30:33], v22 offset0:160 offset1:176
	v_add_f32_e32 v46, v40, v46
	v_mul_f32_e32 v40, v51, v29
	v_add_f32_e32 v34, v41, v34
	v_add_f32_e32 v0, v0, v39
	s_delay_alu instid0(VALU_DEP_3) | instskip(SKIP_4) | instid1(VALU_DEP_2)
	v_fma_f32 v58, v50, v28, -v40
	ds_load_b128 v[39:42], v23 offset:1072
	s_wait_dscnt 0x2
	v_dual_mul_f32 v50, v50, v29 :: v_dual_mul_f32 v59, v36, v27
	v_mul_f32_e32 v27, v35, v27
	v_dual_fmac_f32 v50, v51, v28 :: v_dual_mul_f32 v51, v36, v29
	s_delay_alu instid0(VALU_DEP_3) | instskip(NEXT) | instid1(VALU_DEP_3)
	v_fma_f32 v49, v35, v26, -v59
	v_fmac_f32_e32 v27, v36, v26
	s_delay_alu instid0(VALU_DEP_3) | instskip(SKIP_2) | instid1(VALU_DEP_4)
	v_add_f32_e32 v48, v48, v50
	v_mul_f32_e32 v50, v35, v29
	v_fma_f32 v26, v35, v28, -v51
	v_add_f32_e32 v35, v47, v27
	s_wait_dscnt 0x1
	s_delay_alu instid0(VALU_DEP_3) | instskip(NEXT) | instid1(VALU_DEP_3)
	v_dual_mul_f32 v47, v53, v31 :: v_dual_fmac_f32 v50, v36, v28
	v_add_f32_e32 v43, v43, v26
	ds_load_2addr_b64 v[26:29], v22 offset0:192 offset1:208
	v_mul_f32_e32 v36, v52, v31
	v_add_f32_e32 v46, v46, v49
	v_fma_f32 v47, v52, v30, -v47
	v_mul_f32_e32 v49, v53, v33
	s_delay_alu instid0(VALU_DEP_4) | instskip(NEXT) | instid1(VALU_DEP_3)
	v_fmac_f32_e32 v36, v53, v30
	v_add_f32_e32 v0, v0, v47
	s_delay_alu instid0(VALU_DEP_3) | instskip(NEXT) | instid1(VALU_DEP_3)
	v_fma_f32 v47, v52, v32, -v49
	v_dual_add_f32 v45, v45, v36 :: v_dual_mul_f32 v36, v38, v31
	v_mul_f32_e32 v31, v37, v31
	s_delay_alu instid0(VALU_DEP_2) | instskip(NEXT) | instid1(VALU_DEP_2)
	v_fma_f32 v36, v37, v30, -v36
	v_fmac_f32_e32 v31, v38, v30
	v_add_f32_e32 v44, v44, v58
	s_delay_alu instid0(VALU_DEP_2) | instskip(NEXT) | instid1(VALU_DEP_2)
	v_dual_mul_f32 v30, v37, v33 :: v_dual_add_f32 v31, v35, v31
	v_dual_add_f32 v44, v44, v47 :: v_dual_mul_f32 v47, v38, v33
	v_add_f32_e32 v50, v34, v50
	v_mul_f32_e32 v34, v52, v33
	s_delay_alu instid0(VALU_DEP_4) | instskip(NEXT) | instid1(VALU_DEP_4)
	v_fmac_f32_e32 v30, v38, v32
	v_fma_f32 v33, v37, v32, -v47
	s_wait_dscnt 0x0
	s_delay_alu instid0(VALU_DEP_3) | instskip(NEXT) | instid1(VALU_DEP_2)
	v_dual_mul_f32 v47, v40, v27 :: v_dual_fmac_f32 v34, v53, v32
	v_dual_add_f32 v32, v43, v33 :: v_dual_mul_f32 v33, v54, v27
	v_mul_f32_e32 v43, v55, v29
	s_delay_alu instid0(VALU_DEP_2) | instskip(NEXT) | instid1(VALU_DEP_2)
	v_dual_fmac_f32 v33, v55, v26 :: v_dual_add_f32 v46, v46, v36
	v_fma_f32 v43, v54, v28, -v43
	s_delay_alu instid0(VALU_DEP_2) | instskip(SKIP_3) | instid1(VALU_DEP_3)
	v_dual_add_f32 v33, v45, v33 :: v_dual_add_f32 v48, v48, v34
	v_mul_f32_e32 v34, v55, v27
	v_mul_f32_e32 v27, v39, v27
	;; [unrolled: 1-line block ×3, first 2 shown]
	v_fma_f32 v38, v54, v26, -v34
	ds_load_2addr_b64 v[34:37], v22 offset0:224 offset1:240
	v_fmac_f32_e32 v27, v40, v26
	v_add_f32_e32 v30, v50, v30
	s_wait_loadcnt_dscnt 0x0
	v_add_f32_e32 v0, v0, v38
	s_barrier_signal -1
	v_dual_add_f32 v27, v31, v27 :: v_dual_mul_f32 v38, v54, v29
	v_mul_f32_e32 v29, v39, v29
	s_barrier_wait -1
	global_inv scope:SCOPE_SE
	v_fmac_f32_e32 v38, v55, v28
	v_fmac_f32_e32 v29, v40, v28
	s_delay_alu instid0(VALU_DEP_1) | instskip(SKIP_2) | instid1(VALU_DEP_2)
	v_add_f32_e32 v40, v30, v29
	v_mul_f32_e32 v29, v56, v37
	v_mul_f32_e32 v31, v57, v35
	v_fmac_f32_e32 v29, v57, v36
	v_add_f32_e32 v43, v44, v43
	v_fma_f32 v44, v39, v26, -v47
	v_fma_f32 v39, v39, v28, -v45
	;; [unrolled: 1-line block ×3, first 2 shown]
	s_delay_alu instid0(VALU_DEP_2) | instskip(SKIP_1) | instid1(VALU_DEP_2)
	v_dual_add_f32 v39, v32, v39 :: v_dual_mul_f32 v32, v57, v37
	v_mul_f32_e32 v28, v56, v35
	v_fma_f32 v30, v56, v36, -v32
	s_delay_alu instid0(VALU_DEP_4) | instskip(SKIP_1) | instid1(VALU_DEP_4)
	v_add_f32_e32 v32, v0, v31
	v_mul_f32_e32 v0, v42, v35
	v_fmac_f32_e32 v28, v57, v34
	s_delay_alu instid0(VALU_DEP_4) | instskip(SKIP_1) | instid1(VALU_DEP_4)
	v_dual_mul_f32 v35, v41, v35 :: v_dual_add_f32 v30, v43, v30
	v_mul_f32_e32 v43, v42, v37
	v_fma_f32 v0, v41, v34, -v0
	v_dual_mul_f32 v37, v41, v37 :: v_dual_add_f32 v26, v48, v38
	v_add_f32_e32 v38, v46, v44
	v_add_f32_e32 v33, v33, v28
	v_fmac_f32_e32 v35, v42, v34
	s_delay_alu instid0(VALU_DEP_4) | instskip(SKIP_3) | instid1(VALU_DEP_4)
	v_fmac_f32_e32 v37, v42, v36
	v_add_f32_e32 v31, v26, v29
	v_add_f32_e32 v28, v38, v0
	v_fma_f32 v0, v41, v36, -v43
	v_dual_add_f32 v29, v27, v35 :: v_dual_add_f32 v26, v40, v37
	s_delay_alu instid0(VALU_DEP_2)
	v_add_f32_e32 v27, v39, v0
	s_wait_alu 0xfffe
	s_cbranch_vccz .LBB246_22
.LBB246_11:                             ;   Parent Loop BB246_8 Depth=1
                                        ; =>  This Inner Loop Header: Depth=2
	s_mov_b32 s17, 0
	s_mov_b32 s23, s6
	s_and_saveexec_b32 s22, s0
	s_cbranch_execnz .LBB246_19
; %bb.12:                               ;   in Loop: Header=BB246_11 Depth=2
	s_wait_alu 0xfffe
	s_or_b32 exec_lo, exec_lo, s22
	s_and_saveexec_b32 s22, s23
	s_wait_alu 0xfffe
	s_xor_b32 s22, exec_lo, s22
	s_cbranch_execnz .LBB246_20
.LBB246_13:                             ;   in Loop: Header=BB246_11 Depth=2
	s_wait_alu 0xfffe
	s_or_b32 exec_lo, exec_lo, s22
	s_and_saveexec_b32 s22, s17
	s_cbranch_execz .LBB246_15
.LBB246_14:                             ;   in Loop: Header=BB246_11 Depth=2
	v_lshlrev_b64_e32 v[34:35], 3, v[10:11]
	s_delay_alu instid0(VALU_DEP_1) | instskip(SKIP_1) | instid1(VALU_DEP_2)
	v_add_co_u32 v34, vcc_lo, v12, v34
	s_wait_alu 0xfffd
	v_add_co_ci_u32_e64 v35, null, v13, v35, vcc_lo
	global_load_b64 v[34:35], v[34:35], off
	s_wait_loadcnt 0x0
	ds_store_b64 v16, v[34:35]
.LBB246_15:                             ;   in Loop: Header=BB246_11 Depth=2
	s_wait_alu 0xfffe
	s_or_b32 exec_lo, exec_lo, s22
	v_add_nc_u32_e32 v0, s2, v14
	s_delay_alu instid0(VALU_DEP_1)
	v_cmp_le_u64_e32 vcc_lo, s[12:13], v[0:1]
	s_or_b32 s17, vcc_lo, s16
	s_wait_alu 0xfffe
	s_and_saveexec_b32 s22, s17
	s_wait_alu 0xfffe
	s_xor_b32 s17, exec_lo, s22
; %bb.16:                               ;   in Loop: Header=BB246_11 Depth=2
	v_mov_b32_e32 v0, v1
	ds_store_b64 v19, v[0:1]
; %bb.17:                               ;   in Loop: Header=BB246_11 Depth=2
	s_wait_alu 0xfffe
	s_and_not1_saveexec_b32 s17, s17
	s_cbranch_execz .LBB246_10
; %bb.18:                               ;   in Loop: Header=BB246_11 Depth=2
	v_lshlrev_b64_e32 v[34:35], 3, v[0:1]
	s_delay_alu instid0(VALU_DEP_1) | instskip(SKIP_1) | instid1(VALU_DEP_2)
	v_add_co_u32 v34, vcc_lo, v24, v34
	s_wait_alu 0xfffd
	v_add_co_ci_u32_e64 v35, null, v25, v35, vcc_lo
	global_load_b64 v[34:35], v[34:35], off
	s_wait_loadcnt 0x0
	ds_store_b64 v19, v[34:35]
	s_branch .LBB246_10
.LBB246_19:                             ;   in Loop: Header=BB246_11 Depth=2
	s_wait_alu 0xfffe
	v_add_nc_u32_e32 v0, s2, v15
	v_mov_b32_e32 v11, v1
	s_and_not1_b32 s23, s6, exec_lo
	s_mov_b32 s17, exec_lo
	s_delay_alu instid0(VALU_DEP_2)
	v_cmp_le_u64_e32 vcc_lo, s[12:13], v[0:1]
	v_mov_b32_e32 v10, v0
	s_and_b32 s31, vcc_lo, exec_lo
	s_wait_alu 0xfffe
	s_or_b32 s23, s23, s31
	s_or_b32 exec_lo, exec_lo, s22
	s_wait_alu 0xfffe
	s_and_saveexec_b32 s22, s23
	s_wait_alu 0xfffe
	s_xor_b32 s22, exec_lo, s22
	s_cbranch_execz .LBB246_13
.LBB246_20:                             ;   in Loop: Header=BB246_11 Depth=2
	v_mov_b32_e32 v0, v1
	s_and_not1_b32 s17, s17, exec_lo
	ds_store_b64 v16, v[0:1]
	s_wait_alu 0xfffe
	s_or_b32 exec_lo, exec_lo, s22
	s_and_saveexec_b32 s22, s17
	s_cbranch_execnz .LBB246_14
	s_branch .LBB246_15
.LBB246_21:                             ;   in Loop: Header=BB246_8 Depth=1
	v_dual_mov_b32 v32, v1 :: v_dual_mov_b32 v33, v1
	v_dual_mov_b32 v30, v1 :: v_dual_mov_b32 v31, v1
	;; [unrolled: 1-line block ×4, first 2 shown]
.LBB246_22:                             ;   in Loop: Header=BB246_8 Depth=1
	s_mul_u64 s[2:3], s[28:29], s[26:27]
	s_wait_alu 0xfffe
	s_lshl_b64 s[2:3], s[2:3], 3
	s_wait_alu 0xfffe
	s_add_nc_u64 s[2:3], s[20:21], s[2:3]
	s_wait_alu 0xfffe
	v_add_co_u32 v0, vcc_lo, s2, v2
	s_wait_alu 0xfffd
	v_add_co_ci_u32_e64 v24, null, s3, v3, vcc_lo
	s_and_saveexec_b32 s17, s5
	s_cbranch_execz .LBB246_27
; %bb.23:                               ;   in Loop: Header=BB246_8 Depth=1
	v_mul_f32_e32 v13, s14, v33
	v_mul_f32_e32 v12, s15, v33
	s_and_b32 vcc_lo, exec_lo, s11
	s_mov_b32 s22, -1
	s_delay_alu instid0(VALU_DEP_2) | instskip(NEXT) | instid1(VALU_DEP_2)
	v_fmac_f32_e32 v13, s15, v32
	v_fma_f32 v12, v32, s14, -v12
	s_wait_alu 0xfffe
	s_cbranch_vccz .LBB246_25
; %bb.24:                               ;   in Loop: Header=BB246_8 Depth=1
	v_add_co_u32 v32, vcc_lo, v0, v6
	s_wait_alu 0xfffd
	v_add_co_ci_u32_e64 v33, null, v24, v7, vcc_lo
	s_mov_b32 s22, 0
	global_load_b64 v[34:35], v[32:33], off
	s_wait_loadcnt 0x0
	v_mul_f32_e32 v25, s25, v35
	s_delay_alu instid0(VALU_DEP_1) | instskip(SKIP_1) | instid1(VALU_DEP_1)
	v_fma_f32 v25, v34, s24, -v25
	v_mul_f32_e32 v35, s24, v35
	v_dual_fmac_f32 v35, s25, v34 :: v_dual_add_f32 v34, v12, v25
	s_delay_alu instid0(VALU_DEP_1)
	v_add_f32_e32 v35, v13, v35
	global_store_b64 v[32:33], v[34:35], off
.LBB246_25:                             ;   in Loop: Header=BB246_8 Depth=1
	s_wait_alu 0xfffe
	s_and_not1_b32 vcc_lo, exec_lo, s22
	s_wait_alu 0xfffe
	s_cbranch_vccnz .LBB246_27
; %bb.26:                               ;   in Loop: Header=BB246_8 Depth=1
	v_add_co_u32 v32, vcc_lo, v0, v6
	s_wait_alu 0xfffd
	v_add_co_ci_u32_e64 v33, null, v24, v7, vcc_lo
	global_store_b64 v[32:33], v[12:13], off
.LBB246_27:                             ;   in Loop: Header=BB246_8 Depth=1
	s_wait_alu 0xfffe
	s_or_b32 exec_lo, exec_lo, s17
	s_and_saveexec_b32 s17, s7
	s_cbranch_execz .LBB246_32
; %bb.28:                               ;   in Loop: Header=BB246_8 Depth=1
	v_mul_f32_e32 v13, s14, v31
	v_mul_f32_e32 v12, s15, v31
	s_and_not1_b32 vcc_lo, exec_lo, s11
	s_mov_b32 s22, -1
	s_delay_alu instid0(VALU_DEP_2) | instskip(NEXT) | instid1(VALU_DEP_2)
	v_fmac_f32_e32 v13, s15, v30
	v_fma_f32 v12, v30, s14, -v12
	s_wait_alu 0xfffe
	s_cbranch_vccnz .LBB246_30
; %bb.29:                               ;   in Loop: Header=BB246_8 Depth=1
	v_add_co_u32 v30, vcc_lo, v0, v8
	s_wait_alu 0xfffd
	v_add_co_ci_u32_e64 v31, null, v24, v9, vcc_lo
	s_mov_b32 s22, 0
	global_load_b64 v[32:33], v[30:31], off
	s_wait_loadcnt 0x0
	v_mul_f32_e32 v25, s25, v33
	v_mul_f32_e32 v33, s24, v33
	s_delay_alu instid0(VALU_DEP_2) | instskip(NEXT) | instid1(VALU_DEP_1)
	v_fma_f32 v25, v32, s24, -v25
	v_dual_fmac_f32 v33, s25, v32 :: v_dual_add_f32 v32, v12, v25
	s_delay_alu instid0(VALU_DEP_1)
	v_add_f32_e32 v33, v13, v33
	global_store_b64 v[30:31], v[32:33], off
.LBB246_30:                             ;   in Loop: Header=BB246_8 Depth=1
	s_wait_alu 0xfffe
	s_and_not1_b32 vcc_lo, exec_lo, s22
	s_wait_alu 0xfffe
	s_cbranch_vccnz .LBB246_32
; %bb.31:                               ;   in Loop: Header=BB246_8 Depth=1
	v_add_co_u32 v30, vcc_lo, v0, v8
	s_wait_alu 0xfffd
	v_add_co_ci_u32_e64 v31, null, v24, v9, vcc_lo
	global_store_b64 v[30:31], v[12:13], off
.LBB246_32:                             ;   in Loop: Header=BB246_8 Depth=1
	s_wait_alu 0xfffe
	s_or_b32 exec_lo, exec_lo, s17
	v_add_co_u32 v0, vcc_lo, s2, v4
	s_wait_alu 0xfffd
	v_add_co_ci_u32_e64 v24, null, s3, v5, vcc_lo
	s_and_saveexec_b32 s2, s1
	s_cbranch_execz .LBB246_37
; %bb.33:                               ;   in Loop: Header=BB246_8 Depth=1
	v_mul_f32_e32 v13, s14, v29
	v_mul_f32_e32 v12, s15, v29
	s_and_not1_b32 vcc_lo, exec_lo, s11
	s_mov_b32 s3, -1
	s_delay_alu instid0(VALU_DEP_2) | instskip(NEXT) | instid1(VALU_DEP_2)
	v_fmac_f32_e32 v13, s15, v28
	v_fma_f32 v12, v28, s14, -v12
	s_wait_alu 0xfffe
	s_cbranch_vccnz .LBB246_35
; %bb.34:                               ;   in Loop: Header=BB246_8 Depth=1
	v_add_co_u32 v28, vcc_lo, v0, v6
	s_wait_alu 0xfffd
	v_add_co_ci_u32_e64 v29, null, v24, v7, vcc_lo
	s_mov_b32 s3, 0
	global_load_b64 v[30:31], v[28:29], off
	s_wait_loadcnt 0x0
	v_mul_f32_e32 v25, s25, v31
	s_delay_alu instid0(VALU_DEP_1) | instskip(SKIP_1) | instid1(VALU_DEP_1)
	v_fma_f32 v25, v30, s24, -v25
	v_mul_f32_e32 v31, s24, v31
	v_dual_fmac_f32 v31, s25, v30 :: v_dual_add_f32 v30, v12, v25
	s_delay_alu instid0(VALU_DEP_1)
	v_add_f32_e32 v31, v13, v31
	global_store_b64 v[28:29], v[30:31], off
.LBB246_35:                             ;   in Loop: Header=BB246_8 Depth=1
	s_wait_alu 0xfffe
	s_and_not1_b32 vcc_lo, exec_lo, s3
	s_wait_alu 0xfffe
	s_cbranch_vccnz .LBB246_37
; %bb.36:                               ;   in Loop: Header=BB246_8 Depth=1
	v_add_co_u32 v28, vcc_lo, v0, v6
	s_wait_alu 0xfffd
	v_add_co_ci_u32_e64 v29, null, v24, v7, vcc_lo
	global_store_b64 v[28:29], v[12:13], off
.LBB246_37:                             ;   in Loop: Header=BB246_8 Depth=1
	s_wait_alu 0xfffe
	s_or_b32 exec_lo, exec_lo, s2
	s_and_saveexec_b32 s2, s4
	s_cbranch_execz .LBB246_7
; %bb.38:                               ;   in Loop: Header=BB246_8 Depth=1
	v_mul_f32_e32 v13, s14, v26
	v_mul_f32_e32 v12, s15, v26
	s_and_not1_b32 vcc_lo, exec_lo, s11
	s_mov_b32 s3, -1
	s_delay_alu instid0(VALU_DEP_2) | instskip(NEXT) | instid1(VALU_DEP_2)
	v_fmac_f32_e32 v13, s15, v27
	v_fma_f32 v12, v27, s14, -v12
	s_wait_alu 0xfffe
	s_cbranch_vccnz .LBB246_40
; %bb.39:                               ;   in Loop: Header=BB246_8 Depth=1
	v_add_co_u32 v25, vcc_lo, v0, v8
	s_wait_alu 0xfffd
	v_add_co_ci_u32_e64 v26, null, v24, v9, vcc_lo
	s_mov_b32 s3, 0
	global_load_b64 v[27:28], v[25:26], off
	s_wait_loadcnt 0x0
	v_mul_f32_e32 v29, s25, v28
	v_mul_f32_e32 v28, s24, v28
	s_delay_alu instid0(VALU_DEP_1) | instskip(NEXT) | instid1(VALU_DEP_3)
	v_fmac_f32_e32 v28, s25, v27
	v_fma_f32 v29, v27, s24, -v29
	s_delay_alu instid0(VALU_DEP_1)
	v_dual_add_f32 v28, v13, v28 :: v_dual_add_f32 v27, v12, v29
	global_store_b64 v[25:26], v[27:28], off
.LBB246_40:                             ;   in Loop: Header=BB246_8 Depth=1
	s_wait_alu 0xfffe
	s_and_not1_b32 vcc_lo, exec_lo, s3
	s_wait_alu 0xfffe
	s_cbranch_vccnz .LBB246_7
; %bb.41:                               ;   in Loop: Header=BB246_8 Depth=1
	v_add_co_u32 v25, vcc_lo, v0, v8
	s_wait_alu 0xfffd
	v_add_co_ci_u32_e64 v26, null, v24, v9, vcc_lo
	global_store_b64 v[25:26], v[12:13], off
	s_branch .LBB246_7
.LBB246_42:
	s_endpgm
	.section	.rodata,"a",@progbits
	.p2align	6, 0x0
	.amdhsa_kernel _ZL29rocblas_internal_gemmt_kernelIlLi16ELi32ELi8ELc84ELc78ELc76ELb0ELb0E19rocblas_complex_numIfES1_PKS1_PS1_EviT_T9_T10_S5_lS7_S5_lS6_T11_S5_li
		.amdhsa_group_segment_fixed_size 4096
		.amdhsa_private_segment_fixed_size 0
		.amdhsa_kernarg_size 108
		.amdhsa_user_sgpr_count 2
		.amdhsa_user_sgpr_dispatch_ptr 0
		.amdhsa_user_sgpr_queue_ptr 0
		.amdhsa_user_sgpr_kernarg_segment_ptr 1
		.amdhsa_user_sgpr_dispatch_id 0
		.amdhsa_user_sgpr_private_segment_size 0
		.amdhsa_wavefront_size32 1
		.amdhsa_uses_dynamic_stack 0
		.amdhsa_enable_private_segment 0
		.amdhsa_system_sgpr_workgroup_id_x 1
		.amdhsa_system_sgpr_workgroup_id_y 1
		.amdhsa_system_sgpr_workgroup_id_z 1
		.amdhsa_system_sgpr_workgroup_info 0
		.amdhsa_system_vgpr_workitem_id 1
		.amdhsa_next_free_vgpr 71
		.amdhsa_next_free_sgpr 35
		.amdhsa_reserve_vcc 1
		.amdhsa_float_round_mode_32 0
		.amdhsa_float_round_mode_16_64 0
		.amdhsa_float_denorm_mode_32 3
		.amdhsa_float_denorm_mode_16_64 3
		.amdhsa_fp16_overflow 0
		.amdhsa_workgroup_processor_mode 1
		.amdhsa_memory_ordered 1
		.amdhsa_forward_progress 1
		.amdhsa_inst_pref_size 26
		.amdhsa_round_robin_scheduling 0
		.amdhsa_exception_fp_ieee_invalid_op 0
		.amdhsa_exception_fp_denorm_src 0
		.amdhsa_exception_fp_ieee_div_zero 0
		.amdhsa_exception_fp_ieee_overflow 0
		.amdhsa_exception_fp_ieee_underflow 0
		.amdhsa_exception_fp_ieee_inexact 0
		.amdhsa_exception_int_div_zero 0
	.end_amdhsa_kernel
	.section	.text._ZL29rocblas_internal_gemmt_kernelIlLi16ELi32ELi8ELc84ELc78ELc76ELb0ELb0E19rocblas_complex_numIfES1_PKS1_PS1_EviT_T9_T10_S5_lS7_S5_lS6_T11_S5_li,"axG",@progbits,_ZL29rocblas_internal_gemmt_kernelIlLi16ELi32ELi8ELc84ELc78ELc76ELb0ELb0E19rocblas_complex_numIfES1_PKS1_PS1_EviT_T9_T10_S5_lS7_S5_lS6_T11_S5_li,comdat
.Lfunc_end246:
	.size	_ZL29rocblas_internal_gemmt_kernelIlLi16ELi32ELi8ELc84ELc78ELc76ELb0ELb0E19rocblas_complex_numIfES1_PKS1_PS1_EviT_T9_T10_S5_lS7_S5_lS6_T11_S5_li, .Lfunc_end246-_ZL29rocblas_internal_gemmt_kernelIlLi16ELi32ELi8ELc84ELc78ELc76ELb0ELb0E19rocblas_complex_numIfES1_PKS1_PS1_EviT_T9_T10_S5_lS7_S5_lS6_T11_S5_li
                                        ; -- End function
	.set _ZL29rocblas_internal_gemmt_kernelIlLi16ELi32ELi8ELc84ELc78ELc76ELb0ELb0E19rocblas_complex_numIfES1_PKS1_PS1_EviT_T9_T10_S5_lS7_S5_lS6_T11_S5_li.num_vgpr, 71
	.set _ZL29rocblas_internal_gemmt_kernelIlLi16ELi32ELi8ELc84ELc78ELc76ELb0ELb0E19rocblas_complex_numIfES1_PKS1_PS1_EviT_T9_T10_S5_lS7_S5_lS6_T11_S5_li.num_agpr, 0
	.set _ZL29rocblas_internal_gemmt_kernelIlLi16ELi32ELi8ELc84ELc78ELc76ELb0ELb0E19rocblas_complex_numIfES1_PKS1_PS1_EviT_T9_T10_S5_lS7_S5_lS6_T11_S5_li.numbered_sgpr, 35
	.set _ZL29rocblas_internal_gemmt_kernelIlLi16ELi32ELi8ELc84ELc78ELc76ELb0ELb0E19rocblas_complex_numIfES1_PKS1_PS1_EviT_T9_T10_S5_lS7_S5_lS6_T11_S5_li.num_named_barrier, 0
	.set _ZL29rocblas_internal_gemmt_kernelIlLi16ELi32ELi8ELc84ELc78ELc76ELb0ELb0E19rocblas_complex_numIfES1_PKS1_PS1_EviT_T9_T10_S5_lS7_S5_lS6_T11_S5_li.private_seg_size, 0
	.set _ZL29rocblas_internal_gemmt_kernelIlLi16ELi32ELi8ELc84ELc78ELc76ELb0ELb0E19rocblas_complex_numIfES1_PKS1_PS1_EviT_T9_T10_S5_lS7_S5_lS6_T11_S5_li.uses_vcc, 1
	.set _ZL29rocblas_internal_gemmt_kernelIlLi16ELi32ELi8ELc84ELc78ELc76ELb0ELb0E19rocblas_complex_numIfES1_PKS1_PS1_EviT_T9_T10_S5_lS7_S5_lS6_T11_S5_li.uses_flat_scratch, 0
	.set _ZL29rocblas_internal_gemmt_kernelIlLi16ELi32ELi8ELc84ELc78ELc76ELb0ELb0E19rocblas_complex_numIfES1_PKS1_PS1_EviT_T9_T10_S5_lS7_S5_lS6_T11_S5_li.has_dyn_sized_stack, 0
	.set _ZL29rocblas_internal_gemmt_kernelIlLi16ELi32ELi8ELc84ELc78ELc76ELb0ELb0E19rocblas_complex_numIfES1_PKS1_PS1_EviT_T9_T10_S5_lS7_S5_lS6_T11_S5_li.has_recursion, 0
	.set _ZL29rocblas_internal_gemmt_kernelIlLi16ELi32ELi8ELc84ELc78ELc76ELb0ELb0E19rocblas_complex_numIfES1_PKS1_PS1_EviT_T9_T10_S5_lS7_S5_lS6_T11_S5_li.has_indirect_call, 0
	.section	.AMDGPU.csdata,"",@progbits
; Kernel info:
; codeLenInByte = 3292
; TotalNumSgprs: 37
; NumVgprs: 71
; ScratchSize: 0
; MemoryBound: 0
; FloatMode: 240
; IeeeMode: 1
; LDSByteSize: 4096 bytes/workgroup (compile time only)
; SGPRBlocks: 0
; VGPRBlocks: 8
; NumSGPRsForWavesPerEU: 37
; NumVGPRsForWavesPerEU: 71
; Occupancy: 16
; WaveLimiterHint : 0
; COMPUTE_PGM_RSRC2:SCRATCH_EN: 0
; COMPUTE_PGM_RSRC2:USER_SGPR: 2
; COMPUTE_PGM_RSRC2:TRAP_HANDLER: 0
; COMPUTE_PGM_RSRC2:TGID_X_EN: 1
; COMPUTE_PGM_RSRC2:TGID_Y_EN: 1
; COMPUTE_PGM_RSRC2:TGID_Z_EN: 1
; COMPUTE_PGM_RSRC2:TIDIG_COMP_CNT: 1
	.section	.text._ZL29rocblas_internal_gemmt_kernelIlLi16ELi32ELi8ELc84ELc84ELc76ELb0ELb0E19rocblas_complex_numIfES1_PKS1_PS1_EviT_T9_T10_S5_lS7_S5_lS6_T11_S5_li,"axG",@progbits,_ZL29rocblas_internal_gemmt_kernelIlLi16ELi32ELi8ELc84ELc84ELc76ELb0ELb0E19rocblas_complex_numIfES1_PKS1_PS1_EviT_T9_T10_S5_lS7_S5_lS6_T11_S5_li,comdat
	.globl	_ZL29rocblas_internal_gemmt_kernelIlLi16ELi32ELi8ELc84ELc84ELc76ELb0ELb0E19rocblas_complex_numIfES1_PKS1_PS1_EviT_T9_T10_S5_lS7_S5_lS6_T11_S5_li ; -- Begin function _ZL29rocblas_internal_gemmt_kernelIlLi16ELi32ELi8ELc84ELc84ELc76ELb0ELb0E19rocblas_complex_numIfES1_PKS1_PS1_EviT_T9_T10_S5_lS7_S5_lS6_T11_S5_li
	.p2align	8
	.type	_ZL29rocblas_internal_gemmt_kernelIlLi16ELi32ELi8ELc84ELc84ELc76ELb0ELb0E19rocblas_complex_numIfES1_PKS1_PS1_EviT_T9_T10_S5_lS7_S5_lS6_T11_S5_li,@function
_ZL29rocblas_internal_gemmt_kernelIlLi16ELi32ELi8ELc84ELc84ELc76ELb0ELb0E19rocblas_complex_numIfES1_PKS1_PS1_EviT_T9_T10_S5_lS7_S5_lS6_T11_S5_li: ; @_ZL29rocblas_internal_gemmt_kernelIlLi16ELi32ELi8ELc84ELc84ELc76ELb0ELb0E19rocblas_complex_numIfES1_PKS1_PS1_EviT_T9_T10_S5_lS7_S5_lS6_T11_S5_li
; %bb.0:
	s_clause 0x1
	s_load_b64 s[24:25], s[0:1], 0x48
	s_load_b128 s[12:15], s[0:1], 0x8
	s_wait_kmcnt 0x0
	s_cmp_eq_f32 s24, 1.0
	s_cselect_b32 s2, -1, 0
	s_and_b32 s3, s25, 0x7fffffff
	s_delay_alu instid0(SALU_CYCLE_1) | instskip(SKIP_1) | instid1(SALU_CYCLE_1)
	s_cmp_eq_u32 s3, 0
	s_cselect_b32 s31, -1, 0
	s_and_b32 s3, s2, s31
	s_mov_b32 s2, 0
	s_and_not1_b32 vcc_lo, exec_lo, s3
	s_mov_b32 s3, -1
	s_cbranch_vccnz .LBB247_4
; %bb.1:
	s_cmp_lg_u64 s[12:13], 0
	s_cbranch_scc0 .LBB247_3
; %bb.2:
	s_cmp_neq_f32 s14, 0
	s_cselect_b32 s2, -1, 0
	s_cmp_neq_f32 s15, 0
	s_cselect_b32 s3, -1, 0
	s_delay_alu instid0(SALU_CYCLE_1)
	s_or_b32 s2, s2, s3
.LBB247_3:
	s_delay_alu instid0(SALU_CYCLE_1)
	s_mov_b32 s3, s2
.LBB247_4:
	s_delay_alu instid0(SALU_CYCLE_1)
	s_and_b32 vcc_lo, exec_lo, s3
	s_cbranch_vccz .LBB247_42
; %bb.5:
	s_load_b32 s30, s[0:1], 0x68
	s_lshr_b32 s26, ttmp7, 16
	s_wait_kmcnt 0x0
	s_cmp_ge_u32 s26, s30
	s_cbranch_scc1 .LBB247_42
; %bb.6:
	v_and_b32_e32 v7, 0x3ff, v0
	v_bfe_u32 v8, v0, 10, 10
	s_load_b256 s[4:11], s[0:1], 0x18
	s_lshl_b32 s2, ttmp7, 5
	s_lshl_b32 s3, ttmp9, 5
	s_and_b32 s2, s2, 0x1fffe0
	v_lshl_add_u32 v2, v8, 4, v7
	s_cmp_neq_f32 s14, 0
	v_and_b32_e32 v14, 7, v0
	s_clause 0x3
	s_load_b32 s33, s[0:1], 0x0
	s_load_b128 s[16:19], s[0:1], 0x38
	s_load_b128 s[20:23], s[0:1], 0x50
	s_load_b64 s[28:29], s[0:1], 0x60
	v_and_b32_e32 v3, 31, v2
	s_cselect_b32 s0, -1, 0
	s_cmp_neq_f32 s15, 0
	v_lshrrev_b32_e32 v6, 3, v2
	v_lshrrev_b32_e32 v15, 5, v2
	v_or_b32_e32 v4, s3, v3
	s_cselect_b32 s1, -1, 0
	v_lshlrev_b32_e32 v3, 3, v3
	v_add_nc_u32_e32 v2, s2, v6
	v_add_nc_u32_e32 v11, s2, v8
	s_or_b32 s35, s0, s1
	s_wait_kmcnt 0x0
	v_mul_lo_u32 v5, s7, v4
	v_mad_co_u64_u32 v[0:1], null, s6, v4, 0
	s_ashr_i32 s7, s3, 31
	v_lshl_or_b32 v16, v15, 8, v3
	s_wait_alu 0xfffe
	s_mul_i32 s6, s6, s7
	v_add_nc_u32_e32 v12, 16, v11
	v_cmp_gt_i32_e64 s0, s33, v4
	v_lshl_add_u32 v23, v8, 6, 0x800
	s_wait_alu 0xfffe
	v_add3_u32 v1, v1, s6, v5
	v_cmp_le_i32_e64 s6, s33, v4
	s_cmp_neq_f32 s24, 0
	v_cmp_gt_i64_e64 s34, s[12:13], 0
	s_mov_b32 s27, 0
	v_lshlrev_b64_e32 v[0:1], 3, v[0:1]
	s_delay_alu instid0(VALU_DEP_1) | instskip(NEXT) | instid1(VALU_DEP_1)
	v_add_co_u32 v17, vcc_lo, s4, v0
	v_add_co_ci_u32_e64 v18, null, s5, v1, vcc_lo
	v_mov_b32_e32 v1, 0
	v_lshlrev_b32_e32 v9, 3, v14
	v_cmp_gt_i32_e32 vcc_lo, s33, v2
	v_lshlrev_b32_e32 v0, 3, v2
	v_mad_co_u64_u32 v[2:3], null, s22, v11, 0
	s_delay_alu instid0(VALU_DEP_4) | instskip(NEXT) | instid1(VALU_DEP_3)
	v_lshl_or_b32 v5, v6, 6, v9
	v_add_co_u32 v20, s1, s10, v0
	s_delay_alu instid0(VALU_DEP_1) | instskip(NEXT) | instid1(VALU_DEP_3)
	v_add_co_ci_u32_e64 v21, null, s11, 0, s1
	v_add_nc_u32_e32 v19, 0x800, v5
	v_mad_co_u64_u32 v[4:5], null, s22, v12, 0
	v_mov_b32_e32 v0, v3
	v_add_nc_u32_e32 v6, s3, v7
	v_lshlrev_b32_e32 v22, 3, v7
	s_cselect_b32 s11, -1, 0
	s_xor_b32 s22, s31, -1
	v_mad_co_u64_u32 v[9:10], null, s23, v11, v[0:1]
	v_add_nc_u32_e32 v8, 16, v6
	v_mov_b32_e32 v0, v5
	v_cmp_le_i32_e64 s1, v11, v6
	v_cmp_gt_i32_e64 s2, s33, v6
	v_ashrrev_i32_e32 v7, 31, v6
	v_cmp_le_i32_e64 s3, v11, v8
	v_mad_co_u64_u32 v[10:11], null, s23, v12, v[0:1]
	v_cmp_gt_i32_e64 s4, s33, v8
	v_mov_b32_e32 v3, v9
	v_ashrrev_i32_e32 v9, 31, v8
	s_and_b32 s5, s1, s2
	v_cmp_le_i32_e64 s1, v12, v6
	s_and_b32 s7, s3, s4
	v_mov_b32_e32 v5, v10
	v_cmp_le_i32_e64 s3, v12, v8
	v_lshlrev_b64_e32 v[2:3], 3, v[2:3]
	v_lshlrev_b64_e32 v[6:7], 3, v[6:7]
	;; [unrolled: 1-line block ×4, first 2 shown]
	s_and_b32 s10, s35, s34
	s_wait_alu 0xfffe
	s_or_b32 s11, s11, s22
	s_and_b32 s1, s1, s2
	s_and_b32 s4, s3, s4
	s_xor_b32 s22, vcc_lo, -1
                                        ; implicit-def: $vgpr10_vgpr11
	s_branch .LBB247_8
.LBB247_7:                              ;   in Loop: Header=BB247_8 Depth=1
	s_wait_alu 0xfffe
	s_or_b32 exec_lo, exec_lo, s2
	s_add_co_i32 s26, s26, 0x10000
	s_delay_alu instid0(SALU_CYCLE_1)
	s_cmp_lt_u32 s26, s30
	s_cbranch_scc0 .LBB247_42
.LBB247_8:                              ; =>This Loop Header: Depth=1
                                        ;     Child Loop BB247_11 Depth 2
	s_and_not1_b32 vcc_lo, exec_lo, s10
	s_wait_alu 0xfffe
	s_cbranch_vccnz .LBB247_21
; %bb.9:                                ;   in Loop: Header=BB247_8 Depth=1
	s_mul_u64 s[2:3], s[8:9], s[26:27]
	s_mul_u64 s[34:35], s[18:19], s[26:27]
	s_wait_alu 0xfffe
	s_lshl_b64 s[2:3], s[2:3], 3
	v_dual_mov_b32 v26, 0 :: v_dual_mov_b32 v27, 0
	s_wait_alu 0xfffe
	v_add_co_u32 v12, vcc_lo, v17, s2
	s_wait_alu 0xfffd
	v_add_co_ci_u32_e64 v13, null, s3, v18, vcc_lo
	s_lshl_b64 s[2:3], s[34:35], 3
	v_dual_mov_b32 v29, 0 :: v_dual_mov_b32 v28, 0
	s_wait_alu 0xfffe
	v_add_co_u32 v24, vcc_lo, v20, s2
	s_wait_alu 0xfffd
	v_add_co_ci_u32_e64 v25, null, s3, v21, vcc_lo
	v_dual_mov_b32 v31, 0 :: v_dual_mov_b32 v30, 0
	v_dual_mov_b32 v33, 0 :: v_dual_mov_b32 v32, 0
	s_mov_b64 s[2:3], 0
	s_branch .LBB247_11
.LBB247_10:                             ;   in Loop: Header=BB247_11 Depth=2
	s_wait_alu 0xfffe
	s_or_b32 exec_lo, exec_lo, s23
	s_wait_dscnt 0x0
	s_barrier_signal -1
	s_barrier_wait -1
	global_inv scope:SCOPE_SE
	ds_load_b128 v[34:37], v23
	ds_load_2addr_b64 v[38:41], v22 offset1:16
	ds_load_b128 v[42:45], v23 offset:1024
	ds_load_b128 v[46:49], v23 offset:16
	;; [unrolled: 1-line block ×4, first 2 shown]
	ds_load_2addr_b64 v[58:61], v22 offset0:32 offset1:48
	ds_load_b128 v[62:65], v23 offset:1040
	s_add_nc_u64 s[2:3], s[2:3], 8
	s_wait_alu 0xfffe
	v_cmp_gt_i64_e64 s23, s[12:13], s[2:3]
	s_and_b32 vcc_lo, exec_lo, s23
	s_wait_dscnt 0x6
	v_mul_f32_e32 v0, v35, v39
	v_dual_mul_f32 v66, v34, v39 :: v_dual_mul_f32 v67, v35, v41
	s_wait_dscnt 0x5
	v_dual_mul_f32 v68, v34, v41 :: v_dual_mul_f32 v69, v43, v39
	v_dual_mul_f32 v39, v42, v39 :: v_dual_mul_f32 v70, v43, v41
	v_mul_f32_e32 v41, v42, v41
	v_fma_f32 v0, v34, v38, -v0
	v_fma_f32 v34, v34, v40, -v67
	v_fmac_f32_e32 v68, v35, v40
	v_fmac_f32_e32 v39, v43, v38
	;; [unrolled: 1-line block ×3, first 2 shown]
	v_add_f32_e32 v0, v32, v0
	v_fmac_f32_e32 v66, v35, v38
	v_fma_f32 v35, v42, v38, -v69
	v_fma_f32 v38, v42, v40, -v70
	v_add_f32_e32 v26, v26, v41
	s_delay_alu instid0(VALU_DEP_4) | instskip(NEXT) | instid1(VALU_DEP_4)
	v_add_f32_e32 v32, v33, v66
	v_dual_add_f32 v33, v30, v34 :: v_dual_add_f32 v34, v28, v35
	v_add_f32_e32 v35, v29, v39
	s_wait_dscnt 0x1
	v_dual_mul_f32 v39, v37, v59 :: v_dual_add_f32 v38, v27, v38
	ds_load_2addr_b64 v[27:30], v22 offset0:64 offset1:80
	v_mul_f32_e32 v42, v37, v61
	v_mul_f32_e32 v41, v36, v61
	;; [unrolled: 1-line block ×3, first 2 shown]
	v_fma_f32 v39, v36, v58, -v39
	v_add_f32_e32 v31, v31, v68
	v_fma_f32 v36, v36, v60, -v42
	s_delay_alu instid0(VALU_DEP_3) | instskip(SKIP_1) | instid1(VALU_DEP_3)
	v_add_f32_e32 v0, v0, v39
	v_mul_f32_e32 v39, v45, v59
	v_add_f32_e32 v36, v33, v36
	v_fmac_f32_e32 v41, v37, v60
	v_fmac_f32_e32 v40, v37, v58
	v_mul_f32_e32 v37, v45, v61
	v_fma_f32 v33, v44, v58, -v39
	s_delay_alu instid0(VALU_DEP_4) | instskip(NEXT) | instid1(VALU_DEP_3)
	v_add_f32_e32 v39, v31, v41
	v_fma_f32 v31, v44, v60, -v37
	v_mul_f32_e32 v41, v44, v61
	s_wait_dscnt 0x0
	v_mul_f32_e32 v37, v46, v28
	v_add_f32_e32 v40, v32, v40
	v_add_f32_e32 v38, v38, v31
	v_dual_mul_f32 v32, v44, v59 :: v_dual_fmac_f32 v41, v45, v60
	v_mul_f32_e32 v44, v47, v30
	s_delay_alu instid0(VALU_DEP_2) | instskip(NEXT) | instid1(VALU_DEP_3)
	v_dual_fmac_f32 v37, v47, v27 :: v_dual_fmac_f32 v32, v45, v58
	v_add_f32_e32 v41, v26, v41
	v_dual_add_f32 v42, v34, v33 :: v_dual_mul_f32 v33, v47, v28
	s_delay_alu instid0(VALU_DEP_3) | instskip(NEXT) | instid1(VALU_DEP_4)
	v_dual_mul_f32 v26, v46, v30 :: v_dual_add_f32 v37, v40, v37
	v_add_f32_e32 v35, v35, v32
	s_delay_alu instid0(VALU_DEP_3) | instskip(SKIP_4) | instid1(VALU_DEP_1)
	v_fma_f32 v43, v46, v27, -v33
	ds_load_2addr_b64 v[31:34], v22 offset0:96 offset1:112
	v_fmac_f32_e32 v26, v47, v29
	v_add_f32_e32 v0, v0, v43
	v_fma_f32 v43, v46, v29, -v44
	v_dual_add_f32 v39, v39, v26 :: v_dual_add_f32 v36, v36, v43
	v_mul_f32_e32 v43, v63, v30
	v_mul_f32_e32 v30, v62, v30
	s_delay_alu instid0(VALU_DEP_2) | instskip(SKIP_1) | instid1(VALU_DEP_3)
	v_fma_f32 v26, v62, v29, -v43
	v_mul_f32_e32 v40, v63, v28
	v_fmac_f32_e32 v30, v63, v29
	s_wait_dscnt 0x0
	v_dual_mul_f32 v28, v62, v28 :: v_dual_mul_f32 v47, v65, v34
	v_add_f32_e32 v43, v38, v26
	v_fma_f32 v40, v62, v27, -v40
	v_dual_mul_f32 v38, v48, v32 :: v_dual_add_f32 v41, v41, v30
	s_delay_alu instid0(VALU_DEP_4) | instskip(SKIP_1) | instid1(VALU_DEP_3)
	v_fmac_f32_e32 v28, v63, v27
	v_mul_f32_e32 v30, v48, v34
	v_fmac_f32_e32 v38, v49, v31
	v_add_f32_e32 v40, v42, v40
	s_delay_alu instid0(VALU_DEP_4)
	v_add_f32_e32 v42, v35, v28
	ds_load_2addr_b64 v[26:29], v22 offset0:128 offset1:144
	v_mul_f32_e32 v35, v49, v32
	v_mul_f32_e32 v44, v49, v34
	v_fmac_f32_e32 v30, v49, v33
	v_mul_f32_e32 v34, v64, v34
	s_delay_alu instid0(VALU_DEP_4)
	v_fma_f32 v35, v48, v31, -v35
	s_wait_dscnt 0x0
	v_mul_f32_e32 v49, v50, v27
	v_fma_f32 v44, v48, v33, -v44
	v_add_f32_e32 v48, v39, v30
	v_fma_f32 v30, v64, v33, -v47
	s_delay_alu instid0(VALU_DEP_4) | instskip(NEXT) | instid1(VALU_DEP_4)
	v_fmac_f32_e32 v49, v51, v26
	v_dual_add_f32 v45, v37, v38 :: v_dual_add_f32 v44, v36, v44
	s_delay_alu instid0(VALU_DEP_3) | instskip(SKIP_1) | instid1(VALU_DEP_3)
	v_dual_add_f32 v43, v43, v30 :: v_dual_add_f32 v0, v0, v35
	v_mul_f32_e32 v35, v65, v32
	v_dual_mul_f32 v32, v64, v32 :: v_dual_add_f32 v45, v45, v49
	s_delay_alu instid0(VALU_DEP_2) | instskip(SKIP_3) | instid1(VALU_DEP_2)
	v_fma_f32 v46, v64, v31, -v35
	ds_load_b128 v[35:38], v23 offset:1056
	v_fmac_f32_e32 v32, v65, v31
	v_dual_mul_f32 v31, v51, v27 :: v_dual_fmac_f32 v34, v65, v33
	v_add_f32_e32 v47, v42, v32
	s_delay_alu instid0(VALU_DEP_2)
	v_fma_f32 v39, v50, v26, -v31
	ds_load_2addr_b64 v[30:33], v22 offset0:160 offset1:176
	v_add_f32_e32 v46, v40, v46
	v_mul_f32_e32 v40, v51, v29
	v_add_f32_e32 v34, v41, v34
	v_add_f32_e32 v0, v0, v39
	s_delay_alu instid0(VALU_DEP_3) | instskip(SKIP_4) | instid1(VALU_DEP_2)
	v_fma_f32 v58, v50, v28, -v40
	ds_load_b128 v[39:42], v23 offset:1072
	s_wait_dscnt 0x2
	v_dual_mul_f32 v50, v50, v29 :: v_dual_mul_f32 v59, v36, v27
	v_mul_f32_e32 v27, v35, v27
	v_dual_fmac_f32 v50, v51, v28 :: v_dual_mul_f32 v51, v36, v29
	s_delay_alu instid0(VALU_DEP_3) | instskip(NEXT) | instid1(VALU_DEP_3)
	v_fma_f32 v49, v35, v26, -v59
	v_fmac_f32_e32 v27, v36, v26
	s_delay_alu instid0(VALU_DEP_3) | instskip(SKIP_2) | instid1(VALU_DEP_4)
	v_add_f32_e32 v48, v48, v50
	v_mul_f32_e32 v50, v35, v29
	v_fma_f32 v26, v35, v28, -v51
	v_add_f32_e32 v35, v47, v27
	s_wait_dscnt 0x1
	s_delay_alu instid0(VALU_DEP_3) | instskip(NEXT) | instid1(VALU_DEP_3)
	v_dual_mul_f32 v47, v53, v31 :: v_dual_fmac_f32 v50, v36, v28
	v_add_f32_e32 v43, v43, v26
	ds_load_2addr_b64 v[26:29], v22 offset0:192 offset1:208
	v_mul_f32_e32 v36, v52, v31
	v_add_f32_e32 v46, v46, v49
	v_fma_f32 v47, v52, v30, -v47
	v_mul_f32_e32 v49, v53, v33
	s_delay_alu instid0(VALU_DEP_4) | instskip(NEXT) | instid1(VALU_DEP_3)
	v_fmac_f32_e32 v36, v53, v30
	v_add_f32_e32 v0, v0, v47
	s_delay_alu instid0(VALU_DEP_3) | instskip(NEXT) | instid1(VALU_DEP_3)
	v_fma_f32 v47, v52, v32, -v49
	v_dual_add_f32 v45, v45, v36 :: v_dual_mul_f32 v36, v38, v31
	v_mul_f32_e32 v31, v37, v31
	s_delay_alu instid0(VALU_DEP_2) | instskip(NEXT) | instid1(VALU_DEP_2)
	v_fma_f32 v36, v37, v30, -v36
	v_fmac_f32_e32 v31, v38, v30
	v_add_f32_e32 v44, v44, v58
	s_delay_alu instid0(VALU_DEP_2) | instskip(NEXT) | instid1(VALU_DEP_2)
	v_dual_mul_f32 v30, v37, v33 :: v_dual_add_f32 v31, v35, v31
	v_dual_add_f32 v44, v44, v47 :: v_dual_mul_f32 v47, v38, v33
	v_add_f32_e32 v50, v34, v50
	v_mul_f32_e32 v34, v52, v33
	s_delay_alu instid0(VALU_DEP_4) | instskip(NEXT) | instid1(VALU_DEP_4)
	v_fmac_f32_e32 v30, v38, v32
	v_fma_f32 v33, v37, v32, -v47
	s_wait_dscnt 0x0
	s_delay_alu instid0(VALU_DEP_3) | instskip(NEXT) | instid1(VALU_DEP_2)
	v_dual_mul_f32 v47, v40, v27 :: v_dual_fmac_f32 v34, v53, v32
	v_dual_add_f32 v32, v43, v33 :: v_dual_mul_f32 v33, v54, v27
	v_mul_f32_e32 v43, v55, v29
	s_delay_alu instid0(VALU_DEP_2) | instskip(NEXT) | instid1(VALU_DEP_2)
	v_dual_fmac_f32 v33, v55, v26 :: v_dual_add_f32 v46, v46, v36
	v_fma_f32 v43, v54, v28, -v43
	s_delay_alu instid0(VALU_DEP_2) | instskip(SKIP_3) | instid1(VALU_DEP_3)
	v_dual_add_f32 v33, v45, v33 :: v_dual_add_f32 v48, v48, v34
	v_mul_f32_e32 v34, v55, v27
	v_mul_f32_e32 v27, v39, v27
	;; [unrolled: 1-line block ×3, first 2 shown]
	v_fma_f32 v38, v54, v26, -v34
	ds_load_2addr_b64 v[34:37], v22 offset0:224 offset1:240
	v_fmac_f32_e32 v27, v40, v26
	v_add_f32_e32 v30, v50, v30
	s_wait_loadcnt_dscnt 0x0
	v_add_f32_e32 v0, v0, v38
	s_barrier_signal -1
	v_dual_add_f32 v27, v31, v27 :: v_dual_mul_f32 v38, v54, v29
	v_mul_f32_e32 v29, v39, v29
	s_barrier_wait -1
	global_inv scope:SCOPE_SE
	v_fmac_f32_e32 v38, v55, v28
	v_fmac_f32_e32 v29, v40, v28
	s_delay_alu instid0(VALU_DEP_1) | instskip(SKIP_2) | instid1(VALU_DEP_2)
	v_add_f32_e32 v40, v30, v29
	v_mul_f32_e32 v29, v56, v37
	v_mul_f32_e32 v31, v57, v35
	v_fmac_f32_e32 v29, v57, v36
	v_add_f32_e32 v43, v44, v43
	v_fma_f32 v44, v39, v26, -v47
	v_fma_f32 v39, v39, v28, -v45
	;; [unrolled: 1-line block ×3, first 2 shown]
	s_delay_alu instid0(VALU_DEP_2) | instskip(SKIP_1) | instid1(VALU_DEP_2)
	v_dual_add_f32 v39, v32, v39 :: v_dual_mul_f32 v32, v57, v37
	v_mul_f32_e32 v28, v56, v35
	v_fma_f32 v30, v56, v36, -v32
	s_delay_alu instid0(VALU_DEP_4) | instskip(SKIP_1) | instid1(VALU_DEP_4)
	v_add_f32_e32 v32, v0, v31
	v_mul_f32_e32 v0, v42, v35
	v_fmac_f32_e32 v28, v57, v34
	s_delay_alu instid0(VALU_DEP_4) | instskip(SKIP_1) | instid1(VALU_DEP_4)
	v_dual_mul_f32 v35, v41, v35 :: v_dual_add_f32 v30, v43, v30
	v_mul_f32_e32 v43, v42, v37
	v_fma_f32 v0, v41, v34, -v0
	v_dual_mul_f32 v37, v41, v37 :: v_dual_add_f32 v26, v48, v38
	v_add_f32_e32 v38, v46, v44
	v_add_f32_e32 v33, v33, v28
	v_fmac_f32_e32 v35, v42, v34
	s_delay_alu instid0(VALU_DEP_4) | instskip(SKIP_3) | instid1(VALU_DEP_4)
	v_fmac_f32_e32 v37, v42, v36
	v_add_f32_e32 v31, v26, v29
	v_add_f32_e32 v28, v38, v0
	v_fma_f32 v0, v41, v36, -v43
	v_dual_add_f32 v29, v27, v35 :: v_dual_add_f32 v26, v40, v37
	s_delay_alu instid0(VALU_DEP_2)
	v_add_f32_e32 v27, v39, v0
	s_wait_alu 0xfffe
	s_cbranch_vccz .LBB247_22
.LBB247_11:                             ;   Parent Loop BB247_8 Depth=1
                                        ; =>  This Inner Loop Header: Depth=2
	s_mov_b32 s23, 0
	s_mov_b32 s33, s6
	s_and_saveexec_b32 s31, s0
	s_cbranch_execnz .LBB247_19
; %bb.12:                               ;   in Loop: Header=BB247_11 Depth=2
	s_or_b32 exec_lo, exec_lo, s31
	s_wait_alu 0xfffe
	s_and_saveexec_b32 s31, s33
	s_delay_alu instid0(SALU_CYCLE_1)
	s_xor_b32 s31, exec_lo, s31
	s_cbranch_execnz .LBB247_20
.LBB247_13:                             ;   in Loop: Header=BB247_11 Depth=2
	s_or_b32 exec_lo, exec_lo, s31
	s_and_saveexec_b32 s31, s23
	s_cbranch_execz .LBB247_15
.LBB247_14:                             ;   in Loop: Header=BB247_11 Depth=2
	v_lshlrev_b64_e32 v[34:35], 3, v[10:11]
	s_delay_alu instid0(VALU_DEP_1) | instskip(SKIP_1) | instid1(VALU_DEP_2)
	v_add_co_u32 v34, vcc_lo, v12, v34
	s_wait_alu 0xfffd
	v_add_co_ci_u32_e64 v35, null, v13, v35, vcc_lo
	global_load_b64 v[34:35], v[34:35], off
	s_wait_loadcnt 0x0
	ds_store_b64 v16, v[34:35]
.LBB247_15:                             ;   in Loop: Header=BB247_11 Depth=2
	s_or_b32 exec_lo, exec_lo, s31
	v_add_nc_u32_e32 v0, s2, v14
	s_delay_alu instid0(VALU_DEP_1) | instskip(SKIP_3) | instid1(SALU_CYCLE_1)
	v_cmp_le_u64_e32 vcc_lo, s[12:13], v[0:1]
	s_or_b32 s23, vcc_lo, s22
	s_wait_alu 0xfffe
	s_and_saveexec_b32 s31, s23
	s_xor_b32 s23, exec_lo, s31
; %bb.16:                               ;   in Loop: Header=BB247_11 Depth=2
	v_mov_b32_e32 v0, v1
	ds_store_b64 v19, v[0:1]
; %bb.17:                               ;   in Loop: Header=BB247_11 Depth=2
	s_wait_alu 0xfffe
	s_and_not1_saveexec_b32 s23, s23
	s_cbranch_execz .LBB247_10
; %bb.18:                               ;   in Loop: Header=BB247_11 Depth=2
	v_mad_co_u64_u32 v[34:35], null, s16, v0, 0
	s_delay_alu instid0(VALU_DEP_1) | instskip(NEXT) | instid1(VALU_DEP_1)
	v_mad_co_u64_u32 v[35:36], null, s17, v0, v[35:36]
	v_lshlrev_b64_e32 v[34:35], 3, v[34:35]
	s_delay_alu instid0(VALU_DEP_1) | instskip(SKIP_1) | instid1(VALU_DEP_2)
	v_add_co_u32 v34, vcc_lo, v24, v34
	s_wait_alu 0xfffd
	v_add_co_ci_u32_e64 v35, null, v25, v35, vcc_lo
	global_load_b64 v[34:35], v[34:35], off
	s_wait_loadcnt 0x0
	ds_store_b64 v19, v[34:35]
	s_branch .LBB247_10
.LBB247_19:                             ;   in Loop: Header=BB247_11 Depth=2
	s_wait_alu 0xfffe
	v_add_nc_u32_e32 v0, s2, v15
	v_mov_b32_e32 v11, v1
	s_and_not1_b32 s33, s6, exec_lo
	s_mov_b32 s23, exec_lo
	s_delay_alu instid0(VALU_DEP_2)
	v_cmp_le_u64_e32 vcc_lo, s[12:13], v[0:1]
	v_mov_b32_e32 v10, v0
	s_and_b32 s34, vcc_lo, exec_lo
	s_wait_alu 0xfffe
	s_or_b32 s33, s33, s34
	s_or_b32 exec_lo, exec_lo, s31
	s_wait_alu 0xfffe
	s_and_saveexec_b32 s31, s33
	s_delay_alu instid0(SALU_CYCLE_1)
	s_xor_b32 s31, exec_lo, s31
	s_cbranch_execz .LBB247_13
.LBB247_20:                             ;   in Loop: Header=BB247_11 Depth=2
	v_mov_b32_e32 v0, v1
	s_and_not1_b32 s23, s23, exec_lo
	ds_store_b64 v16, v[0:1]
	s_or_b32 exec_lo, exec_lo, s31
	s_wait_alu 0xfffe
	s_and_saveexec_b32 s31, s23
	s_cbranch_execnz .LBB247_14
	s_branch .LBB247_15
.LBB247_21:                             ;   in Loop: Header=BB247_8 Depth=1
	v_dual_mov_b32 v32, v1 :: v_dual_mov_b32 v33, v1
	v_dual_mov_b32 v30, v1 :: v_dual_mov_b32 v31, v1
	;; [unrolled: 1-line block ×4, first 2 shown]
.LBB247_22:                             ;   in Loop: Header=BB247_8 Depth=1
	s_mul_u64 s[2:3], s[28:29], s[26:27]
	s_wait_alu 0xfffe
	s_lshl_b64 s[2:3], s[2:3], 3
	s_wait_alu 0xfffe
	s_add_nc_u64 s[2:3], s[20:21], s[2:3]
	s_wait_alu 0xfffe
	v_add_co_u32 v0, vcc_lo, s2, v2
	s_wait_alu 0xfffd
	v_add_co_ci_u32_e64 v24, null, s3, v3, vcc_lo
	s_and_saveexec_b32 s23, s5
	s_cbranch_execz .LBB247_27
; %bb.23:                               ;   in Loop: Header=BB247_8 Depth=1
	v_mul_f32_e32 v13, s14, v33
	v_mul_f32_e32 v12, s15, v33
	s_and_b32 vcc_lo, exec_lo, s11
	s_mov_b32 s31, -1
	s_delay_alu instid0(VALU_DEP_2) | instskip(NEXT) | instid1(VALU_DEP_2)
	v_fmac_f32_e32 v13, s15, v32
	v_fma_f32 v12, v32, s14, -v12
	s_wait_alu 0xfffe
	s_cbranch_vccz .LBB247_25
; %bb.24:                               ;   in Loop: Header=BB247_8 Depth=1
	v_add_co_u32 v32, vcc_lo, v0, v6
	s_wait_alu 0xfffd
	v_add_co_ci_u32_e64 v33, null, v24, v7, vcc_lo
	s_mov_b32 s31, 0
	global_load_b64 v[34:35], v[32:33], off
	s_wait_loadcnt 0x0
	v_mul_f32_e32 v25, s25, v35
	s_delay_alu instid0(VALU_DEP_1) | instskip(SKIP_1) | instid1(VALU_DEP_1)
	v_fma_f32 v25, v34, s24, -v25
	v_mul_f32_e32 v35, s24, v35
	v_dual_fmac_f32 v35, s25, v34 :: v_dual_add_f32 v34, v12, v25
	s_delay_alu instid0(VALU_DEP_1)
	v_add_f32_e32 v35, v13, v35
	global_store_b64 v[32:33], v[34:35], off
.LBB247_25:                             ;   in Loop: Header=BB247_8 Depth=1
	s_and_not1_b32 vcc_lo, exec_lo, s31
	s_wait_alu 0xfffe
	s_cbranch_vccnz .LBB247_27
; %bb.26:                               ;   in Loop: Header=BB247_8 Depth=1
	v_add_co_u32 v32, vcc_lo, v0, v6
	s_wait_alu 0xfffd
	v_add_co_ci_u32_e64 v33, null, v24, v7, vcc_lo
	global_store_b64 v[32:33], v[12:13], off
.LBB247_27:                             ;   in Loop: Header=BB247_8 Depth=1
	s_wait_alu 0xfffe
	s_or_b32 exec_lo, exec_lo, s23
	s_and_saveexec_b32 s23, s7
	s_cbranch_execz .LBB247_32
; %bb.28:                               ;   in Loop: Header=BB247_8 Depth=1
	v_mul_f32_e32 v13, s14, v31
	v_mul_f32_e32 v12, s15, v31
	s_and_not1_b32 vcc_lo, exec_lo, s11
	s_mov_b32 s31, -1
	s_delay_alu instid0(VALU_DEP_2) | instskip(NEXT) | instid1(VALU_DEP_2)
	v_fmac_f32_e32 v13, s15, v30
	v_fma_f32 v12, v30, s14, -v12
	s_wait_alu 0xfffe
	s_cbranch_vccnz .LBB247_30
; %bb.29:                               ;   in Loop: Header=BB247_8 Depth=1
	v_add_co_u32 v30, vcc_lo, v0, v8
	s_wait_alu 0xfffd
	v_add_co_ci_u32_e64 v31, null, v24, v9, vcc_lo
	s_mov_b32 s31, 0
	global_load_b64 v[32:33], v[30:31], off
	s_wait_loadcnt 0x0
	v_mul_f32_e32 v25, s25, v33
	v_mul_f32_e32 v33, s24, v33
	s_delay_alu instid0(VALU_DEP_2) | instskip(NEXT) | instid1(VALU_DEP_1)
	v_fma_f32 v25, v32, s24, -v25
	v_dual_fmac_f32 v33, s25, v32 :: v_dual_add_f32 v32, v12, v25
	s_delay_alu instid0(VALU_DEP_1)
	v_add_f32_e32 v33, v13, v33
	global_store_b64 v[30:31], v[32:33], off
.LBB247_30:                             ;   in Loop: Header=BB247_8 Depth=1
	s_and_not1_b32 vcc_lo, exec_lo, s31
	s_wait_alu 0xfffe
	s_cbranch_vccnz .LBB247_32
; %bb.31:                               ;   in Loop: Header=BB247_8 Depth=1
	v_add_co_u32 v30, vcc_lo, v0, v8
	s_wait_alu 0xfffd
	v_add_co_ci_u32_e64 v31, null, v24, v9, vcc_lo
	global_store_b64 v[30:31], v[12:13], off
.LBB247_32:                             ;   in Loop: Header=BB247_8 Depth=1
	s_wait_alu 0xfffe
	s_or_b32 exec_lo, exec_lo, s23
	v_add_co_u32 v0, vcc_lo, s2, v4
	s_wait_alu 0xfffd
	v_add_co_ci_u32_e64 v24, null, s3, v5, vcc_lo
	s_and_saveexec_b32 s2, s1
	s_cbranch_execz .LBB247_37
; %bb.33:                               ;   in Loop: Header=BB247_8 Depth=1
	v_mul_f32_e32 v13, s14, v29
	v_mul_f32_e32 v12, s15, v29
	s_and_not1_b32 vcc_lo, exec_lo, s11
	s_mov_b32 s3, -1
	s_delay_alu instid0(VALU_DEP_2) | instskip(NEXT) | instid1(VALU_DEP_2)
	v_fmac_f32_e32 v13, s15, v28
	v_fma_f32 v12, v28, s14, -v12
	s_wait_alu 0xfffe
	s_cbranch_vccnz .LBB247_35
; %bb.34:                               ;   in Loop: Header=BB247_8 Depth=1
	v_add_co_u32 v28, vcc_lo, v0, v6
	s_wait_alu 0xfffd
	v_add_co_ci_u32_e64 v29, null, v24, v7, vcc_lo
	s_mov_b32 s3, 0
	global_load_b64 v[30:31], v[28:29], off
	s_wait_loadcnt 0x0
	v_mul_f32_e32 v25, s25, v31
	s_delay_alu instid0(VALU_DEP_1) | instskip(SKIP_1) | instid1(VALU_DEP_1)
	v_fma_f32 v25, v30, s24, -v25
	v_mul_f32_e32 v31, s24, v31
	v_dual_fmac_f32 v31, s25, v30 :: v_dual_add_f32 v30, v12, v25
	s_delay_alu instid0(VALU_DEP_1)
	v_add_f32_e32 v31, v13, v31
	global_store_b64 v[28:29], v[30:31], off
.LBB247_35:                             ;   in Loop: Header=BB247_8 Depth=1
	s_wait_alu 0xfffe
	s_and_not1_b32 vcc_lo, exec_lo, s3
	s_wait_alu 0xfffe
	s_cbranch_vccnz .LBB247_37
; %bb.36:                               ;   in Loop: Header=BB247_8 Depth=1
	v_add_co_u32 v28, vcc_lo, v0, v6
	s_wait_alu 0xfffd
	v_add_co_ci_u32_e64 v29, null, v24, v7, vcc_lo
	global_store_b64 v[28:29], v[12:13], off
.LBB247_37:                             ;   in Loop: Header=BB247_8 Depth=1
	s_wait_alu 0xfffe
	s_or_b32 exec_lo, exec_lo, s2
	s_and_saveexec_b32 s2, s4
	s_cbranch_execz .LBB247_7
; %bb.38:                               ;   in Loop: Header=BB247_8 Depth=1
	v_mul_f32_e32 v13, s14, v26
	v_mul_f32_e32 v12, s15, v26
	s_and_not1_b32 vcc_lo, exec_lo, s11
	s_mov_b32 s3, -1
	s_delay_alu instid0(VALU_DEP_2) | instskip(NEXT) | instid1(VALU_DEP_2)
	v_fmac_f32_e32 v13, s15, v27
	v_fma_f32 v12, v27, s14, -v12
	s_wait_alu 0xfffe
	s_cbranch_vccnz .LBB247_40
; %bb.39:                               ;   in Loop: Header=BB247_8 Depth=1
	v_add_co_u32 v25, vcc_lo, v0, v8
	s_wait_alu 0xfffd
	v_add_co_ci_u32_e64 v26, null, v24, v9, vcc_lo
	s_mov_b32 s3, 0
	global_load_b64 v[27:28], v[25:26], off
	s_wait_loadcnt 0x0
	v_mul_f32_e32 v29, s25, v28
	v_mul_f32_e32 v28, s24, v28
	s_delay_alu instid0(VALU_DEP_1) | instskip(NEXT) | instid1(VALU_DEP_3)
	v_fmac_f32_e32 v28, s25, v27
	v_fma_f32 v29, v27, s24, -v29
	s_delay_alu instid0(VALU_DEP_1)
	v_dual_add_f32 v28, v13, v28 :: v_dual_add_f32 v27, v12, v29
	global_store_b64 v[25:26], v[27:28], off
.LBB247_40:                             ;   in Loop: Header=BB247_8 Depth=1
	s_wait_alu 0xfffe
	s_and_not1_b32 vcc_lo, exec_lo, s3
	s_wait_alu 0xfffe
	s_cbranch_vccnz .LBB247_7
; %bb.41:                               ;   in Loop: Header=BB247_8 Depth=1
	v_add_co_u32 v25, vcc_lo, v0, v8
	s_wait_alu 0xfffd
	v_add_co_ci_u32_e64 v26, null, v24, v9, vcc_lo
	global_store_b64 v[25:26], v[12:13], off
	s_branch .LBB247_7
.LBB247_42:
	s_endpgm
	.section	.rodata,"a",@progbits
	.p2align	6, 0x0
	.amdhsa_kernel _ZL29rocblas_internal_gemmt_kernelIlLi16ELi32ELi8ELc84ELc84ELc76ELb0ELb0E19rocblas_complex_numIfES1_PKS1_PS1_EviT_T9_T10_S5_lS7_S5_lS6_T11_S5_li
		.amdhsa_group_segment_fixed_size 4096
		.amdhsa_private_segment_fixed_size 0
		.amdhsa_kernarg_size 108
		.amdhsa_user_sgpr_count 2
		.amdhsa_user_sgpr_dispatch_ptr 0
		.amdhsa_user_sgpr_queue_ptr 0
		.amdhsa_user_sgpr_kernarg_segment_ptr 1
		.amdhsa_user_sgpr_dispatch_id 0
		.amdhsa_user_sgpr_private_segment_size 0
		.amdhsa_wavefront_size32 1
		.amdhsa_uses_dynamic_stack 0
		.amdhsa_enable_private_segment 0
		.amdhsa_system_sgpr_workgroup_id_x 1
		.amdhsa_system_sgpr_workgroup_id_y 1
		.amdhsa_system_sgpr_workgroup_id_z 1
		.amdhsa_system_sgpr_workgroup_info 0
		.amdhsa_system_vgpr_workitem_id 1
		.amdhsa_next_free_vgpr 71
		.amdhsa_next_free_sgpr 36
		.amdhsa_reserve_vcc 1
		.amdhsa_float_round_mode_32 0
		.amdhsa_float_round_mode_16_64 0
		.amdhsa_float_denorm_mode_32 3
		.amdhsa_float_denorm_mode_16_64 3
		.amdhsa_fp16_overflow 0
		.amdhsa_workgroup_processor_mode 1
		.amdhsa_memory_ordered 1
		.amdhsa_forward_progress 1
		.amdhsa_inst_pref_size 26
		.amdhsa_round_robin_scheduling 0
		.amdhsa_exception_fp_ieee_invalid_op 0
		.amdhsa_exception_fp_denorm_src 0
		.amdhsa_exception_fp_ieee_div_zero 0
		.amdhsa_exception_fp_ieee_overflow 0
		.amdhsa_exception_fp_ieee_underflow 0
		.amdhsa_exception_fp_ieee_inexact 0
		.amdhsa_exception_int_div_zero 0
	.end_amdhsa_kernel
	.section	.text._ZL29rocblas_internal_gemmt_kernelIlLi16ELi32ELi8ELc84ELc84ELc76ELb0ELb0E19rocblas_complex_numIfES1_PKS1_PS1_EviT_T9_T10_S5_lS7_S5_lS6_T11_S5_li,"axG",@progbits,_ZL29rocblas_internal_gemmt_kernelIlLi16ELi32ELi8ELc84ELc84ELc76ELb0ELb0E19rocblas_complex_numIfES1_PKS1_PS1_EviT_T9_T10_S5_lS7_S5_lS6_T11_S5_li,comdat
.Lfunc_end247:
	.size	_ZL29rocblas_internal_gemmt_kernelIlLi16ELi32ELi8ELc84ELc84ELc76ELb0ELb0E19rocblas_complex_numIfES1_PKS1_PS1_EviT_T9_T10_S5_lS7_S5_lS6_T11_S5_li, .Lfunc_end247-_ZL29rocblas_internal_gemmt_kernelIlLi16ELi32ELi8ELc84ELc84ELc76ELb0ELb0E19rocblas_complex_numIfES1_PKS1_PS1_EviT_T9_T10_S5_lS7_S5_lS6_T11_S5_li
                                        ; -- End function
	.set _ZL29rocblas_internal_gemmt_kernelIlLi16ELi32ELi8ELc84ELc84ELc76ELb0ELb0E19rocblas_complex_numIfES1_PKS1_PS1_EviT_T9_T10_S5_lS7_S5_lS6_T11_S5_li.num_vgpr, 71
	.set _ZL29rocblas_internal_gemmt_kernelIlLi16ELi32ELi8ELc84ELc84ELc76ELb0ELb0E19rocblas_complex_numIfES1_PKS1_PS1_EviT_T9_T10_S5_lS7_S5_lS6_T11_S5_li.num_agpr, 0
	.set _ZL29rocblas_internal_gemmt_kernelIlLi16ELi32ELi8ELc84ELc84ELc76ELb0ELb0E19rocblas_complex_numIfES1_PKS1_PS1_EviT_T9_T10_S5_lS7_S5_lS6_T11_S5_li.numbered_sgpr, 36
	.set _ZL29rocblas_internal_gemmt_kernelIlLi16ELi32ELi8ELc84ELc84ELc76ELb0ELb0E19rocblas_complex_numIfES1_PKS1_PS1_EviT_T9_T10_S5_lS7_S5_lS6_T11_S5_li.num_named_barrier, 0
	.set _ZL29rocblas_internal_gemmt_kernelIlLi16ELi32ELi8ELc84ELc84ELc76ELb0ELb0E19rocblas_complex_numIfES1_PKS1_PS1_EviT_T9_T10_S5_lS7_S5_lS6_T11_S5_li.private_seg_size, 0
	.set _ZL29rocblas_internal_gemmt_kernelIlLi16ELi32ELi8ELc84ELc84ELc76ELb0ELb0E19rocblas_complex_numIfES1_PKS1_PS1_EviT_T9_T10_S5_lS7_S5_lS6_T11_S5_li.uses_vcc, 1
	.set _ZL29rocblas_internal_gemmt_kernelIlLi16ELi32ELi8ELc84ELc84ELc76ELb0ELb0E19rocblas_complex_numIfES1_PKS1_PS1_EviT_T9_T10_S5_lS7_S5_lS6_T11_S5_li.uses_flat_scratch, 0
	.set _ZL29rocblas_internal_gemmt_kernelIlLi16ELi32ELi8ELc84ELc84ELc76ELb0ELb0E19rocblas_complex_numIfES1_PKS1_PS1_EviT_T9_T10_S5_lS7_S5_lS6_T11_S5_li.has_dyn_sized_stack, 0
	.set _ZL29rocblas_internal_gemmt_kernelIlLi16ELi32ELi8ELc84ELc84ELc76ELb0ELb0E19rocblas_complex_numIfES1_PKS1_PS1_EviT_T9_T10_S5_lS7_S5_lS6_T11_S5_li.has_recursion, 0
	.set _ZL29rocblas_internal_gemmt_kernelIlLi16ELi32ELi8ELc84ELc84ELc76ELb0ELb0E19rocblas_complex_numIfES1_PKS1_PS1_EviT_T9_T10_S5_lS7_S5_lS6_T11_S5_li.has_indirect_call, 0
	.section	.AMDGPU.csdata,"",@progbits
; Kernel info:
; codeLenInByte = 3256
; TotalNumSgprs: 38
; NumVgprs: 71
; ScratchSize: 0
; MemoryBound: 0
; FloatMode: 240
; IeeeMode: 1
; LDSByteSize: 4096 bytes/workgroup (compile time only)
; SGPRBlocks: 0
; VGPRBlocks: 8
; NumSGPRsForWavesPerEU: 38
; NumVGPRsForWavesPerEU: 71
; Occupancy: 16
; WaveLimiterHint : 0
; COMPUTE_PGM_RSRC2:SCRATCH_EN: 0
; COMPUTE_PGM_RSRC2:USER_SGPR: 2
; COMPUTE_PGM_RSRC2:TRAP_HANDLER: 0
; COMPUTE_PGM_RSRC2:TGID_X_EN: 1
; COMPUTE_PGM_RSRC2:TGID_Y_EN: 1
; COMPUTE_PGM_RSRC2:TGID_Z_EN: 1
; COMPUTE_PGM_RSRC2:TIDIG_COMP_CNT: 1
	.section	.text._ZL29rocblas_internal_gemmt_kernelIlLi16ELi32ELi8ELc84ELc67ELc76ELb0ELb1E19rocblas_complex_numIfES1_PKS1_PS1_EviT_T9_T10_S5_lS7_S5_lS6_T11_S5_li,"axG",@progbits,_ZL29rocblas_internal_gemmt_kernelIlLi16ELi32ELi8ELc84ELc67ELc76ELb0ELb1E19rocblas_complex_numIfES1_PKS1_PS1_EviT_T9_T10_S5_lS7_S5_lS6_T11_S5_li,comdat
	.globl	_ZL29rocblas_internal_gemmt_kernelIlLi16ELi32ELi8ELc84ELc67ELc76ELb0ELb1E19rocblas_complex_numIfES1_PKS1_PS1_EviT_T9_T10_S5_lS7_S5_lS6_T11_S5_li ; -- Begin function _ZL29rocblas_internal_gemmt_kernelIlLi16ELi32ELi8ELc84ELc67ELc76ELb0ELb1E19rocblas_complex_numIfES1_PKS1_PS1_EviT_T9_T10_S5_lS7_S5_lS6_T11_S5_li
	.p2align	8
	.type	_ZL29rocblas_internal_gemmt_kernelIlLi16ELi32ELi8ELc84ELc67ELc76ELb0ELb1E19rocblas_complex_numIfES1_PKS1_PS1_EviT_T9_T10_S5_lS7_S5_lS6_T11_S5_li,@function
_ZL29rocblas_internal_gemmt_kernelIlLi16ELi32ELi8ELc84ELc67ELc76ELb0ELb1E19rocblas_complex_numIfES1_PKS1_PS1_EviT_T9_T10_S5_lS7_S5_lS6_T11_S5_li: ; @_ZL29rocblas_internal_gemmt_kernelIlLi16ELi32ELi8ELc84ELc67ELc76ELb0ELb1E19rocblas_complex_numIfES1_PKS1_PS1_EviT_T9_T10_S5_lS7_S5_lS6_T11_S5_li
; %bb.0:
	s_clause 0x1
	s_load_b64 s[24:25], s[0:1], 0x48
	s_load_b128 s[12:15], s[0:1], 0x8
	s_wait_kmcnt 0x0
	s_cmp_eq_f32 s24, 1.0
	s_cselect_b32 s2, -1, 0
	s_and_b32 s3, s25, 0x7fffffff
	s_delay_alu instid0(SALU_CYCLE_1) | instskip(SKIP_1) | instid1(SALU_CYCLE_1)
	s_cmp_eq_u32 s3, 0
	s_cselect_b32 s31, -1, 0
	s_and_b32 s3, s2, s31
	s_mov_b32 s2, 0
	s_and_not1_b32 vcc_lo, exec_lo, s3
	s_mov_b32 s3, -1
	s_cbranch_vccnz .LBB248_4
; %bb.1:
	s_cmp_lg_u64 s[12:13], 0
	s_cbranch_scc0 .LBB248_3
; %bb.2:
	s_cmp_neq_f32 s14, 0
	s_cselect_b32 s2, -1, 0
	s_cmp_neq_f32 s15, 0
	s_cselect_b32 s3, -1, 0
	s_delay_alu instid0(SALU_CYCLE_1)
	s_or_b32 s2, s2, s3
.LBB248_3:
	s_delay_alu instid0(SALU_CYCLE_1)
	s_mov_b32 s3, s2
.LBB248_4:
	s_delay_alu instid0(SALU_CYCLE_1)
	s_and_b32 vcc_lo, exec_lo, s3
	s_cbranch_vccz .LBB248_42
; %bb.5:
	s_load_b32 s30, s[0:1], 0x68
	s_lshr_b32 s26, ttmp7, 16
	s_wait_kmcnt 0x0
	s_cmp_ge_u32 s26, s30
	s_cbranch_scc1 .LBB248_42
; %bb.6:
	v_and_b32_e32 v7, 0x3ff, v0
	v_bfe_u32 v8, v0, 10, 10
	s_load_b256 s[4:11], s[0:1], 0x18
	s_lshl_b32 s2, ttmp7, 5
	s_lshl_b32 s3, ttmp9, 5
	s_and_b32 s2, s2, 0x1fffe0
	v_lshl_add_u32 v2, v8, 4, v7
	s_cmp_neq_f32 s14, 0
	v_and_b32_e32 v14, 7, v0
	s_clause 0x3
	s_load_b32 s33, s[0:1], 0x0
	s_load_b128 s[16:19], s[0:1], 0x38
	s_load_b128 s[20:23], s[0:1], 0x50
	s_load_b64 s[28:29], s[0:1], 0x60
	v_and_b32_e32 v3, 31, v2
	s_cselect_b32 s0, -1, 0
	s_cmp_neq_f32 s15, 0
	v_lshrrev_b32_e32 v6, 3, v2
	v_lshrrev_b32_e32 v15, 5, v2
	v_or_b32_e32 v4, s3, v3
	s_cselect_b32 s1, -1, 0
	v_lshlrev_b32_e32 v3, 3, v3
	v_add_nc_u32_e32 v2, s2, v6
	v_add_nc_u32_e32 v11, s2, v8
	s_or_b32 s35, s0, s1
	s_wait_kmcnt 0x0
	v_mul_lo_u32 v5, s7, v4
	v_mad_co_u64_u32 v[0:1], null, s6, v4, 0
	s_ashr_i32 s7, s3, 31
	v_lshl_or_b32 v16, v15, 8, v3
	s_wait_alu 0xfffe
	s_mul_i32 s6, s6, s7
	v_add_nc_u32_e32 v12, 16, v11
	v_cmp_gt_i32_e64 s0, s33, v4
	v_lshl_add_u32 v23, v8, 6, 0x800
	s_wait_alu 0xfffe
	v_add3_u32 v1, v1, s6, v5
	v_cmp_le_i32_e64 s6, s33, v4
	s_cmp_neq_f32 s24, 0
	v_cmp_gt_i64_e64 s34, s[12:13], 0
	s_mov_b32 s27, 0
	v_lshlrev_b64_e32 v[0:1], 3, v[0:1]
	s_delay_alu instid0(VALU_DEP_1) | instskip(NEXT) | instid1(VALU_DEP_1)
	v_add_co_u32 v17, vcc_lo, s4, v0
	v_add_co_ci_u32_e64 v18, null, s5, v1, vcc_lo
	v_mov_b32_e32 v1, 0
	v_lshlrev_b32_e32 v9, 3, v14
	v_cmp_gt_i32_e32 vcc_lo, s33, v2
	v_lshlrev_b32_e32 v0, 3, v2
	v_mad_co_u64_u32 v[2:3], null, s22, v11, 0
	s_delay_alu instid0(VALU_DEP_4) | instskip(NEXT) | instid1(VALU_DEP_3)
	v_lshl_or_b32 v5, v6, 6, v9
	v_add_co_u32 v20, s1, s10, v0
	s_delay_alu instid0(VALU_DEP_1) | instskip(NEXT) | instid1(VALU_DEP_3)
	v_add_co_ci_u32_e64 v21, null, s11, 0, s1
	v_add_nc_u32_e32 v19, 0x800, v5
	v_mad_co_u64_u32 v[4:5], null, s22, v12, 0
	v_mov_b32_e32 v0, v3
	v_add_nc_u32_e32 v6, s3, v7
	v_lshlrev_b32_e32 v22, 3, v7
	s_cselect_b32 s11, -1, 0
	s_xor_b32 s22, s31, -1
	v_mad_co_u64_u32 v[9:10], null, s23, v11, v[0:1]
	v_add_nc_u32_e32 v8, 16, v6
	v_mov_b32_e32 v0, v5
	v_cmp_le_i32_e64 s1, v11, v6
	v_cmp_gt_i32_e64 s2, s33, v6
	v_ashrrev_i32_e32 v7, 31, v6
	v_cmp_le_i32_e64 s3, v11, v8
	v_mad_co_u64_u32 v[10:11], null, s23, v12, v[0:1]
	v_cmp_gt_i32_e64 s4, s33, v8
	v_mov_b32_e32 v3, v9
	v_ashrrev_i32_e32 v9, 31, v8
	s_and_b32 s5, s1, s2
	v_cmp_le_i32_e64 s1, v12, v6
	s_and_b32 s7, s3, s4
	v_mov_b32_e32 v5, v10
	v_cmp_le_i32_e64 s3, v12, v8
	v_lshlrev_b64_e32 v[2:3], 3, v[2:3]
	v_lshlrev_b64_e32 v[6:7], 3, v[6:7]
	;; [unrolled: 1-line block ×4, first 2 shown]
	s_and_b32 s10, s35, s34
	s_wait_alu 0xfffe
	s_or_b32 s11, s11, s22
	s_and_b32 s1, s1, s2
	s_and_b32 s4, s3, s4
	s_xor_b32 s22, vcc_lo, -1
                                        ; implicit-def: $vgpr10_vgpr11
	s_branch .LBB248_8
.LBB248_7:                              ;   in Loop: Header=BB248_8 Depth=1
	s_wait_alu 0xfffe
	s_or_b32 exec_lo, exec_lo, s2
	s_add_co_i32 s26, s26, 0x10000
	s_delay_alu instid0(SALU_CYCLE_1)
	s_cmp_lt_u32 s26, s30
	s_cbranch_scc0 .LBB248_42
.LBB248_8:                              ; =>This Loop Header: Depth=1
                                        ;     Child Loop BB248_11 Depth 2
	s_and_not1_b32 vcc_lo, exec_lo, s10
	s_wait_alu 0xfffe
	s_cbranch_vccnz .LBB248_21
; %bb.9:                                ;   in Loop: Header=BB248_8 Depth=1
	s_mul_u64 s[2:3], s[8:9], s[26:27]
	s_mul_u64 s[34:35], s[18:19], s[26:27]
	s_wait_alu 0xfffe
	s_lshl_b64 s[2:3], s[2:3], 3
	v_dual_mov_b32 v26, 0 :: v_dual_mov_b32 v27, 0
	s_wait_alu 0xfffe
	v_add_co_u32 v12, vcc_lo, v17, s2
	s_wait_alu 0xfffd
	v_add_co_ci_u32_e64 v13, null, s3, v18, vcc_lo
	s_lshl_b64 s[2:3], s[34:35], 3
	v_dual_mov_b32 v29, 0 :: v_dual_mov_b32 v28, 0
	s_wait_alu 0xfffe
	v_add_co_u32 v24, vcc_lo, v20, s2
	s_wait_alu 0xfffd
	v_add_co_ci_u32_e64 v25, null, s3, v21, vcc_lo
	v_dual_mov_b32 v31, 0 :: v_dual_mov_b32 v30, 0
	v_dual_mov_b32 v33, 0 :: v_dual_mov_b32 v32, 0
	s_mov_b64 s[2:3], 0
	s_branch .LBB248_11
.LBB248_10:                             ;   in Loop: Header=BB248_11 Depth=2
	s_or_b32 exec_lo, exec_lo, s23
	ds_store_b32 v19, v34 offset:4
	s_wait_dscnt 0x0
	s_barrier_signal -1
	s_barrier_wait -1
	global_inv scope:SCOPE_SE
	ds_load_b128 v[34:37], v23
	ds_load_2addr_b64 v[38:41], v22 offset1:16
	ds_load_b128 v[42:45], v23 offset:1024
	ds_load_b128 v[46:49], v23 offset:16
	;; [unrolled: 1-line block ×4, first 2 shown]
	ds_load_2addr_b64 v[58:61], v22 offset0:32 offset1:48
	ds_load_b128 v[62:65], v23 offset:1040
	s_add_nc_u64 s[2:3], s[2:3], 8
	s_wait_alu 0xfffe
	v_cmp_gt_i64_e64 s23, s[12:13], s[2:3]
	s_and_b32 vcc_lo, exec_lo, s23
	s_wait_dscnt 0x6
	v_mul_f32_e32 v0, v35, v39
	v_dual_mul_f32 v66, v34, v39 :: v_dual_mul_f32 v67, v35, v41
	s_wait_dscnt 0x5
	v_dual_mul_f32 v68, v34, v41 :: v_dual_mul_f32 v69, v43, v39
	v_dual_mul_f32 v39, v42, v39 :: v_dual_mul_f32 v70, v43, v41
	v_mul_f32_e32 v41, v42, v41
	v_fma_f32 v0, v34, v38, -v0
	v_fma_f32 v34, v34, v40, -v67
	s_delay_alu instid0(VALU_DEP_4)
	v_fmac_f32_e32 v39, v43, v38
	v_fmac_f32_e32 v68, v35, v40
	;; [unrolled: 1-line block ×3, first 2 shown]
	v_add_f32_e32 v0, v32, v0
	v_fmac_f32_e32 v66, v35, v38
	v_fma_f32 v35, v42, v38, -v69
	s_delay_alu instid0(VALU_DEP_2)
	v_add_f32_e32 v32, v33, v66
	v_add_f32_e32 v33, v30, v34
	v_fma_f32 v30, v42, v40, -v70
	s_wait_dscnt 0x1
	v_mul_f32_e32 v38, v37, v59
	v_add_f32_e32 v34, v28, v35
	v_dual_add_f32 v35, v29, v39 :: v_dual_add_f32 v26, v26, v41
	v_add_f32_e32 v39, v27, v30
	ds_load_2addr_b64 v[27:30], v22 offset0:64 offset1:80
	v_fma_f32 v38, v36, v58, -v38
	v_mul_f32_e32 v42, v37, v61
	v_mul_f32_e32 v41, v36, v61
	s_delay_alu instid0(VALU_DEP_3) | instskip(SKIP_1) | instid1(VALU_DEP_3)
	v_dual_add_f32 v31, v31, v68 :: v_dual_add_f32 v0, v0, v38
	v_mul_f32_e32 v38, v45, v59
	v_dual_mul_f32 v40, v36, v59 :: v_dual_fmac_f32 v41, v37, v60
	v_fma_f32 v36, v36, v60, -v42
	s_delay_alu instid0(VALU_DEP_2) | instskip(SKIP_1) | instid1(VALU_DEP_3)
	v_fmac_f32_e32 v40, v37, v58
	v_mul_f32_e32 v37, v45, v61
	v_add_f32_e32 v36, v33, v36
	v_fma_f32 v33, v44, v58, -v38
	v_add_f32_e32 v38, v31, v41
	v_mul_f32_e32 v41, v44, v61
	v_fma_f32 v31, v44, v60, -v37
	v_add_f32_e32 v40, v32, v40
	v_mul_f32_e32 v32, v44, v59
	s_wait_dscnt 0x0
	v_dual_add_f32 v42, v34, v33 :: v_dual_mul_f32 v33, v47, v28
	v_fmac_f32_e32 v41, v45, v60
	s_delay_alu instid0(VALU_DEP_3) | instskip(SKIP_1) | instid1(VALU_DEP_4)
	v_dual_mul_f32 v37, v46, v28 :: v_dual_fmac_f32 v32, v45, v58
	v_add_f32_e32 v39, v39, v31
	v_fma_f32 v43, v46, v27, -v33
	s_delay_alu instid0(VALU_DEP_3) | instskip(NEXT) | instid1(VALU_DEP_4)
	v_fmac_f32_e32 v37, v47, v27
	v_add_f32_e32 v35, v35, v32
	ds_load_2addr_b64 v[31:34], v22 offset0:96 offset1:112
	v_mul_f32_e32 v44, v47, v30
	v_add_f32_e32 v0, v0, v43
	v_dual_add_f32 v37, v40, v37 :: v_dual_mul_f32 v40, v63, v28
	v_mul_f32_e32 v28, v62, v28
	s_delay_alu instid0(VALU_DEP_4)
	v_fma_f32 v43, v46, v29, -v44
	v_add_f32_e32 v41, v26, v41
	v_mul_f32_e32 v26, v46, v30
	v_fma_f32 v40, v62, v27, -v40
	v_fmac_f32_e32 v28, v63, v27
	v_dual_add_f32 v36, v36, v43 :: v_dual_mul_f32 v43, v63, v30
	v_mul_f32_e32 v30, v62, v30
	s_delay_alu instid0(VALU_DEP_4) | instskip(NEXT) | instid1(VALU_DEP_4)
	v_add_f32_e32 v40, v42, v40
	v_add_f32_e32 v42, v35, v28
	s_wait_dscnt 0x0
	s_delay_alu instid0(VALU_DEP_3) | instskip(NEXT) | instid1(VALU_DEP_1)
	v_dual_fmac_f32 v30, v63, v29 :: v_dual_mul_f32 v35, v49, v32
	v_add_f32_e32 v41, v41, v30
	s_delay_alu instid0(VALU_DEP_2) | instskip(NEXT) | instid1(VALU_DEP_1)
	v_fma_f32 v35, v48, v31, -v35
	v_dual_add_f32 v0, v0, v35 :: v_dual_mul_f32 v35, v65, v32
	v_dual_fmac_f32 v26, v47, v29 :: v_dual_mul_f32 v47, v65, v34
	s_delay_alu instid0(VALU_DEP_2) | instskip(NEXT) | instid1(VALU_DEP_2)
	v_fma_f32 v46, v64, v31, -v35
	v_add_f32_e32 v44, v38, v26
	v_fma_f32 v26, v62, v29, -v43
	v_dual_mul_f32 v38, v48, v32 :: v_dual_mul_f32 v43, v49, v34
	s_delay_alu instid0(VALU_DEP_2) | instskip(SKIP_3) | instid1(VALU_DEP_2)
	v_dual_mul_f32 v32, v64, v32 :: v_dual_add_f32 v39, v39, v26
	ds_load_2addr_b64 v[26:29], v22 offset0:128 offset1:144
	v_fmac_f32_e32 v38, v49, v31
	v_fma_f32 v43, v48, v33, -v43
	v_add_f32_e32 v45, v37, v38
	s_delay_alu instid0(VALU_DEP_2) | instskip(SKIP_4) | instid1(VALU_DEP_2)
	v_add_f32_e32 v43, v36, v43
	ds_load_b128 v[35:38], v23 offset:1056
	v_mul_f32_e32 v30, v48, v34
	v_fmac_f32_e32 v32, v65, v31
	s_wait_dscnt 0x1
	v_dual_fmac_f32 v30, v49, v33 :: v_dual_mul_f32 v49, v50, v27
	s_delay_alu instid0(VALU_DEP_1) | instskip(SKIP_2) | instid1(VALU_DEP_4)
	v_dual_mul_f32 v31, v51, v27 :: v_dual_add_f32 v44, v44, v30
	v_fma_f32 v30, v64, v33, -v47
	v_add_f32_e32 v47, v42, v32
	v_fmac_f32_e32 v49, v51, v26
	s_delay_alu instid0(VALU_DEP_3) | instskip(SKIP_1) | instid1(VALU_DEP_3)
	v_add_f32_e32 v48, v39, v30
	v_fma_f32 v39, v50, v26, -v31
	v_dual_add_f32 v45, v45, v49 :: v_dual_mul_f32 v34, v64, v34
	s_delay_alu instid0(VALU_DEP_2) | instskip(NEXT) | instid1(VALU_DEP_2)
	v_add_f32_e32 v0, v0, v39
	v_fmac_f32_e32 v34, v65, v33
	ds_load_2addr_b64 v[30:33], v22 offset0:160 offset1:176
	v_add_f32_e32 v46, v40, v46
	v_mul_f32_e32 v40, v51, v29
	s_delay_alu instid0(VALU_DEP_1) | instskip(NEXT) | instid1(VALU_DEP_1)
	v_fma_f32 v58, v50, v28, -v40
	v_dual_mul_f32 v50, v50, v29 :: v_dual_add_f32 v43, v43, v58
	s_delay_alu instid0(VALU_DEP_1)
	v_fmac_f32_e32 v50, v51, v28
	v_add_f32_e32 v34, v41, v34
	ds_load_b128 v[39:42], v23 offset:1072
	s_wait_dscnt 0x2
	v_mul_f32_e32 v59, v36, v27
	v_dual_mul_f32 v27, v35, v27 :: v_dual_add_f32 v44, v44, v50
	v_mul_f32_e32 v50, v35, v29
	v_mul_f32_e32 v51, v36, v29
	s_delay_alu instid0(VALU_DEP_4) | instskip(NEXT) | instid1(VALU_DEP_4)
	v_fma_f32 v49, v35, v26, -v59
	v_fmac_f32_e32 v27, v36, v26
	s_delay_alu instid0(VALU_DEP_4)
	v_fmac_f32_e32 v50, v36, v28
	s_wait_dscnt 0x1
	v_mul_f32_e32 v36, v52, v31
	v_fma_f32 v26, v35, v28, -v51
	v_add_f32_e32 v35, v47, v27
	v_mul_f32_e32 v47, v53, v31
	s_delay_alu instid0(VALU_DEP_4) | instskip(NEXT) | instid1(VALU_DEP_2)
	v_fmac_f32_e32 v36, v53, v30
	v_fma_f32 v47, v52, v30, -v47
	s_delay_alu instid0(VALU_DEP_2) | instskip(SKIP_1) | instid1(VALU_DEP_3)
	v_dual_add_f32 v45, v45, v36 :: v_dual_mul_f32 v36, v38, v31
	v_dual_mul_f32 v31, v37, v31 :: v_dual_add_f32 v46, v46, v49
	v_dual_mul_f32 v49, v53, v33 :: v_dual_add_f32 v0, v0, v47
	s_delay_alu instid0(VALU_DEP_3) | instskip(NEXT) | instid1(VALU_DEP_3)
	v_fma_f32 v36, v37, v30, -v36
	v_dual_fmac_f32 v31, v38, v30 :: v_dual_mul_f32 v30, v37, v33
	s_delay_alu instid0(VALU_DEP_3) | instskip(NEXT) | instid1(VALU_DEP_2)
	v_fma_f32 v47, v52, v32, -v49
	v_dual_add_f32 v31, v35, v31 :: v_dual_fmac_f32 v30, v38, v32
	s_delay_alu instid0(VALU_DEP_2)
	v_add_f32_e32 v43, v43, v47
	v_dual_mul_f32 v47, v38, v33 :: v_dual_add_f32 v48, v48, v26
	ds_load_2addr_b64 v[26:29], v22 offset0:192 offset1:208
	v_add_f32_e32 v50, v34, v50
	v_mul_f32_e32 v34, v52, v33
	v_fma_f32 v33, v37, v32, -v47
	s_wait_dscnt 0x0
	s_delay_alu instid0(VALU_DEP_2) | instskip(NEXT) | instid1(VALU_DEP_1)
	v_dual_fmac_f32 v34, v53, v32 :: v_dual_mul_f32 v47, v55, v29
	v_fma_f32 v47, v54, v28, -v47
	s_delay_alu instid0(VALU_DEP_1) | instskip(SKIP_3) | instid1(VALU_DEP_3)
	v_dual_add_f32 v43, v43, v47 :: v_dual_add_f32 v32, v48, v33
	v_mul_f32_e32 v33, v54, v27
	v_mul_f32_e32 v48, v40, v27
	;; [unrolled: 1-line block ×3, first 2 shown]
	v_dual_fmac_f32 v33, v55, v26 :: v_dual_add_f32 v46, v46, v36
	s_delay_alu instid0(VALU_DEP_1) | instskip(SKIP_3) | instid1(VALU_DEP_3)
	v_dual_add_f32 v33, v45, v33 :: v_dual_add_f32 v44, v44, v34
	v_mul_f32_e32 v34, v55, v27
	v_mul_f32_e32 v27, v39, v27
	v_fma_f32 v45, v39, v26, -v48
	v_fma_f32 v38, v54, v26, -v34
	ds_load_2addr_b64 v[34:37], v22 offset0:224 offset1:240
	v_fmac_f32_e32 v27, v40, v26
	s_wait_loadcnt_dscnt 0x0
	s_barrier_signal -1
	v_add_f32_e32 v0, v0, v38
	s_barrier_wait -1
	v_dual_add_f32 v27, v31, v27 :: v_dual_mul_f32 v38, v54, v29
	v_mul_f32_e32 v29, v39, v29
	v_fma_f32 v39, v39, v28, -v47
	v_add_f32_e32 v30, v50, v30
	global_inv scope:SCOPE_SE
	v_fmac_f32_e32 v38, v55, v28
	v_fmac_f32_e32 v29, v40, v28
	s_delay_alu instid0(VALU_DEP_1) | instskip(SKIP_4) | instid1(VALU_DEP_4)
	v_dual_add_f32 v39, v32, v39 :: v_dual_add_f32 v40, v30, v29
	v_mul_f32_e32 v31, v57, v35
	v_mul_f32_e32 v32, v57, v37
	;; [unrolled: 1-line block ×4, first 2 shown]
	v_fma_f32 v31, v56, v34, -v31
	s_delay_alu instid0(VALU_DEP_4) | instskip(NEXT) | instid1(VALU_DEP_4)
	v_fma_f32 v30, v56, v36, -v32
	v_fmac_f32_e32 v28, v57, v34
	s_delay_alu instid0(VALU_DEP_4) | instskip(NEXT) | instid1(VALU_DEP_4)
	v_dual_fmac_f32 v29, v57, v36 :: v_dual_add_f32 v26, v44, v38
	v_add_f32_e32 v32, v0, v31
	v_mul_f32_e32 v0, v42, v35
	v_add_f32_e32 v38, v46, v45
	v_dual_add_f32 v30, v43, v30 :: v_dual_mul_f32 v35, v41, v35
	v_mul_f32_e32 v43, v42, v37
	s_delay_alu instid0(VALU_DEP_4)
	v_fma_f32 v0, v41, v34, -v0
	v_mul_f32_e32 v37, v41, v37
	v_add_f32_e32 v33, v33, v28
	v_fmac_f32_e32 v35, v42, v34
	v_add_f32_e32 v31, v26, v29
	v_add_f32_e32 v28, v38, v0
	v_fma_f32 v0, v41, v36, -v43
	v_fmac_f32_e32 v37, v42, v36
	v_add_f32_e32 v29, v27, v35
	s_delay_alu instid0(VALU_DEP_2)
	v_dual_add_f32 v27, v39, v0 :: v_dual_add_f32 v26, v40, v37
	s_wait_alu 0xfffe
	s_cbranch_vccz .LBB248_22
.LBB248_11:                             ;   Parent Loop BB248_8 Depth=1
                                        ; =>  This Inner Loop Header: Depth=2
	s_mov_b32 s23, 0
	s_mov_b32 s33, s6
	s_and_saveexec_b32 s31, s0
	s_cbranch_execnz .LBB248_19
; %bb.12:                               ;   in Loop: Header=BB248_11 Depth=2
	s_or_b32 exec_lo, exec_lo, s31
	s_wait_alu 0xfffe
	s_and_saveexec_b32 s31, s33
	s_delay_alu instid0(SALU_CYCLE_1)
	s_xor_b32 s31, exec_lo, s31
	s_cbranch_execnz .LBB248_20
.LBB248_13:                             ;   in Loop: Header=BB248_11 Depth=2
	s_or_b32 exec_lo, exec_lo, s31
	s_and_saveexec_b32 s31, s23
	s_cbranch_execz .LBB248_15
.LBB248_14:                             ;   in Loop: Header=BB248_11 Depth=2
	v_lshlrev_b64_e32 v[34:35], 3, v[10:11]
	s_delay_alu instid0(VALU_DEP_1) | instskip(SKIP_1) | instid1(VALU_DEP_2)
	v_add_co_u32 v34, vcc_lo, v12, v34
	s_wait_alu 0xfffd
	v_add_co_ci_u32_e64 v35, null, v13, v35, vcc_lo
	global_load_b64 v[34:35], v[34:35], off
	s_wait_loadcnt 0x0
	ds_store_b64 v16, v[34:35]
.LBB248_15:                             ;   in Loop: Header=BB248_11 Depth=2
	s_or_b32 exec_lo, exec_lo, s31
	v_add_nc_u32_e32 v0, s2, v14
	s_delay_alu instid0(VALU_DEP_1) | instskip(SKIP_3) | instid1(SALU_CYCLE_1)
	v_cmp_le_u64_e32 vcc_lo, s[12:13], v[0:1]
	s_or_b32 s23, vcc_lo, s22
	s_wait_alu 0xfffe
	s_and_saveexec_b32 s31, s23
	s_xor_b32 s23, exec_lo, s31
; %bb.16:                               ;   in Loop: Header=BB248_11 Depth=2
	ds_store_b32 v19, v1
; %bb.17:                               ;   in Loop: Header=BB248_11 Depth=2
	s_wait_alu 0xfffe
	s_or_saveexec_b32 s23, s23
	v_mov_b32_e32 v34, 0
	s_wait_alu 0xfffe
	s_xor_b32 exec_lo, exec_lo, s23
	s_cbranch_execz .LBB248_10
; %bb.18:                               ;   in Loop: Header=BB248_11 Depth=2
	v_mad_co_u64_u32 v[34:35], null, s16, v0, 0
	s_delay_alu instid0(VALU_DEP_1) | instskip(NEXT) | instid1(VALU_DEP_1)
	v_mad_co_u64_u32 v[35:36], null, s17, v0, v[35:36]
	v_lshlrev_b64_e32 v[34:35], 3, v[34:35]
	s_delay_alu instid0(VALU_DEP_1) | instskip(SKIP_1) | instid1(VALU_DEP_2)
	v_add_co_u32 v34, vcc_lo, v24, v34
	s_wait_alu 0xfffd
	v_add_co_ci_u32_e64 v35, null, v25, v35, vcc_lo
	global_load_b64 v[35:36], v[34:35], off
	s_wait_loadcnt 0x0
	v_xor_b32_e32 v34, 0x80000000, v36
	ds_store_b32 v19, v35
	s_branch .LBB248_10
.LBB248_19:                             ;   in Loop: Header=BB248_11 Depth=2
	s_wait_alu 0xfffe
	v_add_nc_u32_e32 v0, s2, v15
	v_mov_b32_e32 v11, v1
	s_and_not1_b32 s33, s6, exec_lo
	s_mov_b32 s23, exec_lo
	s_delay_alu instid0(VALU_DEP_2)
	v_cmp_le_u64_e32 vcc_lo, s[12:13], v[0:1]
	v_mov_b32_e32 v10, v0
	s_and_b32 s34, vcc_lo, exec_lo
	s_wait_alu 0xfffe
	s_or_b32 s33, s33, s34
	s_or_b32 exec_lo, exec_lo, s31
	s_wait_alu 0xfffe
	s_and_saveexec_b32 s31, s33
	s_delay_alu instid0(SALU_CYCLE_1)
	s_xor_b32 s31, exec_lo, s31
	s_cbranch_execz .LBB248_13
.LBB248_20:                             ;   in Loop: Header=BB248_11 Depth=2
	v_mov_b32_e32 v0, v1
	s_and_not1_b32 s23, s23, exec_lo
	ds_store_b64 v16, v[0:1]
	s_or_b32 exec_lo, exec_lo, s31
	s_wait_alu 0xfffe
	s_and_saveexec_b32 s31, s23
	s_cbranch_execnz .LBB248_14
	s_branch .LBB248_15
.LBB248_21:                             ;   in Loop: Header=BB248_8 Depth=1
	v_dual_mov_b32 v32, v1 :: v_dual_mov_b32 v33, v1
	v_dual_mov_b32 v30, v1 :: v_dual_mov_b32 v31, v1
	;; [unrolled: 1-line block ×4, first 2 shown]
.LBB248_22:                             ;   in Loop: Header=BB248_8 Depth=1
	s_mul_u64 s[2:3], s[28:29], s[26:27]
	s_wait_alu 0xfffe
	s_lshl_b64 s[2:3], s[2:3], 3
	s_wait_alu 0xfffe
	s_add_nc_u64 s[2:3], s[20:21], s[2:3]
	s_wait_alu 0xfffe
	v_add_co_u32 v0, vcc_lo, s2, v2
	s_wait_alu 0xfffd
	v_add_co_ci_u32_e64 v24, null, s3, v3, vcc_lo
	s_and_saveexec_b32 s23, s5
	s_cbranch_execz .LBB248_27
; %bb.23:                               ;   in Loop: Header=BB248_8 Depth=1
	v_mul_f32_e32 v13, s14, v33
	v_mul_f32_e32 v12, s15, v33
	s_and_b32 vcc_lo, exec_lo, s11
	s_mov_b32 s31, -1
	s_delay_alu instid0(VALU_DEP_2) | instskip(NEXT) | instid1(VALU_DEP_2)
	v_fmac_f32_e32 v13, s15, v32
	v_fma_f32 v12, v32, s14, -v12
	s_wait_alu 0xfffe
	s_cbranch_vccz .LBB248_25
; %bb.24:                               ;   in Loop: Header=BB248_8 Depth=1
	v_add_co_u32 v32, vcc_lo, v0, v6
	s_wait_alu 0xfffd
	v_add_co_ci_u32_e64 v33, null, v24, v7, vcc_lo
	s_mov_b32 s31, 0
	global_load_b64 v[34:35], v[32:33], off
	s_wait_loadcnt 0x0
	v_mul_f32_e32 v25, s25, v35
	s_delay_alu instid0(VALU_DEP_1) | instskip(SKIP_1) | instid1(VALU_DEP_1)
	v_fma_f32 v25, v34, s24, -v25
	v_mul_f32_e32 v35, s24, v35
	v_dual_fmac_f32 v35, s25, v34 :: v_dual_add_f32 v34, v12, v25
	s_delay_alu instid0(VALU_DEP_1)
	v_add_f32_e32 v35, v13, v35
	global_store_b64 v[32:33], v[34:35], off
.LBB248_25:                             ;   in Loop: Header=BB248_8 Depth=1
	s_and_not1_b32 vcc_lo, exec_lo, s31
	s_wait_alu 0xfffe
	s_cbranch_vccnz .LBB248_27
; %bb.26:                               ;   in Loop: Header=BB248_8 Depth=1
	v_add_co_u32 v32, vcc_lo, v0, v6
	s_wait_alu 0xfffd
	v_add_co_ci_u32_e64 v33, null, v24, v7, vcc_lo
	global_store_b64 v[32:33], v[12:13], off
.LBB248_27:                             ;   in Loop: Header=BB248_8 Depth=1
	s_wait_alu 0xfffe
	s_or_b32 exec_lo, exec_lo, s23
	s_and_saveexec_b32 s23, s7
	s_cbranch_execz .LBB248_32
; %bb.28:                               ;   in Loop: Header=BB248_8 Depth=1
	v_mul_f32_e32 v13, s14, v31
	v_mul_f32_e32 v12, s15, v31
	s_and_not1_b32 vcc_lo, exec_lo, s11
	s_mov_b32 s31, -1
	s_delay_alu instid0(VALU_DEP_2) | instskip(NEXT) | instid1(VALU_DEP_2)
	v_fmac_f32_e32 v13, s15, v30
	v_fma_f32 v12, v30, s14, -v12
	s_wait_alu 0xfffe
	s_cbranch_vccnz .LBB248_30
; %bb.29:                               ;   in Loop: Header=BB248_8 Depth=1
	v_add_co_u32 v30, vcc_lo, v0, v8
	s_wait_alu 0xfffd
	v_add_co_ci_u32_e64 v31, null, v24, v9, vcc_lo
	s_mov_b32 s31, 0
	global_load_b64 v[32:33], v[30:31], off
	s_wait_loadcnt 0x0
	v_mul_f32_e32 v25, s25, v33
	v_mul_f32_e32 v33, s24, v33
	s_delay_alu instid0(VALU_DEP_2) | instskip(NEXT) | instid1(VALU_DEP_1)
	v_fma_f32 v25, v32, s24, -v25
	v_dual_fmac_f32 v33, s25, v32 :: v_dual_add_f32 v32, v12, v25
	s_delay_alu instid0(VALU_DEP_1)
	v_add_f32_e32 v33, v13, v33
	global_store_b64 v[30:31], v[32:33], off
.LBB248_30:                             ;   in Loop: Header=BB248_8 Depth=1
	s_and_not1_b32 vcc_lo, exec_lo, s31
	s_wait_alu 0xfffe
	s_cbranch_vccnz .LBB248_32
; %bb.31:                               ;   in Loop: Header=BB248_8 Depth=1
	v_add_co_u32 v30, vcc_lo, v0, v8
	s_wait_alu 0xfffd
	v_add_co_ci_u32_e64 v31, null, v24, v9, vcc_lo
	global_store_b64 v[30:31], v[12:13], off
.LBB248_32:                             ;   in Loop: Header=BB248_8 Depth=1
	s_wait_alu 0xfffe
	s_or_b32 exec_lo, exec_lo, s23
	v_add_co_u32 v0, vcc_lo, s2, v4
	s_wait_alu 0xfffd
	v_add_co_ci_u32_e64 v24, null, s3, v5, vcc_lo
	s_and_saveexec_b32 s2, s1
	s_cbranch_execz .LBB248_37
; %bb.33:                               ;   in Loop: Header=BB248_8 Depth=1
	v_mul_f32_e32 v13, s14, v29
	v_mul_f32_e32 v12, s15, v29
	s_and_not1_b32 vcc_lo, exec_lo, s11
	s_mov_b32 s3, -1
	s_delay_alu instid0(VALU_DEP_2) | instskip(NEXT) | instid1(VALU_DEP_2)
	v_fmac_f32_e32 v13, s15, v28
	v_fma_f32 v12, v28, s14, -v12
	s_wait_alu 0xfffe
	s_cbranch_vccnz .LBB248_35
; %bb.34:                               ;   in Loop: Header=BB248_8 Depth=1
	v_add_co_u32 v28, vcc_lo, v0, v6
	s_wait_alu 0xfffd
	v_add_co_ci_u32_e64 v29, null, v24, v7, vcc_lo
	s_mov_b32 s3, 0
	global_load_b64 v[30:31], v[28:29], off
	s_wait_loadcnt 0x0
	v_mul_f32_e32 v25, s25, v31
	s_delay_alu instid0(VALU_DEP_1) | instskip(SKIP_1) | instid1(VALU_DEP_1)
	v_fma_f32 v25, v30, s24, -v25
	v_mul_f32_e32 v31, s24, v31
	v_dual_fmac_f32 v31, s25, v30 :: v_dual_add_f32 v30, v12, v25
	s_delay_alu instid0(VALU_DEP_1)
	v_add_f32_e32 v31, v13, v31
	global_store_b64 v[28:29], v[30:31], off
.LBB248_35:                             ;   in Loop: Header=BB248_8 Depth=1
	s_wait_alu 0xfffe
	s_and_not1_b32 vcc_lo, exec_lo, s3
	s_wait_alu 0xfffe
	s_cbranch_vccnz .LBB248_37
; %bb.36:                               ;   in Loop: Header=BB248_8 Depth=1
	v_add_co_u32 v28, vcc_lo, v0, v6
	s_wait_alu 0xfffd
	v_add_co_ci_u32_e64 v29, null, v24, v7, vcc_lo
	global_store_b64 v[28:29], v[12:13], off
.LBB248_37:                             ;   in Loop: Header=BB248_8 Depth=1
	s_wait_alu 0xfffe
	s_or_b32 exec_lo, exec_lo, s2
	s_and_saveexec_b32 s2, s4
	s_cbranch_execz .LBB248_7
; %bb.38:                               ;   in Loop: Header=BB248_8 Depth=1
	v_mul_f32_e32 v13, s14, v26
	v_mul_f32_e32 v12, s15, v26
	s_and_not1_b32 vcc_lo, exec_lo, s11
	s_mov_b32 s3, -1
	s_delay_alu instid0(VALU_DEP_2) | instskip(NEXT) | instid1(VALU_DEP_2)
	v_fmac_f32_e32 v13, s15, v27
	v_fma_f32 v12, v27, s14, -v12
	s_wait_alu 0xfffe
	s_cbranch_vccnz .LBB248_40
; %bb.39:                               ;   in Loop: Header=BB248_8 Depth=1
	v_add_co_u32 v25, vcc_lo, v0, v8
	s_wait_alu 0xfffd
	v_add_co_ci_u32_e64 v26, null, v24, v9, vcc_lo
	s_mov_b32 s3, 0
	global_load_b64 v[27:28], v[25:26], off
	s_wait_loadcnt 0x0
	v_mul_f32_e32 v29, s25, v28
	v_mul_f32_e32 v28, s24, v28
	s_delay_alu instid0(VALU_DEP_1) | instskip(NEXT) | instid1(VALU_DEP_3)
	v_fmac_f32_e32 v28, s25, v27
	v_fma_f32 v29, v27, s24, -v29
	s_delay_alu instid0(VALU_DEP_1)
	v_dual_add_f32 v28, v13, v28 :: v_dual_add_f32 v27, v12, v29
	global_store_b64 v[25:26], v[27:28], off
.LBB248_40:                             ;   in Loop: Header=BB248_8 Depth=1
	s_wait_alu 0xfffe
	s_and_not1_b32 vcc_lo, exec_lo, s3
	s_wait_alu 0xfffe
	s_cbranch_vccnz .LBB248_7
; %bb.41:                               ;   in Loop: Header=BB248_8 Depth=1
	v_add_co_u32 v25, vcc_lo, v0, v8
	s_wait_alu 0xfffd
	v_add_co_ci_u32_e64 v26, null, v24, v9, vcc_lo
	global_store_b64 v[25:26], v[12:13], off
	s_branch .LBB248_7
.LBB248_42:
	s_endpgm
	.section	.rodata,"a",@progbits
	.p2align	6, 0x0
	.amdhsa_kernel _ZL29rocblas_internal_gemmt_kernelIlLi16ELi32ELi8ELc84ELc67ELc76ELb0ELb1E19rocblas_complex_numIfES1_PKS1_PS1_EviT_T9_T10_S5_lS7_S5_lS6_T11_S5_li
		.amdhsa_group_segment_fixed_size 4096
		.amdhsa_private_segment_fixed_size 0
		.amdhsa_kernarg_size 108
		.amdhsa_user_sgpr_count 2
		.amdhsa_user_sgpr_dispatch_ptr 0
		.amdhsa_user_sgpr_queue_ptr 0
		.amdhsa_user_sgpr_kernarg_segment_ptr 1
		.amdhsa_user_sgpr_dispatch_id 0
		.amdhsa_user_sgpr_private_segment_size 0
		.amdhsa_wavefront_size32 1
		.amdhsa_uses_dynamic_stack 0
		.amdhsa_enable_private_segment 0
		.amdhsa_system_sgpr_workgroup_id_x 1
		.amdhsa_system_sgpr_workgroup_id_y 1
		.amdhsa_system_sgpr_workgroup_id_z 1
		.amdhsa_system_sgpr_workgroup_info 0
		.amdhsa_system_vgpr_workitem_id 1
		.amdhsa_next_free_vgpr 71
		.amdhsa_next_free_sgpr 36
		.amdhsa_reserve_vcc 1
		.amdhsa_float_round_mode_32 0
		.amdhsa_float_round_mode_16_64 0
		.amdhsa_float_denorm_mode_32 3
		.amdhsa_float_denorm_mode_16_64 3
		.amdhsa_fp16_overflow 0
		.amdhsa_workgroup_processor_mode 1
		.amdhsa_memory_ordered 1
		.amdhsa_forward_progress 1
		.amdhsa_inst_pref_size 26
		.amdhsa_round_robin_scheduling 0
		.amdhsa_exception_fp_ieee_invalid_op 0
		.amdhsa_exception_fp_denorm_src 0
		.amdhsa_exception_fp_ieee_div_zero 0
		.amdhsa_exception_fp_ieee_overflow 0
		.amdhsa_exception_fp_ieee_underflow 0
		.amdhsa_exception_fp_ieee_inexact 0
		.amdhsa_exception_int_div_zero 0
	.end_amdhsa_kernel
	.section	.text._ZL29rocblas_internal_gemmt_kernelIlLi16ELi32ELi8ELc84ELc67ELc76ELb0ELb1E19rocblas_complex_numIfES1_PKS1_PS1_EviT_T9_T10_S5_lS7_S5_lS6_T11_S5_li,"axG",@progbits,_ZL29rocblas_internal_gemmt_kernelIlLi16ELi32ELi8ELc84ELc67ELc76ELb0ELb1E19rocblas_complex_numIfES1_PKS1_PS1_EviT_T9_T10_S5_lS7_S5_lS6_T11_S5_li,comdat
.Lfunc_end248:
	.size	_ZL29rocblas_internal_gemmt_kernelIlLi16ELi32ELi8ELc84ELc67ELc76ELb0ELb1E19rocblas_complex_numIfES1_PKS1_PS1_EviT_T9_T10_S5_lS7_S5_lS6_T11_S5_li, .Lfunc_end248-_ZL29rocblas_internal_gemmt_kernelIlLi16ELi32ELi8ELc84ELc67ELc76ELb0ELb1E19rocblas_complex_numIfES1_PKS1_PS1_EviT_T9_T10_S5_lS7_S5_lS6_T11_S5_li
                                        ; -- End function
	.set _ZL29rocblas_internal_gemmt_kernelIlLi16ELi32ELi8ELc84ELc67ELc76ELb0ELb1E19rocblas_complex_numIfES1_PKS1_PS1_EviT_T9_T10_S5_lS7_S5_lS6_T11_S5_li.num_vgpr, 71
	.set _ZL29rocblas_internal_gemmt_kernelIlLi16ELi32ELi8ELc84ELc67ELc76ELb0ELb1E19rocblas_complex_numIfES1_PKS1_PS1_EviT_T9_T10_S5_lS7_S5_lS6_T11_S5_li.num_agpr, 0
	.set _ZL29rocblas_internal_gemmt_kernelIlLi16ELi32ELi8ELc84ELc67ELc76ELb0ELb1E19rocblas_complex_numIfES1_PKS1_PS1_EviT_T9_T10_S5_lS7_S5_lS6_T11_S5_li.numbered_sgpr, 36
	.set _ZL29rocblas_internal_gemmt_kernelIlLi16ELi32ELi8ELc84ELc67ELc76ELb0ELb1E19rocblas_complex_numIfES1_PKS1_PS1_EviT_T9_T10_S5_lS7_S5_lS6_T11_S5_li.num_named_barrier, 0
	.set _ZL29rocblas_internal_gemmt_kernelIlLi16ELi32ELi8ELc84ELc67ELc76ELb0ELb1E19rocblas_complex_numIfES1_PKS1_PS1_EviT_T9_T10_S5_lS7_S5_lS6_T11_S5_li.private_seg_size, 0
	.set _ZL29rocblas_internal_gemmt_kernelIlLi16ELi32ELi8ELc84ELc67ELc76ELb0ELb1E19rocblas_complex_numIfES1_PKS1_PS1_EviT_T9_T10_S5_lS7_S5_lS6_T11_S5_li.uses_vcc, 1
	.set _ZL29rocblas_internal_gemmt_kernelIlLi16ELi32ELi8ELc84ELc67ELc76ELb0ELb1E19rocblas_complex_numIfES1_PKS1_PS1_EviT_T9_T10_S5_lS7_S5_lS6_T11_S5_li.uses_flat_scratch, 0
	.set _ZL29rocblas_internal_gemmt_kernelIlLi16ELi32ELi8ELc84ELc67ELc76ELb0ELb1E19rocblas_complex_numIfES1_PKS1_PS1_EviT_T9_T10_S5_lS7_S5_lS6_T11_S5_li.has_dyn_sized_stack, 0
	.set _ZL29rocblas_internal_gemmt_kernelIlLi16ELi32ELi8ELc84ELc67ELc76ELb0ELb1E19rocblas_complex_numIfES1_PKS1_PS1_EviT_T9_T10_S5_lS7_S5_lS6_T11_S5_li.has_recursion, 0
	.set _ZL29rocblas_internal_gemmt_kernelIlLi16ELi32ELi8ELc84ELc67ELc76ELb0ELb1E19rocblas_complex_numIfES1_PKS1_PS1_EviT_T9_T10_S5_lS7_S5_lS6_T11_S5_li.has_indirect_call, 0
	.section	.AMDGPU.csdata,"",@progbits
; Kernel info:
; codeLenInByte = 3280
; TotalNumSgprs: 38
; NumVgprs: 71
; ScratchSize: 0
; MemoryBound: 0
; FloatMode: 240
; IeeeMode: 1
; LDSByteSize: 4096 bytes/workgroup (compile time only)
; SGPRBlocks: 0
; VGPRBlocks: 8
; NumSGPRsForWavesPerEU: 38
; NumVGPRsForWavesPerEU: 71
; Occupancy: 16
; WaveLimiterHint : 0
; COMPUTE_PGM_RSRC2:SCRATCH_EN: 0
; COMPUTE_PGM_RSRC2:USER_SGPR: 2
; COMPUTE_PGM_RSRC2:TRAP_HANDLER: 0
; COMPUTE_PGM_RSRC2:TGID_X_EN: 1
; COMPUTE_PGM_RSRC2:TGID_Y_EN: 1
; COMPUTE_PGM_RSRC2:TGID_Z_EN: 1
; COMPUTE_PGM_RSRC2:TIDIG_COMP_CNT: 1
	.section	.text._ZL29rocblas_internal_gemmt_kernelIlLi16ELi32ELi8ELc67ELc78ELc76ELb1ELb0E19rocblas_complex_numIfES1_PKS1_PS1_EviT_T9_T10_S5_lS7_S5_lS6_T11_S5_li,"axG",@progbits,_ZL29rocblas_internal_gemmt_kernelIlLi16ELi32ELi8ELc67ELc78ELc76ELb1ELb0E19rocblas_complex_numIfES1_PKS1_PS1_EviT_T9_T10_S5_lS7_S5_lS6_T11_S5_li,comdat
	.globl	_ZL29rocblas_internal_gemmt_kernelIlLi16ELi32ELi8ELc67ELc78ELc76ELb1ELb0E19rocblas_complex_numIfES1_PKS1_PS1_EviT_T9_T10_S5_lS7_S5_lS6_T11_S5_li ; -- Begin function _ZL29rocblas_internal_gemmt_kernelIlLi16ELi32ELi8ELc67ELc78ELc76ELb1ELb0E19rocblas_complex_numIfES1_PKS1_PS1_EviT_T9_T10_S5_lS7_S5_lS6_T11_S5_li
	.p2align	8
	.type	_ZL29rocblas_internal_gemmt_kernelIlLi16ELi32ELi8ELc67ELc78ELc76ELb1ELb0E19rocblas_complex_numIfES1_PKS1_PS1_EviT_T9_T10_S5_lS7_S5_lS6_T11_S5_li,@function
_ZL29rocblas_internal_gemmt_kernelIlLi16ELi32ELi8ELc67ELc78ELc76ELb1ELb0E19rocblas_complex_numIfES1_PKS1_PS1_EviT_T9_T10_S5_lS7_S5_lS6_T11_S5_li: ; @_ZL29rocblas_internal_gemmt_kernelIlLi16ELi32ELi8ELc67ELc78ELc76ELb1ELb0E19rocblas_complex_numIfES1_PKS1_PS1_EviT_T9_T10_S5_lS7_S5_lS6_T11_S5_li
; %bb.0:
	s_clause 0x1
	s_load_b64 s[24:25], s[0:1], 0x48
	s_load_b128 s[12:15], s[0:1], 0x8
	s_wait_kmcnt 0x0
	s_cmp_eq_f32 s24, 1.0
	s_cselect_b32 s2, -1, 0
	s_and_b32 s3, s25, 0x7fffffff
	s_delay_alu instid0(SALU_CYCLE_1) | instskip(SKIP_1) | instid1(SALU_CYCLE_1)
	s_cmp_eq_u32 s3, 0
	s_cselect_b32 s31, -1, 0
	s_and_b32 s3, s2, s31
	s_mov_b32 s2, 0
	s_and_not1_b32 vcc_lo, exec_lo, s3
	s_mov_b32 s3, -1
	s_cbranch_vccnz .LBB249_4
; %bb.1:
	s_cmp_lg_u64 s[12:13], 0
	s_cbranch_scc0 .LBB249_3
; %bb.2:
	s_cmp_neq_f32 s14, 0
	s_cselect_b32 s2, -1, 0
	s_cmp_neq_f32 s15, 0
	s_cselect_b32 s3, -1, 0
	s_delay_alu instid0(SALU_CYCLE_1)
	s_or_b32 s2, s2, s3
.LBB249_3:
	s_delay_alu instid0(SALU_CYCLE_1)
	s_mov_b32 s3, s2
.LBB249_4:
	s_delay_alu instid0(SALU_CYCLE_1)
	s_and_b32 vcc_lo, exec_lo, s3
	s_cbranch_vccz .LBB249_42
; %bb.5:
	s_load_b32 s30, s[0:1], 0x68
	s_lshr_b32 s26, ttmp7, 16
	s_wait_kmcnt 0x0
	s_cmp_ge_u32 s26, s30
	s_cbranch_scc1 .LBB249_42
; %bb.6:
	v_and_b32_e32 v7, 0x3ff, v0
	v_bfe_u32 v8, v0, 10, 10
	s_clause 0x1
	s_load_b128 s[16:19], s[0:1], 0x38
	s_load_b256 s[4:11], s[0:1], 0x18
	s_lshl_b32 s2, ttmp7, 5
	s_lshl_b32 s3, ttmp9, 5
	s_and_b32 s2, s2, 0x1fffe0
	v_lshl_add_u32 v1, v8, 4, v7
	s_cmp_neq_f32 s14, 0
	s_clause 0x2
	s_load_b32 s33, s[0:1], 0x0
	s_load_b128 s[20:23], s[0:1], 0x50
	s_load_b64 s[28:29], s[0:1], 0x60
	v_and_b32_e32 v14, 7, v0
	v_and_b32_e32 v9, 31, v1
	v_lshrrev_b32_e32 v6, 3, v1
	s_cselect_b32 s0, -1, 0
	s_cmp_neq_f32 s15, 0
	v_lshrrev_b32_e32 v15, 5, v1
	v_or_b32_e32 v11, s3, v9
	v_add_nc_u32_e32 v10, s2, v6
	s_cselect_b32 s1, -1, 0
	v_lshl_add_u32 v23, v8, 6, 0x800
	v_cmp_gt_i64_e64 s34, s[12:13], 0
	s_mov_b32 s27, 0
	s_wait_kmcnt 0x0
	v_mul_lo_u32 v4, s7, v11
	v_mad_co_u64_u32 v[2:3], null, s6, v11, 0
	v_mad_co_u64_u32 v[0:1], null, s16, v10, 0
	s_or_b32 s16, s0, s1
	s_ashr_i32 s0, s3, 31
	s_cmp_neq_f32 s24, 0
	s_mul_i32 s0, s6, s0
	v_cmp_le_i32_e64 s6, s33, v11
	v_add3_u32 v3, v3, s0, v4
	v_mad_co_u64_u32 v[4:5], null, s17, v10, v[1:2]
	v_lshlrev_b32_e32 v1, 3, v9
	v_add_nc_u32_e32 v9, s2, v8
	s_delay_alu instid0(VALU_DEP_4) | instskip(SKIP_1) | instid1(VALU_DEP_4)
	v_lshlrev_b64_e32 v[2:3], 3, v[2:3]
	v_cmp_gt_i32_e64 s0, s33, v11
	v_lshl_or_b32 v16, v15, 8, v1
	v_mov_b32_e32 v1, v4
	v_lshlrev_b32_e32 v5, 3, v14
	v_add_co_u32 v17, vcc_lo, s4, v2
	s_delay_alu instid0(VALU_DEP_1) | instskip(SKIP_3) | instid1(VALU_DEP_2)
	v_add_co_ci_u32_e64 v18, null, s5, v3, vcc_lo
	v_mad_co_u64_u32 v[2:3], null, s22, v9, 0
	v_lshlrev_b64_e32 v[0:1], 3, v[0:1]
	v_lshl_or_b32 v5, v6, 6, v5
	v_add_co_u32 v20, s1, s10, v0
	s_delay_alu instid0(VALU_DEP_4) | instskip(SKIP_1) | instid1(VALU_DEP_4)
	v_mov_b32_e32 v0, v3
	s_wait_alu 0xf1ff
	v_add_co_ci_u32_e64 v21, null, s11, v1, s1
	v_add_nc_u32_e32 v19, 0x800, v5
	v_lshlrev_b32_e32 v22, 3, v7
	v_mad_co_u64_u32 v[0:1], null, s23, v9, v[0:1]
	v_add_nc_u32_e32 v12, 16, v9
	s_cselect_b32 s11, -1, 0
	s_xor_b32 s17, s31, -1
	s_wait_alu 0xfffe
	s_and_b32 s10, s16, s34
	s_or_b32 s11, s11, s17
	s_delay_alu instid0(VALU_DEP_2) | instskip(SKIP_1) | instid1(VALU_DEP_1)
	v_mov_b32_e32 v3, v0
	v_mad_co_u64_u32 v[4:5], null, s22, v12, 0
	v_mov_b32_e32 v1, v5
	v_cmp_gt_i32_e32 vcc_lo, s33, v10
	s_delay_alu instid0(VALU_DEP_2) | instskip(SKIP_4) | instid1(VALU_DEP_3)
	v_mad_co_u64_u32 v[10:11], null, s23, v12, v[1:2]
	v_add_nc_u32_e32 v6, s3, v7
	v_lshlrev_b64_e32 v[2:3], 3, v[2:3]
	v_mov_b32_e32 v1, 0
	s_xor_b32 s16, vcc_lo, -1
	v_dual_mov_b32 v5, v10 :: v_dual_add_nc_u32 v8, 16, v6
	v_cmp_le_i32_e64 s1, v9, v6
	v_cmp_gt_i32_e64 s2, s33, v6
	v_ashrrev_i32_e32 v7, 31, v6
	s_delay_alu instid0(VALU_DEP_4)
	v_lshlrev_b64_e32 v[4:5], 3, v[4:5]
	v_cmp_le_i32_e64 s3, v9, v8
	v_cmp_gt_i32_e64 s4, s33, v8
	v_ashrrev_i32_e32 v9, 31, v8
	s_and_b32 s5, s1, s2
	v_cmp_le_i32_e64 s1, v12, v6
	v_lshlrev_b64_e32 v[6:7], 3, v[6:7]
	s_and_b32 s7, s3, s4
	v_cmp_le_i32_e64 s3, v12, v8
	v_lshlrev_b64_e32 v[8:9], 3, v[8:9]
	s_and_b32 s1, s1, s2
                                        ; implicit-def: $vgpr10_vgpr11
	s_and_b32 s4, s3, s4
	s_branch .LBB249_8
.LBB249_7:                              ;   in Loop: Header=BB249_8 Depth=1
	s_wait_alu 0xfffe
	s_or_b32 exec_lo, exec_lo, s2
	s_add_co_i32 s26, s26, 0x10000
	s_delay_alu instid0(SALU_CYCLE_1)
	s_cmp_lt_u32 s26, s30
	s_cbranch_scc0 .LBB249_42
.LBB249_8:                              ; =>This Loop Header: Depth=1
                                        ;     Child Loop BB249_11 Depth 2
	s_wait_alu 0xfffe
	s_and_not1_b32 vcc_lo, exec_lo, s10
	s_wait_alu 0xfffe
	s_cbranch_vccnz .LBB249_21
; %bb.9:                                ;   in Loop: Header=BB249_8 Depth=1
	s_mul_u64 s[2:3], s[8:9], s[26:27]
	s_mul_u64 s[22:23], s[18:19], s[26:27]
	s_wait_alu 0xfffe
	s_lshl_b64 s[2:3], s[2:3], 3
	v_dual_mov_b32 v26, 0 :: v_dual_mov_b32 v27, 0
	s_wait_alu 0xfffe
	v_add_co_u32 v12, vcc_lo, v17, s2
	s_wait_alu 0xfffd
	v_add_co_ci_u32_e64 v13, null, s3, v18, vcc_lo
	s_lshl_b64 s[2:3], s[22:23], 3
	v_dual_mov_b32 v29, 0 :: v_dual_mov_b32 v28, 0
	s_wait_alu 0xfffe
	v_add_co_u32 v24, vcc_lo, v20, s2
	s_wait_alu 0xfffd
	v_add_co_ci_u32_e64 v25, null, s3, v21, vcc_lo
	v_dual_mov_b32 v31, 0 :: v_dual_mov_b32 v30, 0
	v_dual_mov_b32 v33, 0 :: v_dual_mov_b32 v32, 0
	s_mov_b64 s[2:3], 0
	s_branch .LBB249_11
.LBB249_10:                             ;   in Loop: Header=BB249_11 Depth=2
	s_wait_alu 0xfffe
	s_or_b32 exec_lo, exec_lo, s17
	s_wait_dscnt 0x0
	s_barrier_signal -1
	s_barrier_wait -1
	global_inv scope:SCOPE_SE
	ds_load_b128 v[34:37], v23
	ds_load_2addr_b64 v[38:41], v22 offset1:16
	ds_load_b128 v[42:45], v23 offset:1024
	ds_load_b128 v[46:49], v23 offset:16
	;; [unrolled: 1-line block ×4, first 2 shown]
	ds_load_2addr_b64 v[58:61], v22 offset0:32 offset1:48
	ds_load_b128 v[62:65], v23 offset:1040
	s_add_nc_u64 s[2:3], s[2:3], 8
	s_wait_alu 0xfffe
	v_cmp_gt_i64_e64 s17, s[12:13], s[2:3]
	s_and_b32 vcc_lo, exec_lo, s17
	s_wait_dscnt 0x6
	v_mul_f32_e32 v0, v35, v39
	v_dual_mul_f32 v66, v34, v39 :: v_dual_mul_f32 v67, v35, v41
	s_wait_dscnt 0x5
	v_dual_mul_f32 v68, v34, v41 :: v_dual_mul_f32 v69, v43, v39
	v_dual_mul_f32 v39, v42, v39 :: v_dual_mul_f32 v70, v43, v41
	v_mul_f32_e32 v41, v42, v41
	v_fma_f32 v0, v34, v38, -v0
	v_fma_f32 v34, v34, v40, -v67
	v_fmac_f32_e32 v68, v35, v40
	v_fmac_f32_e32 v39, v43, v38
	;; [unrolled: 1-line block ×3, first 2 shown]
	v_add_f32_e32 v0, v32, v0
	v_fmac_f32_e32 v66, v35, v38
	v_fma_f32 v35, v42, v38, -v69
	v_fma_f32 v38, v42, v40, -v70
	v_add_f32_e32 v26, v26, v41
	s_delay_alu instid0(VALU_DEP_4) | instskip(NEXT) | instid1(VALU_DEP_4)
	v_add_f32_e32 v32, v33, v66
	v_dual_add_f32 v33, v30, v34 :: v_dual_add_f32 v34, v28, v35
	v_add_f32_e32 v35, v29, v39
	s_wait_dscnt 0x1
	v_dual_mul_f32 v39, v37, v59 :: v_dual_add_f32 v38, v27, v38
	ds_load_2addr_b64 v[27:30], v22 offset0:64 offset1:80
	v_mul_f32_e32 v42, v37, v61
	v_mul_f32_e32 v41, v36, v61
	v_mul_f32_e32 v40, v36, v59
	v_fma_f32 v39, v36, v58, -v39
	v_add_f32_e32 v31, v31, v68
	v_fma_f32 v36, v36, v60, -v42
	s_delay_alu instid0(VALU_DEP_3) | instskip(SKIP_1) | instid1(VALU_DEP_3)
	v_add_f32_e32 v0, v0, v39
	v_mul_f32_e32 v39, v45, v59
	v_add_f32_e32 v36, v33, v36
	v_fmac_f32_e32 v41, v37, v60
	v_fmac_f32_e32 v40, v37, v58
	v_mul_f32_e32 v37, v45, v61
	v_fma_f32 v33, v44, v58, -v39
	s_delay_alu instid0(VALU_DEP_4) | instskip(NEXT) | instid1(VALU_DEP_3)
	v_add_f32_e32 v39, v31, v41
	v_fma_f32 v31, v44, v60, -v37
	v_mul_f32_e32 v41, v44, v61
	s_wait_dscnt 0x0
	v_mul_f32_e32 v37, v46, v28
	v_add_f32_e32 v40, v32, v40
	v_add_f32_e32 v38, v38, v31
	v_dual_mul_f32 v32, v44, v59 :: v_dual_fmac_f32 v41, v45, v60
	v_mul_f32_e32 v44, v47, v30
	s_delay_alu instid0(VALU_DEP_2) | instskip(NEXT) | instid1(VALU_DEP_3)
	v_dual_fmac_f32 v37, v47, v27 :: v_dual_fmac_f32 v32, v45, v58
	v_add_f32_e32 v41, v26, v41
	v_dual_add_f32 v42, v34, v33 :: v_dual_mul_f32 v33, v47, v28
	s_delay_alu instid0(VALU_DEP_3) | instskip(NEXT) | instid1(VALU_DEP_4)
	v_dual_mul_f32 v26, v46, v30 :: v_dual_add_f32 v37, v40, v37
	v_add_f32_e32 v35, v35, v32
	s_delay_alu instid0(VALU_DEP_3) | instskip(SKIP_4) | instid1(VALU_DEP_1)
	v_fma_f32 v43, v46, v27, -v33
	ds_load_2addr_b64 v[31:34], v22 offset0:96 offset1:112
	v_fmac_f32_e32 v26, v47, v29
	v_add_f32_e32 v0, v0, v43
	v_fma_f32 v43, v46, v29, -v44
	v_dual_add_f32 v39, v39, v26 :: v_dual_add_f32 v36, v36, v43
	v_mul_f32_e32 v43, v63, v30
	v_mul_f32_e32 v30, v62, v30
	s_delay_alu instid0(VALU_DEP_2) | instskip(SKIP_1) | instid1(VALU_DEP_3)
	v_fma_f32 v26, v62, v29, -v43
	v_mul_f32_e32 v40, v63, v28
	v_fmac_f32_e32 v30, v63, v29
	s_wait_dscnt 0x0
	v_dual_mul_f32 v28, v62, v28 :: v_dual_mul_f32 v47, v65, v34
	v_add_f32_e32 v43, v38, v26
	v_fma_f32 v40, v62, v27, -v40
	v_dual_mul_f32 v38, v48, v32 :: v_dual_add_f32 v41, v41, v30
	s_delay_alu instid0(VALU_DEP_4) | instskip(SKIP_1) | instid1(VALU_DEP_3)
	v_fmac_f32_e32 v28, v63, v27
	v_mul_f32_e32 v30, v48, v34
	v_fmac_f32_e32 v38, v49, v31
	v_add_f32_e32 v40, v42, v40
	s_delay_alu instid0(VALU_DEP_4)
	v_add_f32_e32 v42, v35, v28
	ds_load_2addr_b64 v[26:29], v22 offset0:128 offset1:144
	v_mul_f32_e32 v35, v49, v32
	v_mul_f32_e32 v44, v49, v34
	v_fmac_f32_e32 v30, v49, v33
	v_mul_f32_e32 v34, v64, v34
	s_delay_alu instid0(VALU_DEP_4)
	v_fma_f32 v35, v48, v31, -v35
	s_wait_dscnt 0x0
	v_mul_f32_e32 v49, v50, v27
	v_fma_f32 v44, v48, v33, -v44
	v_add_f32_e32 v48, v39, v30
	v_fma_f32 v30, v64, v33, -v47
	s_delay_alu instid0(VALU_DEP_4) | instskip(NEXT) | instid1(VALU_DEP_4)
	v_fmac_f32_e32 v49, v51, v26
	v_dual_add_f32 v45, v37, v38 :: v_dual_add_f32 v44, v36, v44
	s_delay_alu instid0(VALU_DEP_3) | instskip(SKIP_1) | instid1(VALU_DEP_3)
	v_dual_add_f32 v43, v43, v30 :: v_dual_add_f32 v0, v0, v35
	v_mul_f32_e32 v35, v65, v32
	v_dual_mul_f32 v32, v64, v32 :: v_dual_add_f32 v45, v45, v49
	s_delay_alu instid0(VALU_DEP_2) | instskip(SKIP_3) | instid1(VALU_DEP_2)
	v_fma_f32 v46, v64, v31, -v35
	ds_load_b128 v[35:38], v23 offset:1056
	v_fmac_f32_e32 v32, v65, v31
	v_dual_mul_f32 v31, v51, v27 :: v_dual_fmac_f32 v34, v65, v33
	v_add_f32_e32 v47, v42, v32
	s_delay_alu instid0(VALU_DEP_2)
	v_fma_f32 v39, v50, v26, -v31
	ds_load_2addr_b64 v[30:33], v22 offset0:160 offset1:176
	v_add_f32_e32 v46, v40, v46
	v_mul_f32_e32 v40, v51, v29
	v_add_f32_e32 v34, v41, v34
	v_add_f32_e32 v0, v0, v39
	s_delay_alu instid0(VALU_DEP_3) | instskip(SKIP_4) | instid1(VALU_DEP_2)
	v_fma_f32 v58, v50, v28, -v40
	ds_load_b128 v[39:42], v23 offset:1072
	s_wait_dscnt 0x2
	v_dual_mul_f32 v50, v50, v29 :: v_dual_mul_f32 v59, v36, v27
	v_mul_f32_e32 v27, v35, v27
	v_dual_fmac_f32 v50, v51, v28 :: v_dual_mul_f32 v51, v36, v29
	s_delay_alu instid0(VALU_DEP_3) | instskip(NEXT) | instid1(VALU_DEP_3)
	v_fma_f32 v49, v35, v26, -v59
	v_fmac_f32_e32 v27, v36, v26
	s_delay_alu instid0(VALU_DEP_3) | instskip(SKIP_2) | instid1(VALU_DEP_4)
	v_add_f32_e32 v48, v48, v50
	v_mul_f32_e32 v50, v35, v29
	v_fma_f32 v26, v35, v28, -v51
	v_add_f32_e32 v35, v47, v27
	s_wait_dscnt 0x1
	s_delay_alu instid0(VALU_DEP_3) | instskip(NEXT) | instid1(VALU_DEP_3)
	v_dual_mul_f32 v47, v53, v31 :: v_dual_fmac_f32 v50, v36, v28
	v_add_f32_e32 v43, v43, v26
	ds_load_2addr_b64 v[26:29], v22 offset0:192 offset1:208
	v_mul_f32_e32 v36, v52, v31
	v_add_f32_e32 v46, v46, v49
	v_fma_f32 v47, v52, v30, -v47
	v_mul_f32_e32 v49, v53, v33
	s_delay_alu instid0(VALU_DEP_4) | instskip(NEXT) | instid1(VALU_DEP_3)
	v_fmac_f32_e32 v36, v53, v30
	v_add_f32_e32 v0, v0, v47
	s_delay_alu instid0(VALU_DEP_3) | instskip(NEXT) | instid1(VALU_DEP_3)
	v_fma_f32 v47, v52, v32, -v49
	v_dual_add_f32 v45, v45, v36 :: v_dual_mul_f32 v36, v38, v31
	v_mul_f32_e32 v31, v37, v31
	s_delay_alu instid0(VALU_DEP_2) | instskip(NEXT) | instid1(VALU_DEP_2)
	v_fma_f32 v36, v37, v30, -v36
	v_fmac_f32_e32 v31, v38, v30
	v_add_f32_e32 v44, v44, v58
	s_delay_alu instid0(VALU_DEP_2) | instskip(NEXT) | instid1(VALU_DEP_2)
	v_dual_mul_f32 v30, v37, v33 :: v_dual_add_f32 v31, v35, v31
	v_dual_add_f32 v44, v44, v47 :: v_dual_mul_f32 v47, v38, v33
	v_add_f32_e32 v50, v34, v50
	v_mul_f32_e32 v34, v52, v33
	s_delay_alu instid0(VALU_DEP_4) | instskip(NEXT) | instid1(VALU_DEP_4)
	v_fmac_f32_e32 v30, v38, v32
	v_fma_f32 v33, v37, v32, -v47
	s_wait_dscnt 0x0
	s_delay_alu instid0(VALU_DEP_3) | instskip(NEXT) | instid1(VALU_DEP_2)
	v_dual_mul_f32 v47, v40, v27 :: v_dual_fmac_f32 v34, v53, v32
	v_dual_add_f32 v32, v43, v33 :: v_dual_mul_f32 v33, v54, v27
	v_mul_f32_e32 v43, v55, v29
	s_delay_alu instid0(VALU_DEP_2) | instskip(NEXT) | instid1(VALU_DEP_2)
	v_dual_fmac_f32 v33, v55, v26 :: v_dual_add_f32 v46, v46, v36
	v_fma_f32 v43, v54, v28, -v43
	s_delay_alu instid0(VALU_DEP_2) | instskip(SKIP_3) | instid1(VALU_DEP_3)
	v_dual_add_f32 v33, v45, v33 :: v_dual_add_f32 v48, v48, v34
	v_mul_f32_e32 v34, v55, v27
	v_mul_f32_e32 v27, v39, v27
	;; [unrolled: 1-line block ×3, first 2 shown]
	v_fma_f32 v38, v54, v26, -v34
	ds_load_2addr_b64 v[34:37], v22 offset0:224 offset1:240
	v_fmac_f32_e32 v27, v40, v26
	v_add_f32_e32 v30, v50, v30
	s_wait_loadcnt_dscnt 0x0
	v_add_f32_e32 v0, v0, v38
	s_barrier_signal -1
	v_dual_add_f32 v27, v31, v27 :: v_dual_mul_f32 v38, v54, v29
	v_mul_f32_e32 v29, v39, v29
	s_barrier_wait -1
	global_inv scope:SCOPE_SE
	v_fmac_f32_e32 v38, v55, v28
	v_fmac_f32_e32 v29, v40, v28
	s_delay_alu instid0(VALU_DEP_1) | instskip(SKIP_2) | instid1(VALU_DEP_2)
	v_add_f32_e32 v40, v30, v29
	v_mul_f32_e32 v29, v56, v37
	v_mul_f32_e32 v31, v57, v35
	v_fmac_f32_e32 v29, v57, v36
	v_add_f32_e32 v43, v44, v43
	v_fma_f32 v44, v39, v26, -v47
	v_fma_f32 v39, v39, v28, -v45
	;; [unrolled: 1-line block ×3, first 2 shown]
	s_delay_alu instid0(VALU_DEP_2) | instskip(SKIP_1) | instid1(VALU_DEP_2)
	v_dual_add_f32 v39, v32, v39 :: v_dual_mul_f32 v32, v57, v37
	v_mul_f32_e32 v28, v56, v35
	v_fma_f32 v30, v56, v36, -v32
	s_delay_alu instid0(VALU_DEP_4) | instskip(SKIP_1) | instid1(VALU_DEP_4)
	v_add_f32_e32 v32, v0, v31
	v_mul_f32_e32 v0, v42, v35
	v_fmac_f32_e32 v28, v57, v34
	s_delay_alu instid0(VALU_DEP_4) | instskip(SKIP_1) | instid1(VALU_DEP_4)
	v_dual_mul_f32 v35, v41, v35 :: v_dual_add_f32 v30, v43, v30
	v_mul_f32_e32 v43, v42, v37
	v_fma_f32 v0, v41, v34, -v0
	v_dual_mul_f32 v37, v41, v37 :: v_dual_add_f32 v26, v48, v38
	v_add_f32_e32 v38, v46, v44
	v_add_f32_e32 v33, v33, v28
	v_fmac_f32_e32 v35, v42, v34
	s_delay_alu instid0(VALU_DEP_4) | instskip(SKIP_3) | instid1(VALU_DEP_4)
	v_fmac_f32_e32 v37, v42, v36
	v_add_f32_e32 v31, v26, v29
	v_add_f32_e32 v28, v38, v0
	v_fma_f32 v0, v41, v36, -v43
	v_dual_add_f32 v29, v27, v35 :: v_dual_add_f32 v26, v40, v37
	s_delay_alu instid0(VALU_DEP_2)
	v_add_f32_e32 v27, v39, v0
	s_wait_alu 0xfffe
	s_cbranch_vccz .LBB249_22
.LBB249_11:                             ;   Parent Loop BB249_8 Depth=1
                                        ; =>  This Inner Loop Header: Depth=2
	s_mov_b32 s17, 0
	s_mov_b32 s23, s6
	s_and_saveexec_b32 s22, s0
	s_cbranch_execnz .LBB249_19
; %bb.12:                               ;   in Loop: Header=BB249_11 Depth=2
	s_wait_alu 0xfffe
	s_or_b32 exec_lo, exec_lo, s22
	s_and_saveexec_b32 s22, s23
	s_wait_alu 0xfffe
	s_xor_b32 s22, exec_lo, s22
	s_cbranch_execnz .LBB249_20
.LBB249_13:                             ;   in Loop: Header=BB249_11 Depth=2
	s_wait_alu 0xfffe
	s_or_b32 exec_lo, exec_lo, s22
	v_mov_b32_e32 v34, 0
	s_and_saveexec_b32 s22, s17
	s_cbranch_execz .LBB249_15
.LBB249_14:                             ;   in Loop: Header=BB249_11 Depth=2
	v_lshlrev_b64_e32 v[34:35], 3, v[10:11]
	s_delay_alu instid0(VALU_DEP_1) | instskip(SKIP_1) | instid1(VALU_DEP_2)
	v_add_co_u32 v34, vcc_lo, v12, v34
	s_wait_alu 0xfffd
	v_add_co_ci_u32_e64 v35, null, v13, v35, vcc_lo
	global_load_b64 v[35:36], v[34:35], off
	s_wait_loadcnt 0x0
	v_xor_b32_e32 v34, 0x80000000, v36
	ds_store_b32 v16, v35
.LBB249_15:                             ;   in Loop: Header=BB249_11 Depth=2
	s_wait_alu 0xfffe
	s_or_b32 exec_lo, exec_lo, s22
	v_add_nc_u32_e32 v0, s2, v14
	ds_store_b32 v16, v34 offset:4
	v_cmp_le_u64_e32 vcc_lo, s[12:13], v[0:1]
	s_or_b32 s17, vcc_lo, s16
	s_wait_alu 0xfffe
	s_and_saveexec_b32 s22, s17
	s_wait_alu 0xfffe
	s_xor_b32 s17, exec_lo, s22
; %bb.16:                               ;   in Loop: Header=BB249_11 Depth=2
	v_mov_b32_e32 v0, v1
	ds_store_b64 v19, v[0:1]
; %bb.17:                               ;   in Loop: Header=BB249_11 Depth=2
	s_wait_alu 0xfffe
	s_and_not1_saveexec_b32 s17, s17
	s_cbranch_execz .LBB249_10
; %bb.18:                               ;   in Loop: Header=BB249_11 Depth=2
	v_lshlrev_b64_e32 v[34:35], 3, v[0:1]
	s_delay_alu instid0(VALU_DEP_1) | instskip(SKIP_1) | instid1(VALU_DEP_2)
	v_add_co_u32 v34, vcc_lo, v24, v34
	s_wait_alu 0xfffd
	v_add_co_ci_u32_e64 v35, null, v25, v35, vcc_lo
	global_load_b64 v[34:35], v[34:35], off
	s_wait_loadcnt 0x0
	ds_store_b64 v19, v[34:35]
	s_branch .LBB249_10
.LBB249_19:                             ;   in Loop: Header=BB249_11 Depth=2
	s_wait_alu 0xfffe
	v_add_nc_u32_e32 v0, s2, v15
	v_mov_b32_e32 v11, v1
	s_and_not1_b32 s23, s6, exec_lo
	s_mov_b32 s17, exec_lo
	s_delay_alu instid0(VALU_DEP_2)
	v_cmp_le_u64_e32 vcc_lo, s[12:13], v[0:1]
	v_mov_b32_e32 v10, v0
	s_and_b32 s31, vcc_lo, exec_lo
	s_wait_alu 0xfffe
	s_or_b32 s23, s23, s31
	s_or_b32 exec_lo, exec_lo, s22
	s_wait_alu 0xfffe
	s_and_saveexec_b32 s22, s23
	s_wait_alu 0xfffe
	s_xor_b32 s22, exec_lo, s22
	s_cbranch_execz .LBB249_13
.LBB249_20:                             ;   in Loop: Header=BB249_11 Depth=2
	s_and_not1_b32 s17, s17, exec_lo
	ds_store_b32 v16, v1
	s_wait_alu 0xfffe
	s_or_b32 exec_lo, exec_lo, s22
	v_mov_b32_e32 v34, 0
	s_and_saveexec_b32 s22, s17
	s_cbranch_execnz .LBB249_14
	s_branch .LBB249_15
.LBB249_21:                             ;   in Loop: Header=BB249_8 Depth=1
	v_dual_mov_b32 v32, v1 :: v_dual_mov_b32 v33, v1
	v_dual_mov_b32 v30, v1 :: v_dual_mov_b32 v31, v1
	;; [unrolled: 1-line block ×4, first 2 shown]
.LBB249_22:                             ;   in Loop: Header=BB249_8 Depth=1
	s_mul_u64 s[2:3], s[28:29], s[26:27]
	s_wait_alu 0xfffe
	s_lshl_b64 s[2:3], s[2:3], 3
	s_wait_alu 0xfffe
	s_add_nc_u64 s[2:3], s[20:21], s[2:3]
	s_wait_alu 0xfffe
	v_add_co_u32 v0, vcc_lo, s2, v2
	s_wait_alu 0xfffd
	v_add_co_ci_u32_e64 v24, null, s3, v3, vcc_lo
	s_and_saveexec_b32 s17, s5
	s_cbranch_execz .LBB249_27
; %bb.23:                               ;   in Loop: Header=BB249_8 Depth=1
	v_mul_f32_e32 v13, s14, v33
	v_mul_f32_e32 v12, s15, v33
	s_and_b32 vcc_lo, exec_lo, s11
	s_mov_b32 s22, -1
	s_delay_alu instid0(VALU_DEP_2) | instskip(NEXT) | instid1(VALU_DEP_2)
	v_fmac_f32_e32 v13, s15, v32
	v_fma_f32 v12, v32, s14, -v12
	s_wait_alu 0xfffe
	s_cbranch_vccz .LBB249_25
; %bb.24:                               ;   in Loop: Header=BB249_8 Depth=1
	v_add_co_u32 v32, vcc_lo, v0, v6
	s_wait_alu 0xfffd
	v_add_co_ci_u32_e64 v33, null, v24, v7, vcc_lo
	s_mov_b32 s22, 0
	global_load_b64 v[34:35], v[32:33], off
	s_wait_loadcnt 0x0
	v_mul_f32_e32 v25, s25, v35
	s_delay_alu instid0(VALU_DEP_1) | instskip(SKIP_1) | instid1(VALU_DEP_1)
	v_fma_f32 v25, v34, s24, -v25
	v_mul_f32_e32 v35, s24, v35
	v_dual_fmac_f32 v35, s25, v34 :: v_dual_add_f32 v34, v12, v25
	s_delay_alu instid0(VALU_DEP_1)
	v_add_f32_e32 v35, v13, v35
	global_store_b64 v[32:33], v[34:35], off
.LBB249_25:                             ;   in Loop: Header=BB249_8 Depth=1
	s_wait_alu 0xfffe
	s_and_not1_b32 vcc_lo, exec_lo, s22
	s_wait_alu 0xfffe
	s_cbranch_vccnz .LBB249_27
; %bb.26:                               ;   in Loop: Header=BB249_8 Depth=1
	v_add_co_u32 v32, vcc_lo, v0, v6
	s_wait_alu 0xfffd
	v_add_co_ci_u32_e64 v33, null, v24, v7, vcc_lo
	global_store_b64 v[32:33], v[12:13], off
.LBB249_27:                             ;   in Loop: Header=BB249_8 Depth=1
	s_wait_alu 0xfffe
	s_or_b32 exec_lo, exec_lo, s17
	s_and_saveexec_b32 s17, s7
	s_cbranch_execz .LBB249_32
; %bb.28:                               ;   in Loop: Header=BB249_8 Depth=1
	v_mul_f32_e32 v13, s14, v31
	v_mul_f32_e32 v12, s15, v31
	s_and_not1_b32 vcc_lo, exec_lo, s11
	s_mov_b32 s22, -1
	s_delay_alu instid0(VALU_DEP_2) | instskip(NEXT) | instid1(VALU_DEP_2)
	v_fmac_f32_e32 v13, s15, v30
	v_fma_f32 v12, v30, s14, -v12
	s_wait_alu 0xfffe
	s_cbranch_vccnz .LBB249_30
; %bb.29:                               ;   in Loop: Header=BB249_8 Depth=1
	v_add_co_u32 v30, vcc_lo, v0, v8
	s_wait_alu 0xfffd
	v_add_co_ci_u32_e64 v31, null, v24, v9, vcc_lo
	s_mov_b32 s22, 0
	global_load_b64 v[32:33], v[30:31], off
	s_wait_loadcnt 0x0
	v_mul_f32_e32 v25, s25, v33
	v_mul_f32_e32 v33, s24, v33
	s_delay_alu instid0(VALU_DEP_2) | instskip(NEXT) | instid1(VALU_DEP_1)
	v_fma_f32 v25, v32, s24, -v25
	v_dual_fmac_f32 v33, s25, v32 :: v_dual_add_f32 v32, v12, v25
	s_delay_alu instid0(VALU_DEP_1)
	v_add_f32_e32 v33, v13, v33
	global_store_b64 v[30:31], v[32:33], off
.LBB249_30:                             ;   in Loop: Header=BB249_8 Depth=1
	s_wait_alu 0xfffe
	s_and_not1_b32 vcc_lo, exec_lo, s22
	s_wait_alu 0xfffe
	s_cbranch_vccnz .LBB249_32
; %bb.31:                               ;   in Loop: Header=BB249_8 Depth=1
	v_add_co_u32 v30, vcc_lo, v0, v8
	s_wait_alu 0xfffd
	v_add_co_ci_u32_e64 v31, null, v24, v9, vcc_lo
	global_store_b64 v[30:31], v[12:13], off
.LBB249_32:                             ;   in Loop: Header=BB249_8 Depth=1
	s_wait_alu 0xfffe
	s_or_b32 exec_lo, exec_lo, s17
	v_add_co_u32 v0, vcc_lo, s2, v4
	s_wait_alu 0xfffd
	v_add_co_ci_u32_e64 v24, null, s3, v5, vcc_lo
	s_and_saveexec_b32 s2, s1
	s_cbranch_execz .LBB249_37
; %bb.33:                               ;   in Loop: Header=BB249_8 Depth=1
	v_mul_f32_e32 v13, s14, v29
	v_mul_f32_e32 v12, s15, v29
	s_and_not1_b32 vcc_lo, exec_lo, s11
	s_mov_b32 s3, -1
	s_delay_alu instid0(VALU_DEP_2) | instskip(NEXT) | instid1(VALU_DEP_2)
	v_fmac_f32_e32 v13, s15, v28
	v_fma_f32 v12, v28, s14, -v12
	s_wait_alu 0xfffe
	s_cbranch_vccnz .LBB249_35
; %bb.34:                               ;   in Loop: Header=BB249_8 Depth=1
	v_add_co_u32 v28, vcc_lo, v0, v6
	s_wait_alu 0xfffd
	v_add_co_ci_u32_e64 v29, null, v24, v7, vcc_lo
	s_mov_b32 s3, 0
	global_load_b64 v[30:31], v[28:29], off
	s_wait_loadcnt 0x0
	v_mul_f32_e32 v25, s25, v31
	s_delay_alu instid0(VALU_DEP_1) | instskip(SKIP_1) | instid1(VALU_DEP_1)
	v_fma_f32 v25, v30, s24, -v25
	v_mul_f32_e32 v31, s24, v31
	v_dual_fmac_f32 v31, s25, v30 :: v_dual_add_f32 v30, v12, v25
	s_delay_alu instid0(VALU_DEP_1)
	v_add_f32_e32 v31, v13, v31
	global_store_b64 v[28:29], v[30:31], off
.LBB249_35:                             ;   in Loop: Header=BB249_8 Depth=1
	s_wait_alu 0xfffe
	s_and_not1_b32 vcc_lo, exec_lo, s3
	s_wait_alu 0xfffe
	s_cbranch_vccnz .LBB249_37
; %bb.36:                               ;   in Loop: Header=BB249_8 Depth=1
	v_add_co_u32 v28, vcc_lo, v0, v6
	s_wait_alu 0xfffd
	v_add_co_ci_u32_e64 v29, null, v24, v7, vcc_lo
	global_store_b64 v[28:29], v[12:13], off
.LBB249_37:                             ;   in Loop: Header=BB249_8 Depth=1
	s_wait_alu 0xfffe
	s_or_b32 exec_lo, exec_lo, s2
	s_and_saveexec_b32 s2, s4
	s_cbranch_execz .LBB249_7
; %bb.38:                               ;   in Loop: Header=BB249_8 Depth=1
	v_mul_f32_e32 v13, s14, v26
	v_mul_f32_e32 v12, s15, v26
	s_and_not1_b32 vcc_lo, exec_lo, s11
	s_mov_b32 s3, -1
	s_delay_alu instid0(VALU_DEP_2) | instskip(NEXT) | instid1(VALU_DEP_2)
	v_fmac_f32_e32 v13, s15, v27
	v_fma_f32 v12, v27, s14, -v12
	s_wait_alu 0xfffe
	s_cbranch_vccnz .LBB249_40
; %bb.39:                               ;   in Loop: Header=BB249_8 Depth=1
	v_add_co_u32 v25, vcc_lo, v0, v8
	s_wait_alu 0xfffd
	v_add_co_ci_u32_e64 v26, null, v24, v9, vcc_lo
	s_mov_b32 s3, 0
	global_load_b64 v[27:28], v[25:26], off
	s_wait_loadcnt 0x0
	v_mul_f32_e32 v29, s25, v28
	v_mul_f32_e32 v28, s24, v28
	s_delay_alu instid0(VALU_DEP_1) | instskip(NEXT) | instid1(VALU_DEP_3)
	v_fmac_f32_e32 v28, s25, v27
	v_fma_f32 v29, v27, s24, -v29
	s_delay_alu instid0(VALU_DEP_1)
	v_dual_add_f32 v28, v13, v28 :: v_dual_add_f32 v27, v12, v29
	global_store_b64 v[25:26], v[27:28], off
.LBB249_40:                             ;   in Loop: Header=BB249_8 Depth=1
	s_wait_alu 0xfffe
	s_and_not1_b32 vcc_lo, exec_lo, s3
	s_wait_alu 0xfffe
	s_cbranch_vccnz .LBB249_7
; %bb.41:                               ;   in Loop: Header=BB249_8 Depth=1
	v_add_co_u32 v25, vcc_lo, v0, v8
	s_wait_alu 0xfffd
	v_add_co_ci_u32_e64 v26, null, v24, v9, vcc_lo
	global_store_b64 v[25:26], v[12:13], off
	s_branch .LBB249_7
.LBB249_42:
	s_endpgm
	.section	.rodata,"a",@progbits
	.p2align	6, 0x0
	.amdhsa_kernel _ZL29rocblas_internal_gemmt_kernelIlLi16ELi32ELi8ELc67ELc78ELc76ELb1ELb0E19rocblas_complex_numIfES1_PKS1_PS1_EviT_T9_T10_S5_lS7_S5_lS6_T11_S5_li
		.amdhsa_group_segment_fixed_size 4096
		.amdhsa_private_segment_fixed_size 0
		.amdhsa_kernarg_size 108
		.amdhsa_user_sgpr_count 2
		.amdhsa_user_sgpr_dispatch_ptr 0
		.amdhsa_user_sgpr_queue_ptr 0
		.amdhsa_user_sgpr_kernarg_segment_ptr 1
		.amdhsa_user_sgpr_dispatch_id 0
		.amdhsa_user_sgpr_private_segment_size 0
		.amdhsa_wavefront_size32 1
		.amdhsa_uses_dynamic_stack 0
		.amdhsa_enable_private_segment 0
		.amdhsa_system_sgpr_workgroup_id_x 1
		.amdhsa_system_sgpr_workgroup_id_y 1
		.amdhsa_system_sgpr_workgroup_id_z 1
		.amdhsa_system_sgpr_workgroup_info 0
		.amdhsa_system_vgpr_workitem_id 1
		.amdhsa_next_free_vgpr 71
		.amdhsa_next_free_sgpr 35
		.amdhsa_reserve_vcc 1
		.amdhsa_float_round_mode_32 0
		.amdhsa_float_round_mode_16_64 0
		.amdhsa_float_denorm_mode_32 3
		.amdhsa_float_denorm_mode_16_64 3
		.amdhsa_fp16_overflow 0
		.amdhsa_workgroup_processor_mode 1
		.amdhsa_memory_ordered 1
		.amdhsa_forward_progress 1
		.amdhsa_inst_pref_size 26
		.amdhsa_round_robin_scheduling 0
		.amdhsa_exception_fp_ieee_invalid_op 0
		.amdhsa_exception_fp_denorm_src 0
		.amdhsa_exception_fp_ieee_div_zero 0
		.amdhsa_exception_fp_ieee_overflow 0
		.amdhsa_exception_fp_ieee_underflow 0
		.amdhsa_exception_fp_ieee_inexact 0
		.amdhsa_exception_int_div_zero 0
	.end_amdhsa_kernel
	.section	.text._ZL29rocblas_internal_gemmt_kernelIlLi16ELi32ELi8ELc67ELc78ELc76ELb1ELb0E19rocblas_complex_numIfES1_PKS1_PS1_EviT_T9_T10_S5_lS7_S5_lS6_T11_S5_li,"axG",@progbits,_ZL29rocblas_internal_gemmt_kernelIlLi16ELi32ELi8ELc67ELc78ELc76ELb1ELb0E19rocblas_complex_numIfES1_PKS1_PS1_EviT_T9_T10_S5_lS7_S5_lS6_T11_S5_li,comdat
.Lfunc_end249:
	.size	_ZL29rocblas_internal_gemmt_kernelIlLi16ELi32ELi8ELc67ELc78ELc76ELb1ELb0E19rocblas_complex_numIfES1_PKS1_PS1_EviT_T9_T10_S5_lS7_S5_lS6_T11_S5_li, .Lfunc_end249-_ZL29rocblas_internal_gemmt_kernelIlLi16ELi32ELi8ELc67ELc78ELc76ELb1ELb0E19rocblas_complex_numIfES1_PKS1_PS1_EviT_T9_T10_S5_lS7_S5_lS6_T11_S5_li
                                        ; -- End function
	.set _ZL29rocblas_internal_gemmt_kernelIlLi16ELi32ELi8ELc67ELc78ELc76ELb1ELb0E19rocblas_complex_numIfES1_PKS1_PS1_EviT_T9_T10_S5_lS7_S5_lS6_T11_S5_li.num_vgpr, 71
	.set _ZL29rocblas_internal_gemmt_kernelIlLi16ELi32ELi8ELc67ELc78ELc76ELb1ELb0E19rocblas_complex_numIfES1_PKS1_PS1_EviT_T9_T10_S5_lS7_S5_lS6_T11_S5_li.num_agpr, 0
	.set _ZL29rocblas_internal_gemmt_kernelIlLi16ELi32ELi8ELc67ELc78ELc76ELb1ELb0E19rocblas_complex_numIfES1_PKS1_PS1_EviT_T9_T10_S5_lS7_S5_lS6_T11_S5_li.numbered_sgpr, 35
	.set _ZL29rocblas_internal_gemmt_kernelIlLi16ELi32ELi8ELc67ELc78ELc76ELb1ELb0E19rocblas_complex_numIfES1_PKS1_PS1_EviT_T9_T10_S5_lS7_S5_lS6_T11_S5_li.num_named_barrier, 0
	.set _ZL29rocblas_internal_gemmt_kernelIlLi16ELi32ELi8ELc67ELc78ELc76ELb1ELb0E19rocblas_complex_numIfES1_PKS1_PS1_EviT_T9_T10_S5_lS7_S5_lS6_T11_S5_li.private_seg_size, 0
	.set _ZL29rocblas_internal_gemmt_kernelIlLi16ELi32ELi8ELc67ELc78ELc76ELb1ELb0E19rocblas_complex_numIfES1_PKS1_PS1_EviT_T9_T10_S5_lS7_S5_lS6_T11_S5_li.uses_vcc, 1
	.set _ZL29rocblas_internal_gemmt_kernelIlLi16ELi32ELi8ELc67ELc78ELc76ELb1ELb0E19rocblas_complex_numIfES1_PKS1_PS1_EviT_T9_T10_S5_lS7_S5_lS6_T11_S5_li.uses_flat_scratch, 0
	.set _ZL29rocblas_internal_gemmt_kernelIlLi16ELi32ELi8ELc67ELc78ELc76ELb1ELb0E19rocblas_complex_numIfES1_PKS1_PS1_EviT_T9_T10_S5_lS7_S5_lS6_T11_S5_li.has_dyn_sized_stack, 0
	.set _ZL29rocblas_internal_gemmt_kernelIlLi16ELi32ELi8ELc67ELc78ELc76ELb1ELb0E19rocblas_complex_numIfES1_PKS1_PS1_EviT_T9_T10_S5_lS7_S5_lS6_T11_S5_li.has_recursion, 0
	.set _ZL29rocblas_internal_gemmt_kernelIlLi16ELi32ELi8ELc67ELc78ELc76ELb1ELb0E19rocblas_complex_numIfES1_PKS1_PS1_EviT_T9_T10_S5_lS7_S5_lS6_T11_S5_li.has_indirect_call, 0
	.section	.AMDGPU.csdata,"",@progbits
; Kernel info:
; codeLenInByte = 3308
; TotalNumSgprs: 37
; NumVgprs: 71
; ScratchSize: 0
; MemoryBound: 0
; FloatMode: 240
; IeeeMode: 1
; LDSByteSize: 4096 bytes/workgroup (compile time only)
; SGPRBlocks: 0
; VGPRBlocks: 8
; NumSGPRsForWavesPerEU: 37
; NumVGPRsForWavesPerEU: 71
; Occupancy: 16
; WaveLimiterHint : 0
; COMPUTE_PGM_RSRC2:SCRATCH_EN: 0
; COMPUTE_PGM_RSRC2:USER_SGPR: 2
; COMPUTE_PGM_RSRC2:TRAP_HANDLER: 0
; COMPUTE_PGM_RSRC2:TGID_X_EN: 1
; COMPUTE_PGM_RSRC2:TGID_Y_EN: 1
; COMPUTE_PGM_RSRC2:TGID_Z_EN: 1
; COMPUTE_PGM_RSRC2:TIDIG_COMP_CNT: 1
	.section	.text._ZL29rocblas_internal_gemmt_kernelIlLi16ELi32ELi8ELc67ELc84ELc76ELb1ELb0E19rocblas_complex_numIfES1_PKS1_PS1_EviT_T9_T10_S5_lS7_S5_lS6_T11_S5_li,"axG",@progbits,_ZL29rocblas_internal_gemmt_kernelIlLi16ELi32ELi8ELc67ELc84ELc76ELb1ELb0E19rocblas_complex_numIfES1_PKS1_PS1_EviT_T9_T10_S5_lS7_S5_lS6_T11_S5_li,comdat
	.globl	_ZL29rocblas_internal_gemmt_kernelIlLi16ELi32ELi8ELc67ELc84ELc76ELb1ELb0E19rocblas_complex_numIfES1_PKS1_PS1_EviT_T9_T10_S5_lS7_S5_lS6_T11_S5_li ; -- Begin function _ZL29rocblas_internal_gemmt_kernelIlLi16ELi32ELi8ELc67ELc84ELc76ELb1ELb0E19rocblas_complex_numIfES1_PKS1_PS1_EviT_T9_T10_S5_lS7_S5_lS6_T11_S5_li
	.p2align	8
	.type	_ZL29rocblas_internal_gemmt_kernelIlLi16ELi32ELi8ELc67ELc84ELc76ELb1ELb0E19rocblas_complex_numIfES1_PKS1_PS1_EviT_T9_T10_S5_lS7_S5_lS6_T11_S5_li,@function
_ZL29rocblas_internal_gemmt_kernelIlLi16ELi32ELi8ELc67ELc84ELc76ELb1ELb0E19rocblas_complex_numIfES1_PKS1_PS1_EviT_T9_T10_S5_lS7_S5_lS6_T11_S5_li: ; @_ZL29rocblas_internal_gemmt_kernelIlLi16ELi32ELi8ELc67ELc84ELc76ELb1ELb0E19rocblas_complex_numIfES1_PKS1_PS1_EviT_T9_T10_S5_lS7_S5_lS6_T11_S5_li
; %bb.0:
	s_clause 0x1
	s_load_b64 s[24:25], s[0:1], 0x48
	s_load_b128 s[12:15], s[0:1], 0x8
	s_wait_kmcnt 0x0
	s_cmp_eq_f32 s24, 1.0
	s_cselect_b32 s2, -1, 0
	s_and_b32 s3, s25, 0x7fffffff
	s_delay_alu instid0(SALU_CYCLE_1) | instskip(SKIP_1) | instid1(SALU_CYCLE_1)
	s_cmp_eq_u32 s3, 0
	s_cselect_b32 s31, -1, 0
	s_and_b32 s3, s2, s31
	s_mov_b32 s2, 0
	s_and_not1_b32 vcc_lo, exec_lo, s3
	s_mov_b32 s3, -1
	s_cbranch_vccnz .LBB250_4
; %bb.1:
	s_cmp_lg_u64 s[12:13], 0
	s_cbranch_scc0 .LBB250_3
; %bb.2:
	s_cmp_neq_f32 s14, 0
	s_cselect_b32 s2, -1, 0
	s_cmp_neq_f32 s15, 0
	s_cselect_b32 s3, -1, 0
	s_delay_alu instid0(SALU_CYCLE_1)
	s_or_b32 s2, s2, s3
.LBB250_3:
	s_delay_alu instid0(SALU_CYCLE_1)
	s_mov_b32 s3, s2
.LBB250_4:
	s_delay_alu instid0(SALU_CYCLE_1)
	s_and_b32 vcc_lo, exec_lo, s3
	s_cbranch_vccz .LBB250_42
; %bb.5:
	s_load_b32 s30, s[0:1], 0x68
	s_lshr_b32 s26, ttmp7, 16
	s_wait_kmcnt 0x0
	s_cmp_ge_u32 s26, s30
	s_cbranch_scc1 .LBB250_42
; %bb.6:
	v_and_b32_e32 v7, 0x3ff, v0
	v_bfe_u32 v8, v0, 10, 10
	s_load_b256 s[4:11], s[0:1], 0x18
	s_lshl_b32 s2, ttmp7, 5
	s_lshl_b32 s3, ttmp9, 5
	s_and_b32 s2, s2, 0x1fffe0
	v_lshl_add_u32 v2, v8, 4, v7
	s_cmp_neq_f32 s14, 0
	v_and_b32_e32 v14, 7, v0
	s_clause 0x3
	s_load_b32 s33, s[0:1], 0x0
	s_load_b128 s[16:19], s[0:1], 0x38
	s_load_b128 s[20:23], s[0:1], 0x50
	s_load_b64 s[28:29], s[0:1], 0x60
	v_and_b32_e32 v3, 31, v2
	s_cselect_b32 s0, -1, 0
	s_cmp_neq_f32 s15, 0
	v_lshrrev_b32_e32 v6, 3, v2
	v_lshrrev_b32_e32 v15, 5, v2
	v_or_b32_e32 v4, s3, v3
	s_cselect_b32 s1, -1, 0
	v_lshlrev_b32_e32 v3, 3, v3
	v_add_nc_u32_e32 v2, s2, v6
	v_add_nc_u32_e32 v11, s2, v8
	s_or_b32 s35, s0, s1
	s_wait_kmcnt 0x0
	v_mul_lo_u32 v5, s7, v4
	v_mad_co_u64_u32 v[0:1], null, s6, v4, 0
	s_ashr_i32 s7, s3, 31
	v_lshl_or_b32 v16, v15, 8, v3
	s_wait_alu 0xfffe
	s_mul_i32 s6, s6, s7
	v_add_nc_u32_e32 v12, 16, v11
	v_cmp_gt_i32_e64 s0, s33, v4
	v_lshl_add_u32 v23, v8, 6, 0x800
	s_wait_alu 0xfffe
	v_add3_u32 v1, v1, s6, v5
	v_cmp_le_i32_e64 s6, s33, v4
	s_cmp_neq_f32 s24, 0
	v_cmp_gt_i64_e64 s34, s[12:13], 0
	s_mov_b32 s27, 0
	v_lshlrev_b64_e32 v[0:1], 3, v[0:1]
	s_delay_alu instid0(VALU_DEP_1) | instskip(NEXT) | instid1(VALU_DEP_1)
	v_add_co_u32 v17, vcc_lo, s4, v0
	v_add_co_ci_u32_e64 v18, null, s5, v1, vcc_lo
	v_mov_b32_e32 v1, 0
	v_lshlrev_b32_e32 v9, 3, v14
	v_cmp_gt_i32_e32 vcc_lo, s33, v2
	v_lshlrev_b32_e32 v0, 3, v2
	v_mad_co_u64_u32 v[2:3], null, s22, v11, 0
	s_delay_alu instid0(VALU_DEP_4) | instskip(NEXT) | instid1(VALU_DEP_3)
	v_lshl_or_b32 v5, v6, 6, v9
	v_add_co_u32 v20, s1, s10, v0
	s_delay_alu instid0(VALU_DEP_1) | instskip(NEXT) | instid1(VALU_DEP_3)
	v_add_co_ci_u32_e64 v21, null, s11, 0, s1
	v_add_nc_u32_e32 v19, 0x800, v5
	v_mad_co_u64_u32 v[4:5], null, s22, v12, 0
	v_mov_b32_e32 v0, v3
	v_add_nc_u32_e32 v6, s3, v7
	v_lshlrev_b32_e32 v22, 3, v7
	s_cselect_b32 s11, -1, 0
	s_xor_b32 s22, s31, -1
	v_mad_co_u64_u32 v[9:10], null, s23, v11, v[0:1]
	v_add_nc_u32_e32 v8, 16, v6
	v_mov_b32_e32 v0, v5
	v_cmp_le_i32_e64 s1, v11, v6
	v_cmp_gt_i32_e64 s2, s33, v6
	v_ashrrev_i32_e32 v7, 31, v6
	v_cmp_le_i32_e64 s3, v11, v8
	v_mad_co_u64_u32 v[10:11], null, s23, v12, v[0:1]
	v_cmp_gt_i32_e64 s4, s33, v8
	v_mov_b32_e32 v3, v9
	v_ashrrev_i32_e32 v9, 31, v8
	s_and_b32 s5, s1, s2
	v_cmp_le_i32_e64 s1, v12, v6
	s_and_b32 s7, s3, s4
	v_mov_b32_e32 v5, v10
	v_cmp_le_i32_e64 s3, v12, v8
	v_lshlrev_b64_e32 v[2:3], 3, v[2:3]
	v_lshlrev_b64_e32 v[6:7], 3, v[6:7]
	;; [unrolled: 1-line block ×4, first 2 shown]
	s_and_b32 s10, s35, s34
	s_wait_alu 0xfffe
	s_or_b32 s11, s11, s22
	s_and_b32 s1, s1, s2
	s_and_b32 s4, s3, s4
	s_xor_b32 s22, vcc_lo, -1
                                        ; implicit-def: $vgpr10_vgpr11
	s_branch .LBB250_8
.LBB250_7:                              ;   in Loop: Header=BB250_8 Depth=1
	s_wait_alu 0xfffe
	s_or_b32 exec_lo, exec_lo, s2
	s_add_co_i32 s26, s26, 0x10000
	s_delay_alu instid0(SALU_CYCLE_1)
	s_cmp_lt_u32 s26, s30
	s_cbranch_scc0 .LBB250_42
.LBB250_8:                              ; =>This Loop Header: Depth=1
                                        ;     Child Loop BB250_11 Depth 2
	s_and_not1_b32 vcc_lo, exec_lo, s10
	s_wait_alu 0xfffe
	s_cbranch_vccnz .LBB250_21
; %bb.9:                                ;   in Loop: Header=BB250_8 Depth=1
	s_mul_u64 s[2:3], s[8:9], s[26:27]
	s_mul_u64 s[34:35], s[18:19], s[26:27]
	s_wait_alu 0xfffe
	s_lshl_b64 s[2:3], s[2:3], 3
	v_dual_mov_b32 v26, 0 :: v_dual_mov_b32 v27, 0
	s_wait_alu 0xfffe
	v_add_co_u32 v12, vcc_lo, v17, s2
	s_wait_alu 0xfffd
	v_add_co_ci_u32_e64 v13, null, s3, v18, vcc_lo
	s_lshl_b64 s[2:3], s[34:35], 3
	v_dual_mov_b32 v29, 0 :: v_dual_mov_b32 v28, 0
	s_wait_alu 0xfffe
	v_add_co_u32 v24, vcc_lo, v20, s2
	s_wait_alu 0xfffd
	v_add_co_ci_u32_e64 v25, null, s3, v21, vcc_lo
	v_dual_mov_b32 v31, 0 :: v_dual_mov_b32 v30, 0
	v_dual_mov_b32 v33, 0 :: v_dual_mov_b32 v32, 0
	s_mov_b64 s[2:3], 0
	s_branch .LBB250_11
.LBB250_10:                             ;   in Loop: Header=BB250_11 Depth=2
	s_wait_alu 0xfffe
	s_or_b32 exec_lo, exec_lo, s23
	s_wait_dscnt 0x0
	s_barrier_signal -1
	s_barrier_wait -1
	global_inv scope:SCOPE_SE
	ds_load_b128 v[34:37], v23
	ds_load_2addr_b64 v[38:41], v22 offset1:16
	ds_load_b128 v[42:45], v23 offset:1024
	ds_load_b128 v[46:49], v23 offset:16
	;; [unrolled: 1-line block ×4, first 2 shown]
	ds_load_2addr_b64 v[58:61], v22 offset0:32 offset1:48
	ds_load_b128 v[62:65], v23 offset:1040
	s_add_nc_u64 s[2:3], s[2:3], 8
	s_wait_alu 0xfffe
	v_cmp_gt_i64_e64 s23, s[12:13], s[2:3]
	s_and_b32 vcc_lo, exec_lo, s23
	s_wait_dscnt 0x6
	v_mul_f32_e32 v0, v35, v39
	v_dual_mul_f32 v66, v34, v39 :: v_dual_mul_f32 v67, v35, v41
	s_wait_dscnt 0x5
	v_dual_mul_f32 v68, v34, v41 :: v_dual_mul_f32 v69, v43, v39
	v_dual_mul_f32 v39, v42, v39 :: v_dual_mul_f32 v70, v43, v41
	v_mul_f32_e32 v41, v42, v41
	v_fma_f32 v0, v34, v38, -v0
	v_fma_f32 v34, v34, v40, -v67
	v_fmac_f32_e32 v68, v35, v40
	v_fmac_f32_e32 v39, v43, v38
	v_fmac_f32_e32 v41, v43, v40
	v_add_f32_e32 v0, v32, v0
	v_fmac_f32_e32 v66, v35, v38
	v_fma_f32 v35, v42, v38, -v69
	v_fma_f32 v38, v42, v40, -v70
	v_add_f32_e32 v26, v26, v41
	s_delay_alu instid0(VALU_DEP_4) | instskip(NEXT) | instid1(VALU_DEP_4)
	v_add_f32_e32 v32, v33, v66
	v_dual_add_f32 v33, v30, v34 :: v_dual_add_f32 v34, v28, v35
	v_add_f32_e32 v35, v29, v39
	s_wait_dscnt 0x1
	v_dual_mul_f32 v39, v37, v59 :: v_dual_add_f32 v38, v27, v38
	ds_load_2addr_b64 v[27:30], v22 offset0:64 offset1:80
	v_mul_f32_e32 v42, v37, v61
	v_mul_f32_e32 v41, v36, v61
	;; [unrolled: 1-line block ×3, first 2 shown]
	v_fma_f32 v39, v36, v58, -v39
	v_add_f32_e32 v31, v31, v68
	v_fma_f32 v36, v36, v60, -v42
	s_delay_alu instid0(VALU_DEP_3) | instskip(SKIP_1) | instid1(VALU_DEP_3)
	v_add_f32_e32 v0, v0, v39
	v_mul_f32_e32 v39, v45, v59
	v_add_f32_e32 v36, v33, v36
	v_fmac_f32_e32 v41, v37, v60
	v_fmac_f32_e32 v40, v37, v58
	v_mul_f32_e32 v37, v45, v61
	v_fma_f32 v33, v44, v58, -v39
	s_delay_alu instid0(VALU_DEP_4) | instskip(NEXT) | instid1(VALU_DEP_3)
	v_add_f32_e32 v39, v31, v41
	v_fma_f32 v31, v44, v60, -v37
	v_mul_f32_e32 v41, v44, v61
	s_wait_dscnt 0x0
	v_mul_f32_e32 v37, v46, v28
	v_add_f32_e32 v40, v32, v40
	v_add_f32_e32 v38, v38, v31
	v_dual_mul_f32 v32, v44, v59 :: v_dual_fmac_f32 v41, v45, v60
	v_mul_f32_e32 v44, v47, v30
	s_delay_alu instid0(VALU_DEP_2) | instskip(NEXT) | instid1(VALU_DEP_3)
	v_dual_fmac_f32 v37, v47, v27 :: v_dual_fmac_f32 v32, v45, v58
	v_add_f32_e32 v41, v26, v41
	v_dual_add_f32 v42, v34, v33 :: v_dual_mul_f32 v33, v47, v28
	s_delay_alu instid0(VALU_DEP_3) | instskip(NEXT) | instid1(VALU_DEP_4)
	v_dual_mul_f32 v26, v46, v30 :: v_dual_add_f32 v37, v40, v37
	v_add_f32_e32 v35, v35, v32
	s_delay_alu instid0(VALU_DEP_3) | instskip(SKIP_4) | instid1(VALU_DEP_1)
	v_fma_f32 v43, v46, v27, -v33
	ds_load_2addr_b64 v[31:34], v22 offset0:96 offset1:112
	v_fmac_f32_e32 v26, v47, v29
	v_add_f32_e32 v0, v0, v43
	v_fma_f32 v43, v46, v29, -v44
	v_dual_add_f32 v39, v39, v26 :: v_dual_add_f32 v36, v36, v43
	v_mul_f32_e32 v43, v63, v30
	v_mul_f32_e32 v30, v62, v30
	s_delay_alu instid0(VALU_DEP_2) | instskip(SKIP_1) | instid1(VALU_DEP_3)
	v_fma_f32 v26, v62, v29, -v43
	v_mul_f32_e32 v40, v63, v28
	v_fmac_f32_e32 v30, v63, v29
	s_wait_dscnt 0x0
	v_dual_mul_f32 v28, v62, v28 :: v_dual_mul_f32 v47, v65, v34
	v_add_f32_e32 v43, v38, v26
	v_fma_f32 v40, v62, v27, -v40
	v_dual_mul_f32 v38, v48, v32 :: v_dual_add_f32 v41, v41, v30
	s_delay_alu instid0(VALU_DEP_4) | instskip(SKIP_1) | instid1(VALU_DEP_3)
	v_fmac_f32_e32 v28, v63, v27
	v_mul_f32_e32 v30, v48, v34
	v_fmac_f32_e32 v38, v49, v31
	v_add_f32_e32 v40, v42, v40
	s_delay_alu instid0(VALU_DEP_4)
	v_add_f32_e32 v42, v35, v28
	ds_load_2addr_b64 v[26:29], v22 offset0:128 offset1:144
	v_mul_f32_e32 v35, v49, v32
	v_mul_f32_e32 v44, v49, v34
	v_fmac_f32_e32 v30, v49, v33
	v_mul_f32_e32 v34, v64, v34
	s_delay_alu instid0(VALU_DEP_4)
	v_fma_f32 v35, v48, v31, -v35
	s_wait_dscnt 0x0
	v_mul_f32_e32 v49, v50, v27
	v_fma_f32 v44, v48, v33, -v44
	v_add_f32_e32 v48, v39, v30
	v_fma_f32 v30, v64, v33, -v47
	s_delay_alu instid0(VALU_DEP_4) | instskip(NEXT) | instid1(VALU_DEP_4)
	v_fmac_f32_e32 v49, v51, v26
	v_dual_add_f32 v45, v37, v38 :: v_dual_add_f32 v44, v36, v44
	s_delay_alu instid0(VALU_DEP_3) | instskip(SKIP_1) | instid1(VALU_DEP_3)
	v_dual_add_f32 v43, v43, v30 :: v_dual_add_f32 v0, v0, v35
	v_mul_f32_e32 v35, v65, v32
	v_dual_mul_f32 v32, v64, v32 :: v_dual_add_f32 v45, v45, v49
	s_delay_alu instid0(VALU_DEP_2) | instskip(SKIP_3) | instid1(VALU_DEP_2)
	v_fma_f32 v46, v64, v31, -v35
	ds_load_b128 v[35:38], v23 offset:1056
	v_fmac_f32_e32 v32, v65, v31
	v_dual_mul_f32 v31, v51, v27 :: v_dual_fmac_f32 v34, v65, v33
	v_add_f32_e32 v47, v42, v32
	s_delay_alu instid0(VALU_DEP_2)
	v_fma_f32 v39, v50, v26, -v31
	ds_load_2addr_b64 v[30:33], v22 offset0:160 offset1:176
	v_add_f32_e32 v46, v40, v46
	v_mul_f32_e32 v40, v51, v29
	v_add_f32_e32 v34, v41, v34
	v_add_f32_e32 v0, v0, v39
	s_delay_alu instid0(VALU_DEP_3) | instskip(SKIP_4) | instid1(VALU_DEP_2)
	v_fma_f32 v58, v50, v28, -v40
	ds_load_b128 v[39:42], v23 offset:1072
	s_wait_dscnt 0x2
	v_dual_mul_f32 v50, v50, v29 :: v_dual_mul_f32 v59, v36, v27
	v_mul_f32_e32 v27, v35, v27
	v_dual_fmac_f32 v50, v51, v28 :: v_dual_mul_f32 v51, v36, v29
	s_delay_alu instid0(VALU_DEP_3) | instskip(NEXT) | instid1(VALU_DEP_3)
	v_fma_f32 v49, v35, v26, -v59
	v_fmac_f32_e32 v27, v36, v26
	s_delay_alu instid0(VALU_DEP_3) | instskip(SKIP_2) | instid1(VALU_DEP_4)
	v_add_f32_e32 v48, v48, v50
	v_mul_f32_e32 v50, v35, v29
	v_fma_f32 v26, v35, v28, -v51
	v_add_f32_e32 v35, v47, v27
	s_wait_dscnt 0x1
	s_delay_alu instid0(VALU_DEP_3) | instskip(NEXT) | instid1(VALU_DEP_3)
	v_dual_mul_f32 v47, v53, v31 :: v_dual_fmac_f32 v50, v36, v28
	v_add_f32_e32 v43, v43, v26
	ds_load_2addr_b64 v[26:29], v22 offset0:192 offset1:208
	v_mul_f32_e32 v36, v52, v31
	v_add_f32_e32 v46, v46, v49
	v_fma_f32 v47, v52, v30, -v47
	v_mul_f32_e32 v49, v53, v33
	s_delay_alu instid0(VALU_DEP_4) | instskip(NEXT) | instid1(VALU_DEP_3)
	v_fmac_f32_e32 v36, v53, v30
	v_add_f32_e32 v0, v0, v47
	s_delay_alu instid0(VALU_DEP_3) | instskip(NEXT) | instid1(VALU_DEP_3)
	v_fma_f32 v47, v52, v32, -v49
	v_dual_add_f32 v45, v45, v36 :: v_dual_mul_f32 v36, v38, v31
	v_mul_f32_e32 v31, v37, v31
	s_delay_alu instid0(VALU_DEP_2) | instskip(NEXT) | instid1(VALU_DEP_2)
	v_fma_f32 v36, v37, v30, -v36
	v_fmac_f32_e32 v31, v38, v30
	v_add_f32_e32 v44, v44, v58
	s_delay_alu instid0(VALU_DEP_2) | instskip(NEXT) | instid1(VALU_DEP_2)
	v_dual_mul_f32 v30, v37, v33 :: v_dual_add_f32 v31, v35, v31
	v_dual_add_f32 v44, v44, v47 :: v_dual_mul_f32 v47, v38, v33
	v_add_f32_e32 v50, v34, v50
	v_mul_f32_e32 v34, v52, v33
	s_delay_alu instid0(VALU_DEP_4) | instskip(NEXT) | instid1(VALU_DEP_4)
	v_fmac_f32_e32 v30, v38, v32
	v_fma_f32 v33, v37, v32, -v47
	s_wait_dscnt 0x0
	s_delay_alu instid0(VALU_DEP_3) | instskip(NEXT) | instid1(VALU_DEP_2)
	v_dual_mul_f32 v47, v40, v27 :: v_dual_fmac_f32 v34, v53, v32
	v_dual_add_f32 v32, v43, v33 :: v_dual_mul_f32 v33, v54, v27
	v_mul_f32_e32 v43, v55, v29
	s_delay_alu instid0(VALU_DEP_2) | instskip(NEXT) | instid1(VALU_DEP_2)
	v_dual_fmac_f32 v33, v55, v26 :: v_dual_add_f32 v46, v46, v36
	v_fma_f32 v43, v54, v28, -v43
	s_delay_alu instid0(VALU_DEP_2) | instskip(SKIP_3) | instid1(VALU_DEP_3)
	v_dual_add_f32 v33, v45, v33 :: v_dual_add_f32 v48, v48, v34
	v_mul_f32_e32 v34, v55, v27
	v_mul_f32_e32 v27, v39, v27
	;; [unrolled: 1-line block ×3, first 2 shown]
	v_fma_f32 v38, v54, v26, -v34
	ds_load_2addr_b64 v[34:37], v22 offset0:224 offset1:240
	v_fmac_f32_e32 v27, v40, v26
	v_add_f32_e32 v30, v50, v30
	s_wait_loadcnt_dscnt 0x0
	v_add_f32_e32 v0, v0, v38
	s_barrier_signal -1
	v_dual_add_f32 v27, v31, v27 :: v_dual_mul_f32 v38, v54, v29
	v_mul_f32_e32 v29, v39, v29
	s_barrier_wait -1
	global_inv scope:SCOPE_SE
	v_fmac_f32_e32 v38, v55, v28
	v_fmac_f32_e32 v29, v40, v28
	s_delay_alu instid0(VALU_DEP_1) | instskip(SKIP_2) | instid1(VALU_DEP_2)
	v_add_f32_e32 v40, v30, v29
	v_mul_f32_e32 v29, v56, v37
	v_mul_f32_e32 v31, v57, v35
	v_fmac_f32_e32 v29, v57, v36
	v_add_f32_e32 v43, v44, v43
	v_fma_f32 v44, v39, v26, -v47
	v_fma_f32 v39, v39, v28, -v45
	;; [unrolled: 1-line block ×3, first 2 shown]
	s_delay_alu instid0(VALU_DEP_2) | instskip(SKIP_1) | instid1(VALU_DEP_2)
	v_dual_add_f32 v39, v32, v39 :: v_dual_mul_f32 v32, v57, v37
	v_mul_f32_e32 v28, v56, v35
	v_fma_f32 v30, v56, v36, -v32
	s_delay_alu instid0(VALU_DEP_4) | instskip(SKIP_1) | instid1(VALU_DEP_4)
	v_add_f32_e32 v32, v0, v31
	v_mul_f32_e32 v0, v42, v35
	v_fmac_f32_e32 v28, v57, v34
	s_delay_alu instid0(VALU_DEP_4) | instskip(SKIP_1) | instid1(VALU_DEP_4)
	v_dual_mul_f32 v35, v41, v35 :: v_dual_add_f32 v30, v43, v30
	v_mul_f32_e32 v43, v42, v37
	v_fma_f32 v0, v41, v34, -v0
	v_dual_mul_f32 v37, v41, v37 :: v_dual_add_f32 v26, v48, v38
	v_add_f32_e32 v38, v46, v44
	v_add_f32_e32 v33, v33, v28
	v_fmac_f32_e32 v35, v42, v34
	s_delay_alu instid0(VALU_DEP_4) | instskip(SKIP_3) | instid1(VALU_DEP_4)
	v_fmac_f32_e32 v37, v42, v36
	v_add_f32_e32 v31, v26, v29
	v_add_f32_e32 v28, v38, v0
	v_fma_f32 v0, v41, v36, -v43
	v_dual_add_f32 v29, v27, v35 :: v_dual_add_f32 v26, v40, v37
	s_delay_alu instid0(VALU_DEP_2)
	v_add_f32_e32 v27, v39, v0
	s_wait_alu 0xfffe
	s_cbranch_vccz .LBB250_22
.LBB250_11:                             ;   Parent Loop BB250_8 Depth=1
                                        ; =>  This Inner Loop Header: Depth=2
	s_mov_b32 s23, 0
	s_mov_b32 s33, s6
	s_and_saveexec_b32 s31, s0
	s_cbranch_execnz .LBB250_19
; %bb.12:                               ;   in Loop: Header=BB250_11 Depth=2
	s_or_b32 exec_lo, exec_lo, s31
	s_wait_alu 0xfffe
	s_and_saveexec_b32 s31, s33
	s_delay_alu instid0(SALU_CYCLE_1)
	s_xor_b32 s31, exec_lo, s31
	s_cbranch_execnz .LBB250_20
.LBB250_13:                             ;   in Loop: Header=BB250_11 Depth=2
	s_or_b32 exec_lo, exec_lo, s31
	v_mov_b32_e32 v34, 0
	s_and_saveexec_b32 s31, s23
	s_cbranch_execz .LBB250_15
.LBB250_14:                             ;   in Loop: Header=BB250_11 Depth=2
	v_lshlrev_b64_e32 v[34:35], 3, v[10:11]
	s_delay_alu instid0(VALU_DEP_1) | instskip(SKIP_1) | instid1(VALU_DEP_2)
	v_add_co_u32 v34, vcc_lo, v12, v34
	s_wait_alu 0xfffd
	v_add_co_ci_u32_e64 v35, null, v13, v35, vcc_lo
	global_load_b64 v[35:36], v[34:35], off
	s_wait_loadcnt 0x0
	v_xor_b32_e32 v34, 0x80000000, v36
	ds_store_b32 v16, v35
.LBB250_15:                             ;   in Loop: Header=BB250_11 Depth=2
	s_or_b32 exec_lo, exec_lo, s31
	v_add_nc_u32_e32 v0, s2, v14
	ds_store_b32 v16, v34 offset:4
	v_cmp_le_u64_e32 vcc_lo, s[12:13], v[0:1]
	s_or_b32 s23, vcc_lo, s22
	s_wait_alu 0xfffe
	s_and_saveexec_b32 s31, s23
	s_delay_alu instid0(SALU_CYCLE_1)
	s_xor_b32 s23, exec_lo, s31
; %bb.16:                               ;   in Loop: Header=BB250_11 Depth=2
	v_mov_b32_e32 v0, v1
	ds_store_b64 v19, v[0:1]
; %bb.17:                               ;   in Loop: Header=BB250_11 Depth=2
	s_wait_alu 0xfffe
	s_and_not1_saveexec_b32 s23, s23
	s_cbranch_execz .LBB250_10
; %bb.18:                               ;   in Loop: Header=BB250_11 Depth=2
	v_mad_co_u64_u32 v[34:35], null, s16, v0, 0
	s_delay_alu instid0(VALU_DEP_1) | instskip(NEXT) | instid1(VALU_DEP_1)
	v_mad_co_u64_u32 v[35:36], null, s17, v0, v[35:36]
	v_lshlrev_b64_e32 v[34:35], 3, v[34:35]
	s_delay_alu instid0(VALU_DEP_1) | instskip(SKIP_1) | instid1(VALU_DEP_2)
	v_add_co_u32 v34, vcc_lo, v24, v34
	s_wait_alu 0xfffd
	v_add_co_ci_u32_e64 v35, null, v25, v35, vcc_lo
	global_load_b64 v[34:35], v[34:35], off
	s_wait_loadcnt 0x0
	ds_store_b64 v19, v[34:35]
	s_branch .LBB250_10
.LBB250_19:                             ;   in Loop: Header=BB250_11 Depth=2
	s_wait_alu 0xfffe
	v_add_nc_u32_e32 v0, s2, v15
	v_mov_b32_e32 v11, v1
	s_and_not1_b32 s33, s6, exec_lo
	s_mov_b32 s23, exec_lo
	s_delay_alu instid0(VALU_DEP_2)
	v_cmp_le_u64_e32 vcc_lo, s[12:13], v[0:1]
	v_mov_b32_e32 v10, v0
	s_and_b32 s34, vcc_lo, exec_lo
	s_wait_alu 0xfffe
	s_or_b32 s33, s33, s34
	s_or_b32 exec_lo, exec_lo, s31
	s_wait_alu 0xfffe
	s_and_saveexec_b32 s31, s33
	s_delay_alu instid0(SALU_CYCLE_1)
	s_xor_b32 s31, exec_lo, s31
	s_cbranch_execz .LBB250_13
.LBB250_20:                             ;   in Loop: Header=BB250_11 Depth=2
	s_and_not1_b32 s23, s23, exec_lo
	ds_store_b32 v16, v1
	s_or_b32 exec_lo, exec_lo, s31
	v_mov_b32_e32 v34, 0
	s_wait_alu 0xfffe
	s_and_saveexec_b32 s31, s23
	s_cbranch_execnz .LBB250_14
	s_branch .LBB250_15
.LBB250_21:                             ;   in Loop: Header=BB250_8 Depth=1
	v_dual_mov_b32 v32, v1 :: v_dual_mov_b32 v33, v1
	v_dual_mov_b32 v30, v1 :: v_dual_mov_b32 v31, v1
	;; [unrolled: 1-line block ×4, first 2 shown]
.LBB250_22:                             ;   in Loop: Header=BB250_8 Depth=1
	s_mul_u64 s[2:3], s[28:29], s[26:27]
	s_wait_alu 0xfffe
	s_lshl_b64 s[2:3], s[2:3], 3
	s_wait_alu 0xfffe
	s_add_nc_u64 s[2:3], s[20:21], s[2:3]
	s_wait_alu 0xfffe
	v_add_co_u32 v0, vcc_lo, s2, v2
	s_wait_alu 0xfffd
	v_add_co_ci_u32_e64 v24, null, s3, v3, vcc_lo
	s_and_saveexec_b32 s23, s5
	s_cbranch_execz .LBB250_27
; %bb.23:                               ;   in Loop: Header=BB250_8 Depth=1
	v_mul_f32_e32 v13, s14, v33
	v_mul_f32_e32 v12, s15, v33
	s_and_b32 vcc_lo, exec_lo, s11
	s_mov_b32 s31, -1
	s_delay_alu instid0(VALU_DEP_2) | instskip(NEXT) | instid1(VALU_DEP_2)
	v_fmac_f32_e32 v13, s15, v32
	v_fma_f32 v12, v32, s14, -v12
	s_wait_alu 0xfffe
	s_cbranch_vccz .LBB250_25
; %bb.24:                               ;   in Loop: Header=BB250_8 Depth=1
	v_add_co_u32 v32, vcc_lo, v0, v6
	s_wait_alu 0xfffd
	v_add_co_ci_u32_e64 v33, null, v24, v7, vcc_lo
	s_mov_b32 s31, 0
	global_load_b64 v[34:35], v[32:33], off
	s_wait_loadcnt 0x0
	v_mul_f32_e32 v25, s25, v35
	s_delay_alu instid0(VALU_DEP_1) | instskip(SKIP_1) | instid1(VALU_DEP_1)
	v_fma_f32 v25, v34, s24, -v25
	v_mul_f32_e32 v35, s24, v35
	v_dual_fmac_f32 v35, s25, v34 :: v_dual_add_f32 v34, v12, v25
	s_delay_alu instid0(VALU_DEP_1)
	v_add_f32_e32 v35, v13, v35
	global_store_b64 v[32:33], v[34:35], off
.LBB250_25:                             ;   in Loop: Header=BB250_8 Depth=1
	s_and_not1_b32 vcc_lo, exec_lo, s31
	s_wait_alu 0xfffe
	s_cbranch_vccnz .LBB250_27
; %bb.26:                               ;   in Loop: Header=BB250_8 Depth=1
	v_add_co_u32 v32, vcc_lo, v0, v6
	s_wait_alu 0xfffd
	v_add_co_ci_u32_e64 v33, null, v24, v7, vcc_lo
	global_store_b64 v[32:33], v[12:13], off
.LBB250_27:                             ;   in Loop: Header=BB250_8 Depth=1
	s_wait_alu 0xfffe
	s_or_b32 exec_lo, exec_lo, s23
	s_and_saveexec_b32 s23, s7
	s_cbranch_execz .LBB250_32
; %bb.28:                               ;   in Loop: Header=BB250_8 Depth=1
	v_mul_f32_e32 v13, s14, v31
	v_mul_f32_e32 v12, s15, v31
	s_and_not1_b32 vcc_lo, exec_lo, s11
	s_mov_b32 s31, -1
	s_delay_alu instid0(VALU_DEP_2) | instskip(NEXT) | instid1(VALU_DEP_2)
	v_fmac_f32_e32 v13, s15, v30
	v_fma_f32 v12, v30, s14, -v12
	s_wait_alu 0xfffe
	s_cbranch_vccnz .LBB250_30
; %bb.29:                               ;   in Loop: Header=BB250_8 Depth=1
	v_add_co_u32 v30, vcc_lo, v0, v8
	s_wait_alu 0xfffd
	v_add_co_ci_u32_e64 v31, null, v24, v9, vcc_lo
	s_mov_b32 s31, 0
	global_load_b64 v[32:33], v[30:31], off
	s_wait_loadcnt 0x0
	v_mul_f32_e32 v25, s25, v33
	v_mul_f32_e32 v33, s24, v33
	s_delay_alu instid0(VALU_DEP_2) | instskip(NEXT) | instid1(VALU_DEP_1)
	v_fma_f32 v25, v32, s24, -v25
	v_dual_fmac_f32 v33, s25, v32 :: v_dual_add_f32 v32, v12, v25
	s_delay_alu instid0(VALU_DEP_1)
	v_add_f32_e32 v33, v13, v33
	global_store_b64 v[30:31], v[32:33], off
.LBB250_30:                             ;   in Loop: Header=BB250_8 Depth=1
	s_and_not1_b32 vcc_lo, exec_lo, s31
	s_wait_alu 0xfffe
	s_cbranch_vccnz .LBB250_32
; %bb.31:                               ;   in Loop: Header=BB250_8 Depth=1
	v_add_co_u32 v30, vcc_lo, v0, v8
	s_wait_alu 0xfffd
	v_add_co_ci_u32_e64 v31, null, v24, v9, vcc_lo
	global_store_b64 v[30:31], v[12:13], off
.LBB250_32:                             ;   in Loop: Header=BB250_8 Depth=1
	s_wait_alu 0xfffe
	s_or_b32 exec_lo, exec_lo, s23
	v_add_co_u32 v0, vcc_lo, s2, v4
	s_wait_alu 0xfffd
	v_add_co_ci_u32_e64 v24, null, s3, v5, vcc_lo
	s_and_saveexec_b32 s2, s1
	s_cbranch_execz .LBB250_37
; %bb.33:                               ;   in Loop: Header=BB250_8 Depth=1
	v_mul_f32_e32 v13, s14, v29
	v_mul_f32_e32 v12, s15, v29
	s_and_not1_b32 vcc_lo, exec_lo, s11
	s_mov_b32 s3, -1
	s_delay_alu instid0(VALU_DEP_2) | instskip(NEXT) | instid1(VALU_DEP_2)
	v_fmac_f32_e32 v13, s15, v28
	v_fma_f32 v12, v28, s14, -v12
	s_wait_alu 0xfffe
	s_cbranch_vccnz .LBB250_35
; %bb.34:                               ;   in Loop: Header=BB250_8 Depth=1
	v_add_co_u32 v28, vcc_lo, v0, v6
	s_wait_alu 0xfffd
	v_add_co_ci_u32_e64 v29, null, v24, v7, vcc_lo
	s_mov_b32 s3, 0
	global_load_b64 v[30:31], v[28:29], off
	s_wait_loadcnt 0x0
	v_mul_f32_e32 v25, s25, v31
	s_delay_alu instid0(VALU_DEP_1) | instskip(SKIP_1) | instid1(VALU_DEP_1)
	v_fma_f32 v25, v30, s24, -v25
	v_mul_f32_e32 v31, s24, v31
	v_dual_fmac_f32 v31, s25, v30 :: v_dual_add_f32 v30, v12, v25
	s_delay_alu instid0(VALU_DEP_1)
	v_add_f32_e32 v31, v13, v31
	global_store_b64 v[28:29], v[30:31], off
.LBB250_35:                             ;   in Loop: Header=BB250_8 Depth=1
	s_wait_alu 0xfffe
	s_and_not1_b32 vcc_lo, exec_lo, s3
	s_wait_alu 0xfffe
	s_cbranch_vccnz .LBB250_37
; %bb.36:                               ;   in Loop: Header=BB250_8 Depth=1
	v_add_co_u32 v28, vcc_lo, v0, v6
	s_wait_alu 0xfffd
	v_add_co_ci_u32_e64 v29, null, v24, v7, vcc_lo
	global_store_b64 v[28:29], v[12:13], off
.LBB250_37:                             ;   in Loop: Header=BB250_8 Depth=1
	s_wait_alu 0xfffe
	s_or_b32 exec_lo, exec_lo, s2
	s_and_saveexec_b32 s2, s4
	s_cbranch_execz .LBB250_7
; %bb.38:                               ;   in Loop: Header=BB250_8 Depth=1
	v_mul_f32_e32 v13, s14, v26
	v_mul_f32_e32 v12, s15, v26
	s_and_not1_b32 vcc_lo, exec_lo, s11
	s_mov_b32 s3, -1
	s_delay_alu instid0(VALU_DEP_2) | instskip(NEXT) | instid1(VALU_DEP_2)
	v_fmac_f32_e32 v13, s15, v27
	v_fma_f32 v12, v27, s14, -v12
	s_wait_alu 0xfffe
	s_cbranch_vccnz .LBB250_40
; %bb.39:                               ;   in Loop: Header=BB250_8 Depth=1
	v_add_co_u32 v25, vcc_lo, v0, v8
	s_wait_alu 0xfffd
	v_add_co_ci_u32_e64 v26, null, v24, v9, vcc_lo
	s_mov_b32 s3, 0
	global_load_b64 v[27:28], v[25:26], off
	s_wait_loadcnt 0x0
	v_mul_f32_e32 v29, s25, v28
	v_mul_f32_e32 v28, s24, v28
	s_delay_alu instid0(VALU_DEP_1) | instskip(NEXT) | instid1(VALU_DEP_3)
	v_fmac_f32_e32 v28, s25, v27
	v_fma_f32 v29, v27, s24, -v29
	s_delay_alu instid0(VALU_DEP_1)
	v_dual_add_f32 v28, v13, v28 :: v_dual_add_f32 v27, v12, v29
	global_store_b64 v[25:26], v[27:28], off
.LBB250_40:                             ;   in Loop: Header=BB250_8 Depth=1
	s_wait_alu 0xfffe
	s_and_not1_b32 vcc_lo, exec_lo, s3
	s_wait_alu 0xfffe
	s_cbranch_vccnz .LBB250_7
; %bb.41:                               ;   in Loop: Header=BB250_8 Depth=1
	v_add_co_u32 v25, vcc_lo, v0, v8
	s_wait_alu 0xfffd
	v_add_co_ci_u32_e64 v26, null, v24, v9, vcc_lo
	global_store_b64 v[25:26], v[12:13], off
	s_branch .LBB250_7
.LBB250_42:
	s_endpgm
	.section	.rodata,"a",@progbits
	.p2align	6, 0x0
	.amdhsa_kernel _ZL29rocblas_internal_gemmt_kernelIlLi16ELi32ELi8ELc67ELc84ELc76ELb1ELb0E19rocblas_complex_numIfES1_PKS1_PS1_EviT_T9_T10_S5_lS7_S5_lS6_T11_S5_li
		.amdhsa_group_segment_fixed_size 4096
		.amdhsa_private_segment_fixed_size 0
		.amdhsa_kernarg_size 108
		.amdhsa_user_sgpr_count 2
		.amdhsa_user_sgpr_dispatch_ptr 0
		.amdhsa_user_sgpr_queue_ptr 0
		.amdhsa_user_sgpr_kernarg_segment_ptr 1
		.amdhsa_user_sgpr_dispatch_id 0
		.amdhsa_user_sgpr_private_segment_size 0
		.amdhsa_wavefront_size32 1
		.amdhsa_uses_dynamic_stack 0
		.amdhsa_enable_private_segment 0
		.amdhsa_system_sgpr_workgroup_id_x 1
		.amdhsa_system_sgpr_workgroup_id_y 1
		.amdhsa_system_sgpr_workgroup_id_z 1
		.amdhsa_system_sgpr_workgroup_info 0
		.amdhsa_system_vgpr_workitem_id 1
		.amdhsa_next_free_vgpr 71
		.amdhsa_next_free_sgpr 36
		.amdhsa_reserve_vcc 1
		.amdhsa_float_round_mode_32 0
		.amdhsa_float_round_mode_16_64 0
		.amdhsa_float_denorm_mode_32 3
		.amdhsa_float_denorm_mode_16_64 3
		.amdhsa_fp16_overflow 0
		.amdhsa_workgroup_processor_mode 1
		.amdhsa_memory_ordered 1
		.amdhsa_forward_progress 1
		.amdhsa_inst_pref_size 26
		.amdhsa_round_robin_scheduling 0
		.amdhsa_exception_fp_ieee_invalid_op 0
		.amdhsa_exception_fp_denorm_src 0
		.amdhsa_exception_fp_ieee_div_zero 0
		.amdhsa_exception_fp_ieee_overflow 0
		.amdhsa_exception_fp_ieee_underflow 0
		.amdhsa_exception_fp_ieee_inexact 0
		.amdhsa_exception_int_div_zero 0
	.end_amdhsa_kernel
	.section	.text._ZL29rocblas_internal_gemmt_kernelIlLi16ELi32ELi8ELc67ELc84ELc76ELb1ELb0E19rocblas_complex_numIfES1_PKS1_PS1_EviT_T9_T10_S5_lS7_S5_lS6_T11_S5_li,"axG",@progbits,_ZL29rocblas_internal_gemmt_kernelIlLi16ELi32ELi8ELc67ELc84ELc76ELb1ELb0E19rocblas_complex_numIfES1_PKS1_PS1_EviT_T9_T10_S5_lS7_S5_lS6_T11_S5_li,comdat
.Lfunc_end250:
	.size	_ZL29rocblas_internal_gemmt_kernelIlLi16ELi32ELi8ELc67ELc84ELc76ELb1ELb0E19rocblas_complex_numIfES1_PKS1_PS1_EviT_T9_T10_S5_lS7_S5_lS6_T11_S5_li, .Lfunc_end250-_ZL29rocblas_internal_gemmt_kernelIlLi16ELi32ELi8ELc67ELc84ELc76ELb1ELb0E19rocblas_complex_numIfES1_PKS1_PS1_EviT_T9_T10_S5_lS7_S5_lS6_T11_S5_li
                                        ; -- End function
	.set _ZL29rocblas_internal_gemmt_kernelIlLi16ELi32ELi8ELc67ELc84ELc76ELb1ELb0E19rocblas_complex_numIfES1_PKS1_PS1_EviT_T9_T10_S5_lS7_S5_lS6_T11_S5_li.num_vgpr, 71
	.set _ZL29rocblas_internal_gemmt_kernelIlLi16ELi32ELi8ELc67ELc84ELc76ELb1ELb0E19rocblas_complex_numIfES1_PKS1_PS1_EviT_T9_T10_S5_lS7_S5_lS6_T11_S5_li.num_agpr, 0
	.set _ZL29rocblas_internal_gemmt_kernelIlLi16ELi32ELi8ELc67ELc84ELc76ELb1ELb0E19rocblas_complex_numIfES1_PKS1_PS1_EviT_T9_T10_S5_lS7_S5_lS6_T11_S5_li.numbered_sgpr, 36
	.set _ZL29rocblas_internal_gemmt_kernelIlLi16ELi32ELi8ELc67ELc84ELc76ELb1ELb0E19rocblas_complex_numIfES1_PKS1_PS1_EviT_T9_T10_S5_lS7_S5_lS6_T11_S5_li.num_named_barrier, 0
	.set _ZL29rocblas_internal_gemmt_kernelIlLi16ELi32ELi8ELc67ELc84ELc76ELb1ELb0E19rocblas_complex_numIfES1_PKS1_PS1_EviT_T9_T10_S5_lS7_S5_lS6_T11_S5_li.private_seg_size, 0
	.set _ZL29rocblas_internal_gemmt_kernelIlLi16ELi32ELi8ELc67ELc84ELc76ELb1ELb0E19rocblas_complex_numIfES1_PKS1_PS1_EviT_T9_T10_S5_lS7_S5_lS6_T11_S5_li.uses_vcc, 1
	.set _ZL29rocblas_internal_gemmt_kernelIlLi16ELi32ELi8ELc67ELc84ELc76ELb1ELb0E19rocblas_complex_numIfES1_PKS1_PS1_EviT_T9_T10_S5_lS7_S5_lS6_T11_S5_li.uses_flat_scratch, 0
	.set _ZL29rocblas_internal_gemmt_kernelIlLi16ELi32ELi8ELc67ELc84ELc76ELb1ELb0E19rocblas_complex_numIfES1_PKS1_PS1_EviT_T9_T10_S5_lS7_S5_lS6_T11_S5_li.has_dyn_sized_stack, 0
	.set _ZL29rocblas_internal_gemmt_kernelIlLi16ELi32ELi8ELc67ELc84ELc76ELb1ELb0E19rocblas_complex_numIfES1_PKS1_PS1_EviT_T9_T10_S5_lS7_S5_lS6_T11_S5_li.has_recursion, 0
	.set _ZL29rocblas_internal_gemmt_kernelIlLi16ELi32ELi8ELc67ELc84ELc76ELb1ELb0E19rocblas_complex_numIfES1_PKS1_PS1_EviT_T9_T10_S5_lS7_S5_lS6_T11_S5_li.has_indirect_call, 0
	.section	.AMDGPU.csdata,"",@progbits
; Kernel info:
; codeLenInByte = 3276
; TotalNumSgprs: 38
; NumVgprs: 71
; ScratchSize: 0
; MemoryBound: 0
; FloatMode: 240
; IeeeMode: 1
; LDSByteSize: 4096 bytes/workgroup (compile time only)
; SGPRBlocks: 0
; VGPRBlocks: 8
; NumSGPRsForWavesPerEU: 38
; NumVGPRsForWavesPerEU: 71
; Occupancy: 16
; WaveLimiterHint : 0
; COMPUTE_PGM_RSRC2:SCRATCH_EN: 0
; COMPUTE_PGM_RSRC2:USER_SGPR: 2
; COMPUTE_PGM_RSRC2:TRAP_HANDLER: 0
; COMPUTE_PGM_RSRC2:TGID_X_EN: 1
; COMPUTE_PGM_RSRC2:TGID_Y_EN: 1
; COMPUTE_PGM_RSRC2:TGID_Z_EN: 1
; COMPUTE_PGM_RSRC2:TIDIG_COMP_CNT: 1
	.section	.text._ZL29rocblas_internal_gemmt_kernelIlLi16ELi32ELi8ELc67ELc67ELc76ELb1ELb1E19rocblas_complex_numIfES1_PKS1_PS1_EviT_T9_T10_S5_lS7_S5_lS6_T11_S5_li,"axG",@progbits,_ZL29rocblas_internal_gemmt_kernelIlLi16ELi32ELi8ELc67ELc67ELc76ELb1ELb1E19rocblas_complex_numIfES1_PKS1_PS1_EviT_T9_T10_S5_lS7_S5_lS6_T11_S5_li,comdat
	.globl	_ZL29rocblas_internal_gemmt_kernelIlLi16ELi32ELi8ELc67ELc67ELc76ELb1ELb1E19rocblas_complex_numIfES1_PKS1_PS1_EviT_T9_T10_S5_lS7_S5_lS6_T11_S5_li ; -- Begin function _ZL29rocblas_internal_gemmt_kernelIlLi16ELi32ELi8ELc67ELc67ELc76ELb1ELb1E19rocblas_complex_numIfES1_PKS1_PS1_EviT_T9_T10_S5_lS7_S5_lS6_T11_S5_li
	.p2align	8
	.type	_ZL29rocblas_internal_gemmt_kernelIlLi16ELi32ELi8ELc67ELc67ELc76ELb1ELb1E19rocblas_complex_numIfES1_PKS1_PS1_EviT_T9_T10_S5_lS7_S5_lS6_T11_S5_li,@function
_ZL29rocblas_internal_gemmt_kernelIlLi16ELi32ELi8ELc67ELc67ELc76ELb1ELb1E19rocblas_complex_numIfES1_PKS1_PS1_EviT_T9_T10_S5_lS7_S5_lS6_T11_S5_li: ; @_ZL29rocblas_internal_gemmt_kernelIlLi16ELi32ELi8ELc67ELc67ELc76ELb1ELb1E19rocblas_complex_numIfES1_PKS1_PS1_EviT_T9_T10_S5_lS7_S5_lS6_T11_S5_li
; %bb.0:
	s_clause 0x1
	s_load_b64 s[24:25], s[0:1], 0x48
	s_load_b128 s[12:15], s[0:1], 0x8
	s_wait_kmcnt 0x0
	s_cmp_eq_f32 s24, 1.0
	s_cselect_b32 s2, -1, 0
	s_and_b32 s3, s25, 0x7fffffff
	s_delay_alu instid0(SALU_CYCLE_1) | instskip(SKIP_1) | instid1(SALU_CYCLE_1)
	s_cmp_eq_u32 s3, 0
	s_cselect_b32 s31, -1, 0
	s_and_b32 s3, s2, s31
	s_mov_b32 s2, 0
	s_and_not1_b32 vcc_lo, exec_lo, s3
	s_mov_b32 s3, -1
	s_cbranch_vccnz .LBB251_4
; %bb.1:
	s_cmp_lg_u64 s[12:13], 0
	s_cbranch_scc0 .LBB251_3
; %bb.2:
	s_cmp_neq_f32 s14, 0
	s_cselect_b32 s2, -1, 0
	s_cmp_neq_f32 s15, 0
	s_cselect_b32 s3, -1, 0
	s_delay_alu instid0(SALU_CYCLE_1)
	s_or_b32 s2, s2, s3
.LBB251_3:
	s_delay_alu instid0(SALU_CYCLE_1)
	s_mov_b32 s3, s2
.LBB251_4:
	s_delay_alu instid0(SALU_CYCLE_1)
	s_and_b32 vcc_lo, exec_lo, s3
	s_cbranch_vccz .LBB251_42
; %bb.5:
	s_load_b32 s30, s[0:1], 0x68
	s_lshr_b32 s26, ttmp7, 16
	s_wait_kmcnt 0x0
	s_cmp_ge_u32 s26, s30
	s_cbranch_scc1 .LBB251_42
; %bb.6:
	v_and_b32_e32 v7, 0x3ff, v0
	v_bfe_u32 v8, v0, 10, 10
	s_load_b256 s[4:11], s[0:1], 0x18
	s_lshl_b32 s2, ttmp7, 5
	s_lshl_b32 s3, ttmp9, 5
	s_and_b32 s2, s2, 0x1fffe0
	v_lshl_add_u32 v2, v8, 4, v7
	s_cmp_neq_f32 s14, 0
	v_and_b32_e32 v14, 7, v0
	s_clause 0x3
	s_load_b32 s33, s[0:1], 0x0
	s_load_b128 s[16:19], s[0:1], 0x38
	s_load_b128 s[20:23], s[0:1], 0x50
	s_load_b64 s[28:29], s[0:1], 0x60
	v_and_b32_e32 v3, 31, v2
	s_cselect_b32 s0, -1, 0
	s_cmp_neq_f32 s15, 0
	v_lshrrev_b32_e32 v6, 3, v2
	v_lshrrev_b32_e32 v15, 5, v2
	v_or_b32_e32 v4, s3, v3
	s_cselect_b32 s1, -1, 0
	v_lshlrev_b32_e32 v3, 3, v3
	v_add_nc_u32_e32 v2, s2, v6
	v_add_nc_u32_e32 v11, s2, v8
	s_or_b32 s35, s0, s1
	s_wait_kmcnt 0x0
	v_mul_lo_u32 v5, s7, v4
	v_mad_co_u64_u32 v[0:1], null, s6, v4, 0
	s_ashr_i32 s7, s3, 31
	v_lshl_or_b32 v16, v15, 8, v3
	s_wait_alu 0xfffe
	s_mul_i32 s6, s6, s7
	v_add_nc_u32_e32 v12, 16, v11
	v_cmp_gt_i32_e64 s0, s33, v4
	v_lshl_add_u32 v23, v8, 6, 0x800
	s_wait_alu 0xfffe
	v_add3_u32 v1, v1, s6, v5
	v_cmp_le_i32_e64 s6, s33, v4
	s_cmp_neq_f32 s24, 0
	v_cmp_gt_i64_e64 s34, s[12:13], 0
	s_mov_b32 s27, 0
	v_lshlrev_b64_e32 v[0:1], 3, v[0:1]
	s_delay_alu instid0(VALU_DEP_1) | instskip(NEXT) | instid1(VALU_DEP_1)
	v_add_co_u32 v17, vcc_lo, s4, v0
	v_add_co_ci_u32_e64 v18, null, s5, v1, vcc_lo
	v_mov_b32_e32 v1, 0
	v_lshlrev_b32_e32 v9, 3, v14
	v_cmp_gt_i32_e32 vcc_lo, s33, v2
	v_lshlrev_b32_e32 v0, 3, v2
	v_mad_co_u64_u32 v[2:3], null, s22, v11, 0
	s_delay_alu instid0(VALU_DEP_4) | instskip(NEXT) | instid1(VALU_DEP_3)
	v_lshl_or_b32 v5, v6, 6, v9
	v_add_co_u32 v20, s1, s10, v0
	s_delay_alu instid0(VALU_DEP_1) | instskip(NEXT) | instid1(VALU_DEP_3)
	v_add_co_ci_u32_e64 v21, null, s11, 0, s1
	v_add_nc_u32_e32 v19, 0x800, v5
	v_mad_co_u64_u32 v[4:5], null, s22, v12, 0
	v_mov_b32_e32 v0, v3
	v_add_nc_u32_e32 v6, s3, v7
	v_lshlrev_b32_e32 v22, 3, v7
	s_cselect_b32 s11, -1, 0
	s_xor_b32 s22, s31, -1
	v_mad_co_u64_u32 v[9:10], null, s23, v11, v[0:1]
	v_add_nc_u32_e32 v8, 16, v6
	v_mov_b32_e32 v0, v5
	v_cmp_le_i32_e64 s1, v11, v6
	v_cmp_gt_i32_e64 s2, s33, v6
	v_ashrrev_i32_e32 v7, 31, v6
	v_cmp_le_i32_e64 s3, v11, v8
	v_mad_co_u64_u32 v[10:11], null, s23, v12, v[0:1]
	v_cmp_gt_i32_e64 s4, s33, v8
	v_mov_b32_e32 v3, v9
	v_ashrrev_i32_e32 v9, 31, v8
	s_and_b32 s5, s1, s2
	v_cmp_le_i32_e64 s1, v12, v6
	s_and_b32 s7, s3, s4
	v_mov_b32_e32 v5, v10
	v_cmp_le_i32_e64 s3, v12, v8
	v_lshlrev_b64_e32 v[2:3], 3, v[2:3]
	v_lshlrev_b64_e32 v[6:7], 3, v[6:7]
	;; [unrolled: 1-line block ×4, first 2 shown]
	s_and_b32 s10, s35, s34
	s_wait_alu 0xfffe
	s_or_b32 s11, s11, s22
	s_and_b32 s1, s1, s2
	s_and_b32 s4, s3, s4
	s_xor_b32 s22, vcc_lo, -1
                                        ; implicit-def: $vgpr10_vgpr11
	s_branch .LBB251_8
.LBB251_7:                              ;   in Loop: Header=BB251_8 Depth=1
	s_wait_alu 0xfffe
	s_or_b32 exec_lo, exec_lo, s2
	s_add_co_i32 s26, s26, 0x10000
	s_delay_alu instid0(SALU_CYCLE_1)
	s_cmp_lt_u32 s26, s30
	s_cbranch_scc0 .LBB251_42
.LBB251_8:                              ; =>This Loop Header: Depth=1
                                        ;     Child Loop BB251_11 Depth 2
	s_and_not1_b32 vcc_lo, exec_lo, s10
	s_wait_alu 0xfffe
	s_cbranch_vccnz .LBB251_21
; %bb.9:                                ;   in Loop: Header=BB251_8 Depth=1
	s_mul_u64 s[2:3], s[8:9], s[26:27]
	s_mul_u64 s[34:35], s[18:19], s[26:27]
	s_wait_alu 0xfffe
	s_lshl_b64 s[2:3], s[2:3], 3
	v_dual_mov_b32 v26, 0 :: v_dual_mov_b32 v27, 0
	s_wait_alu 0xfffe
	v_add_co_u32 v12, vcc_lo, v17, s2
	s_wait_alu 0xfffd
	v_add_co_ci_u32_e64 v13, null, s3, v18, vcc_lo
	s_lshl_b64 s[2:3], s[34:35], 3
	v_dual_mov_b32 v29, 0 :: v_dual_mov_b32 v28, 0
	s_wait_alu 0xfffe
	v_add_co_u32 v24, vcc_lo, v20, s2
	s_wait_alu 0xfffd
	v_add_co_ci_u32_e64 v25, null, s3, v21, vcc_lo
	v_dual_mov_b32 v31, 0 :: v_dual_mov_b32 v30, 0
	v_dual_mov_b32 v33, 0 :: v_dual_mov_b32 v32, 0
	s_mov_b64 s[2:3], 0
	s_branch .LBB251_11
.LBB251_10:                             ;   in Loop: Header=BB251_11 Depth=2
	s_or_b32 exec_lo, exec_lo, s23
	ds_store_b32 v19, v34 offset:4
	s_wait_dscnt 0x0
	s_barrier_signal -1
	s_barrier_wait -1
	global_inv scope:SCOPE_SE
	ds_load_b128 v[34:37], v23
	ds_load_2addr_b64 v[38:41], v22 offset1:16
	ds_load_b128 v[42:45], v23 offset:1024
	ds_load_b128 v[46:49], v23 offset:16
	;; [unrolled: 1-line block ×4, first 2 shown]
	ds_load_2addr_b64 v[58:61], v22 offset0:32 offset1:48
	ds_load_b128 v[62:65], v23 offset:1040
	s_add_nc_u64 s[2:3], s[2:3], 8
	s_wait_alu 0xfffe
	v_cmp_gt_i64_e64 s23, s[12:13], s[2:3]
	s_and_b32 vcc_lo, exec_lo, s23
	s_wait_dscnt 0x6
	v_mul_f32_e32 v0, v35, v39
	v_dual_mul_f32 v66, v34, v39 :: v_dual_mul_f32 v67, v35, v41
	s_wait_dscnt 0x5
	v_dual_mul_f32 v68, v34, v41 :: v_dual_mul_f32 v69, v43, v39
	v_dual_mul_f32 v39, v42, v39 :: v_dual_mul_f32 v70, v43, v41
	v_mul_f32_e32 v41, v42, v41
	v_fma_f32 v0, v34, v38, -v0
	v_fma_f32 v34, v34, v40, -v67
	s_delay_alu instid0(VALU_DEP_4)
	v_fmac_f32_e32 v39, v43, v38
	v_fmac_f32_e32 v68, v35, v40
	;; [unrolled: 1-line block ×3, first 2 shown]
	v_add_f32_e32 v0, v32, v0
	v_fmac_f32_e32 v66, v35, v38
	v_fma_f32 v35, v42, v38, -v69
	s_delay_alu instid0(VALU_DEP_2)
	v_add_f32_e32 v32, v33, v66
	v_add_f32_e32 v33, v30, v34
	v_fma_f32 v30, v42, v40, -v70
	s_wait_dscnt 0x1
	v_mul_f32_e32 v38, v37, v59
	v_add_f32_e32 v34, v28, v35
	v_dual_add_f32 v35, v29, v39 :: v_dual_add_f32 v26, v26, v41
	v_add_f32_e32 v39, v27, v30
	ds_load_2addr_b64 v[27:30], v22 offset0:64 offset1:80
	v_fma_f32 v38, v36, v58, -v38
	v_mul_f32_e32 v42, v37, v61
	v_mul_f32_e32 v41, v36, v61
	s_delay_alu instid0(VALU_DEP_3) | instskip(SKIP_1) | instid1(VALU_DEP_3)
	v_dual_add_f32 v31, v31, v68 :: v_dual_add_f32 v0, v0, v38
	v_mul_f32_e32 v38, v45, v59
	v_dual_mul_f32 v40, v36, v59 :: v_dual_fmac_f32 v41, v37, v60
	v_fma_f32 v36, v36, v60, -v42
	s_delay_alu instid0(VALU_DEP_2) | instskip(SKIP_1) | instid1(VALU_DEP_3)
	v_fmac_f32_e32 v40, v37, v58
	v_mul_f32_e32 v37, v45, v61
	v_add_f32_e32 v36, v33, v36
	v_fma_f32 v33, v44, v58, -v38
	v_add_f32_e32 v38, v31, v41
	v_mul_f32_e32 v41, v44, v61
	v_fma_f32 v31, v44, v60, -v37
	v_add_f32_e32 v40, v32, v40
	v_mul_f32_e32 v32, v44, v59
	s_wait_dscnt 0x0
	v_dual_add_f32 v42, v34, v33 :: v_dual_mul_f32 v33, v47, v28
	v_fmac_f32_e32 v41, v45, v60
	s_delay_alu instid0(VALU_DEP_3) | instskip(SKIP_1) | instid1(VALU_DEP_4)
	v_dual_mul_f32 v37, v46, v28 :: v_dual_fmac_f32 v32, v45, v58
	v_add_f32_e32 v39, v39, v31
	v_fma_f32 v43, v46, v27, -v33
	s_delay_alu instid0(VALU_DEP_3) | instskip(NEXT) | instid1(VALU_DEP_4)
	v_fmac_f32_e32 v37, v47, v27
	v_add_f32_e32 v35, v35, v32
	ds_load_2addr_b64 v[31:34], v22 offset0:96 offset1:112
	v_mul_f32_e32 v44, v47, v30
	v_add_f32_e32 v0, v0, v43
	v_dual_add_f32 v37, v40, v37 :: v_dual_mul_f32 v40, v63, v28
	v_mul_f32_e32 v28, v62, v28
	s_delay_alu instid0(VALU_DEP_4)
	v_fma_f32 v43, v46, v29, -v44
	v_add_f32_e32 v41, v26, v41
	v_mul_f32_e32 v26, v46, v30
	v_fma_f32 v40, v62, v27, -v40
	v_fmac_f32_e32 v28, v63, v27
	v_dual_add_f32 v36, v36, v43 :: v_dual_mul_f32 v43, v63, v30
	v_mul_f32_e32 v30, v62, v30
	s_delay_alu instid0(VALU_DEP_4) | instskip(NEXT) | instid1(VALU_DEP_4)
	v_add_f32_e32 v40, v42, v40
	v_add_f32_e32 v42, v35, v28
	s_wait_dscnt 0x0
	s_delay_alu instid0(VALU_DEP_3) | instskip(NEXT) | instid1(VALU_DEP_1)
	v_dual_fmac_f32 v30, v63, v29 :: v_dual_mul_f32 v35, v49, v32
	v_add_f32_e32 v41, v41, v30
	s_delay_alu instid0(VALU_DEP_2) | instskip(NEXT) | instid1(VALU_DEP_1)
	v_fma_f32 v35, v48, v31, -v35
	v_dual_add_f32 v0, v0, v35 :: v_dual_mul_f32 v35, v65, v32
	v_dual_fmac_f32 v26, v47, v29 :: v_dual_mul_f32 v47, v65, v34
	s_delay_alu instid0(VALU_DEP_2) | instskip(NEXT) | instid1(VALU_DEP_2)
	v_fma_f32 v46, v64, v31, -v35
	v_add_f32_e32 v44, v38, v26
	v_fma_f32 v26, v62, v29, -v43
	v_dual_mul_f32 v38, v48, v32 :: v_dual_mul_f32 v43, v49, v34
	s_delay_alu instid0(VALU_DEP_2) | instskip(SKIP_3) | instid1(VALU_DEP_2)
	v_dual_mul_f32 v32, v64, v32 :: v_dual_add_f32 v39, v39, v26
	ds_load_2addr_b64 v[26:29], v22 offset0:128 offset1:144
	v_fmac_f32_e32 v38, v49, v31
	v_fma_f32 v43, v48, v33, -v43
	v_add_f32_e32 v45, v37, v38
	s_delay_alu instid0(VALU_DEP_2) | instskip(SKIP_4) | instid1(VALU_DEP_2)
	v_add_f32_e32 v43, v36, v43
	ds_load_b128 v[35:38], v23 offset:1056
	v_mul_f32_e32 v30, v48, v34
	v_fmac_f32_e32 v32, v65, v31
	s_wait_dscnt 0x1
	v_dual_fmac_f32 v30, v49, v33 :: v_dual_mul_f32 v49, v50, v27
	s_delay_alu instid0(VALU_DEP_1) | instskip(SKIP_2) | instid1(VALU_DEP_4)
	v_dual_mul_f32 v31, v51, v27 :: v_dual_add_f32 v44, v44, v30
	v_fma_f32 v30, v64, v33, -v47
	v_add_f32_e32 v47, v42, v32
	v_fmac_f32_e32 v49, v51, v26
	s_delay_alu instid0(VALU_DEP_3) | instskip(SKIP_1) | instid1(VALU_DEP_3)
	v_add_f32_e32 v48, v39, v30
	v_fma_f32 v39, v50, v26, -v31
	v_dual_add_f32 v45, v45, v49 :: v_dual_mul_f32 v34, v64, v34
	s_delay_alu instid0(VALU_DEP_2) | instskip(NEXT) | instid1(VALU_DEP_2)
	v_add_f32_e32 v0, v0, v39
	v_fmac_f32_e32 v34, v65, v33
	ds_load_2addr_b64 v[30:33], v22 offset0:160 offset1:176
	v_add_f32_e32 v46, v40, v46
	v_mul_f32_e32 v40, v51, v29
	s_delay_alu instid0(VALU_DEP_1) | instskip(NEXT) | instid1(VALU_DEP_1)
	v_fma_f32 v58, v50, v28, -v40
	v_dual_mul_f32 v50, v50, v29 :: v_dual_add_f32 v43, v43, v58
	s_delay_alu instid0(VALU_DEP_1)
	v_fmac_f32_e32 v50, v51, v28
	v_add_f32_e32 v34, v41, v34
	ds_load_b128 v[39:42], v23 offset:1072
	s_wait_dscnt 0x2
	v_mul_f32_e32 v59, v36, v27
	v_dual_mul_f32 v27, v35, v27 :: v_dual_add_f32 v44, v44, v50
	v_mul_f32_e32 v50, v35, v29
	v_mul_f32_e32 v51, v36, v29
	s_delay_alu instid0(VALU_DEP_4) | instskip(NEXT) | instid1(VALU_DEP_4)
	v_fma_f32 v49, v35, v26, -v59
	v_fmac_f32_e32 v27, v36, v26
	s_delay_alu instid0(VALU_DEP_4)
	v_fmac_f32_e32 v50, v36, v28
	s_wait_dscnt 0x1
	v_mul_f32_e32 v36, v52, v31
	v_fma_f32 v26, v35, v28, -v51
	v_add_f32_e32 v35, v47, v27
	v_mul_f32_e32 v47, v53, v31
	s_delay_alu instid0(VALU_DEP_4) | instskip(NEXT) | instid1(VALU_DEP_2)
	v_fmac_f32_e32 v36, v53, v30
	v_fma_f32 v47, v52, v30, -v47
	s_delay_alu instid0(VALU_DEP_2) | instskip(SKIP_1) | instid1(VALU_DEP_3)
	v_dual_add_f32 v45, v45, v36 :: v_dual_mul_f32 v36, v38, v31
	v_dual_mul_f32 v31, v37, v31 :: v_dual_add_f32 v46, v46, v49
	v_dual_mul_f32 v49, v53, v33 :: v_dual_add_f32 v0, v0, v47
	s_delay_alu instid0(VALU_DEP_3) | instskip(NEXT) | instid1(VALU_DEP_3)
	v_fma_f32 v36, v37, v30, -v36
	v_dual_fmac_f32 v31, v38, v30 :: v_dual_mul_f32 v30, v37, v33
	s_delay_alu instid0(VALU_DEP_3) | instskip(NEXT) | instid1(VALU_DEP_2)
	v_fma_f32 v47, v52, v32, -v49
	v_dual_add_f32 v31, v35, v31 :: v_dual_fmac_f32 v30, v38, v32
	s_delay_alu instid0(VALU_DEP_2)
	v_add_f32_e32 v43, v43, v47
	v_dual_mul_f32 v47, v38, v33 :: v_dual_add_f32 v48, v48, v26
	ds_load_2addr_b64 v[26:29], v22 offset0:192 offset1:208
	v_add_f32_e32 v50, v34, v50
	v_mul_f32_e32 v34, v52, v33
	v_fma_f32 v33, v37, v32, -v47
	s_wait_dscnt 0x0
	s_delay_alu instid0(VALU_DEP_2) | instskip(NEXT) | instid1(VALU_DEP_1)
	v_dual_fmac_f32 v34, v53, v32 :: v_dual_mul_f32 v47, v55, v29
	v_fma_f32 v47, v54, v28, -v47
	s_delay_alu instid0(VALU_DEP_1) | instskip(SKIP_3) | instid1(VALU_DEP_3)
	v_dual_add_f32 v43, v43, v47 :: v_dual_add_f32 v32, v48, v33
	v_mul_f32_e32 v33, v54, v27
	v_mul_f32_e32 v48, v40, v27
	;; [unrolled: 1-line block ×3, first 2 shown]
	v_dual_fmac_f32 v33, v55, v26 :: v_dual_add_f32 v46, v46, v36
	s_delay_alu instid0(VALU_DEP_1) | instskip(SKIP_3) | instid1(VALU_DEP_3)
	v_dual_add_f32 v33, v45, v33 :: v_dual_add_f32 v44, v44, v34
	v_mul_f32_e32 v34, v55, v27
	v_mul_f32_e32 v27, v39, v27
	v_fma_f32 v45, v39, v26, -v48
	v_fma_f32 v38, v54, v26, -v34
	ds_load_2addr_b64 v[34:37], v22 offset0:224 offset1:240
	v_fmac_f32_e32 v27, v40, v26
	s_wait_loadcnt_dscnt 0x0
	s_barrier_signal -1
	v_add_f32_e32 v0, v0, v38
	s_barrier_wait -1
	v_dual_add_f32 v27, v31, v27 :: v_dual_mul_f32 v38, v54, v29
	v_mul_f32_e32 v29, v39, v29
	v_fma_f32 v39, v39, v28, -v47
	v_add_f32_e32 v30, v50, v30
	global_inv scope:SCOPE_SE
	v_fmac_f32_e32 v38, v55, v28
	v_fmac_f32_e32 v29, v40, v28
	s_delay_alu instid0(VALU_DEP_1) | instskip(SKIP_4) | instid1(VALU_DEP_4)
	v_dual_add_f32 v39, v32, v39 :: v_dual_add_f32 v40, v30, v29
	v_mul_f32_e32 v31, v57, v35
	v_mul_f32_e32 v32, v57, v37
	;; [unrolled: 1-line block ×4, first 2 shown]
	v_fma_f32 v31, v56, v34, -v31
	s_delay_alu instid0(VALU_DEP_4) | instskip(NEXT) | instid1(VALU_DEP_4)
	v_fma_f32 v30, v56, v36, -v32
	v_fmac_f32_e32 v28, v57, v34
	s_delay_alu instid0(VALU_DEP_4) | instskip(NEXT) | instid1(VALU_DEP_4)
	v_dual_fmac_f32 v29, v57, v36 :: v_dual_add_f32 v26, v44, v38
	v_add_f32_e32 v32, v0, v31
	v_mul_f32_e32 v0, v42, v35
	v_add_f32_e32 v38, v46, v45
	v_dual_add_f32 v30, v43, v30 :: v_dual_mul_f32 v35, v41, v35
	v_mul_f32_e32 v43, v42, v37
	s_delay_alu instid0(VALU_DEP_4)
	v_fma_f32 v0, v41, v34, -v0
	v_mul_f32_e32 v37, v41, v37
	v_add_f32_e32 v33, v33, v28
	v_fmac_f32_e32 v35, v42, v34
	v_add_f32_e32 v31, v26, v29
	v_add_f32_e32 v28, v38, v0
	v_fma_f32 v0, v41, v36, -v43
	v_fmac_f32_e32 v37, v42, v36
	v_add_f32_e32 v29, v27, v35
	s_delay_alu instid0(VALU_DEP_2)
	v_dual_add_f32 v27, v39, v0 :: v_dual_add_f32 v26, v40, v37
	s_wait_alu 0xfffe
	s_cbranch_vccz .LBB251_22
.LBB251_11:                             ;   Parent Loop BB251_8 Depth=1
                                        ; =>  This Inner Loop Header: Depth=2
	s_mov_b32 s23, 0
	s_mov_b32 s33, s6
	s_and_saveexec_b32 s31, s0
	s_cbranch_execnz .LBB251_19
; %bb.12:                               ;   in Loop: Header=BB251_11 Depth=2
	s_or_b32 exec_lo, exec_lo, s31
	s_wait_alu 0xfffe
	s_and_saveexec_b32 s31, s33
	s_delay_alu instid0(SALU_CYCLE_1)
	s_xor_b32 s31, exec_lo, s31
	s_cbranch_execnz .LBB251_20
.LBB251_13:                             ;   in Loop: Header=BB251_11 Depth=2
	s_or_b32 exec_lo, exec_lo, s31
	v_mov_b32_e32 v34, 0
	s_and_saveexec_b32 s31, s23
	s_cbranch_execz .LBB251_15
.LBB251_14:                             ;   in Loop: Header=BB251_11 Depth=2
	v_lshlrev_b64_e32 v[34:35], 3, v[10:11]
	s_delay_alu instid0(VALU_DEP_1) | instskip(SKIP_1) | instid1(VALU_DEP_2)
	v_add_co_u32 v34, vcc_lo, v12, v34
	s_wait_alu 0xfffd
	v_add_co_ci_u32_e64 v35, null, v13, v35, vcc_lo
	global_load_b64 v[35:36], v[34:35], off
	s_wait_loadcnt 0x0
	v_xor_b32_e32 v34, 0x80000000, v36
	ds_store_b32 v16, v35
.LBB251_15:                             ;   in Loop: Header=BB251_11 Depth=2
	s_or_b32 exec_lo, exec_lo, s31
	v_add_nc_u32_e32 v0, s2, v14
	ds_store_b32 v16, v34 offset:4
	v_cmp_le_u64_e32 vcc_lo, s[12:13], v[0:1]
	s_or_b32 s23, vcc_lo, s22
	s_wait_alu 0xfffe
	s_and_saveexec_b32 s31, s23
	s_delay_alu instid0(SALU_CYCLE_1)
	s_xor_b32 s23, exec_lo, s31
; %bb.16:                               ;   in Loop: Header=BB251_11 Depth=2
	ds_store_b32 v19, v1
; %bb.17:                               ;   in Loop: Header=BB251_11 Depth=2
	s_wait_alu 0xfffe
	s_or_saveexec_b32 s23, s23
	v_mov_b32_e32 v34, 0
	s_wait_alu 0xfffe
	s_xor_b32 exec_lo, exec_lo, s23
	s_cbranch_execz .LBB251_10
; %bb.18:                               ;   in Loop: Header=BB251_11 Depth=2
	v_mad_co_u64_u32 v[34:35], null, s16, v0, 0
	s_delay_alu instid0(VALU_DEP_1) | instskip(NEXT) | instid1(VALU_DEP_1)
	v_mad_co_u64_u32 v[35:36], null, s17, v0, v[35:36]
	v_lshlrev_b64_e32 v[34:35], 3, v[34:35]
	s_delay_alu instid0(VALU_DEP_1) | instskip(SKIP_1) | instid1(VALU_DEP_2)
	v_add_co_u32 v34, vcc_lo, v24, v34
	s_wait_alu 0xfffd
	v_add_co_ci_u32_e64 v35, null, v25, v35, vcc_lo
	global_load_b64 v[35:36], v[34:35], off
	s_wait_loadcnt 0x0
	v_xor_b32_e32 v34, 0x80000000, v36
	ds_store_b32 v19, v35
	s_branch .LBB251_10
.LBB251_19:                             ;   in Loop: Header=BB251_11 Depth=2
	s_wait_alu 0xfffe
	v_add_nc_u32_e32 v0, s2, v15
	v_mov_b32_e32 v11, v1
	s_and_not1_b32 s33, s6, exec_lo
	s_mov_b32 s23, exec_lo
	s_delay_alu instid0(VALU_DEP_2)
	v_cmp_le_u64_e32 vcc_lo, s[12:13], v[0:1]
	v_mov_b32_e32 v10, v0
	s_and_b32 s34, vcc_lo, exec_lo
	s_wait_alu 0xfffe
	s_or_b32 s33, s33, s34
	s_or_b32 exec_lo, exec_lo, s31
	s_wait_alu 0xfffe
	s_and_saveexec_b32 s31, s33
	s_delay_alu instid0(SALU_CYCLE_1)
	s_xor_b32 s31, exec_lo, s31
	s_cbranch_execz .LBB251_13
.LBB251_20:                             ;   in Loop: Header=BB251_11 Depth=2
	s_and_not1_b32 s23, s23, exec_lo
	ds_store_b32 v16, v1
	s_or_b32 exec_lo, exec_lo, s31
	v_mov_b32_e32 v34, 0
	s_wait_alu 0xfffe
	s_and_saveexec_b32 s31, s23
	s_cbranch_execnz .LBB251_14
	s_branch .LBB251_15
.LBB251_21:                             ;   in Loop: Header=BB251_8 Depth=1
	v_dual_mov_b32 v32, v1 :: v_dual_mov_b32 v33, v1
	v_dual_mov_b32 v30, v1 :: v_dual_mov_b32 v31, v1
	;; [unrolled: 1-line block ×4, first 2 shown]
.LBB251_22:                             ;   in Loop: Header=BB251_8 Depth=1
	s_mul_u64 s[2:3], s[28:29], s[26:27]
	s_wait_alu 0xfffe
	s_lshl_b64 s[2:3], s[2:3], 3
	s_wait_alu 0xfffe
	s_add_nc_u64 s[2:3], s[20:21], s[2:3]
	s_wait_alu 0xfffe
	v_add_co_u32 v0, vcc_lo, s2, v2
	s_wait_alu 0xfffd
	v_add_co_ci_u32_e64 v24, null, s3, v3, vcc_lo
	s_and_saveexec_b32 s23, s5
	s_cbranch_execz .LBB251_27
; %bb.23:                               ;   in Loop: Header=BB251_8 Depth=1
	v_mul_f32_e32 v13, s14, v33
	v_mul_f32_e32 v12, s15, v33
	s_and_b32 vcc_lo, exec_lo, s11
	s_mov_b32 s31, -1
	s_delay_alu instid0(VALU_DEP_2) | instskip(NEXT) | instid1(VALU_DEP_2)
	v_fmac_f32_e32 v13, s15, v32
	v_fma_f32 v12, v32, s14, -v12
	s_wait_alu 0xfffe
	s_cbranch_vccz .LBB251_25
; %bb.24:                               ;   in Loop: Header=BB251_8 Depth=1
	v_add_co_u32 v32, vcc_lo, v0, v6
	s_wait_alu 0xfffd
	v_add_co_ci_u32_e64 v33, null, v24, v7, vcc_lo
	s_mov_b32 s31, 0
	global_load_b64 v[34:35], v[32:33], off
	s_wait_loadcnt 0x0
	v_mul_f32_e32 v25, s25, v35
	s_delay_alu instid0(VALU_DEP_1) | instskip(SKIP_1) | instid1(VALU_DEP_1)
	v_fma_f32 v25, v34, s24, -v25
	v_mul_f32_e32 v35, s24, v35
	v_dual_fmac_f32 v35, s25, v34 :: v_dual_add_f32 v34, v12, v25
	s_delay_alu instid0(VALU_DEP_1)
	v_add_f32_e32 v35, v13, v35
	global_store_b64 v[32:33], v[34:35], off
.LBB251_25:                             ;   in Loop: Header=BB251_8 Depth=1
	s_and_not1_b32 vcc_lo, exec_lo, s31
	s_wait_alu 0xfffe
	s_cbranch_vccnz .LBB251_27
; %bb.26:                               ;   in Loop: Header=BB251_8 Depth=1
	v_add_co_u32 v32, vcc_lo, v0, v6
	s_wait_alu 0xfffd
	v_add_co_ci_u32_e64 v33, null, v24, v7, vcc_lo
	global_store_b64 v[32:33], v[12:13], off
.LBB251_27:                             ;   in Loop: Header=BB251_8 Depth=1
	s_wait_alu 0xfffe
	s_or_b32 exec_lo, exec_lo, s23
	s_and_saveexec_b32 s23, s7
	s_cbranch_execz .LBB251_32
; %bb.28:                               ;   in Loop: Header=BB251_8 Depth=1
	v_mul_f32_e32 v13, s14, v31
	v_mul_f32_e32 v12, s15, v31
	s_and_not1_b32 vcc_lo, exec_lo, s11
	s_mov_b32 s31, -1
	s_delay_alu instid0(VALU_DEP_2) | instskip(NEXT) | instid1(VALU_DEP_2)
	v_fmac_f32_e32 v13, s15, v30
	v_fma_f32 v12, v30, s14, -v12
	s_wait_alu 0xfffe
	s_cbranch_vccnz .LBB251_30
; %bb.29:                               ;   in Loop: Header=BB251_8 Depth=1
	v_add_co_u32 v30, vcc_lo, v0, v8
	s_wait_alu 0xfffd
	v_add_co_ci_u32_e64 v31, null, v24, v9, vcc_lo
	s_mov_b32 s31, 0
	global_load_b64 v[32:33], v[30:31], off
	s_wait_loadcnt 0x0
	v_mul_f32_e32 v25, s25, v33
	v_mul_f32_e32 v33, s24, v33
	s_delay_alu instid0(VALU_DEP_2) | instskip(NEXT) | instid1(VALU_DEP_1)
	v_fma_f32 v25, v32, s24, -v25
	v_dual_fmac_f32 v33, s25, v32 :: v_dual_add_f32 v32, v12, v25
	s_delay_alu instid0(VALU_DEP_1)
	v_add_f32_e32 v33, v13, v33
	global_store_b64 v[30:31], v[32:33], off
.LBB251_30:                             ;   in Loop: Header=BB251_8 Depth=1
	s_and_not1_b32 vcc_lo, exec_lo, s31
	s_wait_alu 0xfffe
	s_cbranch_vccnz .LBB251_32
; %bb.31:                               ;   in Loop: Header=BB251_8 Depth=1
	v_add_co_u32 v30, vcc_lo, v0, v8
	s_wait_alu 0xfffd
	v_add_co_ci_u32_e64 v31, null, v24, v9, vcc_lo
	global_store_b64 v[30:31], v[12:13], off
.LBB251_32:                             ;   in Loop: Header=BB251_8 Depth=1
	s_wait_alu 0xfffe
	s_or_b32 exec_lo, exec_lo, s23
	v_add_co_u32 v0, vcc_lo, s2, v4
	s_wait_alu 0xfffd
	v_add_co_ci_u32_e64 v24, null, s3, v5, vcc_lo
	s_and_saveexec_b32 s2, s1
	s_cbranch_execz .LBB251_37
; %bb.33:                               ;   in Loop: Header=BB251_8 Depth=1
	v_mul_f32_e32 v13, s14, v29
	v_mul_f32_e32 v12, s15, v29
	s_and_not1_b32 vcc_lo, exec_lo, s11
	s_mov_b32 s3, -1
	s_delay_alu instid0(VALU_DEP_2) | instskip(NEXT) | instid1(VALU_DEP_2)
	v_fmac_f32_e32 v13, s15, v28
	v_fma_f32 v12, v28, s14, -v12
	s_wait_alu 0xfffe
	s_cbranch_vccnz .LBB251_35
; %bb.34:                               ;   in Loop: Header=BB251_8 Depth=1
	v_add_co_u32 v28, vcc_lo, v0, v6
	s_wait_alu 0xfffd
	v_add_co_ci_u32_e64 v29, null, v24, v7, vcc_lo
	s_mov_b32 s3, 0
	global_load_b64 v[30:31], v[28:29], off
	s_wait_loadcnt 0x0
	v_mul_f32_e32 v25, s25, v31
	s_delay_alu instid0(VALU_DEP_1) | instskip(SKIP_1) | instid1(VALU_DEP_1)
	v_fma_f32 v25, v30, s24, -v25
	v_mul_f32_e32 v31, s24, v31
	v_dual_fmac_f32 v31, s25, v30 :: v_dual_add_f32 v30, v12, v25
	s_delay_alu instid0(VALU_DEP_1)
	v_add_f32_e32 v31, v13, v31
	global_store_b64 v[28:29], v[30:31], off
.LBB251_35:                             ;   in Loop: Header=BB251_8 Depth=1
	s_wait_alu 0xfffe
	s_and_not1_b32 vcc_lo, exec_lo, s3
	s_wait_alu 0xfffe
	s_cbranch_vccnz .LBB251_37
; %bb.36:                               ;   in Loop: Header=BB251_8 Depth=1
	v_add_co_u32 v28, vcc_lo, v0, v6
	s_wait_alu 0xfffd
	v_add_co_ci_u32_e64 v29, null, v24, v7, vcc_lo
	global_store_b64 v[28:29], v[12:13], off
.LBB251_37:                             ;   in Loop: Header=BB251_8 Depth=1
	s_wait_alu 0xfffe
	s_or_b32 exec_lo, exec_lo, s2
	s_and_saveexec_b32 s2, s4
	s_cbranch_execz .LBB251_7
; %bb.38:                               ;   in Loop: Header=BB251_8 Depth=1
	v_mul_f32_e32 v13, s14, v26
	v_mul_f32_e32 v12, s15, v26
	s_and_not1_b32 vcc_lo, exec_lo, s11
	s_mov_b32 s3, -1
	s_delay_alu instid0(VALU_DEP_2) | instskip(NEXT) | instid1(VALU_DEP_2)
	v_fmac_f32_e32 v13, s15, v27
	v_fma_f32 v12, v27, s14, -v12
	s_wait_alu 0xfffe
	s_cbranch_vccnz .LBB251_40
; %bb.39:                               ;   in Loop: Header=BB251_8 Depth=1
	v_add_co_u32 v25, vcc_lo, v0, v8
	s_wait_alu 0xfffd
	v_add_co_ci_u32_e64 v26, null, v24, v9, vcc_lo
	s_mov_b32 s3, 0
	global_load_b64 v[27:28], v[25:26], off
	s_wait_loadcnt 0x0
	v_mul_f32_e32 v29, s25, v28
	v_mul_f32_e32 v28, s24, v28
	s_delay_alu instid0(VALU_DEP_1) | instskip(NEXT) | instid1(VALU_DEP_3)
	v_fmac_f32_e32 v28, s25, v27
	v_fma_f32 v29, v27, s24, -v29
	s_delay_alu instid0(VALU_DEP_1)
	v_dual_add_f32 v28, v13, v28 :: v_dual_add_f32 v27, v12, v29
	global_store_b64 v[25:26], v[27:28], off
.LBB251_40:                             ;   in Loop: Header=BB251_8 Depth=1
	s_wait_alu 0xfffe
	s_and_not1_b32 vcc_lo, exec_lo, s3
	s_wait_alu 0xfffe
	s_cbranch_vccnz .LBB251_7
; %bb.41:                               ;   in Loop: Header=BB251_8 Depth=1
	v_add_co_u32 v25, vcc_lo, v0, v8
	s_wait_alu 0xfffd
	v_add_co_ci_u32_e64 v26, null, v24, v9, vcc_lo
	global_store_b64 v[25:26], v[12:13], off
	s_branch .LBB251_7
.LBB251_42:
	s_endpgm
	.section	.rodata,"a",@progbits
	.p2align	6, 0x0
	.amdhsa_kernel _ZL29rocblas_internal_gemmt_kernelIlLi16ELi32ELi8ELc67ELc67ELc76ELb1ELb1E19rocblas_complex_numIfES1_PKS1_PS1_EviT_T9_T10_S5_lS7_S5_lS6_T11_S5_li
		.amdhsa_group_segment_fixed_size 4096
		.amdhsa_private_segment_fixed_size 0
		.amdhsa_kernarg_size 108
		.amdhsa_user_sgpr_count 2
		.amdhsa_user_sgpr_dispatch_ptr 0
		.amdhsa_user_sgpr_queue_ptr 0
		.amdhsa_user_sgpr_kernarg_segment_ptr 1
		.amdhsa_user_sgpr_dispatch_id 0
		.amdhsa_user_sgpr_private_segment_size 0
		.amdhsa_wavefront_size32 1
		.amdhsa_uses_dynamic_stack 0
		.amdhsa_enable_private_segment 0
		.amdhsa_system_sgpr_workgroup_id_x 1
		.amdhsa_system_sgpr_workgroup_id_y 1
		.amdhsa_system_sgpr_workgroup_id_z 1
		.amdhsa_system_sgpr_workgroup_info 0
		.amdhsa_system_vgpr_workitem_id 1
		.amdhsa_next_free_vgpr 71
		.amdhsa_next_free_sgpr 36
		.amdhsa_reserve_vcc 1
		.amdhsa_float_round_mode_32 0
		.amdhsa_float_round_mode_16_64 0
		.amdhsa_float_denorm_mode_32 3
		.amdhsa_float_denorm_mode_16_64 3
		.amdhsa_fp16_overflow 0
		.amdhsa_workgroup_processor_mode 1
		.amdhsa_memory_ordered 1
		.amdhsa_forward_progress 1
		.amdhsa_inst_pref_size 26
		.amdhsa_round_robin_scheduling 0
		.amdhsa_exception_fp_ieee_invalid_op 0
		.amdhsa_exception_fp_denorm_src 0
		.amdhsa_exception_fp_ieee_div_zero 0
		.amdhsa_exception_fp_ieee_overflow 0
		.amdhsa_exception_fp_ieee_underflow 0
		.amdhsa_exception_fp_ieee_inexact 0
		.amdhsa_exception_int_div_zero 0
	.end_amdhsa_kernel
	.section	.text._ZL29rocblas_internal_gemmt_kernelIlLi16ELi32ELi8ELc67ELc67ELc76ELb1ELb1E19rocblas_complex_numIfES1_PKS1_PS1_EviT_T9_T10_S5_lS7_S5_lS6_T11_S5_li,"axG",@progbits,_ZL29rocblas_internal_gemmt_kernelIlLi16ELi32ELi8ELc67ELc67ELc76ELb1ELb1E19rocblas_complex_numIfES1_PKS1_PS1_EviT_T9_T10_S5_lS7_S5_lS6_T11_S5_li,comdat
.Lfunc_end251:
	.size	_ZL29rocblas_internal_gemmt_kernelIlLi16ELi32ELi8ELc67ELc67ELc76ELb1ELb1E19rocblas_complex_numIfES1_PKS1_PS1_EviT_T9_T10_S5_lS7_S5_lS6_T11_S5_li, .Lfunc_end251-_ZL29rocblas_internal_gemmt_kernelIlLi16ELi32ELi8ELc67ELc67ELc76ELb1ELb1E19rocblas_complex_numIfES1_PKS1_PS1_EviT_T9_T10_S5_lS7_S5_lS6_T11_S5_li
                                        ; -- End function
	.set _ZL29rocblas_internal_gemmt_kernelIlLi16ELi32ELi8ELc67ELc67ELc76ELb1ELb1E19rocblas_complex_numIfES1_PKS1_PS1_EviT_T9_T10_S5_lS7_S5_lS6_T11_S5_li.num_vgpr, 71
	.set _ZL29rocblas_internal_gemmt_kernelIlLi16ELi32ELi8ELc67ELc67ELc76ELb1ELb1E19rocblas_complex_numIfES1_PKS1_PS1_EviT_T9_T10_S5_lS7_S5_lS6_T11_S5_li.num_agpr, 0
	.set _ZL29rocblas_internal_gemmt_kernelIlLi16ELi32ELi8ELc67ELc67ELc76ELb1ELb1E19rocblas_complex_numIfES1_PKS1_PS1_EviT_T9_T10_S5_lS7_S5_lS6_T11_S5_li.numbered_sgpr, 36
	.set _ZL29rocblas_internal_gemmt_kernelIlLi16ELi32ELi8ELc67ELc67ELc76ELb1ELb1E19rocblas_complex_numIfES1_PKS1_PS1_EviT_T9_T10_S5_lS7_S5_lS6_T11_S5_li.num_named_barrier, 0
	.set _ZL29rocblas_internal_gemmt_kernelIlLi16ELi32ELi8ELc67ELc67ELc76ELb1ELb1E19rocblas_complex_numIfES1_PKS1_PS1_EviT_T9_T10_S5_lS7_S5_lS6_T11_S5_li.private_seg_size, 0
	.set _ZL29rocblas_internal_gemmt_kernelIlLi16ELi32ELi8ELc67ELc67ELc76ELb1ELb1E19rocblas_complex_numIfES1_PKS1_PS1_EviT_T9_T10_S5_lS7_S5_lS6_T11_S5_li.uses_vcc, 1
	.set _ZL29rocblas_internal_gemmt_kernelIlLi16ELi32ELi8ELc67ELc67ELc76ELb1ELb1E19rocblas_complex_numIfES1_PKS1_PS1_EviT_T9_T10_S5_lS7_S5_lS6_T11_S5_li.uses_flat_scratch, 0
	.set _ZL29rocblas_internal_gemmt_kernelIlLi16ELi32ELi8ELc67ELc67ELc76ELb1ELb1E19rocblas_complex_numIfES1_PKS1_PS1_EviT_T9_T10_S5_lS7_S5_lS6_T11_S5_li.has_dyn_sized_stack, 0
	.set _ZL29rocblas_internal_gemmt_kernelIlLi16ELi32ELi8ELc67ELc67ELc76ELb1ELb1E19rocblas_complex_numIfES1_PKS1_PS1_EviT_T9_T10_S5_lS7_S5_lS6_T11_S5_li.has_recursion, 0
	.set _ZL29rocblas_internal_gemmt_kernelIlLi16ELi32ELi8ELc67ELc67ELc76ELb1ELb1E19rocblas_complex_numIfES1_PKS1_PS1_EviT_T9_T10_S5_lS7_S5_lS6_T11_S5_li.has_indirect_call, 0
	.section	.AMDGPU.csdata,"",@progbits
; Kernel info:
; codeLenInByte = 3300
; TotalNumSgprs: 38
; NumVgprs: 71
; ScratchSize: 0
; MemoryBound: 0
; FloatMode: 240
; IeeeMode: 1
; LDSByteSize: 4096 bytes/workgroup (compile time only)
; SGPRBlocks: 0
; VGPRBlocks: 8
; NumSGPRsForWavesPerEU: 38
; NumVGPRsForWavesPerEU: 71
; Occupancy: 16
; WaveLimiterHint : 0
; COMPUTE_PGM_RSRC2:SCRATCH_EN: 0
; COMPUTE_PGM_RSRC2:USER_SGPR: 2
; COMPUTE_PGM_RSRC2:TRAP_HANDLER: 0
; COMPUTE_PGM_RSRC2:TGID_X_EN: 1
; COMPUTE_PGM_RSRC2:TGID_Y_EN: 1
; COMPUTE_PGM_RSRC2:TGID_Z_EN: 1
; COMPUTE_PGM_RSRC2:TIDIG_COMP_CNT: 1
	.section	.text._ZL29rocblas_internal_gemmt_kernelIlLi16ELi32ELi8ELc78ELc78ELc85ELb0ELb0E19rocblas_complex_numIdEPKS1_S3_PS1_EviT_T9_T10_S5_lS7_S5_lS6_T11_S5_li,"axG",@progbits,_ZL29rocblas_internal_gemmt_kernelIlLi16ELi32ELi8ELc78ELc78ELc85ELb0ELb0E19rocblas_complex_numIdEPKS1_S3_PS1_EviT_T9_T10_S5_lS7_S5_lS6_T11_S5_li,comdat
	.globl	_ZL29rocblas_internal_gemmt_kernelIlLi16ELi32ELi8ELc78ELc78ELc85ELb0ELb0E19rocblas_complex_numIdEPKS1_S3_PS1_EviT_T9_T10_S5_lS7_S5_lS6_T11_S5_li ; -- Begin function _ZL29rocblas_internal_gemmt_kernelIlLi16ELi32ELi8ELc78ELc78ELc85ELb0ELb0E19rocblas_complex_numIdEPKS1_S3_PS1_EviT_T9_T10_S5_lS7_S5_lS6_T11_S5_li
	.p2align	8
	.type	_ZL29rocblas_internal_gemmt_kernelIlLi16ELi32ELi8ELc78ELc78ELc85ELb0ELb0E19rocblas_complex_numIdEPKS1_S3_PS1_EviT_T9_T10_S5_lS7_S5_lS6_T11_S5_li,@function
_ZL29rocblas_internal_gemmt_kernelIlLi16ELi32ELi8ELc78ELc78ELc85ELb0ELb0E19rocblas_complex_numIdEPKS1_S3_PS1_EviT_T9_T10_S5_lS7_S5_lS6_T11_S5_li: ; @_ZL29rocblas_internal_gemmt_kernelIlLi16ELi32ELi8ELc78ELc78ELc85ELb0ELb0E19rocblas_complex_numIdEPKS1_S3_PS1_EviT_T9_T10_S5_lS7_S5_lS6_T11_S5_li
; %bb.0:
	s_clause 0x1
	s_load_b256 s[24:31], s[0:1], 0x48
	s_load_b512 s[8:23], s[0:1], 0x8
	s_wait_kmcnt 0x0
	s_load_b128 s[36:39], s[24:25], 0x0
	s_load_b128 s[40:43], s[10:11], 0x0
	s_wait_kmcnt 0x0
	v_cmp_eq_f64_e64 s3, s[36:37], 1.0
	v_cmp_eq_f64_e64 s2, s[38:39], 0
	s_and_b32 s3, s3, s2
	s_delay_alu instid0(SALU_CYCLE_1)
	s_and_not1_b32 vcc_lo, exec_lo, s3
	s_mov_b32 s3, -1
	s_cbranch_vccnz .LBB252_3
; %bb.1:
	s_cmp_lg_u64 s[8:9], 0
	s_cbranch_scc0 .LBB252_41
; %bb.2:
	v_cmp_neq_f64_e64 s3, s[40:41], 0
	v_cmp_neq_f64_e64 s4, s[42:43], 0
	s_or_b32 s3, s3, s4
.LBB252_3:
	s_delay_alu instid0(SALU_CYCLE_1)
	s_and_b32 vcc_lo, exec_lo, s3
	s_cbranch_vccz .LBB252_42
; %bb.4:
	s_load_b32 s5, s[0:1], 0x68
	s_lshr_b32 s6, ttmp7, 16
	s_wait_kmcnt 0x0
	s_cmp_ge_u32 s6, s5
	s_cbranch_scc1 .LBB252_42
; %bb.5:
	v_and_b32_e32 v2, 0x3ff, v0
	v_bfe_u32 v9, v0, 10, 10
	s_load_b32 s4, s[0:1], 0x0
	s_lshl_b32 s0, ttmp7, 5
	s_lshl_b32 s1, ttmp9, 5
	s_and_b32 s0, s0, 0x1fffe0
	v_lshl_add_u32 v3, v9, 4, v2
	v_add_nc_u32_e32 v14, s0, v9
	v_lshlrev_b32_e32 v31, 4, v2
	v_add_nc_u32_e32 v6, s1, v2
	v_cmp_neq_f64_e64 s3, s[40:41], 0
	v_lshrrev_b32_e32 v5, 3, v3
	v_add_nc_u32_e32 v15, 16, v14
	v_lshrrev_b32_e32 v32, 5, v3
	v_and_b32_e32 v7, 31, v3
	v_mad_co_u64_u32 v[2:3], null, s28, v14, 0
	v_add_nc_u32_e32 v10, s0, v5
	v_mad_co_u64_u32 v[12:13], null, s28, v15, 0
	v_and_b32_e32 v30, 7, v0
	v_cmp_neq_f64_e64 s7, s[42:43], 0
	s_delay_alu instid0(VALU_DEP_4)
	v_mad_co_u64_u32 v[0:1], null, s20, v10, 0
	v_cmp_neq_f64_e64 s11, s[36:37], 0
	v_or_b32_e32 v4, s1, v7
	v_lshlrev_b32_e32 v16, 4, v7
	v_lshlrev_b32_e32 v11, 4, v30
	v_cmp_gt_i64_e64 s24, s[8:9], 0
	v_lshl_add_u32 v39, v9, 7, 0x1000
	v_mad_co_u64_u32 v[7:8], null, s21, v10, v[1:2]
	s_delay_alu instid0(VALU_DEP_4)
	v_lshl_or_b32 v8, v5, 7, v11
	v_ashrrev_i32_e32 v5, 31, v4
	s_wait_kmcnt 0x0
	v_cmp_gt_i32_e64 s0, s4, v4
	v_cmp_le_i32_e64 s10, s4, v4
	v_lshl_or_b32 v33, v32, 9, v16
	v_dual_mov_b32 v1, v7 :: v_dual_add_nc_u32 v34, 0x1000, v8
	v_lshlrev_b64_e32 v[4:5], 4, v[4:5]
	s_delay_alu instid0(VALU_DEP_2) | instskip(NEXT) | instid1(VALU_DEP_2)
	v_lshlrev_b64_e32 v[0:1], 4, v[0:1]
	v_add_co_u32 v35, s1, s12, v4
	s_wait_alu 0xf1ff
	s_delay_alu instid0(VALU_DEP_3) | instskip(NEXT) | instid1(VALU_DEP_3)
	v_add_co_ci_u32_e64 v36, null, s13, v5, s1
	v_add_co_u32 v37, s1, s18, v0
	s_wait_alu 0xf1ff
	v_add_co_ci_u32_e64 v38, null, s19, v1, s1
	v_mad_co_u64_u32 v[0:1], null, s29, v14, v[3:4]
	v_mov_b32_e32 v1, v13
	s_xor_b32 s1, s2, -1
	s_or_b32 s7, s3, s7
	s_delay_alu instid0(VALU_DEP_2) | instskip(NEXT) | instid1(VALU_DEP_2)
	v_mov_b32_e32 v3, v0
	v_mad_co_u64_u32 v[0:1], null, s29, v15, v[1:2]
	v_dual_mov_b32 v1, 0 :: v_dual_add_nc_u32 v8, 16, v6
	s_wait_alu 0xfffe
	s_or_b32 s11, s11, s1
	v_cmp_gt_i32_e32 vcc_lo, s4, v10
	v_lshlrev_b64_e32 v[10:11], 4, v[2:3]
	v_ashrrev_i32_e32 v7, 31, v6
	v_mov_b32_e32 v13, v0
	v_cmp_gt_i32_e64 s1, s4, v14
	v_cmp_le_i32_e64 s2, v6, v14
	v_cmp_le_i32_e64 s3, v8, v14
	v_ashrrev_i32_e32 v9, 31, v8
	v_lshlrev_b64_e32 v[12:13], 4, v[12:13]
	s_and_b32 s18, s7, s24
	s_and_b32 s12, s1, s2
	v_cmp_gt_i32_e64 s2, s4, v15
	v_cmp_le_i32_e64 s4, v6, v15
	s_and_b32 s13, s1, s3
	v_cmp_le_i32_e64 s1, v8, v15
	s_mov_b32 s7, 0
	s_xor_b32 s19, vcc_lo, -1
	s_and_b32 s4, s2, s4
                                        ; implicit-def: $vgpr14_vgpr15
	s_and_b32 s1, s2, s1
	s_branch .LBB252_7
.LBB252_6:                              ;   in Loop: Header=BB252_7 Depth=1
	s_wait_alu 0xfffe
	s_or_b32 exec_lo, exec_lo, s2
	s_add_co_i32 s6, s6, 0x10000
	s_delay_alu instid0(SALU_CYCLE_1)
	s_cmp_lt_u32 s6, s5
	s_cbranch_scc0 .LBB252_42
.LBB252_7:                              ; =>This Loop Header: Depth=1
                                        ;     Child Loop BB252_10 Depth 2
	v_mov_b32_e32 v4, 0
	v_mov_b32_e32 v5, 0
	s_wait_alu 0xfffe
	s_and_not1_b32 vcc_lo, exec_lo, s18
	s_wait_alu 0xfffe
	s_cbranch_vccnz .LBB252_20
; %bb.8:                                ;   in Loop: Header=BB252_7 Depth=1
	s_mul_u64 s[2:3], s[16:17], s[6:7]
	s_mul_u64 s[20:21], s[22:23], s[6:7]
	s_wait_alu 0xfffe
	s_lshl_b64 s[2:3], s[2:3], 4
	v_mov_b32_e32 v16, 0
	s_wait_alu 0xfffe
	v_add_co_u32 v40, vcc_lo, v35, s2
	s_wait_alu 0xfffd
	v_add_co_ci_u32_e64 v41, null, s3, v36, vcc_lo
	s_lshl_b64 s[2:3], s[20:21], 4
	v_mov_b32_e32 v22, 0
	v_mov_b32_e32 v26, 0
	;; [unrolled: 1-line block ×3, first 2 shown]
	s_wait_alu 0xfffe
	v_add_co_u32 v42, vcc_lo, v37, s2
	v_dual_mov_b32 v17, 0 :: v_dual_mov_b32 v18, 0
	v_dual_mov_b32 v23, 0 :: v_dual_mov_b32 v20, 0
	;; [unrolled: 1-line block ×4, first 2 shown]
	v_mov_b32_e32 v19, 0
	v_mov_b32_e32 v21, 0
	;; [unrolled: 1-line block ×4, first 2 shown]
	s_wait_alu 0xfffd
	v_add_co_ci_u32_e64 v43, null, s3, v38, vcc_lo
	s_mov_b64 s[2:3], 0
	s_branch .LBB252_10
.LBB252_9:                              ;   in Loop: Header=BB252_10 Depth=2
	s_wait_alu 0xfffe
	s_or_b32 exec_lo, exec_lo, s20
	s_wait_dscnt 0x0
	s_barrier_signal -1
	s_barrier_wait -1
	global_inv scope:SCOPE_SE
	ds_load_b128 v[44:47], v39
	ds_load_b128 v[48:51], v39 offset:16
	ds_load_b128 v[52:55], v39 offset:32
	;; [unrolled: 1-line block ×3, first 2 shown]
	ds_load_b128 v[60:63], v31
	s_add_nc_u64 s[2:3], s[2:3], 8
	s_wait_alu 0xfffe
	v_cmp_gt_i64_e64 s20, s[8:9], s[2:3]
	s_and_b32 vcc_lo, exec_lo, s20
	s_wait_dscnt 0x0
	v_mul_f64_e32 v[2:3], v[46:47], v[62:63]
	v_mul_f64_e32 v[64:65], v[44:45], v[62:63]
	s_delay_alu instid0(VALU_DEP_2) | instskip(NEXT) | instid1(VALU_DEP_2)
	v_fma_f64 v[2:3], v[44:45], v[60:61], -v[2:3]
	v_fma_f64 v[64:65], v[46:47], v[60:61], v[64:65]
	s_delay_alu instid0(VALU_DEP_2) | instskip(SKIP_4) | instid1(VALU_DEP_1)
	v_add_f64_e32 v[66:67], v[4:5], v[2:3]
	ds_load_b128 v[2:5], v31 offset:256
	v_add_f64_e32 v[28:29], v[64:65], v[28:29]
	s_wait_dscnt 0x0
	v_mul_f64_e32 v[64:65], v[46:47], v[4:5]
	v_fma_f64 v[64:65], v[44:45], v[2:3], -v[64:65]
	v_mul_f64_e32 v[44:45], v[44:45], v[4:5]
	s_delay_alu instid0(VALU_DEP_1) | instskip(NEXT) | instid1(VALU_DEP_3)
	v_fma_f64 v[44:45], v[46:47], v[2:3], v[44:45]
	v_add_f64_e32 v[46:47], v[24:25], v[64:65]
	s_delay_alu instid0(VALU_DEP_2) | instskip(SKIP_4) | instid1(VALU_DEP_2)
	v_add_f64_e32 v[44:45], v[44:45], v[26:27]
	ds_load_b128 v[24:27], v39 offset:2048
	s_wait_dscnt 0x0
	v_mul_f64_e32 v[64:65], v[26:27], v[62:63]
	v_mul_f64_e32 v[62:63], v[24:25], v[62:63]
	v_fma_f64 v[64:65], v[24:25], v[60:61], -v[64:65]
	s_delay_alu instid0(VALU_DEP_2) | instskip(NEXT) | instid1(VALU_DEP_2)
	v_fma_f64 v[60:61], v[26:27], v[60:61], v[62:63]
	v_add_f64_e32 v[62:63], v[20:21], v[64:65]
	v_mul_f64_e32 v[20:21], v[26:27], v[4:5]
	v_mul_f64_e32 v[4:5], v[24:25], v[4:5]
	s_delay_alu instid0(VALU_DEP_4) | instskip(NEXT) | instid1(VALU_DEP_3)
	v_add_f64_e32 v[60:61], v[60:61], v[22:23]
	v_fma_f64 v[20:21], v[24:25], v[2:3], -v[20:21]
	s_delay_alu instid0(VALU_DEP_3) | instskip(NEXT) | instid1(VALU_DEP_2)
	v_fma_f64 v[2:3], v[26:27], v[2:3], v[4:5]
	v_add_f64_e32 v[24:25], v[18:19], v[20:21]
	s_delay_alu instid0(VALU_DEP_2) | instskip(SKIP_4) | instid1(VALU_DEP_2)
	v_add_f64_e32 v[26:27], v[2:3], v[16:17]
	ds_load_b128 v[2:5], v31 offset:512
	s_wait_dscnt 0x0
	v_mul_f64_e32 v[16:17], v[50:51], v[4:5]
	v_mul_f64_e32 v[18:19], v[48:49], v[4:5]
	v_fma_f64 v[16:17], v[48:49], v[2:3], -v[16:17]
	s_delay_alu instid0(VALU_DEP_2) | instskip(NEXT) | instid1(VALU_DEP_2)
	v_fma_f64 v[18:19], v[50:51], v[2:3], v[18:19]
	v_add_f64_e32 v[64:65], v[66:67], v[16:17]
	s_delay_alu instid0(VALU_DEP_2) | instskip(SKIP_4) | instid1(VALU_DEP_2)
	v_add_f64_e32 v[28:29], v[18:19], v[28:29]
	ds_load_b128 v[16:19], v31 offset:768
	s_wait_dscnt 0x0
	v_mul_f64_e32 v[20:21], v[50:51], v[18:19]
	v_mul_f64_e32 v[22:23], v[48:49], v[18:19]
	v_fma_f64 v[20:21], v[48:49], v[16:17], -v[20:21]
	s_delay_alu instid0(VALU_DEP_2) | instskip(NEXT) | instid1(VALU_DEP_2)
	v_fma_f64 v[22:23], v[50:51], v[16:17], v[22:23]
	v_add_f64_e32 v[46:47], v[46:47], v[20:21]
	s_delay_alu instid0(VALU_DEP_2) | instskip(SKIP_4) | instid1(VALU_DEP_2)
	v_add_f64_e32 v[44:45], v[22:23], v[44:45]
	ds_load_b128 v[20:23], v39 offset:2064
	s_wait_dscnt 0x0
	v_mul_f64_e32 v[48:49], v[22:23], v[4:5]
	v_mul_f64_e32 v[4:5], v[20:21], v[4:5]
	v_fma_f64 v[48:49], v[20:21], v[2:3], -v[48:49]
	s_delay_alu instid0(VALU_DEP_2) | instskip(SKIP_1) | instid1(VALU_DEP_3)
	v_fma_f64 v[2:3], v[22:23], v[2:3], v[4:5]
	v_mul_f64_e32 v[4:5], v[20:21], v[18:19]
	v_add_f64_e32 v[48:49], v[62:63], v[48:49]
	s_delay_alu instid0(VALU_DEP_3) | instskip(SKIP_1) | instid1(VALU_DEP_4)
	v_add_f64_e32 v[50:51], v[2:3], v[60:61]
	v_mul_f64_e32 v[2:3], v[22:23], v[18:19]
	v_fma_f64 v[4:5], v[22:23], v[16:17], v[4:5]
	s_delay_alu instid0(VALU_DEP_2) | instskip(NEXT) | instid1(VALU_DEP_2)
	v_fma_f64 v[2:3], v[20:21], v[16:17], -v[2:3]
	v_add_f64_e32 v[26:27], v[4:5], v[26:27]
	s_delay_alu instid0(VALU_DEP_2) | instskip(SKIP_4) | instid1(VALU_DEP_2)
	v_add_f64_e32 v[24:25], v[24:25], v[2:3]
	ds_load_b128 v[2:5], v31 offset:1024
	s_wait_dscnt 0x0
	v_mul_f64_e32 v[16:17], v[54:55], v[4:5]
	v_mul_f64_e32 v[18:19], v[52:53], v[4:5]
	v_fma_f64 v[16:17], v[52:53], v[2:3], -v[16:17]
	s_delay_alu instid0(VALU_DEP_2) | instskip(NEXT) | instid1(VALU_DEP_2)
	v_fma_f64 v[18:19], v[54:55], v[2:3], v[18:19]
	v_add_f64_e32 v[60:61], v[64:65], v[16:17]
	s_delay_alu instid0(VALU_DEP_2) | instskip(SKIP_4) | instid1(VALU_DEP_2)
	v_add_f64_e32 v[28:29], v[18:19], v[28:29]
	ds_load_b128 v[16:19], v31 offset:1280
	s_wait_dscnt 0x0
	v_mul_f64_e32 v[20:21], v[54:55], v[18:19]
	v_mul_f64_e32 v[22:23], v[52:53], v[18:19]
	v_fma_f64 v[20:21], v[52:53], v[16:17], -v[20:21]
	s_delay_alu instid0(VALU_DEP_2) | instskip(NEXT) | instid1(VALU_DEP_2)
	v_fma_f64 v[22:23], v[54:55], v[16:17], v[22:23]
	v_add_f64_e32 v[46:47], v[46:47], v[20:21]
	s_delay_alu instid0(VALU_DEP_2) | instskip(SKIP_4) | instid1(VALU_DEP_2)
	v_add_f64_e32 v[44:45], v[22:23], v[44:45]
	ds_load_b128 v[20:23], v39 offset:2080
	s_wait_dscnt 0x0
	v_mul_f64_e32 v[52:53], v[22:23], v[4:5]
	v_mul_f64_e32 v[4:5], v[20:21], v[4:5]
	v_fma_f64 v[52:53], v[20:21], v[2:3], -v[52:53]
	s_delay_alu instid0(VALU_DEP_2) | instskip(SKIP_1) | instid1(VALU_DEP_3)
	v_fma_f64 v[2:3], v[22:23], v[2:3], v[4:5]
	v_mul_f64_e32 v[4:5], v[20:21], v[18:19]
	v_add_f64_e32 v[48:49], v[48:49], v[52:53]
	s_delay_alu instid0(VALU_DEP_3) | instskip(SKIP_1) | instid1(VALU_DEP_4)
	v_add_f64_e32 v[50:51], v[2:3], v[50:51]
	v_mul_f64_e32 v[2:3], v[22:23], v[18:19]
	v_fma_f64 v[4:5], v[22:23], v[16:17], v[4:5]
	s_delay_alu instid0(VALU_DEP_2) | instskip(NEXT) | instid1(VALU_DEP_2)
	v_fma_f64 v[2:3], v[20:21], v[16:17], -v[2:3]
	;; [unrolled: 38-line block ×3, first 2 shown]
	v_add_f64_e32 v[26:27], v[4:5], v[26:27]
	s_delay_alu instid0(VALU_DEP_2)
	v_add_f64_e32 v[24:25], v[24:25], v[2:3]
	ds_load_b128 v[2:5], v39 offset:64
	ds_load_b128 v[16:19], v31 offset:2048
	s_wait_dscnt 0x0
	v_mul_f64_e32 v[20:21], v[4:5], v[18:19]
	v_mul_f64_e32 v[22:23], v[2:3], v[18:19]
	s_delay_alu instid0(VALU_DEP_2) | instskip(NEXT) | instid1(VALU_DEP_2)
	v_fma_f64 v[20:21], v[2:3], v[16:17], -v[20:21]
	v_fma_f64 v[22:23], v[4:5], v[16:17], v[22:23]
	s_delay_alu instid0(VALU_DEP_2) | instskip(NEXT) | instid1(VALU_DEP_2)
	v_add_f64_e32 v[52:53], v[52:53], v[20:21]
	v_add_f64_e32 v[28:29], v[22:23], v[28:29]
	ds_load_b128 v[20:23], v31 offset:2304
	s_wait_dscnt 0x0
	v_mul_f64_e32 v[54:55], v[4:5], v[22:23]
	s_delay_alu instid0(VALU_DEP_1) | instskip(SKIP_1) | instid1(VALU_DEP_2)
	v_fma_f64 v[54:55], v[2:3], v[20:21], -v[54:55]
	v_mul_f64_e32 v[2:3], v[2:3], v[22:23]
	v_add_f64_e32 v[46:47], v[46:47], v[54:55]
	s_delay_alu instid0(VALU_DEP_2) | instskip(NEXT) | instid1(VALU_DEP_1)
	v_fma_f64 v[2:3], v[4:5], v[20:21], v[2:3]
	v_add_f64_e32 v[44:45], v[2:3], v[44:45]
	ds_load_b128 v[2:5], v39 offset:2112
	s_wait_dscnt 0x0
	v_mul_f64_e32 v[54:55], v[4:5], v[18:19]
	v_mul_f64_e32 v[18:19], v[2:3], v[18:19]
	s_delay_alu instid0(VALU_DEP_2) | instskip(NEXT) | instid1(VALU_DEP_2)
	v_fma_f64 v[54:55], v[2:3], v[16:17], -v[54:55]
	v_fma_f64 v[16:17], v[4:5], v[16:17], v[18:19]
	s_delay_alu instid0(VALU_DEP_2) | instskip(NEXT) | instid1(VALU_DEP_2)
	v_add_f64_e32 v[48:49], v[48:49], v[54:55]
	v_add_f64_e32 v[50:51], v[16:17], v[50:51]
	v_mul_f64_e32 v[16:17], v[4:5], v[22:23]
	s_delay_alu instid0(VALU_DEP_1) | instskip(SKIP_1) | instid1(VALU_DEP_2)
	v_fma_f64 v[16:17], v[2:3], v[20:21], -v[16:17]
	v_mul_f64_e32 v[2:3], v[2:3], v[22:23]
	v_add_f64_e32 v[24:25], v[24:25], v[16:17]
	s_delay_alu instid0(VALU_DEP_2) | instskip(NEXT) | instid1(VALU_DEP_1)
	v_fma_f64 v[2:3], v[4:5], v[20:21], v[2:3]
	v_add_f64_e32 v[26:27], v[2:3], v[26:27]
	ds_load_b128 v[2:5], v39 offset:80
	ds_load_b128 v[16:19], v31 offset:2560
	s_wait_dscnt 0x0
	v_mul_f64_e32 v[20:21], v[4:5], v[18:19]
	v_mul_f64_e32 v[22:23], v[2:3], v[18:19]
	s_delay_alu instid0(VALU_DEP_2) | instskip(NEXT) | instid1(VALU_DEP_2)
	v_fma_f64 v[20:21], v[2:3], v[16:17], -v[20:21]
	v_fma_f64 v[22:23], v[4:5], v[16:17], v[22:23]
	s_delay_alu instid0(VALU_DEP_2) | instskip(NEXT) | instid1(VALU_DEP_2)
	v_add_f64_e32 v[52:53], v[52:53], v[20:21]
	v_add_f64_e32 v[28:29], v[22:23], v[28:29]
	ds_load_b128 v[20:23], v31 offset:2816
	s_wait_dscnt 0x0
	v_mul_f64_e32 v[54:55], v[4:5], v[22:23]
	s_delay_alu instid0(VALU_DEP_1) | instskip(SKIP_1) | instid1(VALU_DEP_2)
	v_fma_f64 v[54:55], v[2:3], v[20:21], -v[54:55]
	v_mul_f64_e32 v[2:3], v[2:3], v[22:23]
	v_add_f64_e32 v[46:47], v[46:47], v[54:55]
	s_delay_alu instid0(VALU_DEP_2) | instskip(NEXT) | instid1(VALU_DEP_1)
	v_fma_f64 v[2:3], v[4:5], v[20:21], v[2:3]
	v_add_f64_e32 v[44:45], v[2:3], v[44:45]
	ds_load_b128 v[2:5], v39 offset:2128
	s_wait_dscnt 0x0
	v_mul_f64_e32 v[54:55], v[4:5], v[18:19]
	v_mul_f64_e32 v[18:19], v[2:3], v[18:19]
	s_delay_alu instid0(VALU_DEP_2) | instskip(NEXT) | instid1(VALU_DEP_2)
	v_fma_f64 v[54:55], v[2:3], v[16:17], -v[54:55]
	v_fma_f64 v[16:17], v[4:5], v[16:17], v[18:19]
	s_delay_alu instid0(VALU_DEP_2) | instskip(NEXT) | instid1(VALU_DEP_2)
	v_add_f64_e32 v[48:49], v[48:49], v[54:55]
	v_add_f64_e32 v[50:51], v[16:17], v[50:51]
	v_mul_f64_e32 v[16:17], v[4:5], v[22:23]
	s_delay_alu instid0(VALU_DEP_1) | instskip(SKIP_1) | instid1(VALU_DEP_2)
	v_fma_f64 v[16:17], v[2:3], v[20:21], -v[16:17]
	v_mul_f64_e32 v[2:3], v[2:3], v[22:23]
	v_add_f64_e32 v[24:25], v[24:25], v[16:17]
	s_delay_alu instid0(VALU_DEP_2) | instskip(NEXT) | instid1(VALU_DEP_1)
	v_fma_f64 v[2:3], v[4:5], v[20:21], v[2:3]
	v_add_f64_e32 v[26:27], v[2:3], v[26:27]
	ds_load_b128 v[2:5], v39 offset:96
	ds_load_b128 v[16:19], v31 offset:3072
	s_wait_dscnt 0x0
	v_mul_f64_e32 v[20:21], v[4:5], v[18:19]
	v_mul_f64_e32 v[22:23], v[2:3], v[18:19]
	s_delay_alu instid0(VALU_DEP_2) | instskip(NEXT) | instid1(VALU_DEP_2)
	v_fma_f64 v[20:21], v[2:3], v[16:17], -v[20:21]
	v_fma_f64 v[22:23], v[4:5], v[16:17], v[22:23]
	s_delay_alu instid0(VALU_DEP_2) | instskip(NEXT) | instid1(VALU_DEP_2)
	v_add_f64_e32 v[52:53], v[52:53], v[20:21]
	v_add_f64_e32 v[28:29], v[22:23], v[28:29]
	ds_load_b128 v[20:23], v31 offset:3328
	s_wait_dscnt 0x0
	v_mul_f64_e32 v[54:55], v[4:5], v[22:23]
	s_delay_alu instid0(VALU_DEP_1) | instskip(SKIP_1) | instid1(VALU_DEP_2)
	v_fma_f64 v[54:55], v[2:3], v[20:21], -v[54:55]
	v_mul_f64_e32 v[2:3], v[2:3], v[22:23]
	v_add_f64_e32 v[54:55], v[46:47], v[54:55]
	s_delay_alu instid0(VALU_DEP_2) | instskip(NEXT) | instid1(VALU_DEP_1)
	v_fma_f64 v[2:3], v[4:5], v[20:21], v[2:3]
	v_add_f64_e32 v[56:57], v[2:3], v[44:45]
	ds_load_b128 v[2:5], v39 offset:2144
	s_wait_dscnt 0x0
	v_mul_f64_e32 v[44:45], v[4:5], v[18:19]
	v_mul_f64_e32 v[18:19], v[2:3], v[18:19]
	s_delay_alu instid0(VALU_DEP_2) | instskip(NEXT) | instid1(VALU_DEP_2)
	v_fma_f64 v[44:45], v[2:3], v[16:17], -v[44:45]
	v_fma_f64 v[16:17], v[4:5], v[16:17], v[18:19]
	s_delay_alu instid0(VALU_DEP_2) | instskip(NEXT) | instid1(VALU_DEP_2)
	v_add_f64_e32 v[48:49], v[48:49], v[44:45]
	v_add_f64_e32 v[50:51], v[16:17], v[50:51]
	v_mul_f64_e32 v[16:17], v[4:5], v[22:23]
	s_delay_alu instid0(VALU_DEP_1) | instskip(SKIP_1) | instid1(VALU_DEP_2)
	v_fma_f64 v[16:17], v[2:3], v[20:21], -v[16:17]
	v_mul_f64_e32 v[2:3], v[2:3], v[22:23]
	v_add_f64_e32 v[58:59], v[24:25], v[16:17]
	s_delay_alu instid0(VALU_DEP_2)
	v_fma_f64 v[2:3], v[4:5], v[20:21], v[2:3]
	ds_load_b128 v[16:19], v39 offset:112
	ds_load_b128 v[20:23], v31 offset:3584
	ds_load_b128 v[44:47], v31 offset:3840
	s_wait_dscnt 0x1
	v_mul_f64_e32 v[24:25], v[16:17], v[22:23]
	v_mul_f64_e32 v[4:5], v[18:19], v[22:23]
	v_add_f64_e32 v[2:3], v[2:3], v[26:27]
	s_delay_alu instid0(VALU_DEP_3) | instskip(NEXT) | instid1(VALU_DEP_3)
	v_fma_f64 v[24:25], v[18:19], v[20:21], v[24:25]
	v_fma_f64 v[4:5], v[16:17], v[20:21], -v[4:5]
	s_delay_alu instid0(VALU_DEP_2) | instskip(SKIP_2) | instid1(VALU_DEP_3)
	v_add_f64_e32 v[28:29], v[24:25], v[28:29]
	s_wait_dscnt 0x0
	v_mul_f64_e32 v[24:25], v[18:19], v[46:47]
	v_add_f64_e32 v[4:5], v[52:53], v[4:5]
	s_delay_alu instid0(VALU_DEP_2) | instskip(SKIP_1) | instid1(VALU_DEP_2)
	v_fma_f64 v[24:25], v[16:17], v[44:45], -v[24:25]
	v_mul_f64_e32 v[16:17], v[16:17], v[46:47]
	v_add_f64_e32 v[24:25], v[54:55], v[24:25]
	s_delay_alu instid0(VALU_DEP_2) | instskip(NEXT) | instid1(VALU_DEP_1)
	v_fma_f64 v[16:17], v[18:19], v[44:45], v[16:17]
	v_add_f64_e32 v[26:27], v[16:17], v[56:57]
	ds_load_b128 v[16:19], v39 offset:2160
	s_wait_loadcnt_dscnt 0x0
	s_barrier_signal -1
	s_barrier_wait -1
	global_inv scope:SCOPE_SE
	v_mul_f64_e32 v[52:53], v[18:19], v[22:23]
	v_mul_f64_e32 v[22:23], v[16:17], v[22:23]
	s_delay_alu instid0(VALU_DEP_2) | instskip(NEXT) | instid1(VALU_DEP_2)
	v_fma_f64 v[52:53], v[16:17], v[20:21], -v[52:53]
	v_fma_f64 v[22:23], v[18:19], v[20:21], v[22:23]
	s_delay_alu instid0(VALU_DEP_2) | instskip(SKIP_1) | instid1(VALU_DEP_3)
	v_add_f64_e32 v[20:21], v[48:49], v[52:53]
	v_mul_f64_e32 v[48:49], v[18:19], v[46:47]
	v_add_f64_e32 v[22:23], v[22:23], v[50:51]
	s_delay_alu instid0(VALU_DEP_2) | instskip(SKIP_1) | instid1(VALU_DEP_1)
	v_fma_f64 v[48:49], v[16:17], v[44:45], -v[48:49]
	v_mul_f64_e32 v[16:17], v[16:17], v[46:47]
	v_fma_f64 v[16:17], v[18:19], v[44:45], v[16:17]
	s_delay_alu instid0(VALU_DEP_3) | instskip(NEXT) | instid1(VALU_DEP_2)
	v_add_f64_e32 v[18:19], v[58:59], v[48:49]
	v_add_f64_e32 v[16:17], v[16:17], v[2:3]
	s_wait_alu 0xfffe
	s_cbranch_vccz .LBB252_21
.LBB252_10:                             ;   Parent Loop BB252_7 Depth=1
                                        ; =>  This Inner Loop Header: Depth=2
	s_mov_b32 s20, 0
	s_mov_b32 s24, s10
	s_and_saveexec_b32 s21, s0
	s_cbranch_execnz .LBB252_18
; %bb.11:                               ;   in Loop: Header=BB252_10 Depth=2
	s_wait_alu 0xfffe
	s_or_b32 exec_lo, exec_lo, s21
	s_and_saveexec_b32 s21, s24
	s_wait_alu 0xfffe
	s_xor_b32 s21, exec_lo, s21
	s_cbranch_execnz .LBB252_19
.LBB252_12:                             ;   in Loop: Header=BB252_10 Depth=2
	s_wait_alu 0xfffe
	s_or_b32 exec_lo, exec_lo, s21
	s_and_saveexec_b32 s21, s20
	s_cbranch_execz .LBB252_14
.LBB252_13:                             ;   in Loop: Header=BB252_10 Depth=2
	v_mul_lo_u32 v0, s15, v14
	v_mul_lo_u32 v44, s14, v15
	v_mad_co_u64_u32 v[2:3], null, s14, v14, 0
	s_delay_alu instid0(VALU_DEP_1) | instskip(NEXT) | instid1(VALU_DEP_1)
	v_add3_u32 v3, v3, v44, v0
	v_lshlrev_b64_e32 v[2:3], 4, v[2:3]
	s_delay_alu instid0(VALU_DEP_1) | instskip(SKIP_1) | instid1(VALU_DEP_2)
	v_add_co_u32 v2, vcc_lo, v40, v2
	s_wait_alu 0xfffd
	v_add_co_ci_u32_e64 v3, null, v41, v3, vcc_lo
	global_load_b128 v[44:47], v[2:3], off
	s_wait_loadcnt 0x0
	ds_store_2addr_b64 v33, v[44:45], v[46:47] offset1:1
.LBB252_14:                             ;   in Loop: Header=BB252_10 Depth=2
	s_wait_alu 0xfffe
	s_or_b32 exec_lo, exec_lo, s21
	v_add_nc_u32_e32 v0, s2, v30
	s_delay_alu instid0(VALU_DEP_1)
	v_cmp_le_u64_e32 vcc_lo, s[8:9], v[0:1]
	s_or_b32 s20, vcc_lo, s19
	s_wait_alu 0xfffe
	s_and_saveexec_b32 s21, s20
	s_wait_alu 0xfffe
	s_xor_b32 s20, exec_lo, s21
; %bb.15:                               ;   in Loop: Header=BB252_10 Depth=2
	v_dual_mov_b32 v0, v1 :: v_dual_mov_b32 v3, v1
	v_mov_b32_e32 v2, v1
	ds_store_b128 v34, v[0:3]
; %bb.16:                               ;   in Loop: Header=BB252_10 Depth=2
	s_wait_alu 0xfffe
	s_and_not1_saveexec_b32 s20, s20
	s_cbranch_execz .LBB252_9
; %bb.17:                               ;   in Loop: Header=BB252_10 Depth=2
	v_lshlrev_b64_e32 v[2:3], 4, v[0:1]
	s_delay_alu instid0(VALU_DEP_1) | instskip(SKIP_1) | instid1(VALU_DEP_2)
	v_add_co_u32 v2, vcc_lo, v42, v2
	s_wait_alu 0xfffd
	v_add_co_ci_u32_e64 v3, null, v43, v3, vcc_lo
	global_load_b128 v[44:47], v[2:3], off
	s_wait_loadcnt 0x0
	ds_store_2addr_b64 v34, v[44:45], v[46:47] offset1:1
	s_branch .LBB252_9
.LBB252_18:                             ;   in Loop: Header=BB252_10 Depth=2
	s_wait_alu 0xfffe
	v_add_nc_u32_e32 v0, s2, v32
	v_mov_b32_e32 v15, v1
	s_and_not1_b32 s24, s10, exec_lo
	s_mov_b32 s20, exec_lo
	s_delay_alu instid0(VALU_DEP_2) | instskip(SKIP_2) | instid1(SALU_CYCLE_1)
	v_cmp_le_u64_e32 vcc_lo, s[8:9], v[0:1]
	v_mov_b32_e32 v14, v0
	s_and_b32 s25, vcc_lo, exec_lo
	s_or_b32 s24, s24, s25
	s_or_b32 exec_lo, exec_lo, s21
	s_and_saveexec_b32 s21, s24
	s_wait_alu 0xfffe
	s_xor_b32 s21, exec_lo, s21
	s_cbranch_execz .LBB252_12
.LBB252_19:                             ;   in Loop: Header=BB252_10 Depth=2
	v_dual_mov_b32 v0, v1 :: v_dual_mov_b32 v3, v1
	v_mov_b32_e32 v2, v1
	s_and_not1_b32 s20, s20, exec_lo
	ds_store_b128 v33, v[0:3]
	s_wait_alu 0xfffe
	s_or_b32 exec_lo, exec_lo, s21
	s_and_saveexec_b32 s21, s20
	s_cbranch_execnz .LBB252_13
	s_branch .LBB252_14
.LBB252_20:                             ;   in Loop: Header=BB252_7 Depth=1
	v_mov_b32_e32 v28, 0
	v_mov_b32_e32 v26, 0
	v_dual_mov_b32 v22, 0 :: v_dual_mov_b32 v29, 0
	v_dual_mov_b32 v24, 0 :: v_dual_mov_b32 v27, 0
	;; [unrolled: 1-line block ×3, first 2 shown]
	v_mov_b32_e32 v18, 0
	v_dual_mov_b32 v16, 0 :: v_dual_mov_b32 v25, 0
	v_mov_b32_e32 v21, 0
	v_mov_b32_e32 v19, 0
	;; [unrolled: 1-line block ×3, first 2 shown]
.LBB252_21:                             ;   in Loop: Header=BB252_7 Depth=1
	s_mul_u64 s[2:3], s[30:31], s[6:7]
	s_wait_alu 0xfffe
	s_lshl_b64 s[2:3], s[2:3], 4
	s_wait_alu 0xfffe
	s_add_nc_u64 s[2:3], s[26:27], s[2:3]
	s_wait_alu 0xfffe
	v_add_co_u32 v0, vcc_lo, s2, v10
	s_wait_alu 0xfffd
	v_add_co_ci_u32_e64 v40, null, s3, v11, vcc_lo
	s_and_saveexec_b32 s20, s12
	s_cbranch_execz .LBB252_26
; %bb.22:                               ;   in Loop: Header=BB252_7 Depth=1
	v_mul_f64_e32 v[2:3], s[42:43], v[28:29]
	v_mul_f64_e32 v[28:29], s[40:41], v[28:29]
	s_and_b32 vcc_lo, exec_lo, s11
	s_mov_b32 s21, -1
	s_delay_alu instid0(VALU_DEP_2) | instskip(NEXT) | instid1(VALU_DEP_2)
	v_fma_f64 v[2:3], s[40:41], v[4:5], -v[2:3]
	v_fma_f64 v[4:5], s[42:43], v[4:5], v[28:29]
	s_wait_alu 0xfffe
	s_cbranch_vccz .LBB252_24
; %bb.23:                               ;   in Loop: Header=BB252_7 Depth=1
	v_lshlrev_b64_e32 v[28:29], 4, v[6:7]
	s_mov_b32 s21, 0
	s_delay_alu instid0(VALU_DEP_1) | instskip(SKIP_1) | instid1(VALU_DEP_2)
	v_add_co_u32 v28, vcc_lo, v0, v28
	s_wait_alu 0xfffd
	v_add_co_ci_u32_e64 v29, null, v40, v29, vcc_lo
	global_load_b128 v[41:44], v[28:29], off
	s_wait_loadcnt 0x0
	v_mul_f64_e32 v[45:46], s[38:39], v[43:44]
	v_mul_f64_e32 v[43:44], s[36:37], v[43:44]
	s_delay_alu instid0(VALU_DEP_2) | instskip(NEXT) | instid1(VALU_DEP_2)
	v_fma_f64 v[45:46], s[36:37], v[41:42], -v[45:46]
	v_fma_f64 v[43:44], s[38:39], v[41:42], v[43:44]
	s_delay_alu instid0(VALU_DEP_2) | instskip(NEXT) | instid1(VALU_DEP_2)
	v_add_f64_e32 v[41:42], v[2:3], v[45:46]
	v_add_f64_e32 v[43:44], v[4:5], v[43:44]
	global_store_b128 v[28:29], v[41:44], off
.LBB252_24:                             ;   in Loop: Header=BB252_7 Depth=1
	s_wait_alu 0xfffe
	s_and_not1_b32 vcc_lo, exec_lo, s21
	s_wait_alu 0xfffe
	s_cbranch_vccnz .LBB252_26
; %bb.25:                               ;   in Loop: Header=BB252_7 Depth=1
	v_lshlrev_b64_e32 v[28:29], 4, v[6:7]
	s_delay_alu instid0(VALU_DEP_1) | instskip(SKIP_1) | instid1(VALU_DEP_2)
	v_add_co_u32 v28, vcc_lo, v0, v28
	s_wait_alu 0xfffd
	v_add_co_ci_u32_e64 v29, null, v40, v29, vcc_lo
	global_store_b128 v[28:29], v[2:5], off
.LBB252_26:                             ;   in Loop: Header=BB252_7 Depth=1
	s_wait_alu 0xfffe
	s_or_b32 exec_lo, exec_lo, s20
	s_and_saveexec_b32 s20, s13
	s_cbranch_execz .LBB252_31
; %bb.27:                               ;   in Loop: Header=BB252_7 Depth=1
	v_mul_f64_e32 v[2:3], s[42:43], v[26:27]
	v_mul_f64_e32 v[4:5], s[40:41], v[26:27]
	s_and_not1_b32 vcc_lo, exec_lo, s11
	s_mov_b32 s21, -1
	s_delay_alu instid0(VALU_DEP_2) | instskip(NEXT) | instid1(VALU_DEP_2)
	v_fma_f64 v[2:3], s[40:41], v[24:25], -v[2:3]
	v_fma_f64 v[4:5], s[42:43], v[24:25], v[4:5]
	s_wait_alu 0xfffe
	s_cbranch_vccnz .LBB252_29
; %bb.28:                               ;   in Loop: Header=BB252_7 Depth=1
	v_lshlrev_b64_e32 v[24:25], 4, v[8:9]
	s_mov_b32 s21, 0
	s_delay_alu instid0(VALU_DEP_1) | instskip(SKIP_1) | instid1(VALU_DEP_2)
	v_add_co_u32 v28, vcc_lo, v0, v24
	s_wait_alu 0xfffd
	v_add_co_ci_u32_e64 v29, null, v40, v25, vcc_lo
	global_load_b128 v[24:27], v[28:29], off
	s_wait_loadcnt 0x0
	v_mul_f64_e32 v[41:42], s[38:39], v[26:27]
	v_mul_f64_e32 v[26:27], s[36:37], v[26:27]
	s_delay_alu instid0(VALU_DEP_2) | instskip(NEXT) | instid1(VALU_DEP_2)
	v_fma_f64 v[41:42], s[36:37], v[24:25], -v[41:42]
	v_fma_f64 v[26:27], s[38:39], v[24:25], v[26:27]
	s_delay_alu instid0(VALU_DEP_2) | instskip(NEXT) | instid1(VALU_DEP_2)
	v_add_f64_e32 v[24:25], v[2:3], v[41:42]
	v_add_f64_e32 v[26:27], v[4:5], v[26:27]
	global_store_b128 v[28:29], v[24:27], off
.LBB252_29:                             ;   in Loop: Header=BB252_7 Depth=1
	s_wait_alu 0xfffe
	s_and_not1_b32 vcc_lo, exec_lo, s21
	s_wait_alu 0xfffe
	s_cbranch_vccnz .LBB252_31
; %bb.30:                               ;   in Loop: Header=BB252_7 Depth=1
	v_lshlrev_b64_e32 v[24:25], 4, v[8:9]
	s_delay_alu instid0(VALU_DEP_1) | instskip(SKIP_1) | instid1(VALU_DEP_2)
	v_add_co_u32 v24, vcc_lo, v0, v24
	s_wait_alu 0xfffd
	v_add_co_ci_u32_e64 v25, null, v40, v25, vcc_lo
	global_store_b128 v[24:25], v[2:5], off
.LBB252_31:                             ;   in Loop: Header=BB252_7 Depth=1
	s_wait_alu 0xfffe
	s_or_b32 exec_lo, exec_lo, s20
	v_add_co_u32 v0, vcc_lo, s2, v12
	s_wait_alu 0xfffd
	v_add_co_ci_u32_e64 v24, null, s3, v13, vcc_lo
	s_and_saveexec_b32 s2, s4
	s_cbranch_execz .LBB252_36
; %bb.32:                               ;   in Loop: Header=BB252_7 Depth=1
	v_mul_f64_e32 v[2:3], s[42:43], v[22:23]
	v_mul_f64_e32 v[4:5], s[40:41], v[22:23]
	s_and_not1_b32 vcc_lo, exec_lo, s11
	s_mov_b32 s3, -1
	s_delay_alu instid0(VALU_DEP_2) | instskip(NEXT) | instid1(VALU_DEP_2)
	v_fma_f64 v[2:3], s[40:41], v[20:21], -v[2:3]
	v_fma_f64 v[4:5], s[42:43], v[20:21], v[4:5]
	v_lshlrev_b64_e32 v[20:21], 4, v[6:7]
	s_wait_alu 0xfffe
	s_cbranch_vccnz .LBB252_34
; %bb.33:                               ;   in Loop: Header=BB252_7 Depth=1
	s_delay_alu instid0(VALU_DEP_1) | instskip(SKIP_1) | instid1(VALU_DEP_2)
	v_add_co_u32 v22, vcc_lo, v0, v20
	s_wait_alu 0xfffd
	v_add_co_ci_u32_e64 v23, null, v24, v21, vcc_lo
	s_mov_b32 s3, 0
	global_load_b128 v[25:28], v[22:23], off
	s_wait_loadcnt 0x0
	v_mul_f64_e32 v[40:41], s[38:39], v[27:28]
	v_mul_f64_e32 v[27:28], s[36:37], v[27:28]
	s_delay_alu instid0(VALU_DEP_2) | instskip(NEXT) | instid1(VALU_DEP_2)
	v_fma_f64 v[40:41], s[36:37], v[25:26], -v[40:41]
	v_fma_f64 v[27:28], s[38:39], v[25:26], v[27:28]
	s_delay_alu instid0(VALU_DEP_2) | instskip(NEXT) | instid1(VALU_DEP_2)
	v_add_f64_e32 v[25:26], v[2:3], v[40:41]
	v_add_f64_e32 v[27:28], v[4:5], v[27:28]
	global_store_b128 v[22:23], v[25:28], off
.LBB252_34:                             ;   in Loop: Header=BB252_7 Depth=1
	s_wait_alu 0xfffe
	s_and_not1_b32 vcc_lo, exec_lo, s3
	s_wait_alu 0xfffe
	s_cbranch_vccnz .LBB252_36
; %bb.35:                               ;   in Loop: Header=BB252_7 Depth=1
	v_add_co_u32 v20, vcc_lo, v0, v20
	s_wait_alu 0xfffd
	v_add_co_ci_u32_e64 v21, null, v24, v21, vcc_lo
	global_store_b128 v[20:21], v[2:5], off
.LBB252_36:                             ;   in Loop: Header=BB252_7 Depth=1
	s_wait_alu 0xfffe
	s_or_b32 exec_lo, exec_lo, s2
	s_and_saveexec_b32 s2, s1
	s_cbranch_execz .LBB252_6
; %bb.37:                               ;   in Loop: Header=BB252_7 Depth=1
	v_mul_f64_e32 v[2:3], s[42:43], v[16:17]
	v_mul_f64_e32 v[4:5], s[40:41], v[16:17]
	v_lshlrev_b64_e32 v[16:17], 4, v[8:9]
	s_and_not1_b32 vcc_lo, exec_lo, s11
	s_mov_b32 s3, -1
	s_delay_alu instid0(VALU_DEP_3) | instskip(NEXT) | instid1(VALU_DEP_3)
	v_fma_f64 v[2:3], s[40:41], v[18:19], -v[2:3]
	v_fma_f64 v[4:5], s[42:43], v[18:19], v[4:5]
	s_wait_alu 0xfffe
	s_cbranch_vccnz .LBB252_39
; %bb.38:                               ;   in Loop: Header=BB252_7 Depth=1
	v_add_co_u32 v22, vcc_lo, v0, v16
	s_wait_alu 0xfffd
	v_add_co_ci_u32_e64 v23, null, v24, v17, vcc_lo
	s_mov_b32 s3, 0
	global_load_b128 v[18:21], v[22:23], off
	s_wait_loadcnt 0x0
	v_mul_f64_e32 v[25:26], s[38:39], v[20:21]
	v_mul_f64_e32 v[20:21], s[36:37], v[20:21]
	s_delay_alu instid0(VALU_DEP_2) | instskip(NEXT) | instid1(VALU_DEP_2)
	v_fma_f64 v[25:26], s[36:37], v[18:19], -v[25:26]
	v_fma_f64 v[20:21], s[38:39], v[18:19], v[20:21]
	s_delay_alu instid0(VALU_DEP_2) | instskip(NEXT) | instid1(VALU_DEP_2)
	v_add_f64_e32 v[18:19], v[2:3], v[25:26]
	v_add_f64_e32 v[20:21], v[4:5], v[20:21]
	global_store_b128 v[22:23], v[18:21], off
.LBB252_39:                             ;   in Loop: Header=BB252_7 Depth=1
	s_wait_alu 0xfffe
	s_and_not1_b32 vcc_lo, exec_lo, s3
	s_wait_alu 0xfffe
	s_cbranch_vccnz .LBB252_6
; %bb.40:                               ;   in Loop: Header=BB252_7 Depth=1
	v_add_co_u32 v16, vcc_lo, v0, v16
	s_wait_alu 0xfffd
	v_add_co_ci_u32_e64 v17, null, v24, v17, vcc_lo
	global_store_b128 v[16:17], v[2:5], off
	s_branch .LBB252_6
.LBB252_41:
.LBB252_42:
	s_endpgm
	.section	.rodata,"a",@progbits
	.p2align	6, 0x0
	.amdhsa_kernel _ZL29rocblas_internal_gemmt_kernelIlLi16ELi32ELi8ELc78ELc78ELc85ELb0ELb0E19rocblas_complex_numIdEPKS1_S3_PS1_EviT_T9_T10_S5_lS7_S5_lS6_T11_S5_li
		.amdhsa_group_segment_fixed_size 8192
		.amdhsa_private_segment_fixed_size 0
		.amdhsa_kernarg_size 108
		.amdhsa_user_sgpr_count 2
		.amdhsa_user_sgpr_dispatch_ptr 0
		.amdhsa_user_sgpr_queue_ptr 0
		.amdhsa_user_sgpr_kernarg_segment_ptr 1
		.amdhsa_user_sgpr_dispatch_id 0
		.amdhsa_user_sgpr_private_segment_size 0
		.amdhsa_wavefront_size32 1
		.amdhsa_uses_dynamic_stack 0
		.amdhsa_enable_private_segment 0
		.amdhsa_system_sgpr_workgroup_id_x 1
		.amdhsa_system_sgpr_workgroup_id_y 1
		.amdhsa_system_sgpr_workgroup_id_z 1
		.amdhsa_system_sgpr_workgroup_info 0
		.amdhsa_system_vgpr_workitem_id 1
		.amdhsa_next_free_vgpr 68
		.amdhsa_next_free_sgpr 44
		.amdhsa_reserve_vcc 1
		.amdhsa_float_round_mode_32 0
		.amdhsa_float_round_mode_16_64 0
		.amdhsa_float_denorm_mode_32 3
		.amdhsa_float_denorm_mode_16_64 3
		.amdhsa_fp16_overflow 0
		.amdhsa_workgroup_processor_mode 1
		.amdhsa_memory_ordered 1
		.amdhsa_forward_progress 1
		.amdhsa_inst_pref_size 30
		.amdhsa_round_robin_scheduling 0
		.amdhsa_exception_fp_ieee_invalid_op 0
		.amdhsa_exception_fp_denorm_src 0
		.amdhsa_exception_fp_ieee_div_zero 0
		.amdhsa_exception_fp_ieee_overflow 0
		.amdhsa_exception_fp_ieee_underflow 0
		.amdhsa_exception_fp_ieee_inexact 0
		.amdhsa_exception_int_div_zero 0
	.end_amdhsa_kernel
	.section	.text._ZL29rocblas_internal_gemmt_kernelIlLi16ELi32ELi8ELc78ELc78ELc85ELb0ELb0E19rocblas_complex_numIdEPKS1_S3_PS1_EviT_T9_T10_S5_lS7_S5_lS6_T11_S5_li,"axG",@progbits,_ZL29rocblas_internal_gemmt_kernelIlLi16ELi32ELi8ELc78ELc78ELc85ELb0ELb0E19rocblas_complex_numIdEPKS1_S3_PS1_EviT_T9_T10_S5_lS7_S5_lS6_T11_S5_li,comdat
.Lfunc_end252:
	.size	_ZL29rocblas_internal_gemmt_kernelIlLi16ELi32ELi8ELc78ELc78ELc85ELb0ELb0E19rocblas_complex_numIdEPKS1_S3_PS1_EviT_T9_T10_S5_lS7_S5_lS6_T11_S5_li, .Lfunc_end252-_ZL29rocblas_internal_gemmt_kernelIlLi16ELi32ELi8ELc78ELc78ELc85ELb0ELb0E19rocblas_complex_numIdEPKS1_S3_PS1_EviT_T9_T10_S5_lS7_S5_lS6_T11_S5_li
                                        ; -- End function
	.set _ZL29rocblas_internal_gemmt_kernelIlLi16ELi32ELi8ELc78ELc78ELc85ELb0ELb0E19rocblas_complex_numIdEPKS1_S3_PS1_EviT_T9_T10_S5_lS7_S5_lS6_T11_S5_li.num_vgpr, 68
	.set _ZL29rocblas_internal_gemmt_kernelIlLi16ELi32ELi8ELc78ELc78ELc85ELb0ELb0E19rocblas_complex_numIdEPKS1_S3_PS1_EviT_T9_T10_S5_lS7_S5_lS6_T11_S5_li.num_agpr, 0
	.set _ZL29rocblas_internal_gemmt_kernelIlLi16ELi32ELi8ELc78ELc78ELc85ELb0ELb0E19rocblas_complex_numIdEPKS1_S3_PS1_EviT_T9_T10_S5_lS7_S5_lS6_T11_S5_li.numbered_sgpr, 44
	.set _ZL29rocblas_internal_gemmt_kernelIlLi16ELi32ELi8ELc78ELc78ELc85ELb0ELb0E19rocblas_complex_numIdEPKS1_S3_PS1_EviT_T9_T10_S5_lS7_S5_lS6_T11_S5_li.num_named_barrier, 0
	.set _ZL29rocblas_internal_gemmt_kernelIlLi16ELi32ELi8ELc78ELc78ELc85ELb0ELb0E19rocblas_complex_numIdEPKS1_S3_PS1_EviT_T9_T10_S5_lS7_S5_lS6_T11_S5_li.private_seg_size, 0
	.set _ZL29rocblas_internal_gemmt_kernelIlLi16ELi32ELi8ELc78ELc78ELc85ELb0ELb0E19rocblas_complex_numIdEPKS1_S3_PS1_EviT_T9_T10_S5_lS7_S5_lS6_T11_S5_li.uses_vcc, 1
	.set _ZL29rocblas_internal_gemmt_kernelIlLi16ELi32ELi8ELc78ELc78ELc85ELb0ELb0E19rocblas_complex_numIdEPKS1_S3_PS1_EviT_T9_T10_S5_lS7_S5_lS6_T11_S5_li.uses_flat_scratch, 0
	.set _ZL29rocblas_internal_gemmt_kernelIlLi16ELi32ELi8ELc78ELc78ELc85ELb0ELb0E19rocblas_complex_numIdEPKS1_S3_PS1_EviT_T9_T10_S5_lS7_S5_lS6_T11_S5_li.has_dyn_sized_stack, 0
	.set _ZL29rocblas_internal_gemmt_kernelIlLi16ELi32ELi8ELc78ELc78ELc85ELb0ELb0E19rocblas_complex_numIdEPKS1_S3_PS1_EviT_T9_T10_S5_lS7_S5_lS6_T11_S5_li.has_recursion, 0
	.set _ZL29rocblas_internal_gemmt_kernelIlLi16ELi32ELi8ELc78ELc78ELc85ELb0ELb0E19rocblas_complex_numIdEPKS1_S3_PS1_EviT_T9_T10_S5_lS7_S5_lS6_T11_S5_li.has_indirect_call, 0
	.section	.AMDGPU.csdata,"",@progbits
; Kernel info:
; codeLenInByte = 3832
; TotalNumSgprs: 46
; NumVgprs: 68
; ScratchSize: 0
; MemoryBound: 0
; FloatMode: 240
; IeeeMode: 1
; LDSByteSize: 8192 bytes/workgroup (compile time only)
; SGPRBlocks: 0
; VGPRBlocks: 8
; NumSGPRsForWavesPerEU: 46
; NumVGPRsForWavesPerEU: 68
; Occupancy: 16
; WaveLimiterHint : 0
; COMPUTE_PGM_RSRC2:SCRATCH_EN: 0
; COMPUTE_PGM_RSRC2:USER_SGPR: 2
; COMPUTE_PGM_RSRC2:TRAP_HANDLER: 0
; COMPUTE_PGM_RSRC2:TGID_X_EN: 1
; COMPUTE_PGM_RSRC2:TGID_Y_EN: 1
; COMPUTE_PGM_RSRC2:TGID_Z_EN: 1
; COMPUTE_PGM_RSRC2:TIDIG_COMP_CNT: 1
	.section	.text._ZL29rocblas_internal_gemmt_kernelIlLi16ELi32ELi8ELc78ELc84ELc85ELb0ELb0E19rocblas_complex_numIdEPKS1_S3_PS1_EviT_T9_T10_S5_lS7_S5_lS6_T11_S5_li,"axG",@progbits,_ZL29rocblas_internal_gemmt_kernelIlLi16ELi32ELi8ELc78ELc84ELc85ELb0ELb0E19rocblas_complex_numIdEPKS1_S3_PS1_EviT_T9_T10_S5_lS7_S5_lS6_T11_S5_li,comdat
	.globl	_ZL29rocblas_internal_gemmt_kernelIlLi16ELi32ELi8ELc78ELc84ELc85ELb0ELb0E19rocblas_complex_numIdEPKS1_S3_PS1_EviT_T9_T10_S5_lS7_S5_lS6_T11_S5_li ; -- Begin function _ZL29rocblas_internal_gemmt_kernelIlLi16ELi32ELi8ELc78ELc84ELc85ELb0ELb0E19rocblas_complex_numIdEPKS1_S3_PS1_EviT_T9_T10_S5_lS7_S5_lS6_T11_S5_li
	.p2align	8
	.type	_ZL29rocblas_internal_gemmt_kernelIlLi16ELi32ELi8ELc78ELc84ELc85ELb0ELb0E19rocblas_complex_numIdEPKS1_S3_PS1_EviT_T9_T10_S5_lS7_S5_lS6_T11_S5_li,@function
_ZL29rocblas_internal_gemmt_kernelIlLi16ELi32ELi8ELc78ELc84ELc85ELb0ELb0E19rocblas_complex_numIdEPKS1_S3_PS1_EviT_T9_T10_S5_lS7_S5_lS6_T11_S5_li: ; @_ZL29rocblas_internal_gemmt_kernelIlLi16ELi32ELi8ELc78ELc84ELc85ELb0ELb0E19rocblas_complex_numIdEPKS1_S3_PS1_EviT_T9_T10_S5_lS7_S5_lS6_T11_S5_li
; %bb.0:
	s_clause 0x1
	s_load_b256 s[24:31], s[0:1], 0x48
	s_load_b512 s[8:23], s[0:1], 0x8
	s_wait_kmcnt 0x0
	s_load_b128 s[36:39], s[24:25], 0x0
	s_load_b128 s[40:43], s[10:11], 0x0
	s_wait_kmcnt 0x0
	v_cmp_eq_f64_e64 s3, s[36:37], 1.0
	v_cmp_eq_f64_e64 s2, s[38:39], 0
	s_and_b32 s3, s3, s2
	s_delay_alu instid0(SALU_CYCLE_1)
	s_and_not1_b32 vcc_lo, exec_lo, s3
	s_mov_b32 s3, -1
	s_cbranch_vccnz .LBB253_3
; %bb.1:
	s_cmp_lg_u64 s[8:9], 0
	s_cbranch_scc0 .LBB253_41
; %bb.2:
	v_cmp_neq_f64_e64 s3, s[40:41], 0
	v_cmp_neq_f64_e64 s4, s[42:43], 0
	s_or_b32 s3, s3, s4
.LBB253_3:
	s_delay_alu instid0(SALU_CYCLE_1)
	s_and_b32 vcc_lo, exec_lo, s3
	s_cbranch_vccz .LBB253_42
; %bb.4:
	s_load_b32 s5, s[0:1], 0x68
	s_lshr_b32 s6, ttmp7, 16
	s_wait_kmcnt 0x0
	s_cmp_ge_u32 s6, s5
	s_cbranch_scc1 .LBB253_42
; %bb.5:
	v_dual_mov_b32 v1, 0 :: v_dual_and_b32 v6, 0x3ff, v0
	v_bfe_u32 v7, v0, 10, 10
	v_and_b32_e32 v30, 7, v0
	s_load_b32 s7, s[0:1], 0x0
	s_lshl_b32 s0, ttmp7, 5
	s_lshl_b32 s11, ttmp9, 5
	v_lshl_add_u32 v0, v7, 4, v6
	s_and_b32 s0, s0, 0x1fffe0
	v_cmp_neq_f64_e64 s3, s[40:41], 0
	v_cmp_neq_f64_e64 s4, s[42:43], 0
	;; [unrolled: 1-line block ×3, first 2 shown]
	v_and_b32_e32 v8, 31, v0
	v_add_nc_u32_e32 v11, s0, v7
	v_lshrrev_b32_e32 v31, 5, v0
	v_lshrrev_b32_e32 v0, 3, v0
	v_lshl_add_u32 v39, v7, 7, 0x1000
	v_or_b32_e32 v2, s11, v8
	v_mad_co_u64_u32 v[4:5], null, s28, v11, 0
	v_lshlrev_b32_e32 v9, 4, v30
	v_add_nc_u32_e32 v10, s0, v0
	s_delay_alu instid0(VALU_DEP_4)
	v_ashrrev_i32_e32 v3, 31, v2
	v_add_nc_u32_e32 v12, 16, v11
	s_wait_kmcnt 0x0
	v_cmp_gt_i32_e64 s0, s7, v2
	v_cmp_le_i32_e64 s10, s7, v2
	v_lshl_or_b32 v0, v0, 7, v9
	v_lshlrev_b64_e32 v[2:3], 4, v[2:3]
	v_lshlrev_b32_e32 v8, 4, v8
	v_lshlrev_b32_e32 v38, 4, v6
	v_add_nc_u32_e32 v6, s11, v6
	v_add_nc_u32_e32 v33, 0x1000, v0
	v_lshlrev_b32_e32 v0, 4, v10
	v_add_co_u32 v34, s1, s12, v2
	s_wait_alu 0xf1ff
	v_add_co_ci_u32_e64 v35, null, s13, v3, s1
	v_mad_co_u64_u32 v[2:3], null, s28, v12, 0
	v_add_co_u32 v36, s1, s18, v0
	v_mov_b32_e32 v0, v5
	v_lshl_or_b32 v32, v31, 9, v8
	v_cmp_gt_i32_e32 vcc_lo, s7, v10
	s_wait_alu 0xf1ff
	v_add_co_ci_u32_e64 v37, null, s19, 0, s1
	v_mad_co_u64_u32 v[7:8], null, s29, v11, v[0:1]
	v_mov_b32_e32 v0, v3
	v_add_nc_u32_e32 v8, 16, v6
	s_xor_b32 s1, s2, -1
	s_or_b32 s33, s3, s4
	s_wait_alu 0xfffe
	s_or_b32 s11, s25, s1
	v_mad_co_u64_u32 v[9:10], null, s29, v12, v[0:1]
	v_cmp_gt_i32_e64 s1, s7, v11
	v_cmp_le_i32_e64 s2, v6, v11
	v_cmp_le_i32_e64 s3, v8, v11
	v_mov_b32_e32 v5, v7
	v_cmp_gt_i64_e64 s24, s[8:9], 0
	v_cmp_le_i32_e64 s4, v6, v12
	v_mov_b32_e32 v3, v9
	s_and_b32 s12, s1, s2
	v_cmp_gt_i32_e64 s2, s7, v12
	s_and_b32 s13, s1, s3
	v_cmp_le_i32_e64 s1, v8, v12
	v_lshlrev_b64_e32 v[10:11], 4, v[4:5]
	v_lshlrev_b64_e32 v[12:13], 4, v[2:3]
	v_ashrrev_i32_e32 v7, 31, v6
	v_ashrrev_i32_e32 v9, 31, v8
	s_and_b32 s4, s2, s4
	s_and_b32 s18, s33, s24
	;; [unrolled: 1-line block ×3, first 2 shown]
	s_mov_b32 s7, 0
	s_xor_b32 s19, vcc_lo, -1
                                        ; implicit-def: $vgpr14_vgpr15
	s_branch .LBB253_7
.LBB253_6:                              ;   in Loop: Header=BB253_7 Depth=1
	s_wait_alu 0xfffe
	s_or_b32 exec_lo, exec_lo, s2
	s_add_co_i32 s6, s6, 0x10000
	s_wait_alu 0xfffe
	s_cmp_lt_u32 s6, s5
	s_cbranch_scc0 .LBB253_42
.LBB253_7:                              ; =>This Loop Header: Depth=1
                                        ;     Child Loop BB253_10 Depth 2
	v_mov_b32_e32 v4, 0
	v_mov_b32_e32 v5, 0
	s_wait_alu 0xfffe
	s_and_not1_b32 vcc_lo, exec_lo, s18
	s_wait_alu 0xfffe
	s_cbranch_vccnz .LBB253_20
; %bb.8:                                ;   in Loop: Header=BB253_7 Depth=1
	s_mul_u64 s[2:3], s[16:17], s[6:7]
	s_mul_u64 s[24:25], s[22:23], s[6:7]
	s_wait_alu 0xfffe
	s_lshl_b64 s[2:3], s[2:3], 4
	v_mov_b32_e32 v16, 0
	s_wait_alu 0xfffe
	v_add_co_u32 v40, vcc_lo, v34, s2
	s_wait_alu 0xfffd
	v_add_co_ci_u32_e64 v41, null, s3, v35, vcc_lo
	s_lshl_b64 s[2:3], s[24:25], 4
	v_mov_b32_e32 v22, 0
	v_mov_b32_e32 v26, 0
	;; [unrolled: 1-line block ×3, first 2 shown]
	s_wait_alu 0xfffe
	v_add_co_u32 v42, vcc_lo, v36, s2
	v_dual_mov_b32 v17, 0 :: v_dual_mov_b32 v18, 0
	v_dual_mov_b32 v23, 0 :: v_dual_mov_b32 v20, 0
	;; [unrolled: 1-line block ×4, first 2 shown]
	v_mov_b32_e32 v19, 0
	v_mov_b32_e32 v21, 0
	v_mov_b32_e32 v25, 0
	v_mov_b32_e32 v5, 0
	s_wait_alu 0xfffd
	v_add_co_ci_u32_e64 v43, null, s3, v37, vcc_lo
	s_mov_b64 s[2:3], 0
	s_branch .LBB253_10
.LBB253_9:                              ;   in Loop: Header=BB253_10 Depth=2
	s_or_b32 exec_lo, exec_lo, s24
	s_wait_dscnt 0x0
	s_barrier_signal -1
	s_barrier_wait -1
	global_inv scope:SCOPE_SE
	ds_load_b128 v[44:47], v39
	ds_load_b128 v[48:51], v39 offset:16
	ds_load_b128 v[52:55], v39 offset:32
	;; [unrolled: 1-line block ×3, first 2 shown]
	ds_load_b128 v[60:63], v38
	s_add_nc_u64 s[2:3], s[2:3], 8
	s_wait_alu 0xfffe
	v_cmp_gt_i64_e64 s24, s[8:9], s[2:3]
	s_and_b32 vcc_lo, exec_lo, s24
	s_wait_dscnt 0x0
	v_mul_f64_e32 v[2:3], v[46:47], v[62:63]
	v_mul_f64_e32 v[64:65], v[44:45], v[62:63]
	s_delay_alu instid0(VALU_DEP_2) | instskip(NEXT) | instid1(VALU_DEP_2)
	v_fma_f64 v[2:3], v[44:45], v[60:61], -v[2:3]
	v_fma_f64 v[64:65], v[46:47], v[60:61], v[64:65]
	s_delay_alu instid0(VALU_DEP_2) | instskip(SKIP_4) | instid1(VALU_DEP_1)
	v_add_f64_e32 v[66:67], v[4:5], v[2:3]
	ds_load_b128 v[2:5], v38 offset:256
	v_add_f64_e32 v[28:29], v[64:65], v[28:29]
	s_wait_dscnt 0x0
	v_mul_f64_e32 v[64:65], v[46:47], v[4:5]
	v_fma_f64 v[64:65], v[44:45], v[2:3], -v[64:65]
	v_mul_f64_e32 v[44:45], v[44:45], v[4:5]
	s_delay_alu instid0(VALU_DEP_1) | instskip(NEXT) | instid1(VALU_DEP_3)
	v_fma_f64 v[44:45], v[46:47], v[2:3], v[44:45]
	v_add_f64_e32 v[46:47], v[24:25], v[64:65]
	s_delay_alu instid0(VALU_DEP_2) | instskip(SKIP_4) | instid1(VALU_DEP_2)
	v_add_f64_e32 v[44:45], v[44:45], v[26:27]
	ds_load_b128 v[24:27], v39 offset:2048
	s_wait_dscnt 0x0
	v_mul_f64_e32 v[64:65], v[26:27], v[62:63]
	v_mul_f64_e32 v[62:63], v[24:25], v[62:63]
	v_fma_f64 v[64:65], v[24:25], v[60:61], -v[64:65]
	s_delay_alu instid0(VALU_DEP_2) | instskip(NEXT) | instid1(VALU_DEP_2)
	v_fma_f64 v[60:61], v[26:27], v[60:61], v[62:63]
	v_add_f64_e32 v[62:63], v[20:21], v[64:65]
	v_mul_f64_e32 v[20:21], v[26:27], v[4:5]
	v_mul_f64_e32 v[4:5], v[24:25], v[4:5]
	s_delay_alu instid0(VALU_DEP_4) | instskip(NEXT) | instid1(VALU_DEP_3)
	v_add_f64_e32 v[60:61], v[60:61], v[22:23]
	v_fma_f64 v[20:21], v[24:25], v[2:3], -v[20:21]
	s_delay_alu instid0(VALU_DEP_3) | instskip(NEXT) | instid1(VALU_DEP_2)
	v_fma_f64 v[2:3], v[26:27], v[2:3], v[4:5]
	v_add_f64_e32 v[24:25], v[18:19], v[20:21]
	s_delay_alu instid0(VALU_DEP_2) | instskip(SKIP_4) | instid1(VALU_DEP_2)
	v_add_f64_e32 v[26:27], v[2:3], v[16:17]
	ds_load_b128 v[2:5], v38 offset:512
	s_wait_dscnt 0x0
	v_mul_f64_e32 v[16:17], v[50:51], v[4:5]
	v_mul_f64_e32 v[18:19], v[48:49], v[4:5]
	v_fma_f64 v[16:17], v[48:49], v[2:3], -v[16:17]
	s_delay_alu instid0(VALU_DEP_2) | instskip(NEXT) | instid1(VALU_DEP_2)
	v_fma_f64 v[18:19], v[50:51], v[2:3], v[18:19]
	v_add_f64_e32 v[64:65], v[66:67], v[16:17]
	s_delay_alu instid0(VALU_DEP_2) | instskip(SKIP_4) | instid1(VALU_DEP_2)
	v_add_f64_e32 v[28:29], v[18:19], v[28:29]
	ds_load_b128 v[16:19], v38 offset:768
	s_wait_dscnt 0x0
	v_mul_f64_e32 v[20:21], v[50:51], v[18:19]
	v_mul_f64_e32 v[22:23], v[48:49], v[18:19]
	v_fma_f64 v[20:21], v[48:49], v[16:17], -v[20:21]
	s_delay_alu instid0(VALU_DEP_2) | instskip(NEXT) | instid1(VALU_DEP_2)
	v_fma_f64 v[22:23], v[50:51], v[16:17], v[22:23]
	v_add_f64_e32 v[46:47], v[46:47], v[20:21]
	s_delay_alu instid0(VALU_DEP_2) | instskip(SKIP_4) | instid1(VALU_DEP_2)
	v_add_f64_e32 v[44:45], v[22:23], v[44:45]
	ds_load_b128 v[20:23], v39 offset:2064
	s_wait_dscnt 0x0
	v_mul_f64_e32 v[48:49], v[22:23], v[4:5]
	v_mul_f64_e32 v[4:5], v[20:21], v[4:5]
	v_fma_f64 v[48:49], v[20:21], v[2:3], -v[48:49]
	s_delay_alu instid0(VALU_DEP_2) | instskip(SKIP_1) | instid1(VALU_DEP_3)
	v_fma_f64 v[2:3], v[22:23], v[2:3], v[4:5]
	v_mul_f64_e32 v[4:5], v[20:21], v[18:19]
	v_add_f64_e32 v[48:49], v[62:63], v[48:49]
	s_delay_alu instid0(VALU_DEP_3) | instskip(SKIP_1) | instid1(VALU_DEP_4)
	v_add_f64_e32 v[50:51], v[2:3], v[60:61]
	v_mul_f64_e32 v[2:3], v[22:23], v[18:19]
	v_fma_f64 v[4:5], v[22:23], v[16:17], v[4:5]
	s_delay_alu instid0(VALU_DEP_2) | instskip(NEXT) | instid1(VALU_DEP_2)
	v_fma_f64 v[2:3], v[20:21], v[16:17], -v[2:3]
	v_add_f64_e32 v[26:27], v[4:5], v[26:27]
	s_delay_alu instid0(VALU_DEP_2) | instskip(SKIP_4) | instid1(VALU_DEP_2)
	v_add_f64_e32 v[24:25], v[24:25], v[2:3]
	ds_load_b128 v[2:5], v38 offset:1024
	s_wait_dscnt 0x0
	v_mul_f64_e32 v[16:17], v[54:55], v[4:5]
	v_mul_f64_e32 v[18:19], v[52:53], v[4:5]
	v_fma_f64 v[16:17], v[52:53], v[2:3], -v[16:17]
	s_delay_alu instid0(VALU_DEP_2) | instskip(NEXT) | instid1(VALU_DEP_2)
	v_fma_f64 v[18:19], v[54:55], v[2:3], v[18:19]
	v_add_f64_e32 v[60:61], v[64:65], v[16:17]
	s_delay_alu instid0(VALU_DEP_2) | instskip(SKIP_4) | instid1(VALU_DEP_2)
	v_add_f64_e32 v[28:29], v[18:19], v[28:29]
	ds_load_b128 v[16:19], v38 offset:1280
	s_wait_dscnt 0x0
	v_mul_f64_e32 v[20:21], v[54:55], v[18:19]
	v_mul_f64_e32 v[22:23], v[52:53], v[18:19]
	v_fma_f64 v[20:21], v[52:53], v[16:17], -v[20:21]
	s_delay_alu instid0(VALU_DEP_2) | instskip(NEXT) | instid1(VALU_DEP_2)
	v_fma_f64 v[22:23], v[54:55], v[16:17], v[22:23]
	v_add_f64_e32 v[46:47], v[46:47], v[20:21]
	s_delay_alu instid0(VALU_DEP_2) | instskip(SKIP_4) | instid1(VALU_DEP_2)
	v_add_f64_e32 v[44:45], v[22:23], v[44:45]
	ds_load_b128 v[20:23], v39 offset:2080
	s_wait_dscnt 0x0
	v_mul_f64_e32 v[52:53], v[22:23], v[4:5]
	v_mul_f64_e32 v[4:5], v[20:21], v[4:5]
	v_fma_f64 v[52:53], v[20:21], v[2:3], -v[52:53]
	s_delay_alu instid0(VALU_DEP_2) | instskip(SKIP_1) | instid1(VALU_DEP_3)
	v_fma_f64 v[2:3], v[22:23], v[2:3], v[4:5]
	v_mul_f64_e32 v[4:5], v[20:21], v[18:19]
	v_add_f64_e32 v[48:49], v[48:49], v[52:53]
	s_delay_alu instid0(VALU_DEP_3) | instskip(SKIP_1) | instid1(VALU_DEP_4)
	v_add_f64_e32 v[50:51], v[2:3], v[50:51]
	v_mul_f64_e32 v[2:3], v[22:23], v[18:19]
	v_fma_f64 v[4:5], v[22:23], v[16:17], v[4:5]
	s_delay_alu instid0(VALU_DEP_2) | instskip(NEXT) | instid1(VALU_DEP_2)
	v_fma_f64 v[2:3], v[20:21], v[16:17], -v[2:3]
	;; [unrolled: 38-line block ×3, first 2 shown]
	v_add_f64_e32 v[26:27], v[4:5], v[26:27]
	s_delay_alu instid0(VALU_DEP_2)
	v_add_f64_e32 v[24:25], v[24:25], v[2:3]
	ds_load_b128 v[2:5], v39 offset:64
	ds_load_b128 v[16:19], v38 offset:2048
	s_wait_dscnt 0x0
	v_mul_f64_e32 v[20:21], v[4:5], v[18:19]
	v_mul_f64_e32 v[22:23], v[2:3], v[18:19]
	s_delay_alu instid0(VALU_DEP_2) | instskip(NEXT) | instid1(VALU_DEP_2)
	v_fma_f64 v[20:21], v[2:3], v[16:17], -v[20:21]
	v_fma_f64 v[22:23], v[4:5], v[16:17], v[22:23]
	s_delay_alu instid0(VALU_DEP_2) | instskip(NEXT) | instid1(VALU_DEP_2)
	v_add_f64_e32 v[52:53], v[52:53], v[20:21]
	v_add_f64_e32 v[28:29], v[22:23], v[28:29]
	ds_load_b128 v[20:23], v38 offset:2304
	s_wait_dscnt 0x0
	v_mul_f64_e32 v[54:55], v[4:5], v[22:23]
	s_delay_alu instid0(VALU_DEP_1) | instskip(SKIP_1) | instid1(VALU_DEP_2)
	v_fma_f64 v[54:55], v[2:3], v[20:21], -v[54:55]
	v_mul_f64_e32 v[2:3], v[2:3], v[22:23]
	v_add_f64_e32 v[46:47], v[46:47], v[54:55]
	s_delay_alu instid0(VALU_DEP_2) | instskip(NEXT) | instid1(VALU_DEP_1)
	v_fma_f64 v[2:3], v[4:5], v[20:21], v[2:3]
	v_add_f64_e32 v[44:45], v[2:3], v[44:45]
	ds_load_b128 v[2:5], v39 offset:2112
	s_wait_dscnt 0x0
	v_mul_f64_e32 v[54:55], v[4:5], v[18:19]
	v_mul_f64_e32 v[18:19], v[2:3], v[18:19]
	s_delay_alu instid0(VALU_DEP_2) | instskip(NEXT) | instid1(VALU_DEP_2)
	v_fma_f64 v[54:55], v[2:3], v[16:17], -v[54:55]
	v_fma_f64 v[16:17], v[4:5], v[16:17], v[18:19]
	s_delay_alu instid0(VALU_DEP_2) | instskip(NEXT) | instid1(VALU_DEP_2)
	v_add_f64_e32 v[48:49], v[48:49], v[54:55]
	v_add_f64_e32 v[50:51], v[16:17], v[50:51]
	v_mul_f64_e32 v[16:17], v[4:5], v[22:23]
	s_delay_alu instid0(VALU_DEP_1) | instskip(SKIP_1) | instid1(VALU_DEP_2)
	v_fma_f64 v[16:17], v[2:3], v[20:21], -v[16:17]
	v_mul_f64_e32 v[2:3], v[2:3], v[22:23]
	v_add_f64_e32 v[24:25], v[24:25], v[16:17]
	s_delay_alu instid0(VALU_DEP_2) | instskip(NEXT) | instid1(VALU_DEP_1)
	v_fma_f64 v[2:3], v[4:5], v[20:21], v[2:3]
	v_add_f64_e32 v[26:27], v[2:3], v[26:27]
	ds_load_b128 v[2:5], v39 offset:80
	ds_load_b128 v[16:19], v38 offset:2560
	s_wait_dscnt 0x0
	v_mul_f64_e32 v[20:21], v[4:5], v[18:19]
	v_mul_f64_e32 v[22:23], v[2:3], v[18:19]
	s_delay_alu instid0(VALU_DEP_2) | instskip(NEXT) | instid1(VALU_DEP_2)
	v_fma_f64 v[20:21], v[2:3], v[16:17], -v[20:21]
	v_fma_f64 v[22:23], v[4:5], v[16:17], v[22:23]
	s_delay_alu instid0(VALU_DEP_2) | instskip(NEXT) | instid1(VALU_DEP_2)
	v_add_f64_e32 v[52:53], v[52:53], v[20:21]
	v_add_f64_e32 v[28:29], v[22:23], v[28:29]
	ds_load_b128 v[20:23], v38 offset:2816
	s_wait_dscnt 0x0
	v_mul_f64_e32 v[54:55], v[4:5], v[22:23]
	s_delay_alu instid0(VALU_DEP_1) | instskip(SKIP_1) | instid1(VALU_DEP_2)
	v_fma_f64 v[54:55], v[2:3], v[20:21], -v[54:55]
	v_mul_f64_e32 v[2:3], v[2:3], v[22:23]
	v_add_f64_e32 v[46:47], v[46:47], v[54:55]
	s_delay_alu instid0(VALU_DEP_2) | instskip(NEXT) | instid1(VALU_DEP_1)
	v_fma_f64 v[2:3], v[4:5], v[20:21], v[2:3]
	v_add_f64_e32 v[44:45], v[2:3], v[44:45]
	ds_load_b128 v[2:5], v39 offset:2128
	s_wait_dscnt 0x0
	v_mul_f64_e32 v[54:55], v[4:5], v[18:19]
	v_mul_f64_e32 v[18:19], v[2:3], v[18:19]
	s_delay_alu instid0(VALU_DEP_2) | instskip(NEXT) | instid1(VALU_DEP_2)
	v_fma_f64 v[54:55], v[2:3], v[16:17], -v[54:55]
	v_fma_f64 v[16:17], v[4:5], v[16:17], v[18:19]
	s_delay_alu instid0(VALU_DEP_2) | instskip(NEXT) | instid1(VALU_DEP_2)
	v_add_f64_e32 v[48:49], v[48:49], v[54:55]
	v_add_f64_e32 v[50:51], v[16:17], v[50:51]
	v_mul_f64_e32 v[16:17], v[4:5], v[22:23]
	s_delay_alu instid0(VALU_DEP_1) | instskip(SKIP_1) | instid1(VALU_DEP_2)
	v_fma_f64 v[16:17], v[2:3], v[20:21], -v[16:17]
	v_mul_f64_e32 v[2:3], v[2:3], v[22:23]
	v_add_f64_e32 v[24:25], v[24:25], v[16:17]
	s_delay_alu instid0(VALU_DEP_2) | instskip(NEXT) | instid1(VALU_DEP_1)
	v_fma_f64 v[2:3], v[4:5], v[20:21], v[2:3]
	v_add_f64_e32 v[26:27], v[2:3], v[26:27]
	ds_load_b128 v[2:5], v39 offset:96
	ds_load_b128 v[16:19], v38 offset:3072
	s_wait_dscnt 0x0
	v_mul_f64_e32 v[20:21], v[4:5], v[18:19]
	v_mul_f64_e32 v[22:23], v[2:3], v[18:19]
	s_delay_alu instid0(VALU_DEP_2) | instskip(NEXT) | instid1(VALU_DEP_2)
	v_fma_f64 v[20:21], v[2:3], v[16:17], -v[20:21]
	v_fma_f64 v[22:23], v[4:5], v[16:17], v[22:23]
	s_delay_alu instid0(VALU_DEP_2) | instskip(NEXT) | instid1(VALU_DEP_2)
	v_add_f64_e32 v[52:53], v[52:53], v[20:21]
	v_add_f64_e32 v[28:29], v[22:23], v[28:29]
	ds_load_b128 v[20:23], v38 offset:3328
	s_wait_dscnt 0x0
	v_mul_f64_e32 v[54:55], v[4:5], v[22:23]
	s_delay_alu instid0(VALU_DEP_1) | instskip(SKIP_1) | instid1(VALU_DEP_2)
	v_fma_f64 v[54:55], v[2:3], v[20:21], -v[54:55]
	v_mul_f64_e32 v[2:3], v[2:3], v[22:23]
	v_add_f64_e32 v[54:55], v[46:47], v[54:55]
	s_delay_alu instid0(VALU_DEP_2) | instskip(NEXT) | instid1(VALU_DEP_1)
	v_fma_f64 v[2:3], v[4:5], v[20:21], v[2:3]
	v_add_f64_e32 v[56:57], v[2:3], v[44:45]
	ds_load_b128 v[2:5], v39 offset:2144
	s_wait_dscnt 0x0
	v_mul_f64_e32 v[44:45], v[4:5], v[18:19]
	v_mul_f64_e32 v[18:19], v[2:3], v[18:19]
	s_delay_alu instid0(VALU_DEP_2) | instskip(NEXT) | instid1(VALU_DEP_2)
	v_fma_f64 v[44:45], v[2:3], v[16:17], -v[44:45]
	v_fma_f64 v[16:17], v[4:5], v[16:17], v[18:19]
	s_delay_alu instid0(VALU_DEP_2) | instskip(NEXT) | instid1(VALU_DEP_2)
	v_add_f64_e32 v[48:49], v[48:49], v[44:45]
	v_add_f64_e32 v[50:51], v[16:17], v[50:51]
	v_mul_f64_e32 v[16:17], v[4:5], v[22:23]
	s_delay_alu instid0(VALU_DEP_1) | instskip(SKIP_1) | instid1(VALU_DEP_2)
	v_fma_f64 v[16:17], v[2:3], v[20:21], -v[16:17]
	v_mul_f64_e32 v[2:3], v[2:3], v[22:23]
	v_add_f64_e32 v[58:59], v[24:25], v[16:17]
	s_delay_alu instid0(VALU_DEP_2)
	v_fma_f64 v[2:3], v[4:5], v[20:21], v[2:3]
	ds_load_b128 v[16:19], v39 offset:112
	ds_load_b128 v[20:23], v38 offset:3584
	;; [unrolled: 1-line block ×3, first 2 shown]
	s_wait_dscnt 0x1
	v_mul_f64_e32 v[24:25], v[16:17], v[22:23]
	v_mul_f64_e32 v[4:5], v[18:19], v[22:23]
	v_add_f64_e32 v[2:3], v[2:3], v[26:27]
	s_delay_alu instid0(VALU_DEP_3) | instskip(NEXT) | instid1(VALU_DEP_3)
	v_fma_f64 v[24:25], v[18:19], v[20:21], v[24:25]
	v_fma_f64 v[4:5], v[16:17], v[20:21], -v[4:5]
	s_delay_alu instid0(VALU_DEP_2) | instskip(SKIP_2) | instid1(VALU_DEP_3)
	v_add_f64_e32 v[28:29], v[24:25], v[28:29]
	s_wait_dscnt 0x0
	v_mul_f64_e32 v[24:25], v[18:19], v[46:47]
	v_add_f64_e32 v[4:5], v[52:53], v[4:5]
	s_delay_alu instid0(VALU_DEP_2) | instskip(SKIP_1) | instid1(VALU_DEP_2)
	v_fma_f64 v[24:25], v[16:17], v[44:45], -v[24:25]
	v_mul_f64_e32 v[16:17], v[16:17], v[46:47]
	v_add_f64_e32 v[24:25], v[54:55], v[24:25]
	s_delay_alu instid0(VALU_DEP_2) | instskip(NEXT) | instid1(VALU_DEP_1)
	v_fma_f64 v[16:17], v[18:19], v[44:45], v[16:17]
	v_add_f64_e32 v[26:27], v[16:17], v[56:57]
	ds_load_b128 v[16:19], v39 offset:2160
	s_wait_loadcnt_dscnt 0x0
	s_barrier_signal -1
	s_barrier_wait -1
	global_inv scope:SCOPE_SE
	v_mul_f64_e32 v[52:53], v[18:19], v[22:23]
	v_mul_f64_e32 v[22:23], v[16:17], v[22:23]
	s_delay_alu instid0(VALU_DEP_2) | instskip(NEXT) | instid1(VALU_DEP_2)
	v_fma_f64 v[52:53], v[16:17], v[20:21], -v[52:53]
	v_fma_f64 v[22:23], v[18:19], v[20:21], v[22:23]
	s_delay_alu instid0(VALU_DEP_2) | instskip(SKIP_1) | instid1(VALU_DEP_3)
	v_add_f64_e32 v[20:21], v[48:49], v[52:53]
	v_mul_f64_e32 v[48:49], v[18:19], v[46:47]
	v_add_f64_e32 v[22:23], v[22:23], v[50:51]
	s_delay_alu instid0(VALU_DEP_2) | instskip(SKIP_1) | instid1(VALU_DEP_1)
	v_fma_f64 v[48:49], v[16:17], v[44:45], -v[48:49]
	v_mul_f64_e32 v[16:17], v[16:17], v[46:47]
	v_fma_f64 v[16:17], v[18:19], v[44:45], v[16:17]
	s_delay_alu instid0(VALU_DEP_3) | instskip(NEXT) | instid1(VALU_DEP_2)
	v_add_f64_e32 v[18:19], v[58:59], v[48:49]
	v_add_f64_e32 v[16:17], v[16:17], v[2:3]
	s_wait_alu 0xfffe
	s_cbranch_vccz .LBB253_21
.LBB253_10:                             ;   Parent Loop BB253_7 Depth=1
                                        ; =>  This Inner Loop Header: Depth=2
	s_mov_b32 s24, 0
	s_mov_b32 s28, s10
	s_and_saveexec_b32 s25, s0
	s_cbranch_execnz .LBB253_18
; %bb.11:                               ;   in Loop: Header=BB253_10 Depth=2
	s_or_b32 exec_lo, exec_lo, s25
	s_wait_alu 0xfffe
	s_and_saveexec_b32 s25, s28
	s_delay_alu instid0(SALU_CYCLE_1)
	s_xor_b32 s25, exec_lo, s25
	s_cbranch_execnz .LBB253_19
.LBB253_12:                             ;   in Loop: Header=BB253_10 Depth=2
	s_or_b32 exec_lo, exec_lo, s25
	s_and_saveexec_b32 s25, s24
	s_cbranch_execz .LBB253_14
.LBB253_13:                             ;   in Loop: Header=BB253_10 Depth=2
	v_mul_lo_u32 v0, s15, v14
	v_mul_lo_u32 v44, s14, v15
	v_mad_co_u64_u32 v[2:3], null, s14, v14, 0
	s_delay_alu instid0(VALU_DEP_1) | instskip(NEXT) | instid1(VALU_DEP_1)
	v_add3_u32 v3, v3, v44, v0
	v_lshlrev_b64_e32 v[2:3], 4, v[2:3]
	s_delay_alu instid0(VALU_DEP_1) | instskip(SKIP_1) | instid1(VALU_DEP_2)
	v_add_co_u32 v2, vcc_lo, v40, v2
	s_wait_alu 0xfffd
	v_add_co_ci_u32_e64 v3, null, v41, v3, vcc_lo
	global_load_b128 v[44:47], v[2:3], off
	s_wait_loadcnt 0x0
	ds_store_2addr_b64 v32, v[44:45], v[46:47] offset1:1
.LBB253_14:                             ;   in Loop: Header=BB253_10 Depth=2
	s_or_b32 exec_lo, exec_lo, s25
	v_add_nc_u32_e32 v0, s2, v30
	s_delay_alu instid0(VALU_DEP_1) | instskip(SKIP_1) | instid1(SALU_CYCLE_1)
	v_cmp_le_u64_e32 vcc_lo, s[8:9], v[0:1]
	s_or_b32 s24, vcc_lo, s19
	s_and_saveexec_b32 s25, s24
	s_delay_alu instid0(SALU_CYCLE_1)
	s_xor_b32 s24, exec_lo, s25
; %bb.15:                               ;   in Loop: Header=BB253_10 Depth=2
	v_dual_mov_b32 v0, v1 :: v_dual_mov_b32 v3, v1
	v_mov_b32_e32 v2, v1
	ds_store_b128 v33, v[0:3]
; %bb.16:                               ;   in Loop: Header=BB253_10 Depth=2
	s_and_not1_saveexec_b32 s24, s24
	s_cbranch_execz .LBB253_9
; %bb.17:                               ;   in Loop: Header=BB253_10 Depth=2
	v_mad_co_u64_u32 v[2:3], null, s20, v0, 0
	s_delay_alu instid0(VALU_DEP_1) | instskip(NEXT) | instid1(VALU_DEP_1)
	v_mad_co_u64_u32 v[44:45], null, s21, v0, v[3:4]
	v_mov_b32_e32 v3, v44
	s_delay_alu instid0(VALU_DEP_1) | instskip(NEXT) | instid1(VALU_DEP_1)
	v_lshlrev_b64_e32 v[2:3], 4, v[2:3]
	v_add_co_u32 v2, vcc_lo, v42, v2
	s_wait_alu 0xfffd
	s_delay_alu instid0(VALU_DEP_2)
	v_add_co_ci_u32_e64 v3, null, v43, v3, vcc_lo
	global_load_b128 v[44:47], v[2:3], off
	s_wait_loadcnt 0x0
	ds_store_2addr_b64 v33, v[44:45], v[46:47] offset1:1
	s_branch .LBB253_9
.LBB253_18:                             ;   in Loop: Header=BB253_10 Depth=2
	s_wait_alu 0xfffe
	v_add_nc_u32_e32 v0, s2, v31
	v_mov_b32_e32 v15, v1
	s_and_not1_b32 s28, s10, exec_lo
	s_mov_b32 s24, exec_lo
	s_delay_alu instid0(VALU_DEP_2)
	v_cmp_le_u64_e32 vcc_lo, s[8:9], v[0:1]
	v_mov_b32_e32 v14, v0
	s_and_b32 s29, vcc_lo, exec_lo
	s_wait_alu 0xfffe
	s_or_b32 s28, s28, s29
	s_or_b32 exec_lo, exec_lo, s25
	s_wait_alu 0xfffe
	s_and_saveexec_b32 s25, s28
	s_delay_alu instid0(SALU_CYCLE_1)
	s_xor_b32 s25, exec_lo, s25
	s_cbranch_execz .LBB253_12
.LBB253_19:                             ;   in Loop: Header=BB253_10 Depth=2
	v_dual_mov_b32 v0, v1 :: v_dual_mov_b32 v3, v1
	v_mov_b32_e32 v2, v1
	s_and_not1_b32 s24, s24, exec_lo
	ds_store_b128 v32, v[0:3]
	s_or_b32 exec_lo, exec_lo, s25
	s_and_saveexec_b32 s25, s24
	s_cbranch_execnz .LBB253_13
	s_branch .LBB253_14
.LBB253_20:                             ;   in Loop: Header=BB253_7 Depth=1
	v_mov_b32_e32 v28, 0
	v_mov_b32_e32 v26, 0
	v_dual_mov_b32 v22, 0 :: v_dual_mov_b32 v29, 0
	v_dual_mov_b32 v24, 0 :: v_dual_mov_b32 v27, 0
	v_dual_mov_b32 v20, 0 :: v_dual_mov_b32 v23, 0
	v_mov_b32_e32 v18, 0
	v_dual_mov_b32 v16, 0 :: v_dual_mov_b32 v25, 0
	v_mov_b32_e32 v21, 0
	v_mov_b32_e32 v19, 0
	;; [unrolled: 1-line block ×3, first 2 shown]
.LBB253_21:                             ;   in Loop: Header=BB253_7 Depth=1
	s_mul_u64 s[2:3], s[30:31], s[6:7]
	s_wait_alu 0xfffe
	s_lshl_b64 s[2:3], s[2:3], 4
	s_wait_alu 0xfffe
	s_add_nc_u64 s[2:3], s[26:27], s[2:3]
	s_wait_alu 0xfffe
	v_add_co_u32 v0, vcc_lo, s2, v10
	s_wait_alu 0xfffd
	v_add_co_ci_u32_e64 v40, null, s3, v11, vcc_lo
	s_and_saveexec_b32 s24, s12
	s_cbranch_execz .LBB253_26
; %bb.22:                               ;   in Loop: Header=BB253_7 Depth=1
	v_mul_f64_e32 v[2:3], s[42:43], v[28:29]
	v_mul_f64_e32 v[28:29], s[40:41], v[28:29]
	s_and_b32 vcc_lo, exec_lo, s11
	s_mov_b32 s25, -1
	s_delay_alu instid0(VALU_DEP_2) | instskip(NEXT) | instid1(VALU_DEP_2)
	v_fma_f64 v[2:3], s[40:41], v[4:5], -v[2:3]
	v_fma_f64 v[4:5], s[42:43], v[4:5], v[28:29]
	s_wait_alu 0xfffe
	s_cbranch_vccz .LBB253_24
; %bb.23:                               ;   in Loop: Header=BB253_7 Depth=1
	v_lshlrev_b64_e32 v[28:29], 4, v[6:7]
	s_mov_b32 s25, 0
	s_delay_alu instid0(VALU_DEP_1) | instskip(SKIP_1) | instid1(VALU_DEP_2)
	v_add_co_u32 v28, vcc_lo, v0, v28
	s_wait_alu 0xfffd
	v_add_co_ci_u32_e64 v29, null, v40, v29, vcc_lo
	global_load_b128 v[41:44], v[28:29], off
	s_wait_loadcnt 0x0
	v_mul_f64_e32 v[45:46], s[38:39], v[43:44]
	v_mul_f64_e32 v[43:44], s[36:37], v[43:44]
	s_delay_alu instid0(VALU_DEP_2) | instskip(NEXT) | instid1(VALU_DEP_2)
	v_fma_f64 v[45:46], s[36:37], v[41:42], -v[45:46]
	v_fma_f64 v[43:44], s[38:39], v[41:42], v[43:44]
	s_delay_alu instid0(VALU_DEP_2) | instskip(NEXT) | instid1(VALU_DEP_2)
	v_add_f64_e32 v[41:42], v[2:3], v[45:46]
	v_add_f64_e32 v[43:44], v[4:5], v[43:44]
	global_store_b128 v[28:29], v[41:44], off
.LBB253_24:                             ;   in Loop: Header=BB253_7 Depth=1
	s_and_not1_b32 vcc_lo, exec_lo, s25
	s_wait_alu 0xfffe
	s_cbranch_vccnz .LBB253_26
; %bb.25:                               ;   in Loop: Header=BB253_7 Depth=1
	v_lshlrev_b64_e32 v[28:29], 4, v[6:7]
	s_delay_alu instid0(VALU_DEP_1) | instskip(SKIP_1) | instid1(VALU_DEP_2)
	v_add_co_u32 v28, vcc_lo, v0, v28
	s_wait_alu 0xfffd
	v_add_co_ci_u32_e64 v29, null, v40, v29, vcc_lo
	global_store_b128 v[28:29], v[2:5], off
.LBB253_26:                             ;   in Loop: Header=BB253_7 Depth=1
	s_or_b32 exec_lo, exec_lo, s24
	s_and_saveexec_b32 s24, s13
	s_cbranch_execz .LBB253_31
; %bb.27:                               ;   in Loop: Header=BB253_7 Depth=1
	v_mul_f64_e32 v[2:3], s[42:43], v[26:27]
	v_mul_f64_e32 v[4:5], s[40:41], v[26:27]
	s_and_not1_b32 vcc_lo, exec_lo, s11
	s_mov_b32 s25, -1
	s_delay_alu instid0(VALU_DEP_2) | instskip(NEXT) | instid1(VALU_DEP_2)
	v_fma_f64 v[2:3], s[40:41], v[24:25], -v[2:3]
	v_fma_f64 v[4:5], s[42:43], v[24:25], v[4:5]
	s_wait_alu 0xfffe
	s_cbranch_vccnz .LBB253_29
; %bb.28:                               ;   in Loop: Header=BB253_7 Depth=1
	v_lshlrev_b64_e32 v[24:25], 4, v[8:9]
	s_mov_b32 s25, 0
	s_delay_alu instid0(VALU_DEP_1) | instskip(SKIP_1) | instid1(VALU_DEP_2)
	v_add_co_u32 v28, vcc_lo, v0, v24
	s_wait_alu 0xfffd
	v_add_co_ci_u32_e64 v29, null, v40, v25, vcc_lo
	global_load_b128 v[24:27], v[28:29], off
	s_wait_loadcnt 0x0
	v_mul_f64_e32 v[41:42], s[38:39], v[26:27]
	v_mul_f64_e32 v[26:27], s[36:37], v[26:27]
	s_delay_alu instid0(VALU_DEP_2) | instskip(NEXT) | instid1(VALU_DEP_2)
	v_fma_f64 v[41:42], s[36:37], v[24:25], -v[41:42]
	v_fma_f64 v[26:27], s[38:39], v[24:25], v[26:27]
	s_delay_alu instid0(VALU_DEP_2) | instskip(NEXT) | instid1(VALU_DEP_2)
	v_add_f64_e32 v[24:25], v[2:3], v[41:42]
	v_add_f64_e32 v[26:27], v[4:5], v[26:27]
	global_store_b128 v[28:29], v[24:27], off
.LBB253_29:                             ;   in Loop: Header=BB253_7 Depth=1
	s_and_not1_b32 vcc_lo, exec_lo, s25
	s_wait_alu 0xfffe
	s_cbranch_vccnz .LBB253_31
; %bb.30:                               ;   in Loop: Header=BB253_7 Depth=1
	v_lshlrev_b64_e32 v[24:25], 4, v[8:9]
	s_delay_alu instid0(VALU_DEP_1) | instskip(SKIP_1) | instid1(VALU_DEP_2)
	v_add_co_u32 v24, vcc_lo, v0, v24
	s_wait_alu 0xfffd
	v_add_co_ci_u32_e64 v25, null, v40, v25, vcc_lo
	global_store_b128 v[24:25], v[2:5], off
.LBB253_31:                             ;   in Loop: Header=BB253_7 Depth=1
	s_or_b32 exec_lo, exec_lo, s24
	v_add_co_u32 v0, vcc_lo, s2, v12
	s_wait_alu 0xfffd
	v_add_co_ci_u32_e64 v24, null, s3, v13, vcc_lo
	s_and_saveexec_b32 s2, s4
	s_cbranch_execz .LBB253_36
; %bb.32:                               ;   in Loop: Header=BB253_7 Depth=1
	v_mul_f64_e32 v[2:3], s[42:43], v[22:23]
	v_mul_f64_e32 v[4:5], s[40:41], v[22:23]
	s_and_not1_b32 vcc_lo, exec_lo, s11
	s_mov_b32 s3, -1
	s_delay_alu instid0(VALU_DEP_2) | instskip(NEXT) | instid1(VALU_DEP_2)
	v_fma_f64 v[2:3], s[40:41], v[20:21], -v[2:3]
	v_fma_f64 v[4:5], s[42:43], v[20:21], v[4:5]
	v_lshlrev_b64_e32 v[20:21], 4, v[6:7]
	s_wait_alu 0xfffe
	s_cbranch_vccnz .LBB253_34
; %bb.33:                               ;   in Loop: Header=BB253_7 Depth=1
	s_delay_alu instid0(VALU_DEP_1) | instskip(SKIP_1) | instid1(VALU_DEP_2)
	v_add_co_u32 v22, vcc_lo, v0, v20
	s_wait_alu 0xfffd
	v_add_co_ci_u32_e64 v23, null, v24, v21, vcc_lo
	s_mov_b32 s3, 0
	global_load_b128 v[25:28], v[22:23], off
	s_wait_loadcnt 0x0
	v_mul_f64_e32 v[40:41], s[38:39], v[27:28]
	v_mul_f64_e32 v[27:28], s[36:37], v[27:28]
	s_delay_alu instid0(VALU_DEP_2) | instskip(NEXT) | instid1(VALU_DEP_2)
	v_fma_f64 v[40:41], s[36:37], v[25:26], -v[40:41]
	v_fma_f64 v[27:28], s[38:39], v[25:26], v[27:28]
	s_delay_alu instid0(VALU_DEP_2) | instskip(NEXT) | instid1(VALU_DEP_2)
	v_add_f64_e32 v[25:26], v[2:3], v[40:41]
	v_add_f64_e32 v[27:28], v[4:5], v[27:28]
	global_store_b128 v[22:23], v[25:28], off
.LBB253_34:                             ;   in Loop: Header=BB253_7 Depth=1
	s_wait_alu 0xfffe
	s_and_not1_b32 vcc_lo, exec_lo, s3
	s_wait_alu 0xfffe
	s_cbranch_vccnz .LBB253_36
; %bb.35:                               ;   in Loop: Header=BB253_7 Depth=1
	v_add_co_u32 v20, vcc_lo, v0, v20
	s_wait_alu 0xfffd
	v_add_co_ci_u32_e64 v21, null, v24, v21, vcc_lo
	global_store_b128 v[20:21], v[2:5], off
.LBB253_36:                             ;   in Loop: Header=BB253_7 Depth=1
	s_wait_alu 0xfffe
	s_or_b32 exec_lo, exec_lo, s2
	s_and_saveexec_b32 s2, s1
	s_cbranch_execz .LBB253_6
; %bb.37:                               ;   in Loop: Header=BB253_7 Depth=1
	v_mul_f64_e32 v[2:3], s[42:43], v[16:17]
	v_mul_f64_e32 v[4:5], s[40:41], v[16:17]
	v_lshlrev_b64_e32 v[16:17], 4, v[8:9]
	s_and_not1_b32 vcc_lo, exec_lo, s11
	s_mov_b32 s3, -1
	s_delay_alu instid0(VALU_DEP_3) | instskip(NEXT) | instid1(VALU_DEP_3)
	v_fma_f64 v[2:3], s[40:41], v[18:19], -v[2:3]
	v_fma_f64 v[4:5], s[42:43], v[18:19], v[4:5]
	s_wait_alu 0xfffe
	s_cbranch_vccnz .LBB253_39
; %bb.38:                               ;   in Loop: Header=BB253_7 Depth=1
	v_add_co_u32 v22, vcc_lo, v0, v16
	s_wait_alu 0xfffd
	v_add_co_ci_u32_e64 v23, null, v24, v17, vcc_lo
	s_mov_b32 s3, 0
	global_load_b128 v[18:21], v[22:23], off
	s_wait_loadcnt 0x0
	v_mul_f64_e32 v[25:26], s[38:39], v[20:21]
	v_mul_f64_e32 v[20:21], s[36:37], v[20:21]
	s_delay_alu instid0(VALU_DEP_2) | instskip(NEXT) | instid1(VALU_DEP_2)
	v_fma_f64 v[25:26], s[36:37], v[18:19], -v[25:26]
	v_fma_f64 v[20:21], s[38:39], v[18:19], v[20:21]
	s_delay_alu instid0(VALU_DEP_2) | instskip(NEXT) | instid1(VALU_DEP_2)
	v_add_f64_e32 v[18:19], v[2:3], v[25:26]
	v_add_f64_e32 v[20:21], v[4:5], v[20:21]
	global_store_b128 v[22:23], v[18:21], off
.LBB253_39:                             ;   in Loop: Header=BB253_7 Depth=1
	s_wait_alu 0xfffe
	s_and_not1_b32 vcc_lo, exec_lo, s3
	s_wait_alu 0xfffe
	s_cbranch_vccnz .LBB253_6
; %bb.40:                               ;   in Loop: Header=BB253_7 Depth=1
	v_add_co_u32 v16, vcc_lo, v0, v16
	s_wait_alu 0xfffd
	v_add_co_ci_u32_e64 v17, null, v24, v17, vcc_lo
	global_store_b128 v[16:17], v[2:5], off
	s_branch .LBB253_6
.LBB253_41:
.LBB253_42:
	s_endpgm
	.section	.rodata,"a",@progbits
	.p2align	6, 0x0
	.amdhsa_kernel _ZL29rocblas_internal_gemmt_kernelIlLi16ELi32ELi8ELc78ELc84ELc85ELb0ELb0E19rocblas_complex_numIdEPKS1_S3_PS1_EviT_T9_T10_S5_lS7_S5_lS6_T11_S5_li
		.amdhsa_group_segment_fixed_size 8192
		.amdhsa_private_segment_fixed_size 0
		.amdhsa_kernarg_size 108
		.amdhsa_user_sgpr_count 2
		.amdhsa_user_sgpr_dispatch_ptr 0
		.amdhsa_user_sgpr_queue_ptr 0
		.amdhsa_user_sgpr_kernarg_segment_ptr 1
		.amdhsa_user_sgpr_dispatch_id 0
		.amdhsa_user_sgpr_private_segment_size 0
		.amdhsa_wavefront_size32 1
		.amdhsa_uses_dynamic_stack 0
		.amdhsa_enable_private_segment 0
		.amdhsa_system_sgpr_workgroup_id_x 1
		.amdhsa_system_sgpr_workgroup_id_y 1
		.amdhsa_system_sgpr_workgroup_id_z 1
		.amdhsa_system_sgpr_workgroup_info 0
		.amdhsa_system_vgpr_workitem_id 1
		.amdhsa_next_free_vgpr 68
		.amdhsa_next_free_sgpr 44
		.amdhsa_reserve_vcc 1
		.amdhsa_float_round_mode_32 0
		.amdhsa_float_round_mode_16_64 0
		.amdhsa_float_denorm_mode_32 3
		.amdhsa_float_denorm_mode_16_64 3
		.amdhsa_fp16_overflow 0
		.amdhsa_workgroup_processor_mode 1
		.amdhsa_memory_ordered 1
		.amdhsa_forward_progress 1
		.amdhsa_inst_pref_size 30
		.amdhsa_round_robin_scheduling 0
		.amdhsa_exception_fp_ieee_invalid_op 0
		.amdhsa_exception_fp_denorm_src 0
		.amdhsa_exception_fp_ieee_div_zero 0
		.amdhsa_exception_fp_ieee_overflow 0
		.amdhsa_exception_fp_ieee_underflow 0
		.amdhsa_exception_fp_ieee_inexact 0
		.amdhsa_exception_int_div_zero 0
	.end_amdhsa_kernel
	.section	.text._ZL29rocblas_internal_gemmt_kernelIlLi16ELi32ELi8ELc78ELc84ELc85ELb0ELb0E19rocblas_complex_numIdEPKS1_S3_PS1_EviT_T9_T10_S5_lS7_S5_lS6_T11_S5_li,"axG",@progbits,_ZL29rocblas_internal_gemmt_kernelIlLi16ELi32ELi8ELc78ELc84ELc85ELb0ELb0E19rocblas_complex_numIdEPKS1_S3_PS1_EviT_T9_T10_S5_lS7_S5_lS6_T11_S5_li,comdat
.Lfunc_end253:
	.size	_ZL29rocblas_internal_gemmt_kernelIlLi16ELi32ELi8ELc78ELc84ELc85ELb0ELb0E19rocblas_complex_numIdEPKS1_S3_PS1_EviT_T9_T10_S5_lS7_S5_lS6_T11_S5_li, .Lfunc_end253-_ZL29rocblas_internal_gemmt_kernelIlLi16ELi32ELi8ELc78ELc84ELc85ELb0ELb0E19rocblas_complex_numIdEPKS1_S3_PS1_EviT_T9_T10_S5_lS7_S5_lS6_T11_S5_li
                                        ; -- End function
	.set _ZL29rocblas_internal_gemmt_kernelIlLi16ELi32ELi8ELc78ELc84ELc85ELb0ELb0E19rocblas_complex_numIdEPKS1_S3_PS1_EviT_T9_T10_S5_lS7_S5_lS6_T11_S5_li.num_vgpr, 68
	.set _ZL29rocblas_internal_gemmt_kernelIlLi16ELi32ELi8ELc78ELc84ELc85ELb0ELb0E19rocblas_complex_numIdEPKS1_S3_PS1_EviT_T9_T10_S5_lS7_S5_lS6_T11_S5_li.num_agpr, 0
	.set _ZL29rocblas_internal_gemmt_kernelIlLi16ELi32ELi8ELc78ELc84ELc85ELb0ELb0E19rocblas_complex_numIdEPKS1_S3_PS1_EviT_T9_T10_S5_lS7_S5_lS6_T11_S5_li.numbered_sgpr, 44
	.set _ZL29rocblas_internal_gemmt_kernelIlLi16ELi32ELi8ELc78ELc84ELc85ELb0ELb0E19rocblas_complex_numIdEPKS1_S3_PS1_EviT_T9_T10_S5_lS7_S5_lS6_T11_S5_li.num_named_barrier, 0
	.set _ZL29rocblas_internal_gemmt_kernelIlLi16ELi32ELi8ELc78ELc84ELc85ELb0ELb0E19rocblas_complex_numIdEPKS1_S3_PS1_EviT_T9_T10_S5_lS7_S5_lS6_T11_S5_li.private_seg_size, 0
	.set _ZL29rocblas_internal_gemmt_kernelIlLi16ELi32ELi8ELc78ELc84ELc85ELb0ELb0E19rocblas_complex_numIdEPKS1_S3_PS1_EviT_T9_T10_S5_lS7_S5_lS6_T11_S5_li.uses_vcc, 1
	.set _ZL29rocblas_internal_gemmt_kernelIlLi16ELi32ELi8ELc78ELc84ELc85ELb0ELb0E19rocblas_complex_numIdEPKS1_S3_PS1_EviT_T9_T10_S5_lS7_S5_lS6_T11_S5_li.uses_flat_scratch, 0
	.set _ZL29rocblas_internal_gemmt_kernelIlLi16ELi32ELi8ELc78ELc84ELc85ELb0ELb0E19rocblas_complex_numIdEPKS1_S3_PS1_EviT_T9_T10_S5_lS7_S5_lS6_T11_S5_li.has_dyn_sized_stack, 0
	.set _ZL29rocblas_internal_gemmt_kernelIlLi16ELi32ELi8ELc78ELc84ELc85ELb0ELb0E19rocblas_complex_numIdEPKS1_S3_PS1_EviT_T9_T10_S5_lS7_S5_lS6_T11_S5_li.has_recursion, 0
	.set _ZL29rocblas_internal_gemmt_kernelIlLi16ELi32ELi8ELc78ELc84ELc85ELb0ELb0E19rocblas_complex_numIdEPKS1_S3_PS1_EviT_T9_T10_S5_lS7_S5_lS6_T11_S5_li.has_indirect_call, 0
	.section	.AMDGPU.csdata,"",@progbits
; Kernel info:
; codeLenInByte = 3796
; TotalNumSgprs: 46
; NumVgprs: 68
; ScratchSize: 0
; MemoryBound: 0
; FloatMode: 240
; IeeeMode: 1
; LDSByteSize: 8192 bytes/workgroup (compile time only)
; SGPRBlocks: 0
; VGPRBlocks: 8
; NumSGPRsForWavesPerEU: 46
; NumVGPRsForWavesPerEU: 68
; Occupancy: 16
; WaveLimiterHint : 0
; COMPUTE_PGM_RSRC2:SCRATCH_EN: 0
; COMPUTE_PGM_RSRC2:USER_SGPR: 2
; COMPUTE_PGM_RSRC2:TRAP_HANDLER: 0
; COMPUTE_PGM_RSRC2:TGID_X_EN: 1
; COMPUTE_PGM_RSRC2:TGID_Y_EN: 1
; COMPUTE_PGM_RSRC2:TGID_Z_EN: 1
; COMPUTE_PGM_RSRC2:TIDIG_COMP_CNT: 1
	.section	.text._ZL29rocblas_internal_gemmt_kernelIlLi16ELi32ELi8ELc78ELc67ELc85ELb0ELb1E19rocblas_complex_numIdEPKS1_S3_PS1_EviT_T9_T10_S5_lS7_S5_lS6_T11_S5_li,"axG",@progbits,_ZL29rocblas_internal_gemmt_kernelIlLi16ELi32ELi8ELc78ELc67ELc85ELb0ELb1E19rocblas_complex_numIdEPKS1_S3_PS1_EviT_T9_T10_S5_lS7_S5_lS6_T11_S5_li,comdat
	.globl	_ZL29rocblas_internal_gemmt_kernelIlLi16ELi32ELi8ELc78ELc67ELc85ELb0ELb1E19rocblas_complex_numIdEPKS1_S3_PS1_EviT_T9_T10_S5_lS7_S5_lS6_T11_S5_li ; -- Begin function _ZL29rocblas_internal_gemmt_kernelIlLi16ELi32ELi8ELc78ELc67ELc85ELb0ELb1E19rocblas_complex_numIdEPKS1_S3_PS1_EviT_T9_T10_S5_lS7_S5_lS6_T11_S5_li
	.p2align	8
	.type	_ZL29rocblas_internal_gemmt_kernelIlLi16ELi32ELi8ELc78ELc67ELc85ELb0ELb1E19rocblas_complex_numIdEPKS1_S3_PS1_EviT_T9_T10_S5_lS7_S5_lS6_T11_S5_li,@function
_ZL29rocblas_internal_gemmt_kernelIlLi16ELi32ELi8ELc78ELc67ELc85ELb0ELb1E19rocblas_complex_numIdEPKS1_S3_PS1_EviT_T9_T10_S5_lS7_S5_lS6_T11_S5_li: ; @_ZL29rocblas_internal_gemmt_kernelIlLi16ELi32ELi8ELc78ELc67ELc85ELb0ELb1E19rocblas_complex_numIdEPKS1_S3_PS1_EviT_T9_T10_S5_lS7_S5_lS6_T11_S5_li
; %bb.0:
	s_clause 0x1
	s_load_b256 s[20:27], s[0:1], 0x48
	s_load_b512 s[4:19], s[0:1], 0x8
	s_wait_kmcnt 0x0
	s_load_b128 s[28:31], s[20:21], 0x0
	s_load_b128 s[36:39], s[6:7], 0x0
	s_wait_kmcnt 0x0
	v_cmp_eq_f64_e64 s3, s[28:29], 1.0
	v_cmp_eq_f64_e64 s2, s[30:31], 0
	s_and_b32 s3, s3, s2
	s_delay_alu instid0(SALU_CYCLE_1)
	s_and_not1_b32 vcc_lo, exec_lo, s3
	s_mov_b32 s3, -1
	s_cbranch_vccnz .LBB254_3
; %bb.1:
	s_cmp_lg_u64 s[4:5], 0
	s_cbranch_scc0 .LBB254_39
; %bb.2:
	v_cmp_neq_f64_e64 s3, s[36:37], 0
	v_cmp_neq_f64_e64 s6, s[38:39], 0
	s_or_b32 s3, s3, s6
.LBB254_3:
	s_delay_alu instid0(SALU_CYCLE_1)
	s_and_b32 vcc_lo, exec_lo, s3
	s_cbranch_vccz .LBB254_40
; %bb.4:
	s_load_b32 s20, s[0:1], 0x68
	s_lshr_b32 s6, ttmp7, 16
	s_wait_kmcnt 0x0
	s_cmp_ge_u32 s6, s20
	s_cbranch_scc1 .LBB254_40
; %bb.5:
	v_cmp_neq_f64_e64 s3, s[36:37], 0
	v_cmp_neq_f64_e64 s7, s[38:39], 0
	v_dual_mov_b32 v1, 0 :: v_dual_and_b32 v6, 0x3ff, v0
	v_bfe_u32 v7, v0, 10, 10
	v_and_b32_e32 v32, 7, v0
	s_load_b32 s33, s[0:1], 0x0
	s_lshl_b32 s0, ttmp7, 5
	s_lshl_b32 s34, ttmp9, 5
	v_lshl_add_u32 v0, v7, 4, v6
	s_and_b32 s0, s0, 0x1fffe0
	v_cmp_neq_f64_e64 s40, s[28:29], 0
	v_add_nc_u32_e32 v12, s0, v7
	v_lshl_add_u32 v41, v7, 7, 0x1000
	v_and_b32_e32 v8, 31, v0
	v_lshrrev_b32_e32 v33, 5, v0
	v_lshrrev_b32_e32 v0, 3, v0
	v_mad_co_u64_u32 v[4:5], null, s24, v12, 0
	s_delay_alu instid0(VALU_DEP_4) | instskip(SKIP_1) | instid1(VALU_DEP_4)
	v_or_b32_e32 v2, s34, v8
	v_lshlrev_b32_e32 v9, 4, v32
	v_add_nc_u32_e32 v10, s0, v0
	v_add_nc_u32_e32 v13, 16, v12
	v_lshlrev_b32_e32 v8, 4, v8
	v_ashrrev_i32_e32 v3, 31, v2
	v_lshl_or_b32 v0, v0, 7, v9
	s_wait_kmcnt 0x0
	v_cmp_gt_i32_e64 s0, s33, v2
	v_cmp_le_i32_e64 s21, s33, v2
	v_lshl_or_b32 v34, v33, 9, v8
	v_lshlrev_b64_e32 v[2:3], 4, v[2:3]
	v_add_nc_u32_e32 v35, 0x1000, v0
	v_lshlrev_b32_e32 v0, 4, v10
	v_lshlrev_b32_e32 v40, 4, v6
	v_add_nc_u32_e32 v6, s34, v6
	v_cmp_gt_i32_e64 s1, s33, v10
	v_add_co_u32 v36, vcc_lo, s8, v2
	s_delay_alu instid0(VALU_DEP_1)
	v_add_co_ci_u32_e64 v37, null, s9, v3, vcc_lo
	v_mad_co_u64_u32 v[2:3], null, s24, v13, 0
	s_or_b32 s7, s3, s7
	v_add_co_u32 v38, s3, s14, v0
	v_mov_b32_e32 v0, v5
	v_add_co_ci_u32_e64 v39, null, s15, 0, s3
	s_xor_b32 s8, s2, -1
	v_cmp_gt_i32_e32 vcc_lo, s33, v12
	v_mad_co_u64_u32 v[7:8], null, s25, v12, v[0:1]
	v_mov_b32_e32 v0, v3
	v_add_nc_u32_e32 v8, 16, v6
	v_cmp_le_i32_e64 s2, v6, v12
	v_cmp_gt_i64_e64 s35, s[4:5], 0
	s_wait_alu 0xfffe
	s_or_b32 s8, s40, s8
	v_mad_co_u64_u32 v[10:11], null, s25, v13, v[0:1]
	v_cmp_le_i32_e64 s3, v8, v12
	v_mov_b32_e32 v5, v7
	s_and_b32 s9, vcc_lo, s2
	v_cmp_le_i32_e64 s2, v6, v13
	v_ashrrev_i32_e32 v7, 31, v6
	s_and_b32 s14, vcc_lo, s3
	v_mov_b32_e32 v3, v10
	v_cmp_gt_i32_e32 vcc_lo, s33, v13
	v_cmp_le_i32_e64 s3, v8, v13
	v_lshlrev_b64_e32 v[10:11], 4, v[4:5]
	v_ashrrev_i32_e32 v9, 31, v8
	v_lshlrev_b64_e32 v[12:13], 4, v[2:3]
	s_and_b32 s15, s7, s35
	s_and_b32 s24, vcc_lo, s2
	s_and_b32 s25, vcc_lo, s3
	s_mov_b32 s7, 0
                                        ; implicit-def: $vgpr14_vgpr15
	s_branch .LBB254_7
.LBB254_6:                              ;   in Loop: Header=BB254_7 Depth=1
	s_wait_alu 0xfffe
	s_or_b32 exec_lo, exec_lo, s2
	s_add_co_i32 s6, s6, 0x10000
	s_delay_alu instid0(SALU_CYCLE_1)
	s_cmp_lt_u32 s6, s20
	s_cbranch_scc0 .LBB254_40
.LBB254_7:                              ; =>This Loop Header: Depth=1
                                        ;     Child Loop BB254_10 Depth 2
	v_mov_b32_e32 v28, 0
	v_mov_b32_e32 v29, 0
	s_wait_alu 0xfffe
	s_and_not1_b32 vcc_lo, exec_lo, s15
	s_wait_alu 0xfffe
	s_cbranch_vccnz .LBB254_18
; %bb.8:                                ;   in Loop: Header=BB254_7 Depth=1
	s_mul_u64 s[2:3], s[12:13], s[6:7]
	s_mul_u64 s[34:35], s[18:19], s[6:7]
	s_wait_alu 0xfffe
	s_lshl_b64 s[2:3], s[2:3], 4
	v_mov_b32_e32 v16, 0
	s_wait_alu 0xfffe
	v_add_co_u32 v42, vcc_lo, v36, s2
	s_wait_alu 0xfffd
	v_add_co_ci_u32_e64 v43, null, s3, v37, vcc_lo
	s_lshl_b64 s[2:3], s[34:35], 4
	v_mov_b32_e32 v22, 0
	v_mov_b32_e32 v26, 0
	;; [unrolled: 1-line block ×3, first 2 shown]
	s_wait_alu 0xfffe
	v_add_co_u32 v44, vcc_lo, v38, s2
	v_dual_mov_b32 v17, 0 :: v_dual_mov_b32 v18, 0
	v_dual_mov_b32 v23, 0 :: v_dual_mov_b32 v20, 0
	;; [unrolled: 1-line block ×4, first 2 shown]
	v_mov_b32_e32 v19, 0
	v_mov_b32_e32 v21, 0
	;; [unrolled: 1-line block ×4, first 2 shown]
	s_wait_alu 0xfffd
	v_add_co_ci_u32_e64 v45, null, s3, v39, vcc_lo
	s_mov_b64 s[2:3], 0
	s_branch .LBB254_10
.LBB254_9:                              ;   in Loop: Header=BB254_10 Depth=2
	s_wait_alu 0xfffe
	s_or_b32 exec_lo, exec_lo, s33
	ds_store_b128 v35, v[2:5]
	s_wait_dscnt 0x0
	s_barrier_signal -1
	s_barrier_wait -1
	global_inv scope:SCOPE_SE
	ds_load_b128 v[2:5], v41
	ds_load_b128 v[46:49], v40
	ds_load_b128 v[50:53], v40 offset:256
	ds_load_b128 v[54:57], v41 offset:2048
	;; [unrolled: 1-line block ×10, first 2 shown]
	s_add_nc_u64 s[2:3], s[2:3], 8
	s_wait_alu 0xfffe
	v_cmp_gt_i64_e64 s33, s[4:5], s[2:3]
	s_and_b32 vcc_lo, exec_lo, s33
	s_wait_dscnt 0xa
	v_mul_f64_e32 v[90:91], v[4:5], v[48:49]
	v_mul_f64_e32 v[92:93], v[2:3], v[48:49]
	s_wait_dscnt 0x9
	v_mul_f64_e32 v[94:95], v[4:5], v[52:53]
	v_mul_f64_e32 v[96:97], v[2:3], v[52:53]
	s_wait_dscnt 0x8
	v_mul_f64_e32 v[98:99], v[56:57], v[48:49]
	v_mul_f64_e32 v[48:49], v[54:55], v[48:49]
	v_mul_f64_e32 v[100:101], v[56:57], v[52:53]
	v_mul_f64_e32 v[52:53], v[54:55], v[52:53]
	s_wait_dscnt 0x5
	v_mul_f64_e32 v[102:103], v[60:61], v[68:69]
	v_mul_f64_e32 v[104:105], v[58:59], v[68:69]
	s_wait_dscnt 0x4
	v_mul_f64_e32 v[106:107], v[60:61], v[72:73]
	v_mul_f64_e32 v[108:109], v[58:59], v[72:73]
	;; [unrolled: 1-line block ×6, first 2 shown]
	s_wait_dscnt 0x2
	v_mul_f64_e32 v[118:119], v[76:77], v[80:81]
	v_mul_f64_e32 v[120:121], v[74:75], v[80:81]
	s_wait_dscnt 0x1
	v_mul_f64_e32 v[122:123], v[76:77], v[84:85]
	v_mul_f64_e32 v[124:125], v[74:75], v[84:85]
	;; [unrolled: 3-line block ×3, first 2 shown]
	v_mul_f64_e32 v[128:129], v[88:89], v[84:85]
	v_mul_f64_e32 v[84:85], v[86:87], v[84:85]
	v_fma_f64 v[90:91], v[2:3], v[46:47], -v[90:91]
	v_fma_f64 v[92:93], v[4:5], v[46:47], v[92:93]
	v_fma_f64 v[94:95], v[2:3], v[50:51], -v[94:95]
	v_fma_f64 v[96:97], v[4:5], v[50:51], v[96:97]
	;; [unrolled: 2-line block ×8, first 2 shown]
	ds_load_b128 v[2:5], v41 offset:48
	ds_load_b128 v[46:49], v40 offset:1536
	;; [unrolled: 1-line block ×4, first 2 shown]
	v_fma_f64 v[118:119], v[74:75], v[78:79], -v[118:119]
	v_fma_f64 v[120:121], v[76:77], v[78:79], v[120:121]
	v_fma_f64 v[74:75], v[74:75], v[82:83], -v[122:123]
	v_fma_f64 v[76:77], v[76:77], v[82:83], v[124:125]
	;; [unrolled: 2-line block ×4, first 2 shown]
	s_wait_dscnt 0x2
	v_mul_f64_e32 v[108:109], v[2:3], v[48:49]
	s_wait_dscnt 0x1
	v_mul_f64_e32 v[110:111], v[4:5], v[52:53]
	v_mul_f64_e32 v[112:113], v[2:3], v[52:53]
	v_add_f64_e32 v[68:69], v[28:29], v[90:91]
	v_add_f64_e32 v[70:71], v[92:93], v[30:31]
	v_add_f64_e32 v[72:73], v[24:25], v[94:95]
	v_add_f64_e32 v[90:91], v[96:97], v[26:27]
	v_add_f64_e32 v[92:93], v[20:21], v[98:99]
	v_add_f64_e32 v[94:95], v[114:115], v[22:23]
	v_add_f64_e32 v[96:97], v[18:19], v[100:101]
	v_add_f64_e32 v[98:99], v[116:117], v[16:17]
	v_mul_f64_e32 v[100:101], v[4:5], v[48:49]
	s_wait_dscnt 0x0
	v_mul_f64_e32 v[114:115], v[56:57], v[48:49]
	v_mul_f64_e32 v[48:49], v[54:55], v[48:49]
	v_mul_f64_e32 v[116:117], v[56:57], v[52:53]
	v_mul_f64_e32 v[52:53], v[54:55], v[52:53]
	ds_load_b128 v[16:19], v41 offset:64
	ds_load_b128 v[20:23], v40 offset:2048
	ds_load_b128 v[24:27], v40 offset:2304
	ds_load_b128 v[28:31], v41 offset:2112
	s_wait_dscnt 0x1
	v_mul_f64_e32 v[124:125], v[16:17], v[26:27]
	s_wait_dscnt 0x0
	v_mul_f64_e32 v[126:127], v[30:31], v[22:23]
	v_mul_f64_e32 v[128:129], v[30:31], v[26:27]
	v_fma_f64 v[108:109], v[4:5], v[46:47], v[108:109]
	v_fma_f64 v[110:111], v[2:3], v[50:51], -v[110:111]
	v_fma_f64 v[112:113], v[4:5], v[50:51], v[112:113]
	v_add_f64_e32 v[84:85], v[68:69], v[102:103]
	v_add_f64_e32 v[86:87], v[104:105], v[70:71]
	;; [unrolled: 1-line block ×8, first 2 shown]
	v_mul_f64_e32 v[102:103], v[18:19], v[22:23]
	v_mul_f64_e32 v[104:105], v[16:17], v[22:23]
	;; [unrolled: 1-line block ×5, first 2 shown]
	v_fma_f64 v[100:101], v[2:3], v[46:47], -v[100:101]
	v_fma_f64 v[114:115], v[54:55], v[46:47], -v[114:115]
	v_fma_f64 v[130:131], v[56:57], v[46:47], v[48:49]
	v_fma_f64 v[116:117], v[54:55], v[50:51], -v[116:117]
	v_fma_f64 v[132:133], v[56:57], v[50:51], v[52:53]
	ds_load_b128 v[58:61], v41 offset:80
	ds_load_b128 v[62:65], v40 offset:2560
	;; [unrolled: 1-line block ×8, first 2 shown]
	v_add_f64_e32 v[84:85], v[84:85], v[118:119]
	v_add_f64_e32 v[86:87], v[120:121], v[86:87]
	;; [unrolled: 1-line block ×8, first 2 shown]
	s_wait_dscnt 0x6
	v_mul_f64_e32 v[90:91], v[60:61], v[64:65]
	v_mul_f64_e32 v[92:93], v[58:59], v[64:65]
	s_wait_dscnt 0x5
	v_mul_f64_e32 v[94:95], v[60:61], v[68:69]
	v_mul_f64_e32 v[96:97], v[58:59], v[68:69]
	s_wait_dscnt 0x4
	v_mul_f64_e32 v[98:99], v[72:73], v[64:65]
	v_mul_f64_e32 v[64:65], v[70:71], v[64:65]
	v_mul_f64_e32 v[118:119], v[72:73], v[68:69]
	v_mul_f64_e32 v[68:69], v[70:71], v[68:69]
	v_fma_f64 v[102:103], v[16:17], v[20:21], -v[102:103]
	v_fma_f64 v[104:105], v[18:19], v[20:21], v[104:105]
	v_fma_f64 v[106:107], v[16:17], v[24:25], -v[106:107]
	v_fma_f64 v[120:121], v[18:19], v[24:25], v[124:125]
	;; [unrolled: 2-line block ×4, first 2 shown]
	ds_load_b128 v[16:19], v41 offset:112
	ds_load_b128 v[20:23], v40 offset:3584
	;; [unrolled: 1-line block ×4, first 2 shown]
	s_wait_loadcnt_dscnt 0x0
	s_barrier_signal -1
	s_barrier_wait -1
	global_inv scope:SCOPE_SE
	v_add_f64_e32 v[84:85], v[84:85], v[100:101]
	v_add_f64_e32 v[86:87], v[108:109], v[86:87]
	;; [unrolled: 1-line block ×8, first 2 shown]
	v_mul_f64_e32 v[100:101], v[4:5], v[48:49]
	v_mul_f64_e32 v[108:109], v[2:3], v[48:49]
	;; [unrolled: 1-line block ×8, first 2 shown]
	v_fma_f64 v[90:91], v[58:59], v[62:63], -v[90:91]
	v_fma_f64 v[92:93], v[60:61], v[62:63], v[92:93]
	v_fma_f64 v[58:59], v[58:59], v[66:67], -v[94:95]
	v_fma_f64 v[60:61], v[60:61], v[66:67], v[96:97]
	;; [unrolled: 2-line block ×4, first 2 shown]
	v_mul_f64_e32 v[96:97], v[16:17], v[26:27]
	v_mul_f64_e32 v[98:99], v[30:31], v[22:23]
	v_add_f64_e32 v[68:69], v[84:85], v[102:103]
	v_add_f64_e32 v[70:71], v[104:105], v[86:87]
	;; [unrolled: 1-line block ×8, first 2 shown]
	v_mul_f64_e32 v[84:85], v[18:19], v[22:23]
	v_mul_f64_e32 v[86:87], v[16:17], v[22:23]
	;; [unrolled: 1-line block ×6, first 2 shown]
	v_fma_f64 v[100:101], v[2:3], v[46:47], -v[100:101]
	v_fma_f64 v[104:105], v[4:5], v[46:47], v[108:109]
	v_fma_f64 v[2:3], v[2:3], v[50:51], -v[110:111]
	v_fma_f64 v[4:5], v[4:5], v[50:51], v[112:113]
	;; [unrolled: 2-line block ×4, first 2 shown]
	v_add_f64_e32 v[52:53], v[68:69], v[90:91]
	v_add_f64_e32 v[54:55], v[92:93], v[70:71]
	v_add_f64_e32 v[56:57], v[72:73], v[58:59]
	v_add_f64_e32 v[58:59], v[60:61], v[74:75]
	v_add_f64_e32 v[60:61], v[76:77], v[94:95]
	v_add_f64_e32 v[62:63], v[62:63], v[78:79]
	v_add_f64_e32 v[64:65], v[80:81], v[64:65]
	v_add_f64_e32 v[66:67], v[66:67], v[82:83]
	v_fma_f64 v[68:69], v[16:17], v[20:21], -v[84:85]
	v_fma_f64 v[70:71], v[18:19], v[20:21], v[86:87]
	v_fma_f64 v[16:17], v[16:17], v[24:25], -v[88:89]
	v_fma_f64 v[18:19], v[18:19], v[24:25], v[96:97]
	;; [unrolled: 2-line block ×4, first 2 shown]
	v_add_f64_e32 v[20:21], v[52:53], v[100:101]
	v_add_f64_e32 v[24:25], v[104:105], v[54:55]
	;; [unrolled: 1-line block ×16, first 2 shown]
	s_wait_alu 0xfffe
	s_cbranch_vccz .LBB254_19
.LBB254_10:                             ;   Parent Loop BB254_7 Depth=1
                                        ; =>  This Inner Loop Header: Depth=2
	s_mov_b32 s33, 0
	s_mov_b32 s35, s21
	s_and_saveexec_b32 s34, s0
	s_cbranch_execnz .LBB254_16
; %bb.11:                               ;   in Loop: Header=BB254_10 Depth=2
	s_wait_alu 0xfffe
	s_or_b32 exec_lo, exec_lo, s34
	s_and_saveexec_b32 s34, s35
	s_wait_alu 0xfffe
	s_xor_b32 s34, exec_lo, s34
	s_cbranch_execnz .LBB254_17
.LBB254_12:                             ;   in Loop: Header=BB254_10 Depth=2
	s_wait_alu 0xfffe
	s_or_b32 exec_lo, exec_lo, s34
	s_and_saveexec_b32 s34, s33
	s_cbranch_execz .LBB254_14
.LBB254_13:                             ;   in Loop: Header=BB254_10 Depth=2
	v_mul_lo_u32 v0, s11, v14
	v_mul_lo_u32 v4, s10, v15
	v_mad_co_u64_u32 v[2:3], null, s10, v14, 0
	s_delay_alu instid0(VALU_DEP_1) | instskip(NEXT) | instid1(VALU_DEP_1)
	v_add3_u32 v3, v3, v4, v0
	v_lshlrev_b64_e32 v[2:3], 4, v[2:3]
	s_delay_alu instid0(VALU_DEP_1) | instskip(SKIP_1) | instid1(VALU_DEP_2)
	v_add_co_u32 v2, vcc_lo, v42, v2
	s_wait_alu 0xfffd
	v_add_co_ci_u32_e64 v3, null, v43, v3, vcc_lo
	global_load_b128 v[2:5], v[2:3], off
	s_wait_loadcnt 0x0
	ds_store_2addr_b64 v34, v[2:3], v[4:5] offset1:1
.LBB254_14:                             ;   in Loop: Header=BB254_10 Depth=2
	s_wait_alu 0xfffe
	s_or_b32 exec_lo, exec_lo, s34
	v_add_nc_u32_e32 v0, s2, v32
	v_mov_b32_e32 v2, 0
	v_dual_mov_b32 v3, 0 :: v_dual_mov_b32 v4, 0
	v_mov_b32_e32 v5, 0
	s_delay_alu instid0(VALU_DEP_4)
	v_cmp_gt_u64_e32 vcc_lo, s[4:5], v[0:1]
	s_and_b32 s34, vcc_lo, s1
	s_wait_alu 0xfffe
	s_and_saveexec_b32 s33, s34
	s_cbranch_execz .LBB254_9
; %bb.15:                               ;   in Loop: Header=BB254_10 Depth=2
	v_mad_co_u64_u32 v[2:3], null, s16, v0, 0
	s_delay_alu instid0(VALU_DEP_1) | instskip(NEXT) | instid1(VALU_DEP_1)
	v_mad_co_u64_u32 v[3:4], null, s17, v0, v[3:4]
	v_lshlrev_b64_e32 v[2:3], 4, v[2:3]
	s_delay_alu instid0(VALU_DEP_1) | instskip(SKIP_1) | instid1(VALU_DEP_2)
	v_add_co_u32 v2, vcc_lo, v44, v2
	s_wait_alu 0xfffd
	v_add_co_ci_u32_e64 v3, null, v45, v3, vcc_lo
	global_load_b128 v[2:5], v[2:3], off
	s_wait_loadcnt 0x0
	v_xor_b32_e32 v5, 0x80000000, v5
	s_branch .LBB254_9
.LBB254_16:                             ;   in Loop: Header=BB254_10 Depth=2
	s_wait_alu 0xfffe
	v_add_nc_u32_e32 v0, s2, v33
	v_mov_b32_e32 v15, v1
	s_and_not1_b32 s35, s21, exec_lo
	s_mov_b32 s33, exec_lo
	s_delay_alu instid0(VALU_DEP_2)
	v_cmp_le_u64_e32 vcc_lo, s[4:5], v[0:1]
	v_mov_b32_e32 v14, v0
	s_and_b32 s40, vcc_lo, exec_lo
	s_wait_alu 0xfffe
	s_or_b32 s35, s35, s40
	s_or_b32 exec_lo, exec_lo, s34
	s_wait_alu 0xfffe
	s_and_saveexec_b32 s34, s35
	s_wait_alu 0xfffe
	s_xor_b32 s34, exec_lo, s34
	s_cbranch_execz .LBB254_12
.LBB254_17:                             ;   in Loop: Header=BB254_10 Depth=2
	v_dual_mov_b32 v0, v1 :: v_dual_mov_b32 v3, v1
	v_mov_b32_e32 v2, v1
	s_and_not1_b32 s33, s33, exec_lo
	ds_store_b128 v34, v[0:3]
	s_wait_alu 0xfffe
	s_or_b32 exec_lo, exec_lo, s34
	s_and_saveexec_b32 s34, s33
	s_cbranch_execnz .LBB254_13
	s_branch .LBB254_14
.LBB254_18:                             ;   in Loop: Header=BB254_7 Depth=1
	v_mov_b32_e32 v30, 0
	v_mov_b32_e32 v26, 0
	v_dual_mov_b32 v22, 0 :: v_dual_mov_b32 v31, 0
	v_dual_mov_b32 v24, 0 :: v_dual_mov_b32 v27, 0
	;; [unrolled: 1-line block ×3, first 2 shown]
	v_mov_b32_e32 v18, 0
	v_dual_mov_b32 v16, 0 :: v_dual_mov_b32 v25, 0
	v_mov_b32_e32 v21, 0
	v_mov_b32_e32 v19, 0
	;; [unrolled: 1-line block ×3, first 2 shown]
.LBB254_19:                             ;   in Loop: Header=BB254_7 Depth=1
	s_mul_u64 s[2:3], s[26:27], s[6:7]
	s_wait_alu 0xfffe
	s_lshl_b64 s[2:3], s[2:3], 4
	s_wait_alu 0xfffe
	s_add_nc_u64 s[2:3], s[22:23], s[2:3]
	s_wait_alu 0xfffe
	v_add_co_u32 v0, vcc_lo, s2, v10
	s_wait_alu 0xfffd
	v_add_co_ci_u32_e64 v42, null, s3, v11, vcc_lo
	s_and_saveexec_b32 s33, s9
	s_cbranch_execz .LBB254_24
; %bb.20:                               ;   in Loop: Header=BB254_7 Depth=1
	v_mul_f64_e32 v[2:3], s[38:39], v[30:31]
	v_mul_f64_e32 v[4:5], s[36:37], v[30:31]
	s_and_b32 vcc_lo, exec_lo, s8
	s_mov_b32 s34, -1
	s_delay_alu instid0(VALU_DEP_2) | instskip(NEXT) | instid1(VALU_DEP_2)
	v_fma_f64 v[2:3], s[36:37], v[28:29], -v[2:3]
	v_fma_f64 v[4:5], s[38:39], v[28:29], v[4:5]
	s_wait_alu 0xfffe
	s_cbranch_vccz .LBB254_22
; %bb.21:                               ;   in Loop: Header=BB254_7 Depth=1
	v_lshlrev_b64_e32 v[28:29], 4, v[6:7]
	s_mov_b32 s34, 0
	s_delay_alu instid0(VALU_DEP_1) | instskip(SKIP_1) | instid1(VALU_DEP_2)
	v_add_co_u32 v43, vcc_lo, v0, v28
	s_wait_alu 0xfffd
	v_add_co_ci_u32_e64 v44, null, v42, v29, vcc_lo
	global_load_b128 v[28:31], v[43:44], off
	s_wait_loadcnt 0x0
	v_mul_f64_e32 v[45:46], s[30:31], v[30:31]
	v_mul_f64_e32 v[30:31], s[28:29], v[30:31]
	s_delay_alu instid0(VALU_DEP_2) | instskip(NEXT) | instid1(VALU_DEP_2)
	v_fma_f64 v[45:46], s[28:29], v[28:29], -v[45:46]
	v_fma_f64 v[30:31], s[30:31], v[28:29], v[30:31]
	s_delay_alu instid0(VALU_DEP_2) | instskip(NEXT) | instid1(VALU_DEP_2)
	v_add_f64_e32 v[28:29], v[2:3], v[45:46]
	v_add_f64_e32 v[30:31], v[4:5], v[30:31]
	global_store_b128 v[43:44], v[28:31], off
.LBB254_22:                             ;   in Loop: Header=BB254_7 Depth=1
	s_wait_alu 0xfffe
	s_and_not1_b32 vcc_lo, exec_lo, s34
	s_wait_alu 0xfffe
	s_cbranch_vccnz .LBB254_24
; %bb.23:                               ;   in Loop: Header=BB254_7 Depth=1
	v_lshlrev_b64_e32 v[28:29], 4, v[6:7]
	s_delay_alu instid0(VALU_DEP_1) | instskip(SKIP_1) | instid1(VALU_DEP_2)
	v_add_co_u32 v28, vcc_lo, v0, v28
	s_wait_alu 0xfffd
	v_add_co_ci_u32_e64 v29, null, v42, v29, vcc_lo
	global_store_b128 v[28:29], v[2:5], off
.LBB254_24:                             ;   in Loop: Header=BB254_7 Depth=1
	s_wait_alu 0xfffe
	s_or_b32 exec_lo, exec_lo, s33
	s_and_saveexec_b32 s33, s14
	s_cbranch_execz .LBB254_29
; %bb.25:                               ;   in Loop: Header=BB254_7 Depth=1
	v_mul_f64_e32 v[2:3], s[38:39], v[26:27]
	v_mul_f64_e32 v[4:5], s[36:37], v[26:27]
	s_and_not1_b32 vcc_lo, exec_lo, s8
	s_mov_b32 s34, -1
	s_delay_alu instid0(VALU_DEP_2) | instskip(NEXT) | instid1(VALU_DEP_2)
	v_fma_f64 v[2:3], s[36:37], v[24:25], -v[2:3]
	v_fma_f64 v[4:5], s[38:39], v[24:25], v[4:5]
	s_wait_alu 0xfffe
	s_cbranch_vccnz .LBB254_27
; %bb.26:                               ;   in Loop: Header=BB254_7 Depth=1
	v_lshlrev_b64_e32 v[24:25], 4, v[8:9]
	s_mov_b32 s34, 0
	s_delay_alu instid0(VALU_DEP_1) | instskip(SKIP_1) | instid1(VALU_DEP_2)
	v_add_co_u32 v28, vcc_lo, v0, v24
	s_wait_alu 0xfffd
	v_add_co_ci_u32_e64 v29, null, v42, v25, vcc_lo
	global_load_b128 v[24:27], v[28:29], off
	s_wait_loadcnt 0x0
	v_mul_f64_e32 v[30:31], s[30:31], v[26:27]
	v_mul_f64_e32 v[26:27], s[28:29], v[26:27]
	s_delay_alu instid0(VALU_DEP_2) | instskip(NEXT) | instid1(VALU_DEP_2)
	v_fma_f64 v[30:31], s[28:29], v[24:25], -v[30:31]
	v_fma_f64 v[26:27], s[30:31], v[24:25], v[26:27]
	s_delay_alu instid0(VALU_DEP_2) | instskip(NEXT) | instid1(VALU_DEP_2)
	v_add_f64_e32 v[24:25], v[2:3], v[30:31]
	v_add_f64_e32 v[26:27], v[4:5], v[26:27]
	global_store_b128 v[28:29], v[24:27], off
.LBB254_27:                             ;   in Loop: Header=BB254_7 Depth=1
	s_wait_alu 0xfffe
	s_and_not1_b32 vcc_lo, exec_lo, s34
	s_wait_alu 0xfffe
	s_cbranch_vccnz .LBB254_29
; %bb.28:                               ;   in Loop: Header=BB254_7 Depth=1
	v_lshlrev_b64_e32 v[24:25], 4, v[8:9]
	s_delay_alu instid0(VALU_DEP_1) | instskip(SKIP_1) | instid1(VALU_DEP_2)
	v_add_co_u32 v24, vcc_lo, v0, v24
	s_wait_alu 0xfffd
	v_add_co_ci_u32_e64 v25, null, v42, v25, vcc_lo
	global_store_b128 v[24:25], v[2:5], off
.LBB254_29:                             ;   in Loop: Header=BB254_7 Depth=1
	s_wait_alu 0xfffe
	s_or_b32 exec_lo, exec_lo, s33
	v_add_co_u32 v0, vcc_lo, s2, v12
	s_wait_alu 0xfffd
	v_add_co_ci_u32_e64 v24, null, s3, v13, vcc_lo
	s_and_saveexec_b32 s2, s24
	s_cbranch_execz .LBB254_34
; %bb.30:                               ;   in Loop: Header=BB254_7 Depth=1
	v_mul_f64_e32 v[2:3], s[38:39], v[22:23]
	v_mul_f64_e32 v[4:5], s[36:37], v[22:23]
	s_and_not1_b32 vcc_lo, exec_lo, s8
	s_mov_b32 s3, -1
	s_delay_alu instid0(VALU_DEP_2) | instskip(NEXT) | instid1(VALU_DEP_2)
	v_fma_f64 v[2:3], s[36:37], v[20:21], -v[2:3]
	v_fma_f64 v[4:5], s[38:39], v[20:21], v[4:5]
	v_lshlrev_b64_e32 v[20:21], 4, v[6:7]
	s_wait_alu 0xfffe
	s_cbranch_vccnz .LBB254_32
; %bb.31:                               ;   in Loop: Header=BB254_7 Depth=1
	s_delay_alu instid0(VALU_DEP_1) | instskip(SKIP_1) | instid1(VALU_DEP_2)
	v_add_co_u32 v22, vcc_lo, v0, v20
	s_wait_alu 0xfffd
	v_add_co_ci_u32_e64 v23, null, v24, v21, vcc_lo
	s_mov_b32 s3, 0
	global_load_b128 v[25:28], v[22:23], off
	s_wait_loadcnt 0x0
	v_mul_f64_e32 v[29:30], s[30:31], v[27:28]
	v_mul_f64_e32 v[27:28], s[28:29], v[27:28]
	s_delay_alu instid0(VALU_DEP_2) | instskip(NEXT) | instid1(VALU_DEP_2)
	v_fma_f64 v[29:30], s[28:29], v[25:26], -v[29:30]
	v_fma_f64 v[27:28], s[30:31], v[25:26], v[27:28]
	s_delay_alu instid0(VALU_DEP_2) | instskip(NEXT) | instid1(VALU_DEP_2)
	v_add_f64_e32 v[25:26], v[2:3], v[29:30]
	v_add_f64_e32 v[27:28], v[4:5], v[27:28]
	global_store_b128 v[22:23], v[25:28], off
.LBB254_32:                             ;   in Loop: Header=BB254_7 Depth=1
	s_wait_alu 0xfffe
	s_and_not1_b32 vcc_lo, exec_lo, s3
	s_wait_alu 0xfffe
	s_cbranch_vccnz .LBB254_34
; %bb.33:                               ;   in Loop: Header=BB254_7 Depth=1
	v_add_co_u32 v20, vcc_lo, v0, v20
	s_wait_alu 0xfffd
	v_add_co_ci_u32_e64 v21, null, v24, v21, vcc_lo
	global_store_b128 v[20:21], v[2:5], off
.LBB254_34:                             ;   in Loop: Header=BB254_7 Depth=1
	s_wait_alu 0xfffe
	s_or_b32 exec_lo, exec_lo, s2
	s_and_saveexec_b32 s2, s25
	s_cbranch_execz .LBB254_6
; %bb.35:                               ;   in Loop: Header=BB254_7 Depth=1
	v_mul_f64_e32 v[2:3], s[38:39], v[16:17]
	v_mul_f64_e32 v[4:5], s[36:37], v[16:17]
	v_lshlrev_b64_e32 v[16:17], 4, v[8:9]
	s_and_not1_b32 vcc_lo, exec_lo, s8
	s_mov_b32 s3, -1
	s_delay_alu instid0(VALU_DEP_3) | instskip(NEXT) | instid1(VALU_DEP_3)
	v_fma_f64 v[2:3], s[36:37], v[18:19], -v[2:3]
	v_fma_f64 v[4:5], s[38:39], v[18:19], v[4:5]
	s_wait_alu 0xfffe
	s_cbranch_vccnz .LBB254_37
; %bb.36:                               ;   in Loop: Header=BB254_7 Depth=1
	v_add_co_u32 v22, vcc_lo, v0, v16
	s_wait_alu 0xfffd
	v_add_co_ci_u32_e64 v23, null, v24, v17, vcc_lo
	s_mov_b32 s3, 0
	global_load_b128 v[18:21], v[22:23], off
	s_wait_loadcnt 0x0
	v_mul_f64_e32 v[25:26], s[30:31], v[20:21]
	v_mul_f64_e32 v[20:21], s[28:29], v[20:21]
	s_delay_alu instid0(VALU_DEP_2) | instskip(NEXT) | instid1(VALU_DEP_2)
	v_fma_f64 v[25:26], s[28:29], v[18:19], -v[25:26]
	v_fma_f64 v[20:21], s[30:31], v[18:19], v[20:21]
	s_delay_alu instid0(VALU_DEP_2) | instskip(NEXT) | instid1(VALU_DEP_2)
	v_add_f64_e32 v[18:19], v[2:3], v[25:26]
	v_add_f64_e32 v[20:21], v[4:5], v[20:21]
	global_store_b128 v[22:23], v[18:21], off
.LBB254_37:                             ;   in Loop: Header=BB254_7 Depth=1
	s_wait_alu 0xfffe
	s_and_not1_b32 vcc_lo, exec_lo, s3
	s_wait_alu 0xfffe
	s_cbranch_vccnz .LBB254_6
; %bb.38:                               ;   in Loop: Header=BB254_7 Depth=1
	v_add_co_u32 v16, vcc_lo, v0, v16
	s_wait_alu 0xfffd
	v_add_co_ci_u32_e64 v17, null, v24, v17, vcc_lo
	global_store_b128 v[16:17], v[2:5], off
	s_branch .LBB254_6
.LBB254_39:
.LBB254_40:
	s_nop 0
	s_sendmsg sendmsg(MSG_DEALLOC_VGPRS)
	s_endpgm
	.section	.rodata,"a",@progbits
	.p2align	6, 0x0
	.amdhsa_kernel _ZL29rocblas_internal_gemmt_kernelIlLi16ELi32ELi8ELc78ELc67ELc85ELb0ELb1E19rocblas_complex_numIdEPKS1_S3_PS1_EviT_T9_T10_S5_lS7_S5_lS6_T11_S5_li
		.amdhsa_group_segment_fixed_size 8192
		.amdhsa_private_segment_fixed_size 0
		.amdhsa_kernarg_size 108
		.amdhsa_user_sgpr_count 2
		.amdhsa_user_sgpr_dispatch_ptr 0
		.amdhsa_user_sgpr_queue_ptr 0
		.amdhsa_user_sgpr_kernarg_segment_ptr 1
		.amdhsa_user_sgpr_dispatch_id 0
		.amdhsa_user_sgpr_private_segment_size 0
		.amdhsa_wavefront_size32 1
		.amdhsa_uses_dynamic_stack 0
		.amdhsa_enable_private_segment 0
		.amdhsa_system_sgpr_workgroup_id_x 1
		.amdhsa_system_sgpr_workgroup_id_y 1
		.amdhsa_system_sgpr_workgroup_id_z 1
		.amdhsa_system_sgpr_workgroup_info 0
		.amdhsa_system_vgpr_workitem_id 1
		.amdhsa_next_free_vgpr 134
		.amdhsa_next_free_sgpr 41
		.amdhsa_reserve_vcc 1
		.amdhsa_float_round_mode_32 0
		.amdhsa_float_round_mode_16_64 0
		.amdhsa_float_denorm_mode_32 3
		.amdhsa_float_denorm_mode_16_64 3
		.amdhsa_fp16_overflow 0
		.amdhsa_workgroup_processor_mode 1
		.amdhsa_memory_ordered 1
		.amdhsa_forward_progress 1
		.amdhsa_inst_pref_size 28
		.amdhsa_round_robin_scheduling 0
		.amdhsa_exception_fp_ieee_invalid_op 0
		.amdhsa_exception_fp_denorm_src 0
		.amdhsa_exception_fp_ieee_div_zero 0
		.amdhsa_exception_fp_ieee_overflow 0
		.amdhsa_exception_fp_ieee_underflow 0
		.amdhsa_exception_fp_ieee_inexact 0
		.amdhsa_exception_int_div_zero 0
	.end_amdhsa_kernel
	.section	.text._ZL29rocblas_internal_gemmt_kernelIlLi16ELi32ELi8ELc78ELc67ELc85ELb0ELb1E19rocblas_complex_numIdEPKS1_S3_PS1_EviT_T9_T10_S5_lS7_S5_lS6_T11_S5_li,"axG",@progbits,_ZL29rocblas_internal_gemmt_kernelIlLi16ELi32ELi8ELc78ELc67ELc85ELb0ELb1E19rocblas_complex_numIdEPKS1_S3_PS1_EviT_T9_T10_S5_lS7_S5_lS6_T11_S5_li,comdat
.Lfunc_end254:
	.size	_ZL29rocblas_internal_gemmt_kernelIlLi16ELi32ELi8ELc78ELc67ELc85ELb0ELb1E19rocblas_complex_numIdEPKS1_S3_PS1_EviT_T9_T10_S5_lS7_S5_lS6_T11_S5_li, .Lfunc_end254-_ZL29rocblas_internal_gemmt_kernelIlLi16ELi32ELi8ELc78ELc67ELc85ELb0ELb1E19rocblas_complex_numIdEPKS1_S3_PS1_EviT_T9_T10_S5_lS7_S5_lS6_T11_S5_li
                                        ; -- End function
	.set _ZL29rocblas_internal_gemmt_kernelIlLi16ELi32ELi8ELc78ELc67ELc85ELb0ELb1E19rocblas_complex_numIdEPKS1_S3_PS1_EviT_T9_T10_S5_lS7_S5_lS6_T11_S5_li.num_vgpr, 134
	.set _ZL29rocblas_internal_gemmt_kernelIlLi16ELi32ELi8ELc78ELc67ELc85ELb0ELb1E19rocblas_complex_numIdEPKS1_S3_PS1_EviT_T9_T10_S5_lS7_S5_lS6_T11_S5_li.num_agpr, 0
	.set _ZL29rocblas_internal_gemmt_kernelIlLi16ELi32ELi8ELc78ELc67ELc85ELb0ELb1E19rocblas_complex_numIdEPKS1_S3_PS1_EviT_T9_T10_S5_lS7_S5_lS6_T11_S5_li.numbered_sgpr, 41
	.set _ZL29rocblas_internal_gemmt_kernelIlLi16ELi32ELi8ELc78ELc67ELc85ELb0ELb1E19rocblas_complex_numIdEPKS1_S3_PS1_EviT_T9_T10_S5_lS7_S5_lS6_T11_S5_li.num_named_barrier, 0
	.set _ZL29rocblas_internal_gemmt_kernelIlLi16ELi32ELi8ELc78ELc67ELc85ELb0ELb1E19rocblas_complex_numIdEPKS1_S3_PS1_EviT_T9_T10_S5_lS7_S5_lS6_T11_S5_li.private_seg_size, 0
	.set _ZL29rocblas_internal_gemmt_kernelIlLi16ELi32ELi8ELc78ELc67ELc85ELb0ELb1E19rocblas_complex_numIdEPKS1_S3_PS1_EviT_T9_T10_S5_lS7_S5_lS6_T11_S5_li.uses_vcc, 1
	.set _ZL29rocblas_internal_gemmt_kernelIlLi16ELi32ELi8ELc78ELc67ELc85ELb0ELb1E19rocblas_complex_numIdEPKS1_S3_PS1_EviT_T9_T10_S5_lS7_S5_lS6_T11_S5_li.uses_flat_scratch, 0
	.set _ZL29rocblas_internal_gemmt_kernelIlLi16ELi32ELi8ELc78ELc67ELc85ELb0ELb1E19rocblas_complex_numIdEPKS1_S3_PS1_EviT_T9_T10_S5_lS7_S5_lS6_T11_S5_li.has_dyn_sized_stack, 0
	.set _ZL29rocblas_internal_gemmt_kernelIlLi16ELi32ELi8ELc78ELc67ELc85ELb0ELb1E19rocblas_complex_numIdEPKS1_S3_PS1_EviT_T9_T10_S5_lS7_S5_lS6_T11_S5_li.has_recursion, 0
	.set _ZL29rocblas_internal_gemmt_kernelIlLi16ELi32ELi8ELc78ELc67ELc85ELb0ELb1E19rocblas_complex_numIdEPKS1_S3_PS1_EviT_T9_T10_S5_lS7_S5_lS6_T11_S5_li.has_indirect_call, 0
	.section	.AMDGPU.csdata,"",@progbits
; Kernel info:
; codeLenInByte = 3528
; TotalNumSgprs: 43
; NumVgprs: 134
; ScratchSize: 0
; MemoryBound: 1
; FloatMode: 240
; IeeeMode: 1
; LDSByteSize: 8192 bytes/workgroup (compile time only)
; SGPRBlocks: 0
; VGPRBlocks: 16
; NumSGPRsForWavesPerEU: 43
; NumVGPRsForWavesPerEU: 134
; Occupancy: 10
; WaveLimiterHint : 0
; COMPUTE_PGM_RSRC2:SCRATCH_EN: 0
; COMPUTE_PGM_RSRC2:USER_SGPR: 2
; COMPUTE_PGM_RSRC2:TRAP_HANDLER: 0
; COMPUTE_PGM_RSRC2:TGID_X_EN: 1
; COMPUTE_PGM_RSRC2:TGID_Y_EN: 1
; COMPUTE_PGM_RSRC2:TGID_Z_EN: 1
; COMPUTE_PGM_RSRC2:TIDIG_COMP_CNT: 1
	.section	.text._ZL29rocblas_internal_gemmt_kernelIlLi16ELi32ELi8ELc84ELc78ELc85ELb0ELb0E19rocblas_complex_numIdEPKS1_S3_PS1_EviT_T9_T10_S5_lS7_S5_lS6_T11_S5_li,"axG",@progbits,_ZL29rocblas_internal_gemmt_kernelIlLi16ELi32ELi8ELc84ELc78ELc85ELb0ELb0E19rocblas_complex_numIdEPKS1_S3_PS1_EviT_T9_T10_S5_lS7_S5_lS6_T11_S5_li,comdat
	.globl	_ZL29rocblas_internal_gemmt_kernelIlLi16ELi32ELi8ELc84ELc78ELc85ELb0ELb0E19rocblas_complex_numIdEPKS1_S3_PS1_EviT_T9_T10_S5_lS7_S5_lS6_T11_S5_li ; -- Begin function _ZL29rocblas_internal_gemmt_kernelIlLi16ELi32ELi8ELc84ELc78ELc85ELb0ELb0E19rocblas_complex_numIdEPKS1_S3_PS1_EviT_T9_T10_S5_lS7_S5_lS6_T11_S5_li
	.p2align	8
	.type	_ZL29rocblas_internal_gemmt_kernelIlLi16ELi32ELi8ELc84ELc78ELc85ELb0ELb0E19rocblas_complex_numIdEPKS1_S3_PS1_EviT_T9_T10_S5_lS7_S5_lS6_T11_S5_li,@function
_ZL29rocblas_internal_gemmt_kernelIlLi16ELi32ELi8ELc84ELc78ELc85ELb0ELb0E19rocblas_complex_numIdEPKS1_S3_PS1_EviT_T9_T10_S5_lS7_S5_lS6_T11_S5_li: ; @_ZL29rocblas_internal_gemmt_kernelIlLi16ELi32ELi8ELc84ELc78ELc85ELb0ELb0E19rocblas_complex_numIdEPKS1_S3_PS1_EviT_T9_T10_S5_lS7_S5_lS6_T11_S5_li
; %bb.0:
	s_clause 0x1
	s_load_b256 s[24:31], s[0:1], 0x48
	s_load_b512 s[8:23], s[0:1], 0x8
	s_wait_kmcnt 0x0
	s_load_b128 s[36:39], s[24:25], 0x0
	s_load_b128 s[40:43], s[10:11], 0x0
	s_wait_kmcnt 0x0
	v_cmp_eq_f64_e64 s3, s[36:37], 1.0
	v_cmp_eq_f64_e64 s2, s[38:39], 0
	s_and_b32 s3, s3, s2
	s_delay_alu instid0(SALU_CYCLE_1)
	s_and_not1_b32 vcc_lo, exec_lo, s3
	s_mov_b32 s3, -1
	s_cbranch_vccnz .LBB255_3
; %bb.1:
	s_cmp_lg_u64 s[8:9], 0
	s_cbranch_scc0 .LBB255_41
; %bb.2:
	v_cmp_neq_f64_e64 s3, s[40:41], 0
	v_cmp_neq_f64_e64 s4, s[42:43], 0
	s_or_b32 s3, s3, s4
.LBB255_3:
	s_delay_alu instid0(SALU_CYCLE_1)
	s_and_b32 vcc_lo, exec_lo, s3
	s_cbranch_vccz .LBB255_42
; %bb.4:
	s_load_b32 s5, s[0:1], 0x68
	s_lshr_b32 s6, ttmp7, 16
	s_wait_kmcnt 0x0
	s_cmp_ge_u32 s6, s5
	s_cbranch_scc1 .LBB255_42
; %bb.5:
	v_and_b32_e32 v8, 0x3ff, v0
	v_bfe_u32 v9, v0, 10, 10
	s_load_b32 s7, s[0:1], 0x0
	s_lshl_b32 s0, ttmp7, 5
	s_lshl_b32 s11, ttmp9, 5
	s_and_b32 s0, s0, 0x1fffe0
	v_lshl_add_u32 v2, v9, 4, v8
	v_add_nc_u32_e32 v15, s0, v9
	v_and_b32_e32 v30, 7, v0
	v_cmp_neq_f64_e64 s3, s[40:41], 0
	v_cmp_neq_f64_e64 s4, s[42:43], 0
	v_lshrrev_b32_e32 v10, 3, v2
	v_and_b32_e32 v12, 31, v2
	v_mad_co_u64_u32 v[4:5], null, s28, v15, 0
	v_lshrrev_b32_e32 v32, 5, v2
	s_delay_alu instid0(VALU_DEP_4) | instskip(NEXT) | instid1(VALU_DEP_4)
	v_add_nc_u32_e32 v11, s0, v10
	v_or_b32_e32 v13, s11, v12
	v_cmp_neq_f64_e64 s25, s[36:37], 0
	s_ashr_i32 s1, s11, 31
	v_add_nc_u32_e32 v17, 16, v15
	v_mad_co_u64_u32 v[0:1], null, s20, v11, 0
	v_mad_co_u64_u32 v[2:3], null, s14, v13, 0
	v_mul_lo_u32 v16, s15, v13
	s_wait_alu 0xfffe
	s_mul_i32 s1, s14, s1
	v_cmp_gt_i64_e64 s24, s[8:9], 0
	s_wait_kmcnt 0x0
	v_cmp_gt_i32_e64 s0, s7, v13
	v_cmp_le_i32_e64 s10, s7, v13
	v_lshl_add_u32 v39, v9, 7, 0x1000
	v_mad_co_u64_u32 v[6:7], null, s21, v11, v[1:2]
	v_lshlrev_b32_e32 v1, 4, v12
	s_wait_alu 0xfffe
	v_add3_u32 v3, v3, s1, v16
	s_delay_alu instid0(VALU_DEP_2) | instskip(NEXT) | instid1(VALU_DEP_4)
	v_lshl_or_b32 v33, v32, 9, v1
	v_mov_b32_e32 v1, v6
	s_delay_alu instid0(VALU_DEP_3) | instskip(SKIP_2) | instid1(VALU_DEP_4)
	v_lshlrev_b64_e32 v[2:3], 4, v[2:3]
	v_add_nc_u32_e32 v6, s11, v8
	v_lshlrev_b32_e32 v31, 4, v8
	v_lshlrev_b64_e32 v[0:1], 4, v[0:1]
	s_delay_alu instid0(VALU_DEP_4) | instskip(SKIP_2) | instid1(VALU_DEP_3)
	v_add_co_u32 v35, s1, s12, v2
	s_wait_alu 0xf1ff
	v_add_co_ci_u32_e64 v36, null, s13, v3, s1
	v_add_co_u32 v37, s1, s18, v0
	v_mov_b32_e32 v0, v5
	v_mad_co_u64_u32 v[2:3], null, s28, v17, 0
	s_wait_alu 0xf1ff
	v_add_co_ci_u32_e64 v38, null, s19, v1, s1
	s_delay_alu instid0(VALU_DEP_3) | instskip(SKIP_2) | instid1(VALU_DEP_4)
	v_mad_co_u64_u32 v[0:1], null, s29, v15, v[0:1]
	v_add_nc_u32_e32 v8, 16, v6
	s_xor_b32 s1, s2, -1
	v_mov_b32_e32 v1, v3
	s_or_b32 s14, s3, s4
	s_wait_alu 0xfffe
	s_or_b32 s11, s25, s1
	v_cmp_gt_i32_e64 s1, s7, v15
	v_mov_b32_e32 v5, v0
	v_mad_co_u64_u32 v[0:1], null, s29, v17, v[1:2]
	v_lshlrev_b32_e32 v14, 4, v30
	v_cmp_le_i32_e64 s2, v6, v15
	v_cmp_le_i32_e64 s3, v8, v15
	v_cmp_gt_i32_e32 vcc_lo, s7, v11
	v_cmp_le_i32_e64 s4, v6, v17
	v_ashrrev_i32_e32 v9, 31, v8
	v_mov_b32_e32 v3, v0
	v_lshl_or_b32 v7, v10, 7, v14
	s_and_b32 s12, s1, s2
	v_cmp_gt_i32_e64 s2, s7, v17
	s_and_b32 s13, s1, s3
	v_cmp_le_i32_e64 s1, v8, v17
	v_lshlrev_b64_e32 v[10:11], 4, v[4:5]
	v_lshlrev_b64_e32 v[12:13], 4, v[2:3]
	v_dual_mov_b32 v1, 0 :: v_dual_add_nc_u32 v34, 0x1000, v7
	v_ashrrev_i32_e32 v7, 31, v6
	s_and_b32 s4, s2, s4
	s_and_b32 s14, s14, s24
	;; [unrolled: 1-line block ×3, first 2 shown]
	s_mov_b32 s7, 0
	s_xor_b32 s15, vcc_lo, -1
                                        ; implicit-def: $vgpr14_vgpr15
	s_branch .LBB255_7
.LBB255_6:                              ;   in Loop: Header=BB255_7 Depth=1
	s_wait_alu 0xfffe
	s_or_b32 exec_lo, exec_lo, s2
	s_add_co_i32 s6, s6, 0x10000
	s_wait_alu 0xfffe
	s_cmp_lt_u32 s6, s5
	s_cbranch_scc0 .LBB255_42
.LBB255_7:                              ; =>This Loop Header: Depth=1
                                        ;     Child Loop BB255_10 Depth 2
	v_mov_b32_e32 v4, 0
	v_mov_b32_e32 v5, 0
	s_wait_alu 0xfffe
	s_and_not1_b32 vcc_lo, exec_lo, s14
	s_wait_alu 0xfffe
	s_cbranch_vccnz .LBB255_20
; %bb.8:                                ;   in Loop: Header=BB255_7 Depth=1
	s_mul_u64 s[2:3], s[16:17], s[6:7]
	s_mul_u64 s[18:19], s[22:23], s[6:7]
	s_wait_alu 0xfffe
	s_lshl_b64 s[2:3], s[2:3], 4
	v_mov_b32_e32 v16, 0
	s_wait_alu 0xfffe
	v_add_co_u32 v40, vcc_lo, v35, s2
	s_wait_alu 0xfffd
	v_add_co_ci_u32_e64 v41, null, s3, v36, vcc_lo
	s_lshl_b64 s[2:3], s[18:19], 4
	v_mov_b32_e32 v22, 0
	v_mov_b32_e32 v26, 0
	;; [unrolled: 1-line block ×3, first 2 shown]
	s_wait_alu 0xfffe
	v_add_co_u32 v42, vcc_lo, v37, s2
	v_dual_mov_b32 v17, 0 :: v_dual_mov_b32 v18, 0
	v_dual_mov_b32 v23, 0 :: v_dual_mov_b32 v20, 0
	;; [unrolled: 1-line block ×4, first 2 shown]
	v_mov_b32_e32 v19, 0
	v_mov_b32_e32 v21, 0
	;; [unrolled: 1-line block ×4, first 2 shown]
	s_wait_alu 0xfffd
	v_add_co_ci_u32_e64 v43, null, s3, v38, vcc_lo
	s_mov_b64 s[2:3], 0
	s_branch .LBB255_10
.LBB255_9:                              ;   in Loop: Header=BB255_10 Depth=2
	s_wait_alu 0xfffe
	s_or_b32 exec_lo, exec_lo, s18
	s_wait_dscnt 0x0
	s_barrier_signal -1
	s_barrier_wait -1
	global_inv scope:SCOPE_SE
	ds_load_b128 v[44:47], v39
	ds_load_b128 v[48:51], v39 offset:16
	ds_load_b128 v[52:55], v39 offset:32
	;; [unrolled: 1-line block ×3, first 2 shown]
	ds_load_b128 v[60:63], v31
	s_add_nc_u64 s[2:3], s[2:3], 8
	s_wait_alu 0xfffe
	v_cmp_gt_i64_e64 s18, s[8:9], s[2:3]
	s_and_b32 vcc_lo, exec_lo, s18
	s_wait_dscnt 0x0
	v_mul_f64_e32 v[2:3], v[46:47], v[62:63]
	v_mul_f64_e32 v[64:65], v[44:45], v[62:63]
	s_delay_alu instid0(VALU_DEP_2) | instskip(NEXT) | instid1(VALU_DEP_2)
	v_fma_f64 v[2:3], v[44:45], v[60:61], -v[2:3]
	v_fma_f64 v[64:65], v[46:47], v[60:61], v[64:65]
	s_delay_alu instid0(VALU_DEP_2) | instskip(SKIP_4) | instid1(VALU_DEP_1)
	v_add_f64_e32 v[66:67], v[4:5], v[2:3]
	ds_load_b128 v[2:5], v31 offset:256
	v_add_f64_e32 v[28:29], v[64:65], v[28:29]
	s_wait_dscnt 0x0
	v_mul_f64_e32 v[64:65], v[46:47], v[4:5]
	v_fma_f64 v[64:65], v[44:45], v[2:3], -v[64:65]
	v_mul_f64_e32 v[44:45], v[44:45], v[4:5]
	s_delay_alu instid0(VALU_DEP_1) | instskip(NEXT) | instid1(VALU_DEP_3)
	v_fma_f64 v[44:45], v[46:47], v[2:3], v[44:45]
	v_add_f64_e32 v[46:47], v[24:25], v[64:65]
	s_delay_alu instid0(VALU_DEP_2) | instskip(SKIP_4) | instid1(VALU_DEP_2)
	v_add_f64_e32 v[44:45], v[44:45], v[26:27]
	ds_load_b128 v[24:27], v39 offset:2048
	s_wait_dscnt 0x0
	v_mul_f64_e32 v[64:65], v[26:27], v[62:63]
	v_mul_f64_e32 v[62:63], v[24:25], v[62:63]
	v_fma_f64 v[64:65], v[24:25], v[60:61], -v[64:65]
	s_delay_alu instid0(VALU_DEP_2) | instskip(NEXT) | instid1(VALU_DEP_2)
	v_fma_f64 v[60:61], v[26:27], v[60:61], v[62:63]
	v_add_f64_e32 v[62:63], v[20:21], v[64:65]
	v_mul_f64_e32 v[20:21], v[26:27], v[4:5]
	v_mul_f64_e32 v[4:5], v[24:25], v[4:5]
	s_delay_alu instid0(VALU_DEP_4) | instskip(NEXT) | instid1(VALU_DEP_3)
	v_add_f64_e32 v[60:61], v[60:61], v[22:23]
	v_fma_f64 v[20:21], v[24:25], v[2:3], -v[20:21]
	s_delay_alu instid0(VALU_DEP_3) | instskip(NEXT) | instid1(VALU_DEP_2)
	v_fma_f64 v[2:3], v[26:27], v[2:3], v[4:5]
	v_add_f64_e32 v[24:25], v[18:19], v[20:21]
	s_delay_alu instid0(VALU_DEP_2) | instskip(SKIP_4) | instid1(VALU_DEP_2)
	v_add_f64_e32 v[26:27], v[2:3], v[16:17]
	ds_load_b128 v[2:5], v31 offset:512
	s_wait_dscnt 0x0
	v_mul_f64_e32 v[16:17], v[50:51], v[4:5]
	v_mul_f64_e32 v[18:19], v[48:49], v[4:5]
	v_fma_f64 v[16:17], v[48:49], v[2:3], -v[16:17]
	s_delay_alu instid0(VALU_DEP_2) | instskip(NEXT) | instid1(VALU_DEP_2)
	v_fma_f64 v[18:19], v[50:51], v[2:3], v[18:19]
	v_add_f64_e32 v[64:65], v[66:67], v[16:17]
	s_delay_alu instid0(VALU_DEP_2) | instskip(SKIP_4) | instid1(VALU_DEP_2)
	v_add_f64_e32 v[28:29], v[18:19], v[28:29]
	ds_load_b128 v[16:19], v31 offset:768
	s_wait_dscnt 0x0
	v_mul_f64_e32 v[20:21], v[50:51], v[18:19]
	v_mul_f64_e32 v[22:23], v[48:49], v[18:19]
	v_fma_f64 v[20:21], v[48:49], v[16:17], -v[20:21]
	s_delay_alu instid0(VALU_DEP_2) | instskip(NEXT) | instid1(VALU_DEP_2)
	v_fma_f64 v[22:23], v[50:51], v[16:17], v[22:23]
	v_add_f64_e32 v[46:47], v[46:47], v[20:21]
	s_delay_alu instid0(VALU_DEP_2) | instskip(SKIP_4) | instid1(VALU_DEP_2)
	v_add_f64_e32 v[44:45], v[22:23], v[44:45]
	ds_load_b128 v[20:23], v39 offset:2064
	s_wait_dscnt 0x0
	v_mul_f64_e32 v[48:49], v[22:23], v[4:5]
	v_mul_f64_e32 v[4:5], v[20:21], v[4:5]
	v_fma_f64 v[48:49], v[20:21], v[2:3], -v[48:49]
	s_delay_alu instid0(VALU_DEP_2) | instskip(SKIP_1) | instid1(VALU_DEP_3)
	v_fma_f64 v[2:3], v[22:23], v[2:3], v[4:5]
	v_mul_f64_e32 v[4:5], v[20:21], v[18:19]
	v_add_f64_e32 v[48:49], v[62:63], v[48:49]
	s_delay_alu instid0(VALU_DEP_3) | instskip(SKIP_1) | instid1(VALU_DEP_4)
	v_add_f64_e32 v[50:51], v[2:3], v[60:61]
	v_mul_f64_e32 v[2:3], v[22:23], v[18:19]
	v_fma_f64 v[4:5], v[22:23], v[16:17], v[4:5]
	s_delay_alu instid0(VALU_DEP_2) | instskip(NEXT) | instid1(VALU_DEP_2)
	v_fma_f64 v[2:3], v[20:21], v[16:17], -v[2:3]
	v_add_f64_e32 v[26:27], v[4:5], v[26:27]
	s_delay_alu instid0(VALU_DEP_2) | instskip(SKIP_4) | instid1(VALU_DEP_2)
	v_add_f64_e32 v[24:25], v[24:25], v[2:3]
	ds_load_b128 v[2:5], v31 offset:1024
	s_wait_dscnt 0x0
	v_mul_f64_e32 v[16:17], v[54:55], v[4:5]
	v_mul_f64_e32 v[18:19], v[52:53], v[4:5]
	v_fma_f64 v[16:17], v[52:53], v[2:3], -v[16:17]
	s_delay_alu instid0(VALU_DEP_2) | instskip(NEXT) | instid1(VALU_DEP_2)
	v_fma_f64 v[18:19], v[54:55], v[2:3], v[18:19]
	v_add_f64_e32 v[60:61], v[64:65], v[16:17]
	s_delay_alu instid0(VALU_DEP_2) | instskip(SKIP_4) | instid1(VALU_DEP_2)
	v_add_f64_e32 v[28:29], v[18:19], v[28:29]
	ds_load_b128 v[16:19], v31 offset:1280
	s_wait_dscnt 0x0
	v_mul_f64_e32 v[20:21], v[54:55], v[18:19]
	v_mul_f64_e32 v[22:23], v[52:53], v[18:19]
	v_fma_f64 v[20:21], v[52:53], v[16:17], -v[20:21]
	s_delay_alu instid0(VALU_DEP_2) | instskip(NEXT) | instid1(VALU_DEP_2)
	v_fma_f64 v[22:23], v[54:55], v[16:17], v[22:23]
	v_add_f64_e32 v[46:47], v[46:47], v[20:21]
	s_delay_alu instid0(VALU_DEP_2) | instskip(SKIP_4) | instid1(VALU_DEP_2)
	v_add_f64_e32 v[44:45], v[22:23], v[44:45]
	ds_load_b128 v[20:23], v39 offset:2080
	s_wait_dscnt 0x0
	v_mul_f64_e32 v[52:53], v[22:23], v[4:5]
	v_mul_f64_e32 v[4:5], v[20:21], v[4:5]
	v_fma_f64 v[52:53], v[20:21], v[2:3], -v[52:53]
	s_delay_alu instid0(VALU_DEP_2) | instskip(SKIP_1) | instid1(VALU_DEP_3)
	v_fma_f64 v[2:3], v[22:23], v[2:3], v[4:5]
	v_mul_f64_e32 v[4:5], v[20:21], v[18:19]
	v_add_f64_e32 v[48:49], v[48:49], v[52:53]
	s_delay_alu instid0(VALU_DEP_3) | instskip(SKIP_1) | instid1(VALU_DEP_4)
	v_add_f64_e32 v[50:51], v[2:3], v[50:51]
	v_mul_f64_e32 v[2:3], v[22:23], v[18:19]
	v_fma_f64 v[4:5], v[22:23], v[16:17], v[4:5]
	s_delay_alu instid0(VALU_DEP_2) | instskip(NEXT) | instid1(VALU_DEP_2)
	v_fma_f64 v[2:3], v[20:21], v[16:17], -v[2:3]
	;; [unrolled: 38-line block ×3, first 2 shown]
	v_add_f64_e32 v[26:27], v[4:5], v[26:27]
	s_delay_alu instid0(VALU_DEP_2)
	v_add_f64_e32 v[24:25], v[24:25], v[2:3]
	ds_load_b128 v[2:5], v39 offset:64
	ds_load_b128 v[16:19], v31 offset:2048
	s_wait_dscnt 0x0
	v_mul_f64_e32 v[20:21], v[4:5], v[18:19]
	v_mul_f64_e32 v[22:23], v[2:3], v[18:19]
	s_delay_alu instid0(VALU_DEP_2) | instskip(NEXT) | instid1(VALU_DEP_2)
	v_fma_f64 v[20:21], v[2:3], v[16:17], -v[20:21]
	v_fma_f64 v[22:23], v[4:5], v[16:17], v[22:23]
	s_delay_alu instid0(VALU_DEP_2) | instskip(NEXT) | instid1(VALU_DEP_2)
	v_add_f64_e32 v[52:53], v[52:53], v[20:21]
	v_add_f64_e32 v[28:29], v[22:23], v[28:29]
	ds_load_b128 v[20:23], v31 offset:2304
	s_wait_dscnt 0x0
	v_mul_f64_e32 v[54:55], v[4:5], v[22:23]
	s_delay_alu instid0(VALU_DEP_1) | instskip(SKIP_1) | instid1(VALU_DEP_2)
	v_fma_f64 v[54:55], v[2:3], v[20:21], -v[54:55]
	v_mul_f64_e32 v[2:3], v[2:3], v[22:23]
	v_add_f64_e32 v[46:47], v[46:47], v[54:55]
	s_delay_alu instid0(VALU_DEP_2) | instskip(NEXT) | instid1(VALU_DEP_1)
	v_fma_f64 v[2:3], v[4:5], v[20:21], v[2:3]
	v_add_f64_e32 v[44:45], v[2:3], v[44:45]
	ds_load_b128 v[2:5], v39 offset:2112
	s_wait_dscnt 0x0
	v_mul_f64_e32 v[54:55], v[4:5], v[18:19]
	v_mul_f64_e32 v[18:19], v[2:3], v[18:19]
	s_delay_alu instid0(VALU_DEP_2) | instskip(NEXT) | instid1(VALU_DEP_2)
	v_fma_f64 v[54:55], v[2:3], v[16:17], -v[54:55]
	v_fma_f64 v[16:17], v[4:5], v[16:17], v[18:19]
	s_delay_alu instid0(VALU_DEP_2) | instskip(NEXT) | instid1(VALU_DEP_2)
	v_add_f64_e32 v[48:49], v[48:49], v[54:55]
	v_add_f64_e32 v[50:51], v[16:17], v[50:51]
	v_mul_f64_e32 v[16:17], v[4:5], v[22:23]
	s_delay_alu instid0(VALU_DEP_1) | instskip(SKIP_1) | instid1(VALU_DEP_2)
	v_fma_f64 v[16:17], v[2:3], v[20:21], -v[16:17]
	v_mul_f64_e32 v[2:3], v[2:3], v[22:23]
	v_add_f64_e32 v[24:25], v[24:25], v[16:17]
	s_delay_alu instid0(VALU_DEP_2) | instskip(NEXT) | instid1(VALU_DEP_1)
	v_fma_f64 v[2:3], v[4:5], v[20:21], v[2:3]
	v_add_f64_e32 v[26:27], v[2:3], v[26:27]
	ds_load_b128 v[2:5], v39 offset:80
	ds_load_b128 v[16:19], v31 offset:2560
	s_wait_dscnt 0x0
	v_mul_f64_e32 v[20:21], v[4:5], v[18:19]
	v_mul_f64_e32 v[22:23], v[2:3], v[18:19]
	s_delay_alu instid0(VALU_DEP_2) | instskip(NEXT) | instid1(VALU_DEP_2)
	v_fma_f64 v[20:21], v[2:3], v[16:17], -v[20:21]
	v_fma_f64 v[22:23], v[4:5], v[16:17], v[22:23]
	s_delay_alu instid0(VALU_DEP_2) | instskip(NEXT) | instid1(VALU_DEP_2)
	v_add_f64_e32 v[52:53], v[52:53], v[20:21]
	v_add_f64_e32 v[28:29], v[22:23], v[28:29]
	ds_load_b128 v[20:23], v31 offset:2816
	s_wait_dscnt 0x0
	v_mul_f64_e32 v[54:55], v[4:5], v[22:23]
	s_delay_alu instid0(VALU_DEP_1) | instskip(SKIP_1) | instid1(VALU_DEP_2)
	v_fma_f64 v[54:55], v[2:3], v[20:21], -v[54:55]
	v_mul_f64_e32 v[2:3], v[2:3], v[22:23]
	v_add_f64_e32 v[46:47], v[46:47], v[54:55]
	s_delay_alu instid0(VALU_DEP_2) | instskip(NEXT) | instid1(VALU_DEP_1)
	v_fma_f64 v[2:3], v[4:5], v[20:21], v[2:3]
	v_add_f64_e32 v[44:45], v[2:3], v[44:45]
	ds_load_b128 v[2:5], v39 offset:2128
	s_wait_dscnt 0x0
	v_mul_f64_e32 v[54:55], v[4:5], v[18:19]
	v_mul_f64_e32 v[18:19], v[2:3], v[18:19]
	s_delay_alu instid0(VALU_DEP_2) | instskip(NEXT) | instid1(VALU_DEP_2)
	v_fma_f64 v[54:55], v[2:3], v[16:17], -v[54:55]
	v_fma_f64 v[16:17], v[4:5], v[16:17], v[18:19]
	s_delay_alu instid0(VALU_DEP_2) | instskip(NEXT) | instid1(VALU_DEP_2)
	v_add_f64_e32 v[48:49], v[48:49], v[54:55]
	v_add_f64_e32 v[50:51], v[16:17], v[50:51]
	v_mul_f64_e32 v[16:17], v[4:5], v[22:23]
	s_delay_alu instid0(VALU_DEP_1) | instskip(SKIP_1) | instid1(VALU_DEP_2)
	v_fma_f64 v[16:17], v[2:3], v[20:21], -v[16:17]
	v_mul_f64_e32 v[2:3], v[2:3], v[22:23]
	v_add_f64_e32 v[24:25], v[24:25], v[16:17]
	s_delay_alu instid0(VALU_DEP_2) | instskip(NEXT) | instid1(VALU_DEP_1)
	v_fma_f64 v[2:3], v[4:5], v[20:21], v[2:3]
	v_add_f64_e32 v[26:27], v[2:3], v[26:27]
	ds_load_b128 v[2:5], v39 offset:96
	ds_load_b128 v[16:19], v31 offset:3072
	s_wait_dscnt 0x0
	v_mul_f64_e32 v[20:21], v[4:5], v[18:19]
	v_mul_f64_e32 v[22:23], v[2:3], v[18:19]
	s_delay_alu instid0(VALU_DEP_2) | instskip(NEXT) | instid1(VALU_DEP_2)
	v_fma_f64 v[20:21], v[2:3], v[16:17], -v[20:21]
	v_fma_f64 v[22:23], v[4:5], v[16:17], v[22:23]
	s_delay_alu instid0(VALU_DEP_2) | instskip(NEXT) | instid1(VALU_DEP_2)
	v_add_f64_e32 v[52:53], v[52:53], v[20:21]
	v_add_f64_e32 v[28:29], v[22:23], v[28:29]
	ds_load_b128 v[20:23], v31 offset:3328
	s_wait_dscnt 0x0
	v_mul_f64_e32 v[54:55], v[4:5], v[22:23]
	s_delay_alu instid0(VALU_DEP_1) | instskip(SKIP_1) | instid1(VALU_DEP_2)
	v_fma_f64 v[54:55], v[2:3], v[20:21], -v[54:55]
	v_mul_f64_e32 v[2:3], v[2:3], v[22:23]
	v_add_f64_e32 v[54:55], v[46:47], v[54:55]
	s_delay_alu instid0(VALU_DEP_2) | instskip(NEXT) | instid1(VALU_DEP_1)
	v_fma_f64 v[2:3], v[4:5], v[20:21], v[2:3]
	v_add_f64_e32 v[56:57], v[2:3], v[44:45]
	ds_load_b128 v[2:5], v39 offset:2144
	s_wait_dscnt 0x0
	v_mul_f64_e32 v[44:45], v[4:5], v[18:19]
	v_mul_f64_e32 v[18:19], v[2:3], v[18:19]
	s_delay_alu instid0(VALU_DEP_2) | instskip(NEXT) | instid1(VALU_DEP_2)
	v_fma_f64 v[44:45], v[2:3], v[16:17], -v[44:45]
	v_fma_f64 v[16:17], v[4:5], v[16:17], v[18:19]
	s_delay_alu instid0(VALU_DEP_2) | instskip(NEXT) | instid1(VALU_DEP_2)
	v_add_f64_e32 v[48:49], v[48:49], v[44:45]
	v_add_f64_e32 v[50:51], v[16:17], v[50:51]
	v_mul_f64_e32 v[16:17], v[4:5], v[22:23]
	s_delay_alu instid0(VALU_DEP_1) | instskip(SKIP_1) | instid1(VALU_DEP_2)
	v_fma_f64 v[16:17], v[2:3], v[20:21], -v[16:17]
	v_mul_f64_e32 v[2:3], v[2:3], v[22:23]
	v_add_f64_e32 v[58:59], v[24:25], v[16:17]
	s_delay_alu instid0(VALU_DEP_2)
	v_fma_f64 v[2:3], v[4:5], v[20:21], v[2:3]
	ds_load_b128 v[16:19], v39 offset:112
	ds_load_b128 v[20:23], v31 offset:3584
	;; [unrolled: 1-line block ×3, first 2 shown]
	s_wait_dscnt 0x1
	v_mul_f64_e32 v[24:25], v[16:17], v[22:23]
	v_mul_f64_e32 v[4:5], v[18:19], v[22:23]
	v_add_f64_e32 v[2:3], v[2:3], v[26:27]
	s_delay_alu instid0(VALU_DEP_3) | instskip(NEXT) | instid1(VALU_DEP_3)
	v_fma_f64 v[24:25], v[18:19], v[20:21], v[24:25]
	v_fma_f64 v[4:5], v[16:17], v[20:21], -v[4:5]
	s_delay_alu instid0(VALU_DEP_2) | instskip(SKIP_2) | instid1(VALU_DEP_3)
	v_add_f64_e32 v[28:29], v[24:25], v[28:29]
	s_wait_dscnt 0x0
	v_mul_f64_e32 v[24:25], v[18:19], v[46:47]
	v_add_f64_e32 v[4:5], v[52:53], v[4:5]
	s_delay_alu instid0(VALU_DEP_2) | instskip(SKIP_1) | instid1(VALU_DEP_2)
	v_fma_f64 v[24:25], v[16:17], v[44:45], -v[24:25]
	v_mul_f64_e32 v[16:17], v[16:17], v[46:47]
	v_add_f64_e32 v[24:25], v[54:55], v[24:25]
	s_delay_alu instid0(VALU_DEP_2) | instskip(NEXT) | instid1(VALU_DEP_1)
	v_fma_f64 v[16:17], v[18:19], v[44:45], v[16:17]
	v_add_f64_e32 v[26:27], v[16:17], v[56:57]
	ds_load_b128 v[16:19], v39 offset:2160
	s_wait_loadcnt_dscnt 0x0
	s_barrier_signal -1
	s_barrier_wait -1
	global_inv scope:SCOPE_SE
	v_mul_f64_e32 v[52:53], v[18:19], v[22:23]
	v_mul_f64_e32 v[22:23], v[16:17], v[22:23]
	s_delay_alu instid0(VALU_DEP_2) | instskip(NEXT) | instid1(VALU_DEP_2)
	v_fma_f64 v[52:53], v[16:17], v[20:21], -v[52:53]
	v_fma_f64 v[22:23], v[18:19], v[20:21], v[22:23]
	s_delay_alu instid0(VALU_DEP_2) | instskip(SKIP_1) | instid1(VALU_DEP_3)
	v_add_f64_e32 v[20:21], v[48:49], v[52:53]
	v_mul_f64_e32 v[48:49], v[18:19], v[46:47]
	v_add_f64_e32 v[22:23], v[22:23], v[50:51]
	s_delay_alu instid0(VALU_DEP_2) | instskip(SKIP_1) | instid1(VALU_DEP_1)
	v_fma_f64 v[48:49], v[16:17], v[44:45], -v[48:49]
	v_mul_f64_e32 v[16:17], v[16:17], v[46:47]
	v_fma_f64 v[16:17], v[18:19], v[44:45], v[16:17]
	s_delay_alu instid0(VALU_DEP_3) | instskip(NEXT) | instid1(VALU_DEP_2)
	v_add_f64_e32 v[18:19], v[58:59], v[48:49]
	v_add_f64_e32 v[16:17], v[16:17], v[2:3]
	s_wait_alu 0xfffe
	s_cbranch_vccz .LBB255_21
.LBB255_10:                             ;   Parent Loop BB255_7 Depth=1
                                        ; =>  This Inner Loop Header: Depth=2
	s_mov_b32 s18, 0
	s_mov_b32 s20, s10
	s_and_saveexec_b32 s19, s0
	s_cbranch_execnz .LBB255_18
; %bb.11:                               ;   in Loop: Header=BB255_10 Depth=2
	s_wait_alu 0xfffe
	s_or_b32 exec_lo, exec_lo, s19
	s_and_saveexec_b32 s19, s20
	s_wait_alu 0xfffe
	s_xor_b32 s19, exec_lo, s19
	s_cbranch_execnz .LBB255_19
.LBB255_12:                             ;   in Loop: Header=BB255_10 Depth=2
	s_wait_alu 0xfffe
	s_or_b32 exec_lo, exec_lo, s19
	s_and_saveexec_b32 s19, s18
	s_cbranch_execz .LBB255_14
.LBB255_13:                             ;   in Loop: Header=BB255_10 Depth=2
	v_lshlrev_b64_e32 v[2:3], 4, v[14:15]
	s_delay_alu instid0(VALU_DEP_1) | instskip(SKIP_1) | instid1(VALU_DEP_2)
	v_add_co_u32 v2, vcc_lo, v40, v2
	s_wait_alu 0xfffd
	v_add_co_ci_u32_e64 v3, null, v41, v3, vcc_lo
	global_load_b128 v[44:47], v[2:3], off
	s_wait_loadcnt 0x0
	ds_store_2addr_b64 v33, v[44:45], v[46:47] offset1:1
.LBB255_14:                             ;   in Loop: Header=BB255_10 Depth=2
	s_wait_alu 0xfffe
	s_or_b32 exec_lo, exec_lo, s19
	v_add_nc_u32_e32 v0, s2, v30
	s_delay_alu instid0(VALU_DEP_1)
	v_cmp_le_u64_e32 vcc_lo, s[8:9], v[0:1]
	s_or_b32 s18, vcc_lo, s15
	s_wait_alu 0xfffe
	s_and_saveexec_b32 s19, s18
	s_wait_alu 0xfffe
	s_xor_b32 s18, exec_lo, s19
; %bb.15:                               ;   in Loop: Header=BB255_10 Depth=2
	v_dual_mov_b32 v0, v1 :: v_dual_mov_b32 v3, v1
	v_mov_b32_e32 v2, v1
	ds_store_b128 v34, v[0:3]
; %bb.16:                               ;   in Loop: Header=BB255_10 Depth=2
	s_wait_alu 0xfffe
	s_and_not1_saveexec_b32 s18, s18
	s_cbranch_execz .LBB255_9
; %bb.17:                               ;   in Loop: Header=BB255_10 Depth=2
	v_lshlrev_b64_e32 v[2:3], 4, v[0:1]
	s_delay_alu instid0(VALU_DEP_1) | instskip(SKIP_1) | instid1(VALU_DEP_2)
	v_add_co_u32 v2, vcc_lo, v42, v2
	s_wait_alu 0xfffd
	v_add_co_ci_u32_e64 v3, null, v43, v3, vcc_lo
	global_load_b128 v[44:47], v[2:3], off
	s_wait_loadcnt 0x0
	ds_store_2addr_b64 v34, v[44:45], v[46:47] offset1:1
	s_branch .LBB255_9
.LBB255_18:                             ;   in Loop: Header=BB255_10 Depth=2
	s_wait_alu 0xfffe
	v_add_nc_u32_e32 v0, s2, v32
	v_mov_b32_e32 v15, v1
	s_and_not1_b32 s20, s10, exec_lo
	s_mov_b32 s18, exec_lo
	s_delay_alu instid0(VALU_DEP_2)
	v_cmp_le_u64_e32 vcc_lo, s[8:9], v[0:1]
	v_mov_b32_e32 v14, v0
	s_and_b32 s21, vcc_lo, exec_lo
	s_wait_alu 0xfffe
	s_or_b32 s20, s20, s21
	s_or_b32 exec_lo, exec_lo, s19
	s_wait_alu 0xfffe
	s_and_saveexec_b32 s19, s20
	s_wait_alu 0xfffe
	s_xor_b32 s19, exec_lo, s19
	s_cbranch_execz .LBB255_12
.LBB255_19:                             ;   in Loop: Header=BB255_10 Depth=2
	v_dual_mov_b32 v0, v1 :: v_dual_mov_b32 v3, v1
	v_mov_b32_e32 v2, v1
	s_and_not1_b32 s18, s18, exec_lo
	ds_store_b128 v33, v[0:3]
	s_wait_alu 0xfffe
	s_or_b32 exec_lo, exec_lo, s19
	s_and_saveexec_b32 s19, s18
	s_cbranch_execnz .LBB255_13
	s_branch .LBB255_14
.LBB255_20:                             ;   in Loop: Header=BB255_7 Depth=1
	v_mov_b32_e32 v28, 0
	v_mov_b32_e32 v26, 0
	v_dual_mov_b32 v22, 0 :: v_dual_mov_b32 v29, 0
	v_dual_mov_b32 v24, 0 :: v_dual_mov_b32 v27, 0
	;; [unrolled: 1-line block ×3, first 2 shown]
	v_mov_b32_e32 v18, 0
	v_dual_mov_b32 v16, 0 :: v_dual_mov_b32 v25, 0
	v_mov_b32_e32 v21, 0
	v_mov_b32_e32 v19, 0
	;; [unrolled: 1-line block ×3, first 2 shown]
.LBB255_21:                             ;   in Loop: Header=BB255_7 Depth=1
	s_mul_u64 s[2:3], s[30:31], s[6:7]
	s_wait_alu 0xfffe
	s_lshl_b64 s[2:3], s[2:3], 4
	s_wait_alu 0xfffe
	s_add_nc_u64 s[2:3], s[26:27], s[2:3]
	s_wait_alu 0xfffe
	v_add_co_u32 v0, vcc_lo, s2, v10
	s_wait_alu 0xfffd
	v_add_co_ci_u32_e64 v40, null, s3, v11, vcc_lo
	s_and_saveexec_b32 s18, s12
	s_cbranch_execz .LBB255_26
; %bb.22:                               ;   in Loop: Header=BB255_7 Depth=1
	v_mul_f64_e32 v[2:3], s[42:43], v[28:29]
	v_mul_f64_e32 v[28:29], s[40:41], v[28:29]
	s_and_b32 vcc_lo, exec_lo, s11
	s_mov_b32 s19, -1
	s_delay_alu instid0(VALU_DEP_2) | instskip(NEXT) | instid1(VALU_DEP_2)
	v_fma_f64 v[2:3], s[40:41], v[4:5], -v[2:3]
	v_fma_f64 v[4:5], s[42:43], v[4:5], v[28:29]
	s_wait_alu 0xfffe
	s_cbranch_vccz .LBB255_24
; %bb.23:                               ;   in Loop: Header=BB255_7 Depth=1
	v_lshlrev_b64_e32 v[28:29], 4, v[6:7]
	s_mov_b32 s19, 0
	s_delay_alu instid0(VALU_DEP_1) | instskip(SKIP_1) | instid1(VALU_DEP_2)
	v_add_co_u32 v28, vcc_lo, v0, v28
	s_wait_alu 0xfffd
	v_add_co_ci_u32_e64 v29, null, v40, v29, vcc_lo
	global_load_b128 v[41:44], v[28:29], off
	s_wait_loadcnt 0x0
	v_mul_f64_e32 v[45:46], s[38:39], v[43:44]
	v_mul_f64_e32 v[43:44], s[36:37], v[43:44]
	s_delay_alu instid0(VALU_DEP_2) | instskip(NEXT) | instid1(VALU_DEP_2)
	v_fma_f64 v[45:46], s[36:37], v[41:42], -v[45:46]
	v_fma_f64 v[43:44], s[38:39], v[41:42], v[43:44]
	s_delay_alu instid0(VALU_DEP_2) | instskip(NEXT) | instid1(VALU_DEP_2)
	v_add_f64_e32 v[41:42], v[2:3], v[45:46]
	v_add_f64_e32 v[43:44], v[4:5], v[43:44]
	global_store_b128 v[28:29], v[41:44], off
.LBB255_24:                             ;   in Loop: Header=BB255_7 Depth=1
	s_wait_alu 0xfffe
	s_and_not1_b32 vcc_lo, exec_lo, s19
	s_wait_alu 0xfffe
	s_cbranch_vccnz .LBB255_26
; %bb.25:                               ;   in Loop: Header=BB255_7 Depth=1
	v_lshlrev_b64_e32 v[28:29], 4, v[6:7]
	s_delay_alu instid0(VALU_DEP_1) | instskip(SKIP_1) | instid1(VALU_DEP_2)
	v_add_co_u32 v28, vcc_lo, v0, v28
	s_wait_alu 0xfffd
	v_add_co_ci_u32_e64 v29, null, v40, v29, vcc_lo
	global_store_b128 v[28:29], v[2:5], off
.LBB255_26:                             ;   in Loop: Header=BB255_7 Depth=1
	s_wait_alu 0xfffe
	s_or_b32 exec_lo, exec_lo, s18
	s_and_saveexec_b32 s18, s13
	s_cbranch_execz .LBB255_31
; %bb.27:                               ;   in Loop: Header=BB255_7 Depth=1
	v_mul_f64_e32 v[2:3], s[42:43], v[26:27]
	v_mul_f64_e32 v[4:5], s[40:41], v[26:27]
	s_and_not1_b32 vcc_lo, exec_lo, s11
	s_mov_b32 s19, -1
	s_delay_alu instid0(VALU_DEP_2) | instskip(NEXT) | instid1(VALU_DEP_2)
	v_fma_f64 v[2:3], s[40:41], v[24:25], -v[2:3]
	v_fma_f64 v[4:5], s[42:43], v[24:25], v[4:5]
	s_wait_alu 0xfffe
	s_cbranch_vccnz .LBB255_29
; %bb.28:                               ;   in Loop: Header=BB255_7 Depth=1
	v_lshlrev_b64_e32 v[24:25], 4, v[8:9]
	s_mov_b32 s19, 0
	s_delay_alu instid0(VALU_DEP_1) | instskip(SKIP_1) | instid1(VALU_DEP_2)
	v_add_co_u32 v28, vcc_lo, v0, v24
	s_wait_alu 0xfffd
	v_add_co_ci_u32_e64 v29, null, v40, v25, vcc_lo
	global_load_b128 v[24:27], v[28:29], off
	s_wait_loadcnt 0x0
	v_mul_f64_e32 v[41:42], s[38:39], v[26:27]
	v_mul_f64_e32 v[26:27], s[36:37], v[26:27]
	s_delay_alu instid0(VALU_DEP_2) | instskip(NEXT) | instid1(VALU_DEP_2)
	v_fma_f64 v[41:42], s[36:37], v[24:25], -v[41:42]
	v_fma_f64 v[26:27], s[38:39], v[24:25], v[26:27]
	s_delay_alu instid0(VALU_DEP_2) | instskip(NEXT) | instid1(VALU_DEP_2)
	v_add_f64_e32 v[24:25], v[2:3], v[41:42]
	v_add_f64_e32 v[26:27], v[4:5], v[26:27]
	global_store_b128 v[28:29], v[24:27], off
.LBB255_29:                             ;   in Loop: Header=BB255_7 Depth=1
	s_wait_alu 0xfffe
	s_and_not1_b32 vcc_lo, exec_lo, s19
	s_wait_alu 0xfffe
	s_cbranch_vccnz .LBB255_31
; %bb.30:                               ;   in Loop: Header=BB255_7 Depth=1
	v_lshlrev_b64_e32 v[24:25], 4, v[8:9]
	s_delay_alu instid0(VALU_DEP_1) | instskip(SKIP_1) | instid1(VALU_DEP_2)
	v_add_co_u32 v24, vcc_lo, v0, v24
	s_wait_alu 0xfffd
	v_add_co_ci_u32_e64 v25, null, v40, v25, vcc_lo
	global_store_b128 v[24:25], v[2:5], off
.LBB255_31:                             ;   in Loop: Header=BB255_7 Depth=1
	s_wait_alu 0xfffe
	s_or_b32 exec_lo, exec_lo, s18
	v_add_co_u32 v0, vcc_lo, s2, v12
	s_wait_alu 0xfffd
	v_add_co_ci_u32_e64 v24, null, s3, v13, vcc_lo
	s_and_saveexec_b32 s2, s4
	s_cbranch_execz .LBB255_36
; %bb.32:                               ;   in Loop: Header=BB255_7 Depth=1
	v_mul_f64_e32 v[2:3], s[42:43], v[22:23]
	v_mul_f64_e32 v[4:5], s[40:41], v[22:23]
	s_and_not1_b32 vcc_lo, exec_lo, s11
	s_mov_b32 s3, -1
	s_delay_alu instid0(VALU_DEP_2) | instskip(NEXT) | instid1(VALU_DEP_2)
	v_fma_f64 v[2:3], s[40:41], v[20:21], -v[2:3]
	v_fma_f64 v[4:5], s[42:43], v[20:21], v[4:5]
	v_lshlrev_b64_e32 v[20:21], 4, v[6:7]
	s_wait_alu 0xfffe
	s_cbranch_vccnz .LBB255_34
; %bb.33:                               ;   in Loop: Header=BB255_7 Depth=1
	s_delay_alu instid0(VALU_DEP_1) | instskip(SKIP_1) | instid1(VALU_DEP_2)
	v_add_co_u32 v22, vcc_lo, v0, v20
	s_wait_alu 0xfffd
	v_add_co_ci_u32_e64 v23, null, v24, v21, vcc_lo
	s_mov_b32 s3, 0
	global_load_b128 v[25:28], v[22:23], off
	s_wait_loadcnt 0x0
	v_mul_f64_e32 v[40:41], s[38:39], v[27:28]
	v_mul_f64_e32 v[27:28], s[36:37], v[27:28]
	s_delay_alu instid0(VALU_DEP_2) | instskip(NEXT) | instid1(VALU_DEP_2)
	v_fma_f64 v[40:41], s[36:37], v[25:26], -v[40:41]
	v_fma_f64 v[27:28], s[38:39], v[25:26], v[27:28]
	s_delay_alu instid0(VALU_DEP_2) | instskip(NEXT) | instid1(VALU_DEP_2)
	v_add_f64_e32 v[25:26], v[2:3], v[40:41]
	v_add_f64_e32 v[27:28], v[4:5], v[27:28]
	global_store_b128 v[22:23], v[25:28], off
.LBB255_34:                             ;   in Loop: Header=BB255_7 Depth=1
	s_wait_alu 0xfffe
	s_and_not1_b32 vcc_lo, exec_lo, s3
	s_wait_alu 0xfffe
	s_cbranch_vccnz .LBB255_36
; %bb.35:                               ;   in Loop: Header=BB255_7 Depth=1
	v_add_co_u32 v20, vcc_lo, v0, v20
	s_wait_alu 0xfffd
	v_add_co_ci_u32_e64 v21, null, v24, v21, vcc_lo
	global_store_b128 v[20:21], v[2:5], off
.LBB255_36:                             ;   in Loop: Header=BB255_7 Depth=1
	s_wait_alu 0xfffe
	s_or_b32 exec_lo, exec_lo, s2
	s_and_saveexec_b32 s2, s1
	s_cbranch_execz .LBB255_6
; %bb.37:                               ;   in Loop: Header=BB255_7 Depth=1
	v_mul_f64_e32 v[2:3], s[42:43], v[16:17]
	v_mul_f64_e32 v[4:5], s[40:41], v[16:17]
	v_lshlrev_b64_e32 v[16:17], 4, v[8:9]
	s_and_not1_b32 vcc_lo, exec_lo, s11
	s_mov_b32 s3, -1
	s_delay_alu instid0(VALU_DEP_3) | instskip(NEXT) | instid1(VALU_DEP_3)
	v_fma_f64 v[2:3], s[40:41], v[18:19], -v[2:3]
	v_fma_f64 v[4:5], s[42:43], v[18:19], v[4:5]
	s_wait_alu 0xfffe
	s_cbranch_vccnz .LBB255_39
; %bb.38:                               ;   in Loop: Header=BB255_7 Depth=1
	v_add_co_u32 v22, vcc_lo, v0, v16
	s_wait_alu 0xfffd
	v_add_co_ci_u32_e64 v23, null, v24, v17, vcc_lo
	s_mov_b32 s3, 0
	global_load_b128 v[18:21], v[22:23], off
	s_wait_loadcnt 0x0
	v_mul_f64_e32 v[25:26], s[38:39], v[20:21]
	v_mul_f64_e32 v[20:21], s[36:37], v[20:21]
	s_delay_alu instid0(VALU_DEP_2) | instskip(NEXT) | instid1(VALU_DEP_2)
	v_fma_f64 v[25:26], s[36:37], v[18:19], -v[25:26]
	v_fma_f64 v[20:21], s[38:39], v[18:19], v[20:21]
	s_delay_alu instid0(VALU_DEP_2) | instskip(NEXT) | instid1(VALU_DEP_2)
	v_add_f64_e32 v[18:19], v[2:3], v[25:26]
	v_add_f64_e32 v[20:21], v[4:5], v[20:21]
	global_store_b128 v[22:23], v[18:21], off
.LBB255_39:                             ;   in Loop: Header=BB255_7 Depth=1
	s_wait_alu 0xfffe
	s_and_not1_b32 vcc_lo, exec_lo, s3
	s_wait_alu 0xfffe
	s_cbranch_vccnz .LBB255_6
; %bb.40:                               ;   in Loop: Header=BB255_7 Depth=1
	v_add_co_u32 v16, vcc_lo, v0, v16
	s_wait_alu 0xfffd
	v_add_co_ci_u32_e64 v17, null, v24, v17, vcc_lo
	global_store_b128 v[16:17], v[2:5], off
	s_branch .LBB255_6
.LBB255_41:
.LBB255_42:
	s_endpgm
	.section	.rodata,"a",@progbits
	.p2align	6, 0x0
	.amdhsa_kernel _ZL29rocblas_internal_gemmt_kernelIlLi16ELi32ELi8ELc84ELc78ELc85ELb0ELb0E19rocblas_complex_numIdEPKS1_S3_PS1_EviT_T9_T10_S5_lS7_S5_lS6_T11_S5_li
		.amdhsa_group_segment_fixed_size 8192
		.amdhsa_private_segment_fixed_size 0
		.amdhsa_kernarg_size 108
		.amdhsa_user_sgpr_count 2
		.amdhsa_user_sgpr_dispatch_ptr 0
		.amdhsa_user_sgpr_queue_ptr 0
		.amdhsa_user_sgpr_kernarg_segment_ptr 1
		.amdhsa_user_sgpr_dispatch_id 0
		.amdhsa_user_sgpr_private_segment_size 0
		.amdhsa_wavefront_size32 1
		.amdhsa_uses_dynamic_stack 0
		.amdhsa_enable_private_segment 0
		.amdhsa_system_sgpr_workgroup_id_x 1
		.amdhsa_system_sgpr_workgroup_id_y 1
		.amdhsa_system_sgpr_workgroup_id_z 1
		.amdhsa_system_sgpr_workgroup_info 0
		.amdhsa_system_vgpr_workitem_id 1
		.amdhsa_next_free_vgpr 68
		.amdhsa_next_free_sgpr 44
		.amdhsa_reserve_vcc 1
		.amdhsa_float_round_mode_32 0
		.amdhsa_float_round_mode_16_64 0
		.amdhsa_float_denorm_mode_32 3
		.amdhsa_float_denorm_mode_16_64 3
		.amdhsa_fp16_overflow 0
		.amdhsa_workgroup_processor_mode 1
		.amdhsa_memory_ordered 1
		.amdhsa_forward_progress 1
		.amdhsa_inst_pref_size 31
		.amdhsa_round_robin_scheduling 0
		.amdhsa_exception_fp_ieee_invalid_op 0
		.amdhsa_exception_fp_denorm_src 0
		.amdhsa_exception_fp_ieee_div_zero 0
		.amdhsa_exception_fp_ieee_overflow 0
		.amdhsa_exception_fp_ieee_underflow 0
		.amdhsa_exception_fp_ieee_inexact 0
		.amdhsa_exception_int_div_zero 0
	.end_amdhsa_kernel
	.section	.text._ZL29rocblas_internal_gemmt_kernelIlLi16ELi32ELi8ELc84ELc78ELc85ELb0ELb0E19rocblas_complex_numIdEPKS1_S3_PS1_EviT_T9_T10_S5_lS7_S5_lS6_T11_S5_li,"axG",@progbits,_ZL29rocblas_internal_gemmt_kernelIlLi16ELi32ELi8ELc84ELc78ELc85ELb0ELb0E19rocblas_complex_numIdEPKS1_S3_PS1_EviT_T9_T10_S5_lS7_S5_lS6_T11_S5_li,comdat
.Lfunc_end255:
	.size	_ZL29rocblas_internal_gemmt_kernelIlLi16ELi32ELi8ELc84ELc78ELc85ELb0ELb0E19rocblas_complex_numIdEPKS1_S3_PS1_EviT_T9_T10_S5_lS7_S5_lS6_T11_S5_li, .Lfunc_end255-_ZL29rocblas_internal_gemmt_kernelIlLi16ELi32ELi8ELc84ELc78ELc85ELb0ELb0E19rocblas_complex_numIdEPKS1_S3_PS1_EviT_T9_T10_S5_lS7_S5_lS6_T11_S5_li
                                        ; -- End function
	.set _ZL29rocblas_internal_gemmt_kernelIlLi16ELi32ELi8ELc84ELc78ELc85ELb0ELb0E19rocblas_complex_numIdEPKS1_S3_PS1_EviT_T9_T10_S5_lS7_S5_lS6_T11_S5_li.num_vgpr, 68
	.set _ZL29rocblas_internal_gemmt_kernelIlLi16ELi32ELi8ELc84ELc78ELc85ELb0ELb0E19rocblas_complex_numIdEPKS1_S3_PS1_EviT_T9_T10_S5_lS7_S5_lS6_T11_S5_li.num_agpr, 0
	.set _ZL29rocblas_internal_gemmt_kernelIlLi16ELi32ELi8ELc84ELc78ELc85ELb0ELb0E19rocblas_complex_numIdEPKS1_S3_PS1_EviT_T9_T10_S5_lS7_S5_lS6_T11_S5_li.numbered_sgpr, 44
	.set _ZL29rocblas_internal_gemmt_kernelIlLi16ELi32ELi8ELc84ELc78ELc85ELb0ELb0E19rocblas_complex_numIdEPKS1_S3_PS1_EviT_T9_T10_S5_lS7_S5_lS6_T11_S5_li.num_named_barrier, 0
	.set _ZL29rocblas_internal_gemmt_kernelIlLi16ELi32ELi8ELc84ELc78ELc85ELb0ELb0E19rocblas_complex_numIdEPKS1_S3_PS1_EviT_T9_T10_S5_lS7_S5_lS6_T11_S5_li.private_seg_size, 0
	.set _ZL29rocblas_internal_gemmt_kernelIlLi16ELi32ELi8ELc84ELc78ELc85ELb0ELb0E19rocblas_complex_numIdEPKS1_S3_PS1_EviT_T9_T10_S5_lS7_S5_lS6_T11_S5_li.uses_vcc, 1
	.set _ZL29rocblas_internal_gemmt_kernelIlLi16ELi32ELi8ELc84ELc78ELc85ELb0ELb0E19rocblas_complex_numIdEPKS1_S3_PS1_EviT_T9_T10_S5_lS7_S5_lS6_T11_S5_li.uses_flat_scratch, 0
	.set _ZL29rocblas_internal_gemmt_kernelIlLi16ELi32ELi8ELc84ELc78ELc85ELb0ELb0E19rocblas_complex_numIdEPKS1_S3_PS1_EviT_T9_T10_S5_lS7_S5_lS6_T11_S5_li.has_dyn_sized_stack, 0
	.set _ZL29rocblas_internal_gemmt_kernelIlLi16ELi32ELi8ELc84ELc78ELc85ELb0ELb0E19rocblas_complex_numIdEPKS1_S3_PS1_EviT_T9_T10_S5_lS7_S5_lS6_T11_S5_li.has_recursion, 0
	.set _ZL29rocblas_internal_gemmt_kernelIlLi16ELi32ELi8ELc84ELc78ELc85ELb0ELb0E19rocblas_complex_numIdEPKS1_S3_PS1_EviT_T9_T10_S5_lS7_S5_lS6_T11_S5_li.has_indirect_call, 0
	.section	.AMDGPU.csdata,"",@progbits
; Kernel info:
; codeLenInByte = 3844
; TotalNumSgprs: 46
; NumVgprs: 68
; ScratchSize: 0
; MemoryBound: 0
; FloatMode: 240
; IeeeMode: 1
; LDSByteSize: 8192 bytes/workgroup (compile time only)
; SGPRBlocks: 0
; VGPRBlocks: 8
; NumSGPRsForWavesPerEU: 46
; NumVGPRsForWavesPerEU: 68
; Occupancy: 16
; WaveLimiterHint : 0
; COMPUTE_PGM_RSRC2:SCRATCH_EN: 0
; COMPUTE_PGM_RSRC2:USER_SGPR: 2
; COMPUTE_PGM_RSRC2:TRAP_HANDLER: 0
; COMPUTE_PGM_RSRC2:TGID_X_EN: 1
; COMPUTE_PGM_RSRC2:TGID_Y_EN: 1
; COMPUTE_PGM_RSRC2:TGID_Z_EN: 1
; COMPUTE_PGM_RSRC2:TIDIG_COMP_CNT: 1
	.section	.text._ZL29rocblas_internal_gemmt_kernelIlLi16ELi32ELi8ELc84ELc84ELc85ELb0ELb0E19rocblas_complex_numIdEPKS1_S3_PS1_EviT_T9_T10_S5_lS7_S5_lS6_T11_S5_li,"axG",@progbits,_ZL29rocblas_internal_gemmt_kernelIlLi16ELi32ELi8ELc84ELc84ELc85ELb0ELb0E19rocblas_complex_numIdEPKS1_S3_PS1_EviT_T9_T10_S5_lS7_S5_lS6_T11_S5_li,comdat
	.globl	_ZL29rocblas_internal_gemmt_kernelIlLi16ELi32ELi8ELc84ELc84ELc85ELb0ELb0E19rocblas_complex_numIdEPKS1_S3_PS1_EviT_T9_T10_S5_lS7_S5_lS6_T11_S5_li ; -- Begin function _ZL29rocblas_internal_gemmt_kernelIlLi16ELi32ELi8ELc84ELc84ELc85ELb0ELb0E19rocblas_complex_numIdEPKS1_S3_PS1_EviT_T9_T10_S5_lS7_S5_lS6_T11_S5_li
	.p2align	8
	.type	_ZL29rocblas_internal_gemmt_kernelIlLi16ELi32ELi8ELc84ELc84ELc85ELb0ELb0E19rocblas_complex_numIdEPKS1_S3_PS1_EviT_T9_T10_S5_lS7_S5_lS6_T11_S5_li,@function
_ZL29rocblas_internal_gemmt_kernelIlLi16ELi32ELi8ELc84ELc84ELc85ELb0ELb0E19rocblas_complex_numIdEPKS1_S3_PS1_EviT_T9_T10_S5_lS7_S5_lS6_T11_S5_li: ; @_ZL29rocblas_internal_gemmt_kernelIlLi16ELi32ELi8ELc84ELc84ELc85ELb0ELb0E19rocblas_complex_numIdEPKS1_S3_PS1_EviT_T9_T10_S5_lS7_S5_lS6_T11_S5_li
; %bb.0:
	s_clause 0x1
	s_load_b256 s[24:31], s[0:1], 0x48
	s_load_b512 s[8:23], s[0:1], 0x8
	s_wait_kmcnt 0x0
	s_load_b128 s[36:39], s[24:25], 0x0
	s_load_b128 s[40:43], s[10:11], 0x0
	s_wait_kmcnt 0x0
	v_cmp_eq_f64_e64 s3, s[36:37], 1.0
	v_cmp_eq_f64_e64 s2, s[38:39], 0
	s_and_b32 s3, s3, s2
	s_delay_alu instid0(SALU_CYCLE_1)
	s_and_not1_b32 vcc_lo, exec_lo, s3
	s_mov_b32 s3, -1
	s_cbranch_vccnz .LBB256_3
; %bb.1:
	s_cmp_lg_u64 s[8:9], 0
	s_cbranch_scc0 .LBB256_41
; %bb.2:
	v_cmp_neq_f64_e64 s3, s[40:41], 0
	v_cmp_neq_f64_e64 s4, s[42:43], 0
	s_or_b32 s3, s3, s4
.LBB256_3:
	s_delay_alu instid0(SALU_CYCLE_1)
	s_and_b32 vcc_lo, exec_lo, s3
	s_cbranch_vccz .LBB256_42
; %bb.4:
	s_load_b32 s5, s[0:1], 0x68
	s_lshr_b32 s6, ttmp7, 16
	s_wait_kmcnt 0x0
	s_cmp_ge_u32 s6, s5
	s_cbranch_scc1 .LBB256_42
; %bb.5:
	v_dual_mov_b32 v1, 0 :: v_dual_and_b32 v6, 0x3ff, v0
	v_bfe_u32 v7, v0, 10, 10
	v_and_b32_e32 v30, 7, v0
	s_lshl_b32 s11, ttmp9, 5
	s_load_b32 s7, s[0:1], 0x0
	s_ashr_i32 s1, s11, 31
	v_lshl_add_u32 v4, v7, 4, v6
	s_mul_i32 s1, s14, s1
	s_lshl_b32 s0, ttmp7, 5
	v_cmp_neq_f64_e64 s3, s[40:41], 0
	s_and_b32 s0, s0, 0x1fffe0
	v_and_b32_e32 v0, 31, v4
	v_lshrrev_b32_e32 v9, 3, v4
	v_cmp_neq_f64_e64 s4, s[42:43], 0
	v_cmp_neq_f64_e64 s25, s[36:37], 0
	v_add_nc_u32_e32 v11, s0, v7
	v_or_b32_e32 v5, s11, v0
	v_lshrrev_b32_e32 v31, 5, v4
	v_add_nc_u32_e32 v4, s0, v9
	v_lshlrev_b32_e32 v0, 4, v0
	v_lshlrev_b32_e32 v10, 4, v30
	v_mul_lo_u32 v8, s15, v5
	v_mad_co_u64_u32 v[2:3], null, s14, v5, 0
	s_delay_alu instid0(VALU_DEP_4)
	v_lshl_or_b32 v32, v31, 9, v0
	v_lshlrev_b32_e32 v0, 4, v4
	s_wait_kmcnt 0x0
	v_cmp_gt_i32_e64 s0, s7, v5
	v_cmp_le_i32_e64 s10, s7, v5
	v_cmp_gt_i32_e32 vcc_lo, s7, v4
	v_lshl_add_u32 v39, v7, 7, 0x1000
	v_add3_u32 v3, v3, s1, v8
	v_lshl_or_b32 v8, v9, 7, v10
	v_lshlrev_b32_e32 v38, 4, v6
	v_add_nc_u32_e32 v6, s11, v6
	v_cmp_gt_i64_e64 s24, s[8:9], 0
	v_lshlrev_b64_e32 v[2:3], 4, v[2:3]
	s_xor_b32 s15, vcc_lo, -1
                                        ; implicit-def: $vgpr14_vgpr15
	s_delay_alu instid0(VALU_DEP_1) | instskip(SKIP_1) | instid1(VALU_DEP_2)
	v_add_co_u32 v34, s1, s12, v2
	s_wait_alu 0xf1ff
	v_add_co_ci_u32_e64 v35, null, s13, v3, s1
	v_mad_co_u64_u32 v[2:3], null, s28, v11, 0
	v_add_co_u32 v36, s1, s18, v0
	s_wait_alu 0xf1ff
	v_add_co_ci_u32_e64 v37, null, s19, 0, s1
	s_xor_b32 s1, s2, -1
	s_or_b32 s14, s3, s4
	v_mov_b32_e32 v0, v3
	v_add_nc_u32_e32 v12, 16, v11
	s_wait_alu 0xfffe
	s_or_b32 s11, s25, s1
	v_cmp_gt_i32_e64 s1, s7, v11
	v_cmp_le_i32_e64 s2, v6, v11
	s_and_b32 s14, s14, s24
	v_mad_co_u64_u32 v[4:5], null, s28, v12, 0
	v_add_nc_u32_e32 v33, 0x1000, v8
	v_mad_co_u64_u32 v[7:8], null, s29, v11, v[0:1]
	v_add_nc_u32_e32 v8, 16, v6
	s_and_b32 s12, s1, s2
	v_cmp_gt_i32_e64 s2, s7, v12
	v_mov_b32_e32 v0, v5
	v_cmp_le_i32_e64 s4, v6, v12
	v_cmp_le_i32_e64 s3, v8, v11
	v_mov_b32_e32 v3, v7
	v_ashrrev_i32_e32 v7, 31, v6
	v_mad_co_u64_u32 v[9:10], null, s29, v12, v[0:1]
	s_and_b32 s13, s1, s3
	v_cmp_le_i32_e64 s1, v8, v12
	v_lshlrev_b64_e32 v[10:11], 4, v[2:3]
	s_and_b32 s4, s2, s4
	s_mov_b32 s7, 0
	v_mov_b32_e32 v5, v9
	v_ashrrev_i32_e32 v9, 31, v8
	s_and_b32 s1, s2, s1
	s_delay_alu instid0(VALU_DEP_2)
	v_lshlrev_b64_e32 v[12:13], 4, v[4:5]
	s_branch .LBB256_7
.LBB256_6:                              ;   in Loop: Header=BB256_7 Depth=1
	s_wait_alu 0xfffe
	s_or_b32 exec_lo, exec_lo, s2
	s_add_co_i32 s6, s6, 0x10000
	s_wait_alu 0xfffe
	s_cmp_lt_u32 s6, s5
	s_cbranch_scc0 .LBB256_42
.LBB256_7:                              ; =>This Loop Header: Depth=1
                                        ;     Child Loop BB256_10 Depth 2
	v_mov_b32_e32 v4, 0
	v_mov_b32_e32 v5, 0
	s_wait_alu 0xfffe
	s_and_not1_b32 vcc_lo, exec_lo, s14
	s_wait_alu 0xfffe
	s_cbranch_vccnz .LBB256_20
; %bb.8:                                ;   in Loop: Header=BB256_7 Depth=1
	s_mul_u64 s[2:3], s[16:17], s[6:7]
	s_mul_u64 s[18:19], s[22:23], s[6:7]
	s_wait_alu 0xfffe
	s_lshl_b64 s[2:3], s[2:3], 4
	v_mov_b32_e32 v16, 0
	s_wait_alu 0xfffe
	v_add_co_u32 v40, vcc_lo, v34, s2
	s_wait_alu 0xfffd
	v_add_co_ci_u32_e64 v41, null, s3, v35, vcc_lo
	s_lshl_b64 s[2:3], s[18:19], 4
	v_mov_b32_e32 v22, 0
	v_mov_b32_e32 v26, 0
	;; [unrolled: 1-line block ×3, first 2 shown]
	s_wait_alu 0xfffe
	v_add_co_u32 v42, vcc_lo, v36, s2
	v_dual_mov_b32 v17, 0 :: v_dual_mov_b32 v18, 0
	v_dual_mov_b32 v23, 0 :: v_dual_mov_b32 v20, 0
	;; [unrolled: 1-line block ×4, first 2 shown]
	v_mov_b32_e32 v19, 0
	v_mov_b32_e32 v21, 0
	;; [unrolled: 1-line block ×4, first 2 shown]
	s_wait_alu 0xfffd
	v_add_co_ci_u32_e64 v43, null, s3, v37, vcc_lo
	s_mov_b64 s[2:3], 0
	s_branch .LBB256_10
.LBB256_9:                              ;   in Loop: Header=BB256_10 Depth=2
	s_wait_alu 0xfffe
	s_or_b32 exec_lo, exec_lo, s18
	s_wait_dscnt 0x0
	s_barrier_signal -1
	s_barrier_wait -1
	global_inv scope:SCOPE_SE
	ds_load_b128 v[44:47], v39
	ds_load_b128 v[48:51], v39 offset:16
	ds_load_b128 v[52:55], v39 offset:32
	;; [unrolled: 1-line block ×3, first 2 shown]
	ds_load_b128 v[60:63], v38
	s_add_nc_u64 s[2:3], s[2:3], 8
	s_wait_alu 0xfffe
	v_cmp_gt_i64_e64 s18, s[8:9], s[2:3]
	s_and_b32 vcc_lo, exec_lo, s18
	s_wait_dscnt 0x0
	v_mul_f64_e32 v[2:3], v[46:47], v[62:63]
	v_mul_f64_e32 v[64:65], v[44:45], v[62:63]
	s_delay_alu instid0(VALU_DEP_2) | instskip(NEXT) | instid1(VALU_DEP_2)
	v_fma_f64 v[2:3], v[44:45], v[60:61], -v[2:3]
	v_fma_f64 v[64:65], v[46:47], v[60:61], v[64:65]
	s_delay_alu instid0(VALU_DEP_2) | instskip(SKIP_4) | instid1(VALU_DEP_1)
	v_add_f64_e32 v[66:67], v[4:5], v[2:3]
	ds_load_b128 v[2:5], v38 offset:256
	v_add_f64_e32 v[28:29], v[64:65], v[28:29]
	s_wait_dscnt 0x0
	v_mul_f64_e32 v[64:65], v[46:47], v[4:5]
	v_fma_f64 v[64:65], v[44:45], v[2:3], -v[64:65]
	v_mul_f64_e32 v[44:45], v[44:45], v[4:5]
	s_delay_alu instid0(VALU_DEP_1) | instskip(NEXT) | instid1(VALU_DEP_3)
	v_fma_f64 v[44:45], v[46:47], v[2:3], v[44:45]
	v_add_f64_e32 v[46:47], v[24:25], v[64:65]
	s_delay_alu instid0(VALU_DEP_2) | instskip(SKIP_4) | instid1(VALU_DEP_2)
	v_add_f64_e32 v[44:45], v[44:45], v[26:27]
	ds_load_b128 v[24:27], v39 offset:2048
	s_wait_dscnt 0x0
	v_mul_f64_e32 v[64:65], v[26:27], v[62:63]
	v_mul_f64_e32 v[62:63], v[24:25], v[62:63]
	v_fma_f64 v[64:65], v[24:25], v[60:61], -v[64:65]
	s_delay_alu instid0(VALU_DEP_2) | instskip(NEXT) | instid1(VALU_DEP_2)
	v_fma_f64 v[60:61], v[26:27], v[60:61], v[62:63]
	v_add_f64_e32 v[62:63], v[20:21], v[64:65]
	v_mul_f64_e32 v[20:21], v[26:27], v[4:5]
	v_mul_f64_e32 v[4:5], v[24:25], v[4:5]
	s_delay_alu instid0(VALU_DEP_4) | instskip(NEXT) | instid1(VALU_DEP_3)
	v_add_f64_e32 v[60:61], v[60:61], v[22:23]
	v_fma_f64 v[20:21], v[24:25], v[2:3], -v[20:21]
	s_delay_alu instid0(VALU_DEP_3) | instskip(NEXT) | instid1(VALU_DEP_2)
	v_fma_f64 v[2:3], v[26:27], v[2:3], v[4:5]
	v_add_f64_e32 v[24:25], v[18:19], v[20:21]
	s_delay_alu instid0(VALU_DEP_2) | instskip(SKIP_4) | instid1(VALU_DEP_2)
	v_add_f64_e32 v[26:27], v[2:3], v[16:17]
	ds_load_b128 v[2:5], v38 offset:512
	s_wait_dscnt 0x0
	v_mul_f64_e32 v[16:17], v[50:51], v[4:5]
	v_mul_f64_e32 v[18:19], v[48:49], v[4:5]
	v_fma_f64 v[16:17], v[48:49], v[2:3], -v[16:17]
	s_delay_alu instid0(VALU_DEP_2) | instskip(NEXT) | instid1(VALU_DEP_2)
	v_fma_f64 v[18:19], v[50:51], v[2:3], v[18:19]
	v_add_f64_e32 v[64:65], v[66:67], v[16:17]
	s_delay_alu instid0(VALU_DEP_2) | instskip(SKIP_4) | instid1(VALU_DEP_2)
	v_add_f64_e32 v[28:29], v[18:19], v[28:29]
	ds_load_b128 v[16:19], v38 offset:768
	s_wait_dscnt 0x0
	v_mul_f64_e32 v[20:21], v[50:51], v[18:19]
	v_mul_f64_e32 v[22:23], v[48:49], v[18:19]
	v_fma_f64 v[20:21], v[48:49], v[16:17], -v[20:21]
	s_delay_alu instid0(VALU_DEP_2) | instskip(NEXT) | instid1(VALU_DEP_2)
	v_fma_f64 v[22:23], v[50:51], v[16:17], v[22:23]
	v_add_f64_e32 v[46:47], v[46:47], v[20:21]
	s_delay_alu instid0(VALU_DEP_2) | instskip(SKIP_4) | instid1(VALU_DEP_2)
	v_add_f64_e32 v[44:45], v[22:23], v[44:45]
	ds_load_b128 v[20:23], v39 offset:2064
	s_wait_dscnt 0x0
	v_mul_f64_e32 v[48:49], v[22:23], v[4:5]
	v_mul_f64_e32 v[4:5], v[20:21], v[4:5]
	v_fma_f64 v[48:49], v[20:21], v[2:3], -v[48:49]
	s_delay_alu instid0(VALU_DEP_2) | instskip(SKIP_1) | instid1(VALU_DEP_3)
	v_fma_f64 v[2:3], v[22:23], v[2:3], v[4:5]
	v_mul_f64_e32 v[4:5], v[20:21], v[18:19]
	v_add_f64_e32 v[48:49], v[62:63], v[48:49]
	s_delay_alu instid0(VALU_DEP_3) | instskip(SKIP_1) | instid1(VALU_DEP_4)
	v_add_f64_e32 v[50:51], v[2:3], v[60:61]
	v_mul_f64_e32 v[2:3], v[22:23], v[18:19]
	v_fma_f64 v[4:5], v[22:23], v[16:17], v[4:5]
	s_delay_alu instid0(VALU_DEP_2) | instskip(NEXT) | instid1(VALU_DEP_2)
	v_fma_f64 v[2:3], v[20:21], v[16:17], -v[2:3]
	v_add_f64_e32 v[26:27], v[4:5], v[26:27]
	s_delay_alu instid0(VALU_DEP_2) | instskip(SKIP_4) | instid1(VALU_DEP_2)
	v_add_f64_e32 v[24:25], v[24:25], v[2:3]
	ds_load_b128 v[2:5], v38 offset:1024
	s_wait_dscnt 0x0
	v_mul_f64_e32 v[16:17], v[54:55], v[4:5]
	v_mul_f64_e32 v[18:19], v[52:53], v[4:5]
	v_fma_f64 v[16:17], v[52:53], v[2:3], -v[16:17]
	s_delay_alu instid0(VALU_DEP_2) | instskip(NEXT) | instid1(VALU_DEP_2)
	v_fma_f64 v[18:19], v[54:55], v[2:3], v[18:19]
	v_add_f64_e32 v[60:61], v[64:65], v[16:17]
	s_delay_alu instid0(VALU_DEP_2) | instskip(SKIP_4) | instid1(VALU_DEP_2)
	v_add_f64_e32 v[28:29], v[18:19], v[28:29]
	ds_load_b128 v[16:19], v38 offset:1280
	s_wait_dscnt 0x0
	v_mul_f64_e32 v[20:21], v[54:55], v[18:19]
	v_mul_f64_e32 v[22:23], v[52:53], v[18:19]
	v_fma_f64 v[20:21], v[52:53], v[16:17], -v[20:21]
	s_delay_alu instid0(VALU_DEP_2) | instskip(NEXT) | instid1(VALU_DEP_2)
	v_fma_f64 v[22:23], v[54:55], v[16:17], v[22:23]
	v_add_f64_e32 v[46:47], v[46:47], v[20:21]
	s_delay_alu instid0(VALU_DEP_2) | instskip(SKIP_4) | instid1(VALU_DEP_2)
	v_add_f64_e32 v[44:45], v[22:23], v[44:45]
	ds_load_b128 v[20:23], v39 offset:2080
	s_wait_dscnt 0x0
	v_mul_f64_e32 v[52:53], v[22:23], v[4:5]
	v_mul_f64_e32 v[4:5], v[20:21], v[4:5]
	v_fma_f64 v[52:53], v[20:21], v[2:3], -v[52:53]
	s_delay_alu instid0(VALU_DEP_2) | instskip(SKIP_1) | instid1(VALU_DEP_3)
	v_fma_f64 v[2:3], v[22:23], v[2:3], v[4:5]
	v_mul_f64_e32 v[4:5], v[20:21], v[18:19]
	v_add_f64_e32 v[48:49], v[48:49], v[52:53]
	s_delay_alu instid0(VALU_DEP_3) | instskip(SKIP_1) | instid1(VALU_DEP_4)
	v_add_f64_e32 v[50:51], v[2:3], v[50:51]
	v_mul_f64_e32 v[2:3], v[22:23], v[18:19]
	v_fma_f64 v[4:5], v[22:23], v[16:17], v[4:5]
	s_delay_alu instid0(VALU_DEP_2) | instskip(NEXT) | instid1(VALU_DEP_2)
	v_fma_f64 v[2:3], v[20:21], v[16:17], -v[2:3]
	;; [unrolled: 38-line block ×3, first 2 shown]
	v_add_f64_e32 v[26:27], v[4:5], v[26:27]
	s_delay_alu instid0(VALU_DEP_2)
	v_add_f64_e32 v[24:25], v[24:25], v[2:3]
	ds_load_b128 v[2:5], v39 offset:64
	ds_load_b128 v[16:19], v38 offset:2048
	s_wait_dscnt 0x0
	v_mul_f64_e32 v[20:21], v[4:5], v[18:19]
	v_mul_f64_e32 v[22:23], v[2:3], v[18:19]
	s_delay_alu instid0(VALU_DEP_2) | instskip(NEXT) | instid1(VALU_DEP_2)
	v_fma_f64 v[20:21], v[2:3], v[16:17], -v[20:21]
	v_fma_f64 v[22:23], v[4:5], v[16:17], v[22:23]
	s_delay_alu instid0(VALU_DEP_2) | instskip(NEXT) | instid1(VALU_DEP_2)
	v_add_f64_e32 v[52:53], v[52:53], v[20:21]
	v_add_f64_e32 v[28:29], v[22:23], v[28:29]
	ds_load_b128 v[20:23], v38 offset:2304
	s_wait_dscnt 0x0
	v_mul_f64_e32 v[54:55], v[4:5], v[22:23]
	s_delay_alu instid0(VALU_DEP_1) | instskip(SKIP_1) | instid1(VALU_DEP_2)
	v_fma_f64 v[54:55], v[2:3], v[20:21], -v[54:55]
	v_mul_f64_e32 v[2:3], v[2:3], v[22:23]
	v_add_f64_e32 v[46:47], v[46:47], v[54:55]
	s_delay_alu instid0(VALU_DEP_2) | instskip(NEXT) | instid1(VALU_DEP_1)
	v_fma_f64 v[2:3], v[4:5], v[20:21], v[2:3]
	v_add_f64_e32 v[44:45], v[2:3], v[44:45]
	ds_load_b128 v[2:5], v39 offset:2112
	s_wait_dscnt 0x0
	v_mul_f64_e32 v[54:55], v[4:5], v[18:19]
	v_mul_f64_e32 v[18:19], v[2:3], v[18:19]
	s_delay_alu instid0(VALU_DEP_2) | instskip(NEXT) | instid1(VALU_DEP_2)
	v_fma_f64 v[54:55], v[2:3], v[16:17], -v[54:55]
	v_fma_f64 v[16:17], v[4:5], v[16:17], v[18:19]
	s_delay_alu instid0(VALU_DEP_2) | instskip(NEXT) | instid1(VALU_DEP_2)
	v_add_f64_e32 v[48:49], v[48:49], v[54:55]
	v_add_f64_e32 v[50:51], v[16:17], v[50:51]
	v_mul_f64_e32 v[16:17], v[4:5], v[22:23]
	s_delay_alu instid0(VALU_DEP_1) | instskip(SKIP_1) | instid1(VALU_DEP_2)
	v_fma_f64 v[16:17], v[2:3], v[20:21], -v[16:17]
	v_mul_f64_e32 v[2:3], v[2:3], v[22:23]
	v_add_f64_e32 v[24:25], v[24:25], v[16:17]
	s_delay_alu instid0(VALU_DEP_2) | instskip(NEXT) | instid1(VALU_DEP_1)
	v_fma_f64 v[2:3], v[4:5], v[20:21], v[2:3]
	v_add_f64_e32 v[26:27], v[2:3], v[26:27]
	ds_load_b128 v[2:5], v39 offset:80
	ds_load_b128 v[16:19], v38 offset:2560
	s_wait_dscnt 0x0
	v_mul_f64_e32 v[20:21], v[4:5], v[18:19]
	v_mul_f64_e32 v[22:23], v[2:3], v[18:19]
	s_delay_alu instid0(VALU_DEP_2) | instskip(NEXT) | instid1(VALU_DEP_2)
	v_fma_f64 v[20:21], v[2:3], v[16:17], -v[20:21]
	v_fma_f64 v[22:23], v[4:5], v[16:17], v[22:23]
	s_delay_alu instid0(VALU_DEP_2) | instskip(NEXT) | instid1(VALU_DEP_2)
	v_add_f64_e32 v[52:53], v[52:53], v[20:21]
	v_add_f64_e32 v[28:29], v[22:23], v[28:29]
	ds_load_b128 v[20:23], v38 offset:2816
	s_wait_dscnt 0x0
	v_mul_f64_e32 v[54:55], v[4:5], v[22:23]
	s_delay_alu instid0(VALU_DEP_1) | instskip(SKIP_1) | instid1(VALU_DEP_2)
	v_fma_f64 v[54:55], v[2:3], v[20:21], -v[54:55]
	v_mul_f64_e32 v[2:3], v[2:3], v[22:23]
	v_add_f64_e32 v[46:47], v[46:47], v[54:55]
	s_delay_alu instid0(VALU_DEP_2) | instskip(NEXT) | instid1(VALU_DEP_1)
	v_fma_f64 v[2:3], v[4:5], v[20:21], v[2:3]
	v_add_f64_e32 v[44:45], v[2:3], v[44:45]
	ds_load_b128 v[2:5], v39 offset:2128
	s_wait_dscnt 0x0
	v_mul_f64_e32 v[54:55], v[4:5], v[18:19]
	v_mul_f64_e32 v[18:19], v[2:3], v[18:19]
	s_delay_alu instid0(VALU_DEP_2) | instskip(NEXT) | instid1(VALU_DEP_2)
	v_fma_f64 v[54:55], v[2:3], v[16:17], -v[54:55]
	v_fma_f64 v[16:17], v[4:5], v[16:17], v[18:19]
	s_delay_alu instid0(VALU_DEP_2) | instskip(NEXT) | instid1(VALU_DEP_2)
	v_add_f64_e32 v[48:49], v[48:49], v[54:55]
	v_add_f64_e32 v[50:51], v[16:17], v[50:51]
	v_mul_f64_e32 v[16:17], v[4:5], v[22:23]
	s_delay_alu instid0(VALU_DEP_1) | instskip(SKIP_1) | instid1(VALU_DEP_2)
	v_fma_f64 v[16:17], v[2:3], v[20:21], -v[16:17]
	v_mul_f64_e32 v[2:3], v[2:3], v[22:23]
	v_add_f64_e32 v[24:25], v[24:25], v[16:17]
	s_delay_alu instid0(VALU_DEP_2) | instskip(NEXT) | instid1(VALU_DEP_1)
	v_fma_f64 v[2:3], v[4:5], v[20:21], v[2:3]
	v_add_f64_e32 v[26:27], v[2:3], v[26:27]
	ds_load_b128 v[2:5], v39 offset:96
	ds_load_b128 v[16:19], v38 offset:3072
	s_wait_dscnt 0x0
	v_mul_f64_e32 v[20:21], v[4:5], v[18:19]
	v_mul_f64_e32 v[22:23], v[2:3], v[18:19]
	s_delay_alu instid0(VALU_DEP_2) | instskip(NEXT) | instid1(VALU_DEP_2)
	v_fma_f64 v[20:21], v[2:3], v[16:17], -v[20:21]
	v_fma_f64 v[22:23], v[4:5], v[16:17], v[22:23]
	s_delay_alu instid0(VALU_DEP_2) | instskip(NEXT) | instid1(VALU_DEP_2)
	v_add_f64_e32 v[52:53], v[52:53], v[20:21]
	v_add_f64_e32 v[28:29], v[22:23], v[28:29]
	ds_load_b128 v[20:23], v38 offset:3328
	s_wait_dscnt 0x0
	v_mul_f64_e32 v[54:55], v[4:5], v[22:23]
	s_delay_alu instid0(VALU_DEP_1) | instskip(SKIP_1) | instid1(VALU_DEP_2)
	v_fma_f64 v[54:55], v[2:3], v[20:21], -v[54:55]
	v_mul_f64_e32 v[2:3], v[2:3], v[22:23]
	v_add_f64_e32 v[54:55], v[46:47], v[54:55]
	s_delay_alu instid0(VALU_DEP_2) | instskip(NEXT) | instid1(VALU_DEP_1)
	v_fma_f64 v[2:3], v[4:5], v[20:21], v[2:3]
	v_add_f64_e32 v[56:57], v[2:3], v[44:45]
	ds_load_b128 v[2:5], v39 offset:2144
	s_wait_dscnt 0x0
	v_mul_f64_e32 v[44:45], v[4:5], v[18:19]
	v_mul_f64_e32 v[18:19], v[2:3], v[18:19]
	s_delay_alu instid0(VALU_DEP_2) | instskip(NEXT) | instid1(VALU_DEP_2)
	v_fma_f64 v[44:45], v[2:3], v[16:17], -v[44:45]
	v_fma_f64 v[16:17], v[4:5], v[16:17], v[18:19]
	s_delay_alu instid0(VALU_DEP_2) | instskip(NEXT) | instid1(VALU_DEP_2)
	v_add_f64_e32 v[48:49], v[48:49], v[44:45]
	v_add_f64_e32 v[50:51], v[16:17], v[50:51]
	v_mul_f64_e32 v[16:17], v[4:5], v[22:23]
	s_delay_alu instid0(VALU_DEP_1) | instskip(SKIP_1) | instid1(VALU_DEP_2)
	v_fma_f64 v[16:17], v[2:3], v[20:21], -v[16:17]
	v_mul_f64_e32 v[2:3], v[2:3], v[22:23]
	v_add_f64_e32 v[58:59], v[24:25], v[16:17]
	s_delay_alu instid0(VALU_DEP_2)
	v_fma_f64 v[2:3], v[4:5], v[20:21], v[2:3]
	ds_load_b128 v[16:19], v39 offset:112
	ds_load_b128 v[20:23], v38 offset:3584
	;; [unrolled: 1-line block ×3, first 2 shown]
	s_wait_dscnt 0x1
	v_mul_f64_e32 v[24:25], v[16:17], v[22:23]
	v_mul_f64_e32 v[4:5], v[18:19], v[22:23]
	v_add_f64_e32 v[2:3], v[2:3], v[26:27]
	s_delay_alu instid0(VALU_DEP_3) | instskip(NEXT) | instid1(VALU_DEP_3)
	v_fma_f64 v[24:25], v[18:19], v[20:21], v[24:25]
	v_fma_f64 v[4:5], v[16:17], v[20:21], -v[4:5]
	s_delay_alu instid0(VALU_DEP_2) | instskip(SKIP_2) | instid1(VALU_DEP_3)
	v_add_f64_e32 v[28:29], v[24:25], v[28:29]
	s_wait_dscnt 0x0
	v_mul_f64_e32 v[24:25], v[18:19], v[46:47]
	v_add_f64_e32 v[4:5], v[52:53], v[4:5]
	s_delay_alu instid0(VALU_DEP_2) | instskip(SKIP_1) | instid1(VALU_DEP_2)
	v_fma_f64 v[24:25], v[16:17], v[44:45], -v[24:25]
	v_mul_f64_e32 v[16:17], v[16:17], v[46:47]
	v_add_f64_e32 v[24:25], v[54:55], v[24:25]
	s_delay_alu instid0(VALU_DEP_2) | instskip(NEXT) | instid1(VALU_DEP_1)
	v_fma_f64 v[16:17], v[18:19], v[44:45], v[16:17]
	v_add_f64_e32 v[26:27], v[16:17], v[56:57]
	ds_load_b128 v[16:19], v39 offset:2160
	s_wait_loadcnt_dscnt 0x0
	s_barrier_signal -1
	s_barrier_wait -1
	global_inv scope:SCOPE_SE
	v_mul_f64_e32 v[52:53], v[18:19], v[22:23]
	v_mul_f64_e32 v[22:23], v[16:17], v[22:23]
	s_delay_alu instid0(VALU_DEP_2) | instskip(NEXT) | instid1(VALU_DEP_2)
	v_fma_f64 v[52:53], v[16:17], v[20:21], -v[52:53]
	v_fma_f64 v[22:23], v[18:19], v[20:21], v[22:23]
	s_delay_alu instid0(VALU_DEP_2) | instskip(SKIP_1) | instid1(VALU_DEP_3)
	v_add_f64_e32 v[20:21], v[48:49], v[52:53]
	v_mul_f64_e32 v[48:49], v[18:19], v[46:47]
	v_add_f64_e32 v[22:23], v[22:23], v[50:51]
	s_delay_alu instid0(VALU_DEP_2) | instskip(SKIP_1) | instid1(VALU_DEP_1)
	v_fma_f64 v[48:49], v[16:17], v[44:45], -v[48:49]
	v_mul_f64_e32 v[16:17], v[16:17], v[46:47]
	v_fma_f64 v[16:17], v[18:19], v[44:45], v[16:17]
	s_delay_alu instid0(VALU_DEP_3) | instskip(NEXT) | instid1(VALU_DEP_2)
	v_add_f64_e32 v[18:19], v[58:59], v[48:49]
	v_add_f64_e32 v[16:17], v[16:17], v[2:3]
	s_wait_alu 0xfffe
	s_cbranch_vccz .LBB256_21
.LBB256_10:                             ;   Parent Loop BB256_7 Depth=1
                                        ; =>  This Inner Loop Header: Depth=2
	s_mov_b32 s18, 0
	s_mov_b32 s24, s10
	s_and_saveexec_b32 s19, s0
	s_cbranch_execnz .LBB256_18
; %bb.11:                               ;   in Loop: Header=BB256_10 Depth=2
	s_wait_alu 0xfffe
	s_or_b32 exec_lo, exec_lo, s19
	s_and_saveexec_b32 s19, s24
	s_wait_alu 0xfffe
	s_xor_b32 s19, exec_lo, s19
	s_cbranch_execnz .LBB256_19
.LBB256_12:                             ;   in Loop: Header=BB256_10 Depth=2
	s_wait_alu 0xfffe
	s_or_b32 exec_lo, exec_lo, s19
	s_and_saveexec_b32 s19, s18
	s_cbranch_execz .LBB256_14
.LBB256_13:                             ;   in Loop: Header=BB256_10 Depth=2
	v_lshlrev_b64_e32 v[2:3], 4, v[14:15]
	s_delay_alu instid0(VALU_DEP_1) | instskip(SKIP_1) | instid1(VALU_DEP_2)
	v_add_co_u32 v2, vcc_lo, v40, v2
	s_wait_alu 0xfffd
	v_add_co_ci_u32_e64 v3, null, v41, v3, vcc_lo
	global_load_b128 v[44:47], v[2:3], off
	s_wait_loadcnt 0x0
	ds_store_2addr_b64 v32, v[44:45], v[46:47] offset1:1
.LBB256_14:                             ;   in Loop: Header=BB256_10 Depth=2
	s_wait_alu 0xfffe
	s_or_b32 exec_lo, exec_lo, s19
	v_add_nc_u32_e32 v0, s2, v30
	s_delay_alu instid0(VALU_DEP_1)
	v_cmp_le_u64_e32 vcc_lo, s[8:9], v[0:1]
	s_or_b32 s18, vcc_lo, s15
	s_wait_alu 0xfffe
	s_and_saveexec_b32 s19, s18
	s_wait_alu 0xfffe
	s_xor_b32 s18, exec_lo, s19
; %bb.15:                               ;   in Loop: Header=BB256_10 Depth=2
	v_dual_mov_b32 v0, v1 :: v_dual_mov_b32 v3, v1
	v_mov_b32_e32 v2, v1
	ds_store_b128 v33, v[0:3]
; %bb.16:                               ;   in Loop: Header=BB256_10 Depth=2
	s_wait_alu 0xfffe
	s_and_not1_saveexec_b32 s18, s18
	s_cbranch_execz .LBB256_9
; %bb.17:                               ;   in Loop: Header=BB256_10 Depth=2
	v_mad_co_u64_u32 v[2:3], null, s20, v0, 0
	s_delay_alu instid0(VALU_DEP_1) | instskip(NEXT) | instid1(VALU_DEP_1)
	v_mad_co_u64_u32 v[44:45], null, s21, v0, v[3:4]
	v_mov_b32_e32 v3, v44
	s_delay_alu instid0(VALU_DEP_1) | instskip(NEXT) | instid1(VALU_DEP_1)
	v_lshlrev_b64_e32 v[2:3], 4, v[2:3]
	v_add_co_u32 v2, vcc_lo, v42, v2
	s_wait_alu 0xfffd
	s_delay_alu instid0(VALU_DEP_2)
	v_add_co_ci_u32_e64 v3, null, v43, v3, vcc_lo
	global_load_b128 v[44:47], v[2:3], off
	s_wait_loadcnt 0x0
	ds_store_2addr_b64 v33, v[44:45], v[46:47] offset1:1
	s_branch .LBB256_9
.LBB256_18:                             ;   in Loop: Header=BB256_10 Depth=2
	s_wait_alu 0xfffe
	v_add_nc_u32_e32 v0, s2, v31
	v_mov_b32_e32 v15, v1
	s_and_not1_b32 s24, s10, exec_lo
	s_mov_b32 s18, exec_lo
	s_delay_alu instid0(VALU_DEP_2) | instskip(SKIP_2) | instid1(SALU_CYCLE_1)
	v_cmp_le_u64_e32 vcc_lo, s[8:9], v[0:1]
	v_mov_b32_e32 v14, v0
	s_and_b32 s25, vcc_lo, exec_lo
	s_or_b32 s24, s24, s25
	s_or_b32 exec_lo, exec_lo, s19
	s_and_saveexec_b32 s19, s24
	s_wait_alu 0xfffe
	s_xor_b32 s19, exec_lo, s19
	s_cbranch_execz .LBB256_12
.LBB256_19:                             ;   in Loop: Header=BB256_10 Depth=2
	v_dual_mov_b32 v0, v1 :: v_dual_mov_b32 v3, v1
	v_mov_b32_e32 v2, v1
	s_and_not1_b32 s18, s18, exec_lo
	ds_store_b128 v32, v[0:3]
	s_wait_alu 0xfffe
	s_or_b32 exec_lo, exec_lo, s19
	s_and_saveexec_b32 s19, s18
	s_cbranch_execnz .LBB256_13
	s_branch .LBB256_14
.LBB256_20:                             ;   in Loop: Header=BB256_7 Depth=1
	v_mov_b32_e32 v28, 0
	v_mov_b32_e32 v26, 0
	v_dual_mov_b32 v22, 0 :: v_dual_mov_b32 v29, 0
	v_dual_mov_b32 v24, 0 :: v_dual_mov_b32 v27, 0
	;; [unrolled: 1-line block ×3, first 2 shown]
	v_mov_b32_e32 v18, 0
	v_dual_mov_b32 v16, 0 :: v_dual_mov_b32 v25, 0
	v_mov_b32_e32 v21, 0
	v_mov_b32_e32 v19, 0
	;; [unrolled: 1-line block ×3, first 2 shown]
.LBB256_21:                             ;   in Loop: Header=BB256_7 Depth=1
	s_mul_u64 s[2:3], s[30:31], s[6:7]
	s_wait_alu 0xfffe
	s_lshl_b64 s[2:3], s[2:3], 4
	s_wait_alu 0xfffe
	s_add_nc_u64 s[2:3], s[26:27], s[2:3]
	s_wait_alu 0xfffe
	v_add_co_u32 v0, vcc_lo, s2, v10
	s_wait_alu 0xfffd
	v_add_co_ci_u32_e64 v40, null, s3, v11, vcc_lo
	s_and_saveexec_b32 s18, s12
	s_cbranch_execz .LBB256_26
; %bb.22:                               ;   in Loop: Header=BB256_7 Depth=1
	v_mul_f64_e32 v[2:3], s[42:43], v[28:29]
	v_mul_f64_e32 v[28:29], s[40:41], v[28:29]
	s_and_b32 vcc_lo, exec_lo, s11
	s_mov_b32 s19, -1
	s_delay_alu instid0(VALU_DEP_2) | instskip(NEXT) | instid1(VALU_DEP_2)
	v_fma_f64 v[2:3], s[40:41], v[4:5], -v[2:3]
	v_fma_f64 v[4:5], s[42:43], v[4:5], v[28:29]
	s_wait_alu 0xfffe
	s_cbranch_vccz .LBB256_24
; %bb.23:                               ;   in Loop: Header=BB256_7 Depth=1
	v_lshlrev_b64_e32 v[28:29], 4, v[6:7]
	s_mov_b32 s19, 0
	s_delay_alu instid0(VALU_DEP_1) | instskip(SKIP_1) | instid1(VALU_DEP_2)
	v_add_co_u32 v28, vcc_lo, v0, v28
	s_wait_alu 0xfffd
	v_add_co_ci_u32_e64 v29, null, v40, v29, vcc_lo
	global_load_b128 v[41:44], v[28:29], off
	s_wait_loadcnt 0x0
	v_mul_f64_e32 v[45:46], s[38:39], v[43:44]
	v_mul_f64_e32 v[43:44], s[36:37], v[43:44]
	s_delay_alu instid0(VALU_DEP_2) | instskip(NEXT) | instid1(VALU_DEP_2)
	v_fma_f64 v[45:46], s[36:37], v[41:42], -v[45:46]
	v_fma_f64 v[43:44], s[38:39], v[41:42], v[43:44]
	s_delay_alu instid0(VALU_DEP_2) | instskip(NEXT) | instid1(VALU_DEP_2)
	v_add_f64_e32 v[41:42], v[2:3], v[45:46]
	v_add_f64_e32 v[43:44], v[4:5], v[43:44]
	global_store_b128 v[28:29], v[41:44], off
.LBB256_24:                             ;   in Loop: Header=BB256_7 Depth=1
	s_wait_alu 0xfffe
	s_and_not1_b32 vcc_lo, exec_lo, s19
	s_wait_alu 0xfffe
	s_cbranch_vccnz .LBB256_26
; %bb.25:                               ;   in Loop: Header=BB256_7 Depth=1
	v_lshlrev_b64_e32 v[28:29], 4, v[6:7]
	s_delay_alu instid0(VALU_DEP_1) | instskip(SKIP_1) | instid1(VALU_DEP_2)
	v_add_co_u32 v28, vcc_lo, v0, v28
	s_wait_alu 0xfffd
	v_add_co_ci_u32_e64 v29, null, v40, v29, vcc_lo
	global_store_b128 v[28:29], v[2:5], off
.LBB256_26:                             ;   in Loop: Header=BB256_7 Depth=1
	s_wait_alu 0xfffe
	s_or_b32 exec_lo, exec_lo, s18
	s_and_saveexec_b32 s18, s13
	s_cbranch_execz .LBB256_31
; %bb.27:                               ;   in Loop: Header=BB256_7 Depth=1
	v_mul_f64_e32 v[2:3], s[42:43], v[26:27]
	v_mul_f64_e32 v[4:5], s[40:41], v[26:27]
	s_and_not1_b32 vcc_lo, exec_lo, s11
	s_mov_b32 s19, -1
	s_delay_alu instid0(VALU_DEP_2) | instskip(NEXT) | instid1(VALU_DEP_2)
	v_fma_f64 v[2:3], s[40:41], v[24:25], -v[2:3]
	v_fma_f64 v[4:5], s[42:43], v[24:25], v[4:5]
	s_wait_alu 0xfffe
	s_cbranch_vccnz .LBB256_29
; %bb.28:                               ;   in Loop: Header=BB256_7 Depth=1
	v_lshlrev_b64_e32 v[24:25], 4, v[8:9]
	s_mov_b32 s19, 0
	s_delay_alu instid0(VALU_DEP_1) | instskip(SKIP_1) | instid1(VALU_DEP_2)
	v_add_co_u32 v28, vcc_lo, v0, v24
	s_wait_alu 0xfffd
	v_add_co_ci_u32_e64 v29, null, v40, v25, vcc_lo
	global_load_b128 v[24:27], v[28:29], off
	s_wait_loadcnt 0x0
	v_mul_f64_e32 v[41:42], s[38:39], v[26:27]
	v_mul_f64_e32 v[26:27], s[36:37], v[26:27]
	s_delay_alu instid0(VALU_DEP_2) | instskip(NEXT) | instid1(VALU_DEP_2)
	v_fma_f64 v[41:42], s[36:37], v[24:25], -v[41:42]
	v_fma_f64 v[26:27], s[38:39], v[24:25], v[26:27]
	s_delay_alu instid0(VALU_DEP_2) | instskip(NEXT) | instid1(VALU_DEP_2)
	v_add_f64_e32 v[24:25], v[2:3], v[41:42]
	v_add_f64_e32 v[26:27], v[4:5], v[26:27]
	global_store_b128 v[28:29], v[24:27], off
.LBB256_29:                             ;   in Loop: Header=BB256_7 Depth=1
	s_wait_alu 0xfffe
	s_and_not1_b32 vcc_lo, exec_lo, s19
	s_wait_alu 0xfffe
	s_cbranch_vccnz .LBB256_31
; %bb.30:                               ;   in Loop: Header=BB256_7 Depth=1
	v_lshlrev_b64_e32 v[24:25], 4, v[8:9]
	s_delay_alu instid0(VALU_DEP_1) | instskip(SKIP_1) | instid1(VALU_DEP_2)
	v_add_co_u32 v24, vcc_lo, v0, v24
	s_wait_alu 0xfffd
	v_add_co_ci_u32_e64 v25, null, v40, v25, vcc_lo
	global_store_b128 v[24:25], v[2:5], off
.LBB256_31:                             ;   in Loop: Header=BB256_7 Depth=1
	s_wait_alu 0xfffe
	s_or_b32 exec_lo, exec_lo, s18
	v_add_co_u32 v0, vcc_lo, s2, v12
	s_wait_alu 0xfffd
	v_add_co_ci_u32_e64 v24, null, s3, v13, vcc_lo
	s_and_saveexec_b32 s2, s4
	s_cbranch_execz .LBB256_36
; %bb.32:                               ;   in Loop: Header=BB256_7 Depth=1
	v_mul_f64_e32 v[2:3], s[42:43], v[22:23]
	v_mul_f64_e32 v[4:5], s[40:41], v[22:23]
	s_and_not1_b32 vcc_lo, exec_lo, s11
	s_mov_b32 s3, -1
	s_delay_alu instid0(VALU_DEP_2) | instskip(NEXT) | instid1(VALU_DEP_2)
	v_fma_f64 v[2:3], s[40:41], v[20:21], -v[2:3]
	v_fma_f64 v[4:5], s[42:43], v[20:21], v[4:5]
	v_lshlrev_b64_e32 v[20:21], 4, v[6:7]
	s_wait_alu 0xfffe
	s_cbranch_vccnz .LBB256_34
; %bb.33:                               ;   in Loop: Header=BB256_7 Depth=1
	s_delay_alu instid0(VALU_DEP_1) | instskip(SKIP_1) | instid1(VALU_DEP_2)
	v_add_co_u32 v22, vcc_lo, v0, v20
	s_wait_alu 0xfffd
	v_add_co_ci_u32_e64 v23, null, v24, v21, vcc_lo
	s_mov_b32 s3, 0
	global_load_b128 v[25:28], v[22:23], off
	s_wait_loadcnt 0x0
	v_mul_f64_e32 v[40:41], s[38:39], v[27:28]
	v_mul_f64_e32 v[27:28], s[36:37], v[27:28]
	s_delay_alu instid0(VALU_DEP_2) | instskip(NEXT) | instid1(VALU_DEP_2)
	v_fma_f64 v[40:41], s[36:37], v[25:26], -v[40:41]
	v_fma_f64 v[27:28], s[38:39], v[25:26], v[27:28]
	s_delay_alu instid0(VALU_DEP_2) | instskip(NEXT) | instid1(VALU_DEP_2)
	v_add_f64_e32 v[25:26], v[2:3], v[40:41]
	v_add_f64_e32 v[27:28], v[4:5], v[27:28]
	global_store_b128 v[22:23], v[25:28], off
.LBB256_34:                             ;   in Loop: Header=BB256_7 Depth=1
	s_wait_alu 0xfffe
	s_and_not1_b32 vcc_lo, exec_lo, s3
	s_wait_alu 0xfffe
	s_cbranch_vccnz .LBB256_36
; %bb.35:                               ;   in Loop: Header=BB256_7 Depth=1
	v_add_co_u32 v20, vcc_lo, v0, v20
	s_wait_alu 0xfffd
	v_add_co_ci_u32_e64 v21, null, v24, v21, vcc_lo
	global_store_b128 v[20:21], v[2:5], off
.LBB256_36:                             ;   in Loop: Header=BB256_7 Depth=1
	s_wait_alu 0xfffe
	s_or_b32 exec_lo, exec_lo, s2
	s_and_saveexec_b32 s2, s1
	s_cbranch_execz .LBB256_6
; %bb.37:                               ;   in Loop: Header=BB256_7 Depth=1
	v_mul_f64_e32 v[2:3], s[42:43], v[16:17]
	v_mul_f64_e32 v[4:5], s[40:41], v[16:17]
	v_lshlrev_b64_e32 v[16:17], 4, v[8:9]
	s_and_not1_b32 vcc_lo, exec_lo, s11
	s_mov_b32 s3, -1
	s_delay_alu instid0(VALU_DEP_3) | instskip(NEXT) | instid1(VALU_DEP_3)
	v_fma_f64 v[2:3], s[40:41], v[18:19], -v[2:3]
	v_fma_f64 v[4:5], s[42:43], v[18:19], v[4:5]
	s_wait_alu 0xfffe
	s_cbranch_vccnz .LBB256_39
; %bb.38:                               ;   in Loop: Header=BB256_7 Depth=1
	v_add_co_u32 v22, vcc_lo, v0, v16
	s_wait_alu 0xfffd
	v_add_co_ci_u32_e64 v23, null, v24, v17, vcc_lo
	s_mov_b32 s3, 0
	global_load_b128 v[18:21], v[22:23], off
	s_wait_loadcnt 0x0
	v_mul_f64_e32 v[25:26], s[38:39], v[20:21]
	v_mul_f64_e32 v[20:21], s[36:37], v[20:21]
	s_delay_alu instid0(VALU_DEP_2) | instskip(NEXT) | instid1(VALU_DEP_2)
	v_fma_f64 v[25:26], s[36:37], v[18:19], -v[25:26]
	v_fma_f64 v[20:21], s[38:39], v[18:19], v[20:21]
	s_delay_alu instid0(VALU_DEP_2) | instskip(NEXT) | instid1(VALU_DEP_2)
	v_add_f64_e32 v[18:19], v[2:3], v[25:26]
	v_add_f64_e32 v[20:21], v[4:5], v[20:21]
	global_store_b128 v[22:23], v[18:21], off
.LBB256_39:                             ;   in Loop: Header=BB256_7 Depth=1
	s_wait_alu 0xfffe
	s_and_not1_b32 vcc_lo, exec_lo, s3
	s_wait_alu 0xfffe
	s_cbranch_vccnz .LBB256_6
; %bb.40:                               ;   in Loop: Header=BB256_7 Depth=1
	v_add_co_u32 v16, vcc_lo, v0, v16
	s_wait_alu 0xfffd
	v_add_co_ci_u32_e64 v17, null, v24, v17, vcc_lo
	global_store_b128 v[16:17], v[2:5], off
	s_branch .LBB256_6
.LBB256_41:
.LBB256_42:
	s_endpgm
	.section	.rodata,"a",@progbits
	.p2align	6, 0x0
	.amdhsa_kernel _ZL29rocblas_internal_gemmt_kernelIlLi16ELi32ELi8ELc84ELc84ELc85ELb0ELb0E19rocblas_complex_numIdEPKS1_S3_PS1_EviT_T9_T10_S5_lS7_S5_lS6_T11_S5_li
		.amdhsa_group_segment_fixed_size 8192
		.amdhsa_private_segment_fixed_size 0
		.amdhsa_kernarg_size 108
		.amdhsa_user_sgpr_count 2
		.amdhsa_user_sgpr_dispatch_ptr 0
		.amdhsa_user_sgpr_queue_ptr 0
		.amdhsa_user_sgpr_kernarg_segment_ptr 1
		.amdhsa_user_sgpr_dispatch_id 0
		.amdhsa_user_sgpr_private_segment_size 0
		.amdhsa_wavefront_size32 1
		.amdhsa_uses_dynamic_stack 0
		.amdhsa_enable_private_segment 0
		.amdhsa_system_sgpr_workgroup_id_x 1
		.amdhsa_system_sgpr_workgroup_id_y 1
		.amdhsa_system_sgpr_workgroup_id_z 1
		.amdhsa_system_sgpr_workgroup_info 0
		.amdhsa_system_vgpr_workitem_id 1
		.amdhsa_next_free_vgpr 68
		.amdhsa_next_free_sgpr 44
		.amdhsa_reserve_vcc 1
		.amdhsa_float_round_mode_32 0
		.amdhsa_float_round_mode_16_64 0
		.amdhsa_float_denorm_mode_32 3
		.amdhsa_float_denorm_mode_16_64 3
		.amdhsa_fp16_overflow 0
		.amdhsa_workgroup_processor_mode 1
		.amdhsa_memory_ordered 1
		.amdhsa_forward_progress 1
		.amdhsa_inst_pref_size 30
		.amdhsa_round_robin_scheduling 0
		.amdhsa_exception_fp_ieee_invalid_op 0
		.amdhsa_exception_fp_denorm_src 0
		.amdhsa_exception_fp_ieee_div_zero 0
		.amdhsa_exception_fp_ieee_overflow 0
		.amdhsa_exception_fp_ieee_underflow 0
		.amdhsa_exception_fp_ieee_inexact 0
		.amdhsa_exception_int_div_zero 0
	.end_amdhsa_kernel
	.section	.text._ZL29rocblas_internal_gemmt_kernelIlLi16ELi32ELi8ELc84ELc84ELc85ELb0ELb0E19rocblas_complex_numIdEPKS1_S3_PS1_EviT_T9_T10_S5_lS7_S5_lS6_T11_S5_li,"axG",@progbits,_ZL29rocblas_internal_gemmt_kernelIlLi16ELi32ELi8ELc84ELc84ELc85ELb0ELb0E19rocblas_complex_numIdEPKS1_S3_PS1_EviT_T9_T10_S5_lS7_S5_lS6_T11_S5_li,comdat
.Lfunc_end256:
	.size	_ZL29rocblas_internal_gemmt_kernelIlLi16ELi32ELi8ELc84ELc84ELc85ELb0ELb0E19rocblas_complex_numIdEPKS1_S3_PS1_EviT_T9_T10_S5_lS7_S5_lS6_T11_S5_li, .Lfunc_end256-_ZL29rocblas_internal_gemmt_kernelIlLi16ELi32ELi8ELc84ELc84ELc85ELb0ELb0E19rocblas_complex_numIdEPKS1_S3_PS1_EviT_T9_T10_S5_lS7_S5_lS6_T11_S5_li
                                        ; -- End function
	.set _ZL29rocblas_internal_gemmt_kernelIlLi16ELi32ELi8ELc84ELc84ELc85ELb0ELb0E19rocblas_complex_numIdEPKS1_S3_PS1_EviT_T9_T10_S5_lS7_S5_lS6_T11_S5_li.num_vgpr, 68
	.set _ZL29rocblas_internal_gemmt_kernelIlLi16ELi32ELi8ELc84ELc84ELc85ELb0ELb0E19rocblas_complex_numIdEPKS1_S3_PS1_EviT_T9_T10_S5_lS7_S5_lS6_T11_S5_li.num_agpr, 0
	.set _ZL29rocblas_internal_gemmt_kernelIlLi16ELi32ELi8ELc84ELc84ELc85ELb0ELb0E19rocblas_complex_numIdEPKS1_S3_PS1_EviT_T9_T10_S5_lS7_S5_lS6_T11_S5_li.numbered_sgpr, 44
	.set _ZL29rocblas_internal_gemmt_kernelIlLi16ELi32ELi8ELc84ELc84ELc85ELb0ELb0E19rocblas_complex_numIdEPKS1_S3_PS1_EviT_T9_T10_S5_lS7_S5_lS6_T11_S5_li.num_named_barrier, 0
	.set _ZL29rocblas_internal_gemmt_kernelIlLi16ELi32ELi8ELc84ELc84ELc85ELb0ELb0E19rocblas_complex_numIdEPKS1_S3_PS1_EviT_T9_T10_S5_lS7_S5_lS6_T11_S5_li.private_seg_size, 0
	.set _ZL29rocblas_internal_gemmt_kernelIlLi16ELi32ELi8ELc84ELc84ELc85ELb0ELb0E19rocblas_complex_numIdEPKS1_S3_PS1_EviT_T9_T10_S5_lS7_S5_lS6_T11_S5_li.uses_vcc, 1
	.set _ZL29rocblas_internal_gemmt_kernelIlLi16ELi32ELi8ELc84ELc84ELc85ELb0ELb0E19rocblas_complex_numIdEPKS1_S3_PS1_EviT_T9_T10_S5_lS7_S5_lS6_T11_S5_li.uses_flat_scratch, 0
	.set _ZL29rocblas_internal_gemmt_kernelIlLi16ELi32ELi8ELc84ELc84ELc85ELb0ELb0E19rocblas_complex_numIdEPKS1_S3_PS1_EviT_T9_T10_S5_lS7_S5_lS6_T11_S5_li.has_dyn_sized_stack, 0
	.set _ZL29rocblas_internal_gemmt_kernelIlLi16ELi32ELi8ELc84ELc84ELc85ELb0ELb0E19rocblas_complex_numIdEPKS1_S3_PS1_EviT_T9_T10_S5_lS7_S5_lS6_T11_S5_li.has_recursion, 0
	.set _ZL29rocblas_internal_gemmt_kernelIlLi16ELi32ELi8ELc84ELc84ELc85ELb0ELb0E19rocblas_complex_numIdEPKS1_S3_PS1_EviT_T9_T10_S5_lS7_S5_lS6_T11_S5_li.has_indirect_call, 0
	.section	.AMDGPU.csdata,"",@progbits
; Kernel info:
; codeLenInByte = 3828
; TotalNumSgprs: 46
; NumVgprs: 68
; ScratchSize: 0
; MemoryBound: 0
; FloatMode: 240
; IeeeMode: 1
; LDSByteSize: 8192 bytes/workgroup (compile time only)
; SGPRBlocks: 0
; VGPRBlocks: 8
; NumSGPRsForWavesPerEU: 46
; NumVGPRsForWavesPerEU: 68
; Occupancy: 16
; WaveLimiterHint : 0
; COMPUTE_PGM_RSRC2:SCRATCH_EN: 0
; COMPUTE_PGM_RSRC2:USER_SGPR: 2
; COMPUTE_PGM_RSRC2:TRAP_HANDLER: 0
; COMPUTE_PGM_RSRC2:TGID_X_EN: 1
; COMPUTE_PGM_RSRC2:TGID_Y_EN: 1
; COMPUTE_PGM_RSRC2:TGID_Z_EN: 1
; COMPUTE_PGM_RSRC2:TIDIG_COMP_CNT: 1
	.section	.text._ZL29rocblas_internal_gemmt_kernelIlLi16ELi32ELi8ELc84ELc67ELc85ELb0ELb1E19rocblas_complex_numIdEPKS1_S3_PS1_EviT_T9_T10_S5_lS7_S5_lS6_T11_S5_li,"axG",@progbits,_ZL29rocblas_internal_gemmt_kernelIlLi16ELi32ELi8ELc84ELc67ELc85ELb0ELb1E19rocblas_complex_numIdEPKS1_S3_PS1_EviT_T9_T10_S5_lS7_S5_lS6_T11_S5_li,comdat
	.globl	_ZL29rocblas_internal_gemmt_kernelIlLi16ELi32ELi8ELc84ELc67ELc85ELb0ELb1E19rocblas_complex_numIdEPKS1_S3_PS1_EviT_T9_T10_S5_lS7_S5_lS6_T11_S5_li ; -- Begin function _ZL29rocblas_internal_gemmt_kernelIlLi16ELi32ELi8ELc84ELc67ELc85ELb0ELb1E19rocblas_complex_numIdEPKS1_S3_PS1_EviT_T9_T10_S5_lS7_S5_lS6_T11_S5_li
	.p2align	8
	.type	_ZL29rocblas_internal_gemmt_kernelIlLi16ELi32ELi8ELc84ELc67ELc85ELb0ELb1E19rocblas_complex_numIdEPKS1_S3_PS1_EviT_T9_T10_S5_lS7_S5_lS6_T11_S5_li,@function
_ZL29rocblas_internal_gemmt_kernelIlLi16ELi32ELi8ELc84ELc67ELc85ELb0ELb1E19rocblas_complex_numIdEPKS1_S3_PS1_EviT_T9_T10_S5_lS7_S5_lS6_T11_S5_li: ; @_ZL29rocblas_internal_gemmt_kernelIlLi16ELi32ELi8ELc84ELc67ELc85ELb0ELb1E19rocblas_complex_numIdEPKS1_S3_PS1_EviT_T9_T10_S5_lS7_S5_lS6_T11_S5_li
; %bb.0:
	s_clause 0x1
	s_load_b256 s[20:27], s[0:1], 0x48
	s_load_b512 s[4:19], s[0:1], 0x8
	s_wait_kmcnt 0x0
	s_load_b128 s[28:31], s[20:21], 0x0
	s_load_b128 s[36:39], s[6:7], 0x0
	s_wait_kmcnt 0x0
	v_cmp_eq_f64_e64 s3, s[28:29], 1.0
	v_cmp_eq_f64_e64 s2, s[30:31], 0
	s_and_b32 s3, s3, s2
	s_delay_alu instid0(SALU_CYCLE_1)
	s_and_not1_b32 vcc_lo, exec_lo, s3
	s_mov_b32 s3, -1
	s_cbranch_vccnz .LBB257_3
; %bb.1:
	s_cmp_lg_u64 s[4:5], 0
	s_cbranch_scc0 .LBB257_39
; %bb.2:
	v_cmp_neq_f64_e64 s3, s[36:37], 0
	v_cmp_neq_f64_e64 s6, s[38:39], 0
	s_or_b32 s3, s3, s6
.LBB257_3:
	s_delay_alu instid0(SALU_CYCLE_1)
	s_and_b32 vcc_lo, exec_lo, s3
	s_cbranch_vccz .LBB257_40
; %bb.4:
	s_load_b32 s20, s[0:1], 0x68
	s_lshr_b32 s6, ttmp7, 16
	s_wait_kmcnt 0x0
	s_cmp_ge_u32 s6, s20
	s_cbranch_scc1 .LBB257_40
; %bb.5:
	v_dual_mov_b32 v1, 0 :: v_dual_and_b32 v6, 0x3ff, v0
	v_bfe_u32 v7, v0, 10, 10
	v_and_b32_e32 v32, 7, v0
	v_cmp_neq_f64_e64 s3, s[36:37], 0
	v_cmp_neq_f64_e64 s7, s[38:39], 0
	s_lshl_b32 s33, ttmp9, 5
	v_lshl_add_u32 v4, v7, 4, v6
	s_load_b32 s21, s[0:1], 0x0
	s_ashr_i32 s1, s33, 31
	s_lshl_b32 s0, ttmp7, 5
	s_mul_i32 s1, s10, s1
	v_and_b32_e32 v0, 31, v4
	s_and_b32 s0, s0, 0x1fffe0
	v_lshrrev_b32_e32 v9, 3, v4
	v_add_nc_u32_e32 v12, s0, v7
	v_cmp_neq_f64_e64 s35, s[28:29], 0
	v_or_b32_e32 v5, s33, v0
	v_lshlrev_b32_e32 v10, 4, v32
	v_lshrrev_b32_e32 v33, 5, v4
	v_add_nc_u32_e32 v4, s0, v9
	v_lshlrev_b32_e32 v0, 4, v0
	v_mul_lo_u32 v8, s11, v5
	v_mad_co_u64_u32 v[2:3], null, s10, v5, 0
	v_add_nc_u32_e32 v13, 16, v12
	s_delay_alu instid0(VALU_DEP_4)
	v_lshl_or_b32 v34, v33, 9, v0
	v_lshlrev_b32_e32 v0, 4, v4
	s_wait_kmcnt 0x0
	v_cmp_gt_i32_e64 s0, s21, v5
	v_cmp_le_i32_e64 s10, s21, v5
	v_lshl_add_u32 v41, v7, 7, 0x1000
	v_add3_u32 v3, v3, s1, v8
	v_lshl_or_b32 v8, v9, 7, v10
	v_cmp_gt_i32_e64 s1, s21, v4
	v_mad_co_u64_u32 v[4:5], null, s24, v13, 0
	s_delay_alu instid0(VALU_DEP_4) | instskip(SKIP_3) | instid1(VALU_DEP_4)
	v_lshlrev_b64_e32 v[2:3], 4, v[2:3]
	v_lshlrev_b32_e32 v40, 4, v6
	v_add_nc_u32_e32 v6, s33, v6
	v_cmp_gt_i64_e64 s34, s[4:5], 0
                                        ; implicit-def: $vgpr14_vgpr15
	v_add_co_u32 v36, vcc_lo, s8, v2
	s_delay_alu instid0(VALU_DEP_1) | instskip(SKIP_4) | instid1(VALU_DEP_1)
	v_add_co_ci_u32_e64 v37, null, s9, v3, vcc_lo
	v_mad_co_u64_u32 v[2:3], null, s24, v12, 0
	v_add_nc_u32_e32 v35, 0x1000, v8
	s_or_b32 s7, s3, s7
	v_add_co_u32 v38, s3, s14, v0
	v_add_co_ci_u32_e64 v39, null, s15, 0, s3
	s_delay_alu instid0(VALU_DEP_4)
	v_mov_b32_e32 v0, v3
	s_xor_b32 s8, s2, -1
	v_cmp_gt_i32_e32 vcc_lo, s21, v12
	v_cmp_le_i32_e64 s2, v6, v12
	s_wait_alu 0xfffe
	s_or_b32 s8, s35, s8
	v_mad_co_u64_u32 v[7:8], null, s25, v12, v[0:1]
	v_mov_b32_e32 v0, v5
	v_add_nc_u32_e32 v8, 16, v6
	s_and_b32 s9, vcc_lo, s2
	v_cmp_le_i32_e64 s2, v6, v13
	s_and_b32 s14, s7, s34
	v_mad_co_u64_u32 v[10:11], null, s25, v13, v[0:1]
	v_cmp_le_i32_e64 s3, v8, v12
	v_mov_b32_e32 v3, v7
	v_ashrrev_i32_e32 v7, 31, v6
	v_ashrrev_i32_e32 v9, 31, v8
	s_mov_b32 s7, 0
	s_and_b32 s11, vcc_lo, s3
	v_mov_b32_e32 v5, v10
	v_cmp_gt_i32_e32 vcc_lo, s21, v13
	v_cmp_le_i32_e64 s3, v8, v13
	v_lshlrev_b64_e32 v[10:11], 4, v[2:3]
	s_delay_alu instid0(VALU_DEP_4)
	v_lshlrev_b64_e32 v[12:13], 4, v[4:5]
	s_and_b32 s15, vcc_lo, s2
	s_and_b32 s21, vcc_lo, s3
	s_branch .LBB257_7
.LBB257_6:                              ;   in Loop: Header=BB257_7 Depth=1
	s_wait_alu 0xfffe
	s_or_b32 exec_lo, exec_lo, s2
	s_add_co_i32 s6, s6, 0x10000
	s_delay_alu instid0(SALU_CYCLE_1)
	s_cmp_lt_u32 s6, s20
	s_cbranch_scc0 .LBB257_40
.LBB257_7:                              ; =>This Loop Header: Depth=1
                                        ;     Child Loop BB257_10 Depth 2
	v_mov_b32_e32 v28, 0
	v_mov_b32_e32 v29, 0
	s_wait_alu 0xfffe
	s_and_not1_b32 vcc_lo, exec_lo, s14
	s_wait_alu 0xfffe
	s_cbranch_vccnz .LBB257_18
; %bb.8:                                ;   in Loop: Header=BB257_7 Depth=1
	s_mul_u64 s[2:3], s[12:13], s[6:7]
	s_mul_u64 s[24:25], s[18:19], s[6:7]
	s_wait_alu 0xfffe
	s_lshl_b64 s[2:3], s[2:3], 4
	v_mov_b32_e32 v16, 0
	s_wait_alu 0xfffe
	v_add_co_u32 v42, vcc_lo, v36, s2
	s_wait_alu 0xfffd
	v_add_co_ci_u32_e64 v43, null, s3, v37, vcc_lo
	s_lshl_b64 s[2:3], s[24:25], 4
	v_mov_b32_e32 v22, 0
	v_mov_b32_e32 v26, 0
	;; [unrolled: 1-line block ×3, first 2 shown]
	s_wait_alu 0xfffe
	v_add_co_u32 v44, vcc_lo, v38, s2
	v_dual_mov_b32 v17, 0 :: v_dual_mov_b32 v18, 0
	v_dual_mov_b32 v23, 0 :: v_dual_mov_b32 v20, 0
	;; [unrolled: 1-line block ×4, first 2 shown]
	v_mov_b32_e32 v19, 0
	v_mov_b32_e32 v21, 0
	;; [unrolled: 1-line block ×4, first 2 shown]
	s_wait_alu 0xfffd
	v_add_co_ci_u32_e64 v45, null, s3, v39, vcc_lo
	s_mov_b64 s[2:3], 0
	s_branch .LBB257_10
.LBB257_9:                              ;   in Loop: Header=BB257_10 Depth=2
	s_wait_alu 0xfffe
	s_or_b32 exec_lo, exec_lo, s24
	ds_store_b128 v35, v[2:5]
	s_wait_dscnt 0x0
	s_barrier_signal -1
	s_barrier_wait -1
	global_inv scope:SCOPE_SE
	ds_load_b128 v[2:5], v41
	ds_load_b128 v[46:49], v40
	ds_load_b128 v[50:53], v40 offset:256
	ds_load_b128 v[54:57], v41 offset:2048
	ds_load_b128 v[58:61], v41 offset:16
	ds_load_b128 v[62:65], v41 offset:2064
	ds_load_b128 v[66:69], v40 offset:512
	ds_load_b128 v[70:73], v40 offset:768
	ds_load_b128 v[74:77], v41 offset:32
	ds_load_b128 v[78:81], v40 offset:1024
	ds_load_b128 v[82:85], v40 offset:1280
	ds_load_b128 v[86:89], v41 offset:2080
	s_add_nc_u64 s[2:3], s[2:3], 8
	s_wait_alu 0xfffe
	v_cmp_gt_i64_e64 s24, s[4:5], s[2:3]
	s_and_b32 vcc_lo, exec_lo, s24
	s_wait_dscnt 0xa
	v_mul_f64_e32 v[90:91], v[4:5], v[48:49]
	v_mul_f64_e32 v[92:93], v[2:3], v[48:49]
	s_wait_dscnt 0x9
	v_mul_f64_e32 v[94:95], v[4:5], v[52:53]
	v_mul_f64_e32 v[96:97], v[2:3], v[52:53]
	;; [unrolled: 3-line block ×3, first 2 shown]
	v_mul_f64_e32 v[100:101], v[56:57], v[52:53]
	v_mul_f64_e32 v[52:53], v[54:55], v[52:53]
	s_wait_dscnt 0x5
	v_mul_f64_e32 v[102:103], v[60:61], v[68:69]
	v_mul_f64_e32 v[104:105], v[58:59], v[68:69]
	s_wait_dscnt 0x4
	v_mul_f64_e32 v[106:107], v[60:61], v[72:73]
	v_mul_f64_e32 v[108:109], v[58:59], v[72:73]
	;; [unrolled: 1-line block ×6, first 2 shown]
	s_wait_dscnt 0x2
	v_mul_f64_e32 v[118:119], v[76:77], v[80:81]
	v_mul_f64_e32 v[120:121], v[74:75], v[80:81]
	s_wait_dscnt 0x1
	v_mul_f64_e32 v[122:123], v[76:77], v[84:85]
	v_mul_f64_e32 v[124:125], v[74:75], v[84:85]
	;; [unrolled: 3-line block ×3, first 2 shown]
	v_mul_f64_e32 v[128:129], v[88:89], v[84:85]
	v_mul_f64_e32 v[84:85], v[86:87], v[84:85]
	v_fma_f64 v[90:91], v[2:3], v[46:47], -v[90:91]
	v_fma_f64 v[92:93], v[4:5], v[46:47], v[92:93]
	v_fma_f64 v[94:95], v[2:3], v[50:51], -v[94:95]
	v_fma_f64 v[96:97], v[4:5], v[50:51], v[96:97]
	;; [unrolled: 2-line block ×8, first 2 shown]
	ds_load_b128 v[2:5], v41 offset:48
	ds_load_b128 v[46:49], v40 offset:1536
	;; [unrolled: 1-line block ×4, first 2 shown]
	v_fma_f64 v[118:119], v[74:75], v[78:79], -v[118:119]
	v_fma_f64 v[120:121], v[76:77], v[78:79], v[120:121]
	v_fma_f64 v[74:75], v[74:75], v[82:83], -v[122:123]
	v_fma_f64 v[76:77], v[76:77], v[82:83], v[124:125]
	;; [unrolled: 2-line block ×4, first 2 shown]
	s_wait_dscnt 0x2
	v_mul_f64_e32 v[108:109], v[2:3], v[48:49]
	s_wait_dscnt 0x1
	v_mul_f64_e32 v[110:111], v[4:5], v[52:53]
	v_mul_f64_e32 v[112:113], v[2:3], v[52:53]
	v_add_f64_e32 v[68:69], v[28:29], v[90:91]
	v_add_f64_e32 v[70:71], v[92:93], v[30:31]
	;; [unrolled: 1-line block ×8, first 2 shown]
	v_mul_f64_e32 v[100:101], v[4:5], v[48:49]
	s_wait_dscnt 0x0
	v_mul_f64_e32 v[114:115], v[56:57], v[48:49]
	v_mul_f64_e32 v[48:49], v[54:55], v[48:49]
	;; [unrolled: 1-line block ×4, first 2 shown]
	ds_load_b128 v[16:19], v41 offset:64
	ds_load_b128 v[20:23], v40 offset:2048
	;; [unrolled: 1-line block ×4, first 2 shown]
	s_wait_dscnt 0x1
	v_mul_f64_e32 v[124:125], v[16:17], v[26:27]
	s_wait_dscnt 0x0
	v_mul_f64_e32 v[126:127], v[30:31], v[22:23]
	v_mul_f64_e32 v[128:129], v[30:31], v[26:27]
	v_fma_f64 v[108:109], v[4:5], v[46:47], v[108:109]
	v_fma_f64 v[110:111], v[2:3], v[50:51], -v[110:111]
	v_fma_f64 v[112:113], v[4:5], v[50:51], v[112:113]
	v_add_f64_e32 v[84:85], v[68:69], v[102:103]
	v_add_f64_e32 v[86:87], v[104:105], v[70:71]
	;; [unrolled: 1-line block ×8, first 2 shown]
	v_mul_f64_e32 v[102:103], v[18:19], v[22:23]
	v_mul_f64_e32 v[104:105], v[16:17], v[22:23]
	;; [unrolled: 1-line block ×5, first 2 shown]
	v_fma_f64 v[100:101], v[2:3], v[46:47], -v[100:101]
	v_fma_f64 v[114:115], v[54:55], v[46:47], -v[114:115]
	v_fma_f64 v[130:131], v[56:57], v[46:47], v[48:49]
	v_fma_f64 v[116:117], v[54:55], v[50:51], -v[116:117]
	v_fma_f64 v[132:133], v[56:57], v[50:51], v[52:53]
	ds_load_b128 v[58:61], v41 offset:80
	ds_load_b128 v[62:65], v40 offset:2560
	;; [unrolled: 1-line block ×8, first 2 shown]
	v_add_f64_e32 v[84:85], v[84:85], v[118:119]
	v_add_f64_e32 v[86:87], v[120:121], v[86:87]
	;; [unrolled: 1-line block ×8, first 2 shown]
	s_wait_dscnt 0x6
	v_mul_f64_e32 v[90:91], v[60:61], v[64:65]
	v_mul_f64_e32 v[92:93], v[58:59], v[64:65]
	s_wait_dscnt 0x5
	v_mul_f64_e32 v[94:95], v[60:61], v[68:69]
	v_mul_f64_e32 v[96:97], v[58:59], v[68:69]
	;; [unrolled: 3-line block ×3, first 2 shown]
	v_mul_f64_e32 v[118:119], v[72:73], v[68:69]
	v_mul_f64_e32 v[68:69], v[70:71], v[68:69]
	v_fma_f64 v[102:103], v[16:17], v[20:21], -v[102:103]
	v_fma_f64 v[104:105], v[18:19], v[20:21], v[104:105]
	v_fma_f64 v[106:107], v[16:17], v[24:25], -v[106:107]
	v_fma_f64 v[120:121], v[18:19], v[24:25], v[124:125]
	;; [unrolled: 2-line block ×4, first 2 shown]
	ds_load_b128 v[16:19], v41 offset:112
	ds_load_b128 v[20:23], v40 offset:3584
	;; [unrolled: 1-line block ×4, first 2 shown]
	s_wait_loadcnt_dscnt 0x0
	s_barrier_signal -1
	s_barrier_wait -1
	global_inv scope:SCOPE_SE
	v_add_f64_e32 v[84:85], v[84:85], v[100:101]
	v_add_f64_e32 v[86:87], v[108:109], v[86:87]
	v_add_f64_e32 v[74:75], v[74:75], v[110:111]
	v_add_f64_e32 v[76:77], v[112:113], v[76:77]
	v_add_f64_e32 v[88:89], v[88:89], v[114:115]
	v_add_f64_e32 v[78:79], v[130:131], v[78:79]
	v_add_f64_e32 v[80:81], v[80:81], v[116:117]
	v_add_f64_e32 v[82:83], v[132:133], v[82:83]
	v_mul_f64_e32 v[100:101], v[4:5], v[48:49]
	v_mul_f64_e32 v[108:109], v[2:3], v[48:49]
	v_mul_f64_e32 v[110:111], v[4:5], v[52:53]
	v_mul_f64_e32 v[112:113], v[2:3], v[52:53]
	v_mul_f64_e32 v[114:115], v[56:57], v[48:49]
	v_mul_f64_e32 v[48:49], v[54:55], v[48:49]
	v_mul_f64_e32 v[116:117], v[56:57], v[52:53]
	v_mul_f64_e32 v[52:53], v[54:55], v[52:53]
	v_fma_f64 v[90:91], v[58:59], v[62:63], -v[90:91]
	v_fma_f64 v[92:93], v[60:61], v[62:63], v[92:93]
	v_fma_f64 v[58:59], v[58:59], v[66:67], -v[94:95]
	v_fma_f64 v[60:61], v[60:61], v[66:67], v[96:97]
	;; [unrolled: 2-line block ×4, first 2 shown]
	v_mul_f64_e32 v[96:97], v[16:17], v[26:27]
	v_mul_f64_e32 v[98:99], v[30:31], v[22:23]
	v_add_f64_e32 v[68:69], v[84:85], v[102:103]
	v_add_f64_e32 v[70:71], v[104:105], v[86:87]
	;; [unrolled: 1-line block ×8, first 2 shown]
	v_mul_f64_e32 v[84:85], v[18:19], v[22:23]
	v_mul_f64_e32 v[86:87], v[16:17], v[22:23]
	;; [unrolled: 1-line block ×6, first 2 shown]
	v_fma_f64 v[100:101], v[2:3], v[46:47], -v[100:101]
	v_fma_f64 v[104:105], v[4:5], v[46:47], v[108:109]
	v_fma_f64 v[2:3], v[2:3], v[50:51], -v[110:111]
	v_fma_f64 v[4:5], v[4:5], v[50:51], v[112:113]
	;; [unrolled: 2-line block ×4, first 2 shown]
	v_add_f64_e32 v[52:53], v[68:69], v[90:91]
	v_add_f64_e32 v[54:55], v[92:93], v[70:71]
	;; [unrolled: 1-line block ×8, first 2 shown]
	v_fma_f64 v[68:69], v[16:17], v[20:21], -v[84:85]
	v_fma_f64 v[70:71], v[18:19], v[20:21], v[86:87]
	v_fma_f64 v[16:17], v[16:17], v[24:25], -v[88:89]
	v_fma_f64 v[18:19], v[18:19], v[24:25], v[96:97]
	;; [unrolled: 2-line block ×4, first 2 shown]
	v_add_f64_e32 v[20:21], v[52:53], v[100:101]
	v_add_f64_e32 v[24:25], v[104:105], v[54:55]
	;; [unrolled: 1-line block ×16, first 2 shown]
	s_wait_alu 0xfffe
	s_cbranch_vccz .LBB257_19
.LBB257_10:                             ;   Parent Loop BB257_7 Depth=1
                                        ; =>  This Inner Loop Header: Depth=2
	s_mov_b32 s24, 0
	s_mov_b32 s33, s10
	s_and_saveexec_b32 s25, s0
	s_cbranch_execnz .LBB257_16
; %bb.11:                               ;   in Loop: Header=BB257_10 Depth=2
	s_wait_alu 0xfffe
	s_or_b32 exec_lo, exec_lo, s25
	s_and_saveexec_b32 s25, s33
	s_wait_alu 0xfffe
	s_xor_b32 s25, exec_lo, s25
	s_cbranch_execnz .LBB257_17
.LBB257_12:                             ;   in Loop: Header=BB257_10 Depth=2
	s_wait_alu 0xfffe
	s_or_b32 exec_lo, exec_lo, s25
	s_and_saveexec_b32 s25, s24
	s_cbranch_execz .LBB257_14
.LBB257_13:                             ;   in Loop: Header=BB257_10 Depth=2
	v_lshlrev_b64_e32 v[2:3], 4, v[14:15]
	s_delay_alu instid0(VALU_DEP_1) | instskip(SKIP_1) | instid1(VALU_DEP_2)
	v_add_co_u32 v2, vcc_lo, v42, v2
	s_wait_alu 0xfffd
	v_add_co_ci_u32_e64 v3, null, v43, v3, vcc_lo
	global_load_b128 v[2:5], v[2:3], off
	s_wait_loadcnt 0x0
	ds_store_2addr_b64 v34, v[2:3], v[4:5] offset1:1
.LBB257_14:                             ;   in Loop: Header=BB257_10 Depth=2
	s_wait_alu 0xfffe
	s_or_b32 exec_lo, exec_lo, s25
	v_add_nc_u32_e32 v0, s2, v32
	v_mov_b32_e32 v2, 0
	v_dual_mov_b32 v3, 0 :: v_dual_mov_b32 v4, 0
	v_mov_b32_e32 v5, 0
	s_delay_alu instid0(VALU_DEP_4)
	v_cmp_gt_u64_e32 vcc_lo, s[4:5], v[0:1]
	s_and_b32 s25, vcc_lo, s1
	s_wait_alu 0xfffe
	s_and_saveexec_b32 s24, s25
	s_cbranch_execz .LBB257_9
; %bb.15:                               ;   in Loop: Header=BB257_10 Depth=2
	v_mad_co_u64_u32 v[2:3], null, s16, v0, 0
	s_delay_alu instid0(VALU_DEP_1) | instskip(NEXT) | instid1(VALU_DEP_1)
	v_mad_co_u64_u32 v[3:4], null, s17, v0, v[3:4]
	v_lshlrev_b64_e32 v[2:3], 4, v[2:3]
	s_delay_alu instid0(VALU_DEP_1) | instskip(SKIP_1) | instid1(VALU_DEP_2)
	v_add_co_u32 v2, vcc_lo, v44, v2
	s_wait_alu 0xfffd
	v_add_co_ci_u32_e64 v3, null, v45, v3, vcc_lo
	global_load_b128 v[2:5], v[2:3], off
	s_wait_loadcnt 0x0
	v_xor_b32_e32 v5, 0x80000000, v5
	s_branch .LBB257_9
.LBB257_16:                             ;   in Loop: Header=BB257_10 Depth=2
	s_wait_alu 0xfffe
	v_add_nc_u32_e32 v0, s2, v33
	v_mov_b32_e32 v15, v1
	s_and_not1_b32 s33, s10, exec_lo
	s_mov_b32 s24, exec_lo
	s_delay_alu instid0(VALU_DEP_2)
	v_cmp_le_u64_e32 vcc_lo, s[4:5], v[0:1]
	v_mov_b32_e32 v14, v0
	s_and_b32 s34, vcc_lo, exec_lo
	s_wait_alu 0xfffe
	s_or_b32 s33, s33, s34
	s_or_b32 exec_lo, exec_lo, s25
	s_wait_alu 0xfffe
	s_and_saveexec_b32 s25, s33
	s_wait_alu 0xfffe
	s_xor_b32 s25, exec_lo, s25
	s_cbranch_execz .LBB257_12
.LBB257_17:                             ;   in Loop: Header=BB257_10 Depth=2
	v_dual_mov_b32 v0, v1 :: v_dual_mov_b32 v3, v1
	v_mov_b32_e32 v2, v1
	s_and_not1_b32 s24, s24, exec_lo
	ds_store_b128 v34, v[0:3]
	s_wait_alu 0xfffe
	s_or_b32 exec_lo, exec_lo, s25
	s_and_saveexec_b32 s25, s24
	s_cbranch_execnz .LBB257_13
	s_branch .LBB257_14
.LBB257_18:                             ;   in Loop: Header=BB257_7 Depth=1
	v_mov_b32_e32 v30, 0
	v_mov_b32_e32 v26, 0
	v_dual_mov_b32 v22, 0 :: v_dual_mov_b32 v31, 0
	v_dual_mov_b32 v24, 0 :: v_dual_mov_b32 v27, 0
	v_dual_mov_b32 v20, 0 :: v_dual_mov_b32 v23, 0
	v_mov_b32_e32 v18, 0
	v_dual_mov_b32 v16, 0 :: v_dual_mov_b32 v25, 0
	v_mov_b32_e32 v21, 0
	v_mov_b32_e32 v19, 0
	;; [unrolled: 1-line block ×3, first 2 shown]
.LBB257_19:                             ;   in Loop: Header=BB257_7 Depth=1
	s_mul_u64 s[2:3], s[26:27], s[6:7]
	s_wait_alu 0xfffe
	s_lshl_b64 s[2:3], s[2:3], 4
	s_wait_alu 0xfffe
	s_add_nc_u64 s[2:3], s[22:23], s[2:3]
	s_wait_alu 0xfffe
	v_add_co_u32 v0, vcc_lo, s2, v10
	s_wait_alu 0xfffd
	v_add_co_ci_u32_e64 v42, null, s3, v11, vcc_lo
	s_and_saveexec_b32 s24, s9
	s_cbranch_execz .LBB257_24
; %bb.20:                               ;   in Loop: Header=BB257_7 Depth=1
	v_mul_f64_e32 v[2:3], s[38:39], v[30:31]
	v_mul_f64_e32 v[4:5], s[36:37], v[30:31]
	s_and_b32 vcc_lo, exec_lo, s8
	s_mov_b32 s25, -1
	s_delay_alu instid0(VALU_DEP_2) | instskip(NEXT) | instid1(VALU_DEP_2)
	v_fma_f64 v[2:3], s[36:37], v[28:29], -v[2:3]
	v_fma_f64 v[4:5], s[38:39], v[28:29], v[4:5]
	s_wait_alu 0xfffe
	s_cbranch_vccz .LBB257_22
; %bb.21:                               ;   in Loop: Header=BB257_7 Depth=1
	v_lshlrev_b64_e32 v[28:29], 4, v[6:7]
	s_mov_b32 s25, 0
	s_delay_alu instid0(VALU_DEP_1) | instskip(SKIP_1) | instid1(VALU_DEP_2)
	v_add_co_u32 v43, vcc_lo, v0, v28
	s_wait_alu 0xfffd
	v_add_co_ci_u32_e64 v44, null, v42, v29, vcc_lo
	global_load_b128 v[28:31], v[43:44], off
	s_wait_loadcnt 0x0
	v_mul_f64_e32 v[45:46], s[30:31], v[30:31]
	v_mul_f64_e32 v[30:31], s[28:29], v[30:31]
	s_delay_alu instid0(VALU_DEP_2) | instskip(NEXT) | instid1(VALU_DEP_2)
	v_fma_f64 v[45:46], s[28:29], v[28:29], -v[45:46]
	v_fma_f64 v[30:31], s[30:31], v[28:29], v[30:31]
	s_delay_alu instid0(VALU_DEP_2) | instskip(NEXT) | instid1(VALU_DEP_2)
	v_add_f64_e32 v[28:29], v[2:3], v[45:46]
	v_add_f64_e32 v[30:31], v[4:5], v[30:31]
	global_store_b128 v[43:44], v[28:31], off
.LBB257_22:                             ;   in Loop: Header=BB257_7 Depth=1
	s_wait_alu 0xfffe
	s_and_not1_b32 vcc_lo, exec_lo, s25
	s_wait_alu 0xfffe
	s_cbranch_vccnz .LBB257_24
; %bb.23:                               ;   in Loop: Header=BB257_7 Depth=1
	v_lshlrev_b64_e32 v[28:29], 4, v[6:7]
	s_delay_alu instid0(VALU_DEP_1) | instskip(SKIP_1) | instid1(VALU_DEP_2)
	v_add_co_u32 v28, vcc_lo, v0, v28
	s_wait_alu 0xfffd
	v_add_co_ci_u32_e64 v29, null, v42, v29, vcc_lo
	global_store_b128 v[28:29], v[2:5], off
.LBB257_24:                             ;   in Loop: Header=BB257_7 Depth=1
	s_wait_alu 0xfffe
	s_or_b32 exec_lo, exec_lo, s24
	s_and_saveexec_b32 s24, s11
	s_cbranch_execz .LBB257_29
; %bb.25:                               ;   in Loop: Header=BB257_7 Depth=1
	v_mul_f64_e32 v[2:3], s[38:39], v[26:27]
	v_mul_f64_e32 v[4:5], s[36:37], v[26:27]
	s_and_not1_b32 vcc_lo, exec_lo, s8
	s_mov_b32 s25, -1
	s_delay_alu instid0(VALU_DEP_2) | instskip(NEXT) | instid1(VALU_DEP_2)
	v_fma_f64 v[2:3], s[36:37], v[24:25], -v[2:3]
	v_fma_f64 v[4:5], s[38:39], v[24:25], v[4:5]
	s_wait_alu 0xfffe
	s_cbranch_vccnz .LBB257_27
; %bb.26:                               ;   in Loop: Header=BB257_7 Depth=1
	v_lshlrev_b64_e32 v[24:25], 4, v[8:9]
	s_mov_b32 s25, 0
	s_delay_alu instid0(VALU_DEP_1) | instskip(SKIP_1) | instid1(VALU_DEP_2)
	v_add_co_u32 v28, vcc_lo, v0, v24
	s_wait_alu 0xfffd
	v_add_co_ci_u32_e64 v29, null, v42, v25, vcc_lo
	global_load_b128 v[24:27], v[28:29], off
	s_wait_loadcnt 0x0
	v_mul_f64_e32 v[30:31], s[30:31], v[26:27]
	v_mul_f64_e32 v[26:27], s[28:29], v[26:27]
	s_delay_alu instid0(VALU_DEP_2) | instskip(NEXT) | instid1(VALU_DEP_2)
	v_fma_f64 v[30:31], s[28:29], v[24:25], -v[30:31]
	v_fma_f64 v[26:27], s[30:31], v[24:25], v[26:27]
	s_delay_alu instid0(VALU_DEP_2) | instskip(NEXT) | instid1(VALU_DEP_2)
	v_add_f64_e32 v[24:25], v[2:3], v[30:31]
	v_add_f64_e32 v[26:27], v[4:5], v[26:27]
	global_store_b128 v[28:29], v[24:27], off
.LBB257_27:                             ;   in Loop: Header=BB257_7 Depth=1
	s_wait_alu 0xfffe
	s_and_not1_b32 vcc_lo, exec_lo, s25
	s_wait_alu 0xfffe
	s_cbranch_vccnz .LBB257_29
; %bb.28:                               ;   in Loop: Header=BB257_7 Depth=1
	v_lshlrev_b64_e32 v[24:25], 4, v[8:9]
	s_delay_alu instid0(VALU_DEP_1) | instskip(SKIP_1) | instid1(VALU_DEP_2)
	v_add_co_u32 v24, vcc_lo, v0, v24
	s_wait_alu 0xfffd
	v_add_co_ci_u32_e64 v25, null, v42, v25, vcc_lo
	global_store_b128 v[24:25], v[2:5], off
.LBB257_29:                             ;   in Loop: Header=BB257_7 Depth=1
	s_wait_alu 0xfffe
	s_or_b32 exec_lo, exec_lo, s24
	v_add_co_u32 v0, vcc_lo, s2, v12
	s_wait_alu 0xfffd
	v_add_co_ci_u32_e64 v24, null, s3, v13, vcc_lo
	s_and_saveexec_b32 s2, s15
	s_cbranch_execz .LBB257_34
; %bb.30:                               ;   in Loop: Header=BB257_7 Depth=1
	v_mul_f64_e32 v[2:3], s[38:39], v[22:23]
	v_mul_f64_e32 v[4:5], s[36:37], v[22:23]
	s_and_not1_b32 vcc_lo, exec_lo, s8
	s_mov_b32 s3, -1
	s_delay_alu instid0(VALU_DEP_2) | instskip(NEXT) | instid1(VALU_DEP_2)
	v_fma_f64 v[2:3], s[36:37], v[20:21], -v[2:3]
	v_fma_f64 v[4:5], s[38:39], v[20:21], v[4:5]
	v_lshlrev_b64_e32 v[20:21], 4, v[6:7]
	s_wait_alu 0xfffe
	s_cbranch_vccnz .LBB257_32
; %bb.31:                               ;   in Loop: Header=BB257_7 Depth=1
	s_delay_alu instid0(VALU_DEP_1) | instskip(SKIP_1) | instid1(VALU_DEP_2)
	v_add_co_u32 v22, vcc_lo, v0, v20
	s_wait_alu 0xfffd
	v_add_co_ci_u32_e64 v23, null, v24, v21, vcc_lo
	s_mov_b32 s3, 0
	global_load_b128 v[25:28], v[22:23], off
	s_wait_loadcnt 0x0
	v_mul_f64_e32 v[29:30], s[30:31], v[27:28]
	v_mul_f64_e32 v[27:28], s[28:29], v[27:28]
	s_delay_alu instid0(VALU_DEP_2) | instskip(NEXT) | instid1(VALU_DEP_2)
	v_fma_f64 v[29:30], s[28:29], v[25:26], -v[29:30]
	v_fma_f64 v[27:28], s[30:31], v[25:26], v[27:28]
	s_delay_alu instid0(VALU_DEP_2) | instskip(NEXT) | instid1(VALU_DEP_2)
	v_add_f64_e32 v[25:26], v[2:3], v[29:30]
	v_add_f64_e32 v[27:28], v[4:5], v[27:28]
	global_store_b128 v[22:23], v[25:28], off
.LBB257_32:                             ;   in Loop: Header=BB257_7 Depth=1
	s_wait_alu 0xfffe
	s_and_not1_b32 vcc_lo, exec_lo, s3
	s_wait_alu 0xfffe
	s_cbranch_vccnz .LBB257_34
; %bb.33:                               ;   in Loop: Header=BB257_7 Depth=1
	v_add_co_u32 v20, vcc_lo, v0, v20
	s_wait_alu 0xfffd
	v_add_co_ci_u32_e64 v21, null, v24, v21, vcc_lo
	global_store_b128 v[20:21], v[2:5], off
.LBB257_34:                             ;   in Loop: Header=BB257_7 Depth=1
	s_wait_alu 0xfffe
	s_or_b32 exec_lo, exec_lo, s2
	s_and_saveexec_b32 s2, s21
	s_cbranch_execz .LBB257_6
; %bb.35:                               ;   in Loop: Header=BB257_7 Depth=1
	v_mul_f64_e32 v[2:3], s[38:39], v[16:17]
	v_mul_f64_e32 v[4:5], s[36:37], v[16:17]
	v_lshlrev_b64_e32 v[16:17], 4, v[8:9]
	s_and_not1_b32 vcc_lo, exec_lo, s8
	s_mov_b32 s3, -1
	s_delay_alu instid0(VALU_DEP_3) | instskip(NEXT) | instid1(VALU_DEP_3)
	v_fma_f64 v[2:3], s[36:37], v[18:19], -v[2:3]
	v_fma_f64 v[4:5], s[38:39], v[18:19], v[4:5]
	s_wait_alu 0xfffe
	s_cbranch_vccnz .LBB257_37
; %bb.36:                               ;   in Loop: Header=BB257_7 Depth=1
	v_add_co_u32 v22, vcc_lo, v0, v16
	s_wait_alu 0xfffd
	v_add_co_ci_u32_e64 v23, null, v24, v17, vcc_lo
	s_mov_b32 s3, 0
	global_load_b128 v[18:21], v[22:23], off
	s_wait_loadcnt 0x0
	v_mul_f64_e32 v[25:26], s[30:31], v[20:21]
	v_mul_f64_e32 v[20:21], s[28:29], v[20:21]
	s_delay_alu instid0(VALU_DEP_2) | instskip(NEXT) | instid1(VALU_DEP_2)
	v_fma_f64 v[25:26], s[28:29], v[18:19], -v[25:26]
	v_fma_f64 v[20:21], s[30:31], v[18:19], v[20:21]
	s_delay_alu instid0(VALU_DEP_2) | instskip(NEXT) | instid1(VALU_DEP_2)
	v_add_f64_e32 v[18:19], v[2:3], v[25:26]
	v_add_f64_e32 v[20:21], v[4:5], v[20:21]
	global_store_b128 v[22:23], v[18:21], off
.LBB257_37:                             ;   in Loop: Header=BB257_7 Depth=1
	s_wait_alu 0xfffe
	s_and_not1_b32 vcc_lo, exec_lo, s3
	s_wait_alu 0xfffe
	s_cbranch_vccnz .LBB257_6
; %bb.38:                               ;   in Loop: Header=BB257_7 Depth=1
	v_add_co_u32 v16, vcc_lo, v0, v16
	s_wait_alu 0xfffd
	v_add_co_ci_u32_e64 v17, null, v24, v17, vcc_lo
	global_store_b128 v[16:17], v[2:5], off
	s_branch .LBB257_6
.LBB257_39:
.LBB257_40:
	s_nop 0
	s_sendmsg sendmsg(MSG_DEALLOC_VGPRS)
	s_endpgm
	.section	.rodata,"a",@progbits
	.p2align	6, 0x0
	.amdhsa_kernel _ZL29rocblas_internal_gemmt_kernelIlLi16ELi32ELi8ELc84ELc67ELc85ELb0ELb1E19rocblas_complex_numIdEPKS1_S3_PS1_EviT_T9_T10_S5_lS7_S5_lS6_T11_S5_li
		.amdhsa_group_segment_fixed_size 8192
		.amdhsa_private_segment_fixed_size 0
		.amdhsa_kernarg_size 108
		.amdhsa_user_sgpr_count 2
		.amdhsa_user_sgpr_dispatch_ptr 0
		.amdhsa_user_sgpr_queue_ptr 0
		.amdhsa_user_sgpr_kernarg_segment_ptr 1
		.amdhsa_user_sgpr_dispatch_id 0
		.amdhsa_user_sgpr_private_segment_size 0
		.amdhsa_wavefront_size32 1
		.amdhsa_uses_dynamic_stack 0
		.amdhsa_enable_private_segment 0
		.amdhsa_system_sgpr_workgroup_id_x 1
		.amdhsa_system_sgpr_workgroup_id_y 1
		.amdhsa_system_sgpr_workgroup_id_z 1
		.amdhsa_system_sgpr_workgroup_info 0
		.amdhsa_system_vgpr_workitem_id 1
		.amdhsa_next_free_vgpr 134
		.amdhsa_next_free_sgpr 40
		.amdhsa_reserve_vcc 1
		.amdhsa_float_round_mode_32 0
		.amdhsa_float_round_mode_16_64 0
		.amdhsa_float_denorm_mode_32 3
		.amdhsa_float_denorm_mode_16_64 3
		.amdhsa_fp16_overflow 0
		.amdhsa_workgroup_processor_mode 1
		.amdhsa_memory_ordered 1
		.amdhsa_forward_progress 1
		.amdhsa_inst_pref_size 28
		.amdhsa_round_robin_scheduling 0
		.amdhsa_exception_fp_ieee_invalid_op 0
		.amdhsa_exception_fp_denorm_src 0
		.amdhsa_exception_fp_ieee_div_zero 0
		.amdhsa_exception_fp_ieee_overflow 0
		.amdhsa_exception_fp_ieee_underflow 0
		.amdhsa_exception_fp_ieee_inexact 0
		.amdhsa_exception_int_div_zero 0
	.end_amdhsa_kernel
	.section	.text._ZL29rocblas_internal_gemmt_kernelIlLi16ELi32ELi8ELc84ELc67ELc85ELb0ELb1E19rocblas_complex_numIdEPKS1_S3_PS1_EviT_T9_T10_S5_lS7_S5_lS6_T11_S5_li,"axG",@progbits,_ZL29rocblas_internal_gemmt_kernelIlLi16ELi32ELi8ELc84ELc67ELc85ELb0ELb1E19rocblas_complex_numIdEPKS1_S3_PS1_EviT_T9_T10_S5_lS7_S5_lS6_T11_S5_li,comdat
.Lfunc_end257:
	.size	_ZL29rocblas_internal_gemmt_kernelIlLi16ELi32ELi8ELc84ELc67ELc85ELb0ELb1E19rocblas_complex_numIdEPKS1_S3_PS1_EviT_T9_T10_S5_lS7_S5_lS6_T11_S5_li, .Lfunc_end257-_ZL29rocblas_internal_gemmt_kernelIlLi16ELi32ELi8ELc84ELc67ELc85ELb0ELb1E19rocblas_complex_numIdEPKS1_S3_PS1_EviT_T9_T10_S5_lS7_S5_lS6_T11_S5_li
                                        ; -- End function
	.set _ZL29rocblas_internal_gemmt_kernelIlLi16ELi32ELi8ELc84ELc67ELc85ELb0ELb1E19rocblas_complex_numIdEPKS1_S3_PS1_EviT_T9_T10_S5_lS7_S5_lS6_T11_S5_li.num_vgpr, 134
	.set _ZL29rocblas_internal_gemmt_kernelIlLi16ELi32ELi8ELc84ELc67ELc85ELb0ELb1E19rocblas_complex_numIdEPKS1_S3_PS1_EviT_T9_T10_S5_lS7_S5_lS6_T11_S5_li.num_agpr, 0
	.set _ZL29rocblas_internal_gemmt_kernelIlLi16ELi32ELi8ELc84ELc67ELc85ELb0ELb1E19rocblas_complex_numIdEPKS1_S3_PS1_EviT_T9_T10_S5_lS7_S5_lS6_T11_S5_li.numbered_sgpr, 40
	.set _ZL29rocblas_internal_gemmt_kernelIlLi16ELi32ELi8ELc84ELc67ELc85ELb0ELb1E19rocblas_complex_numIdEPKS1_S3_PS1_EviT_T9_T10_S5_lS7_S5_lS6_T11_S5_li.num_named_barrier, 0
	.set _ZL29rocblas_internal_gemmt_kernelIlLi16ELi32ELi8ELc84ELc67ELc85ELb0ELb1E19rocblas_complex_numIdEPKS1_S3_PS1_EviT_T9_T10_S5_lS7_S5_lS6_T11_S5_li.private_seg_size, 0
	.set _ZL29rocblas_internal_gemmt_kernelIlLi16ELi32ELi8ELc84ELc67ELc85ELb0ELb1E19rocblas_complex_numIdEPKS1_S3_PS1_EviT_T9_T10_S5_lS7_S5_lS6_T11_S5_li.uses_vcc, 1
	.set _ZL29rocblas_internal_gemmt_kernelIlLi16ELi32ELi8ELc84ELc67ELc85ELb0ELb1E19rocblas_complex_numIdEPKS1_S3_PS1_EviT_T9_T10_S5_lS7_S5_lS6_T11_S5_li.uses_flat_scratch, 0
	.set _ZL29rocblas_internal_gemmt_kernelIlLi16ELi32ELi8ELc84ELc67ELc85ELb0ELb1E19rocblas_complex_numIdEPKS1_S3_PS1_EviT_T9_T10_S5_lS7_S5_lS6_T11_S5_li.has_dyn_sized_stack, 0
	.set _ZL29rocblas_internal_gemmt_kernelIlLi16ELi32ELi8ELc84ELc67ELc85ELb0ELb1E19rocblas_complex_numIdEPKS1_S3_PS1_EviT_T9_T10_S5_lS7_S5_lS6_T11_S5_li.has_recursion, 0
	.set _ZL29rocblas_internal_gemmt_kernelIlLi16ELi32ELi8ELc84ELc67ELc85ELb0ELb1E19rocblas_complex_numIdEPKS1_S3_PS1_EviT_T9_T10_S5_lS7_S5_lS6_T11_S5_li.has_indirect_call, 0
	.section	.AMDGPU.csdata,"",@progbits
; Kernel info:
; codeLenInByte = 3532
; TotalNumSgprs: 42
; NumVgprs: 134
; ScratchSize: 0
; MemoryBound: 1
; FloatMode: 240
; IeeeMode: 1
; LDSByteSize: 8192 bytes/workgroup (compile time only)
; SGPRBlocks: 0
; VGPRBlocks: 16
; NumSGPRsForWavesPerEU: 42
; NumVGPRsForWavesPerEU: 134
; Occupancy: 10
; WaveLimiterHint : 0
; COMPUTE_PGM_RSRC2:SCRATCH_EN: 0
; COMPUTE_PGM_RSRC2:USER_SGPR: 2
; COMPUTE_PGM_RSRC2:TRAP_HANDLER: 0
; COMPUTE_PGM_RSRC2:TGID_X_EN: 1
; COMPUTE_PGM_RSRC2:TGID_Y_EN: 1
; COMPUTE_PGM_RSRC2:TGID_Z_EN: 1
; COMPUTE_PGM_RSRC2:TIDIG_COMP_CNT: 1
	.section	.text._ZL29rocblas_internal_gemmt_kernelIlLi16ELi32ELi8ELc67ELc78ELc85ELb1ELb0E19rocblas_complex_numIdEPKS1_S3_PS1_EviT_T9_T10_S5_lS7_S5_lS6_T11_S5_li,"axG",@progbits,_ZL29rocblas_internal_gemmt_kernelIlLi16ELi32ELi8ELc67ELc78ELc85ELb1ELb0E19rocblas_complex_numIdEPKS1_S3_PS1_EviT_T9_T10_S5_lS7_S5_lS6_T11_S5_li,comdat
	.globl	_ZL29rocblas_internal_gemmt_kernelIlLi16ELi32ELi8ELc67ELc78ELc85ELb1ELb0E19rocblas_complex_numIdEPKS1_S3_PS1_EviT_T9_T10_S5_lS7_S5_lS6_T11_S5_li ; -- Begin function _ZL29rocblas_internal_gemmt_kernelIlLi16ELi32ELi8ELc67ELc78ELc85ELb1ELb0E19rocblas_complex_numIdEPKS1_S3_PS1_EviT_T9_T10_S5_lS7_S5_lS6_T11_S5_li
	.p2align	8
	.type	_ZL29rocblas_internal_gemmt_kernelIlLi16ELi32ELi8ELc67ELc78ELc85ELb1ELb0E19rocblas_complex_numIdEPKS1_S3_PS1_EviT_T9_T10_S5_lS7_S5_lS6_T11_S5_li,@function
_ZL29rocblas_internal_gemmt_kernelIlLi16ELi32ELi8ELc67ELc78ELc85ELb1ELb0E19rocblas_complex_numIdEPKS1_S3_PS1_EviT_T9_T10_S5_lS7_S5_lS6_T11_S5_li: ; @_ZL29rocblas_internal_gemmt_kernelIlLi16ELi32ELi8ELc67ELc78ELc85ELb1ELb0E19rocblas_complex_numIdEPKS1_S3_PS1_EviT_T9_T10_S5_lS7_S5_lS6_T11_S5_li
; %bb.0:
	s_clause 0x1
	s_load_b256 s[24:31], s[0:1], 0x48
	s_load_b512 s[8:23], s[0:1], 0x8
	s_wait_kmcnt 0x0
	s_load_b128 s[36:39], s[24:25], 0x0
	s_load_b128 s[40:43], s[10:11], 0x0
	s_wait_kmcnt 0x0
	v_cmp_eq_f64_e64 s3, s[36:37], 1.0
	v_cmp_eq_f64_e64 s2, s[38:39], 0
	s_and_b32 s3, s3, s2
	s_delay_alu instid0(SALU_CYCLE_1)
	s_and_not1_b32 vcc_lo, exec_lo, s3
	s_mov_b32 s3, -1
	s_cbranch_vccnz .LBB258_3
; %bb.1:
	s_cmp_lg_u64 s[8:9], 0
	s_cbranch_scc0 .LBB258_38
; %bb.2:
	v_cmp_neq_f64_e64 s3, s[40:41], 0
	v_cmp_neq_f64_e64 s4, s[42:43], 0
	s_or_b32 s3, s3, s4
.LBB258_3:
	s_delay_alu instid0(SALU_CYCLE_1)
	s_and_b32 vcc_lo, exec_lo, s3
	s_cbranch_vccz .LBB258_39
; %bb.4:
	s_load_b32 s5, s[0:1], 0x68
	s_lshr_b32 s6, ttmp7, 16
	s_wait_kmcnt 0x0
	s_cmp_ge_u32 s6, s5
	s_cbranch_scc1 .LBB258_39
; %bb.5:
	v_and_b32_e32 v8, 0x3ff, v0
	v_bfe_u32 v9, v0, 10, 10
	s_load_b32 s7, s[0:1], 0x0
	s_lshl_b32 s0, ttmp7, 5
	s_lshl_b32 s10, ttmp9, 5
	s_and_b32 s0, s0, 0x1fffe0
	v_lshl_add_u32 v6, v9, 4, v8
	v_and_b32_e32 v30, 7, v0
	v_cmp_neq_f64_e64 s3, s[40:41], 0
	v_cmp_neq_f64_e64 s4, s[42:43], 0
	;; [unrolled: 1-line block ×3, first 2 shown]
	v_lshrrev_b32_e32 v10, 3, v6
	v_and_b32_e32 v11, 31, v6
	s_ashr_i32 s1, s10, 31
	v_lshrrev_b32_e32 v32, 5, v6
	s_mul_i32 s1, s14, s1
	v_add_nc_u32_e32 v12, s0, v10
	v_or_b32_e32 v13, s10, v11
	v_add_nc_u32_e32 v15, s0, v9
	v_cmp_gt_i64_e64 s24, s[8:9], 0
	v_lshl_add_u32 v39, v9, 7, 0x1000
	v_mad_co_u64_u32 v[0:1], null, s20, v12, 0
	v_mad_co_u64_u32 v[2:3], null, s14, v13, 0
	v_mul_lo_u32 v16, s15, v13
	v_add_nc_u32_e32 v17, 16, v15
	v_mad_co_u64_u32 v[4:5], null, s28, v15, 0
	s_wait_kmcnt 0x0
	v_cmp_gt_i32_e64 s0, s7, v13
	v_mad_co_u64_u32 v[6:7], null, s21, v12, v[1:2]
	v_lshlrev_b32_e32 v1, 4, v11
	v_add3_u32 v3, v3, s1, v16
	s_delay_alu instid0(VALU_DEP_2) | instskip(NEXT) | instid1(VALU_DEP_4)
	v_lshl_or_b32 v33, v32, 9, v1
	v_mov_b32_e32 v1, v6
	s_delay_alu instid0(VALU_DEP_3) | instskip(SKIP_2) | instid1(VALU_DEP_4)
	v_lshlrev_b64_e32 v[2:3], 4, v[2:3]
	v_add_nc_u32_e32 v6, s10, v8
	v_lshlrev_b32_e32 v31, 4, v8
	v_lshlrev_b64_e32 v[0:1], 4, v[0:1]
	s_delay_alu instid0(VALU_DEP_4) | instskip(SKIP_3) | instid1(VALU_DEP_4)
	v_add_co_u32 v35, s1, s12, v2
	s_wait_alu 0xf1ff
	v_add_co_ci_u32_e64 v36, null, s13, v3, s1
	v_mad_co_u64_u32 v[2:3], null, s28, v17, 0
	v_add_co_u32 v37, s1, s18, v0
	s_wait_alu 0xf1ff
	v_add_co_ci_u32_e64 v38, null, s19, v1, s1
	v_mad_co_u64_u32 v[0:1], null, s29, v15, v[5:6]
	s_delay_alu instid0(VALU_DEP_4)
	v_dual_mov_b32 v1, v3 :: v_dual_add_nc_u32 v8, 16, v6
	s_xor_b32 s1, s2, -1
	s_or_b32 s14, s3, s4
	s_wait_alu 0xfffe
	s_or_b32 s10, s11, s1
	v_cmp_gt_i32_e64 s1, s7, v15
	s_delay_alu instid0(VALU_DEP_3)
	v_mov_b32_e32 v5, v0
	v_mad_co_u64_u32 v[0:1], null, s29, v17, v[1:2]
	v_lshlrev_b32_e32 v14, 4, v30
	v_cmp_le_i32_e64 s2, v6, v15
	v_cmp_le_i32_e64 s3, v8, v15
	v_cmp_gt_i32_e32 vcc_lo, s7, v12
	v_cmp_le_i32_e64 s4, v6, v17
	v_ashrrev_i32_e32 v9, 31, v8
	v_mov_b32_e32 v3, v0
	v_lshl_or_b32 v7, v10, 7, v14
	s_and_b32 s11, s1, s2
	v_cmp_gt_i32_e64 s2, s7, v17
	s_and_b32 s12, s1, s3
	v_cmp_le_i32_e64 s1, v8, v17
	v_lshlrev_b64_e32 v[10:11], 4, v[4:5]
	v_lshlrev_b64_e32 v[12:13], 4, v[2:3]
	v_dual_mov_b32 v1, 0 :: v_dual_add_nc_u32 v34, 0x1000, v7
	v_ashrrev_i32_e32 v7, 31, v6
	s_and_b32 s4, s2, s4
	s_and_b32 s13, s14, s24
	;; [unrolled: 1-line block ×3, first 2 shown]
	s_mov_b32 s7, 0
	s_xor_b32 s14, vcc_lo, -1
	s_branch .LBB258_7
.LBB258_6:                              ;   in Loop: Header=BB258_7 Depth=1
	s_wait_alu 0xfffe
	s_or_b32 exec_lo, exec_lo, s2
	s_add_co_i32 s6, s6, 0x10000
	s_wait_alu 0xfffe
	s_cmp_lt_u32 s6, s5
	s_cbranch_scc0 .LBB258_39
.LBB258_7:                              ; =>This Loop Header: Depth=1
                                        ;     Child Loop BB258_10 Depth 2
	v_mov_b32_e32 v26, 0
	v_mov_b32_e32 v22, 0
	;; [unrolled: 1-line block ×3, first 2 shown]
	v_dual_mov_b32 v16, 0 :: v_dual_mov_b32 v27, 0
	v_dual_mov_b32 v28, 0 :: v_dual_mov_b32 v23, 0
	;; [unrolled: 1-line block ×5, first 2 shown]
	v_mov_b32_e32 v25, 0
	v_mov_b32_e32 v21, 0
	;; [unrolled: 1-line block ×3, first 2 shown]
	s_wait_alu 0xfffe
	s_and_not1_b32 vcc_lo, exec_lo, s13
	s_wait_alu 0xfffe
	s_cbranch_vccnz .LBB258_18
; %bb.8:                                ;   in Loop: Header=BB258_7 Depth=1
	s_mul_u64 s[2:3], s[16:17], s[6:7]
	s_mul_u64 s[18:19], s[22:23], s[6:7]
	s_wait_alu 0xfffe
	s_lshl_b64 s[2:3], s[2:3], 4
	v_mov_b32_e32 v14, 0
	s_wait_alu 0xfffe
	v_add_co_u32 v40, vcc_lo, v35, s2
	s_wait_alu 0xfffd
	v_add_co_ci_u32_e64 v41, null, s3, v36, vcc_lo
	s_lshl_b64 s[2:3], s[18:19], 4
	v_mov_b32_e32 v20, 0
	v_mov_b32_e32 v24, 0
	;; [unrolled: 1-line block ×3, first 2 shown]
	s_wait_alu 0xfffe
	v_add_co_u32 v42, vcc_lo, v37, s2
	v_dual_mov_b32 v15, 0 :: v_dual_mov_b32 v16, 0
	v_dual_mov_b32 v21, 0 :: v_dual_mov_b32 v18, 0
	;; [unrolled: 1-line block ×4, first 2 shown]
	v_mov_b32_e32 v17, 0
	v_mov_b32_e32 v19, 0
	;; [unrolled: 1-line block ×4, first 2 shown]
	s_wait_alu 0xfffd
	v_add_co_ci_u32_e64 v43, null, s3, v38, vcc_lo
	s_mov_b64 s[2:3], 0
	s_branch .LBB258_10
.LBB258_9:                              ;   in Loop: Header=BB258_10 Depth=2
	s_wait_alu 0xfffe
	s_or_b32 exec_lo, exec_lo, s15
	s_wait_dscnt 0x0
	s_barrier_signal -1
	s_barrier_wait -1
	global_inv scope:SCOPE_SE
	ds_load_b128 v[2:5], v39
	ds_load_b128 v[44:47], v31
	ds_load_b128 v[48:51], v31 offset:256
	ds_load_b128 v[52:55], v39 offset:2048
	;; [unrolled: 1-line block ×10, first 2 shown]
	s_add_nc_u64 s[2:3], s[2:3], 8
	s_wait_alu 0xfffe
	v_cmp_gt_i64_e64 s15, s[8:9], s[2:3]
	s_and_b32 vcc_lo, exec_lo, s15
	s_wait_dscnt 0xa
	v_mul_f64_e32 v[88:89], v[4:5], v[46:47]
	v_mul_f64_e32 v[90:91], v[2:3], v[46:47]
	s_wait_dscnt 0x9
	v_mul_f64_e32 v[92:93], v[4:5], v[50:51]
	v_mul_f64_e32 v[94:95], v[2:3], v[50:51]
	;; [unrolled: 3-line block ×3, first 2 shown]
	v_mul_f64_e32 v[98:99], v[54:55], v[50:51]
	v_mul_f64_e32 v[50:51], v[52:53], v[50:51]
	s_wait_dscnt 0x5
	v_mul_f64_e32 v[100:101], v[58:59], v[66:67]
	v_mul_f64_e32 v[102:103], v[56:57], v[66:67]
	s_wait_dscnt 0x4
	v_mul_f64_e32 v[104:105], v[58:59], v[70:71]
	v_mul_f64_e32 v[106:107], v[56:57], v[70:71]
	;; [unrolled: 1-line block ×6, first 2 shown]
	s_wait_dscnt 0x2
	v_mul_f64_e32 v[116:117], v[74:75], v[78:79]
	v_mul_f64_e32 v[118:119], v[72:73], v[78:79]
	s_wait_dscnt 0x1
	v_mul_f64_e32 v[120:121], v[74:75], v[82:83]
	v_mul_f64_e32 v[122:123], v[72:73], v[82:83]
	;; [unrolled: 3-line block ×3, first 2 shown]
	v_mul_f64_e32 v[126:127], v[86:87], v[82:83]
	v_mul_f64_e32 v[82:83], v[84:85], v[82:83]
	v_fma_f64 v[88:89], v[2:3], v[44:45], -v[88:89]
	v_fma_f64 v[90:91], v[4:5], v[44:45], v[90:91]
	v_fma_f64 v[92:93], v[2:3], v[48:49], -v[92:93]
	v_fma_f64 v[94:95], v[4:5], v[48:49], v[94:95]
	;; [unrolled: 2-line block ×8, first 2 shown]
	ds_load_b128 v[2:5], v39 offset:48
	ds_load_b128 v[44:47], v31 offset:1536
	;; [unrolled: 1-line block ×4, first 2 shown]
	v_fma_f64 v[116:117], v[72:73], v[76:77], -v[116:117]
	v_fma_f64 v[118:119], v[74:75], v[76:77], v[118:119]
	v_fma_f64 v[72:73], v[72:73], v[80:81], -v[120:121]
	v_fma_f64 v[74:75], v[74:75], v[80:81], v[122:123]
	;; [unrolled: 2-line block ×4, first 2 shown]
	s_wait_dscnt 0x2
	v_mul_f64_e32 v[106:107], v[2:3], v[46:47]
	s_wait_dscnt 0x1
	v_mul_f64_e32 v[108:109], v[4:5], v[50:51]
	v_mul_f64_e32 v[110:111], v[2:3], v[50:51]
	v_add_f64_e32 v[66:67], v[26:27], v[88:89]
	v_add_f64_e32 v[68:69], v[90:91], v[28:29]
	;; [unrolled: 1-line block ×8, first 2 shown]
	v_mul_f64_e32 v[98:99], v[4:5], v[46:47]
	s_wait_dscnt 0x0
	v_mul_f64_e32 v[112:113], v[54:55], v[46:47]
	v_mul_f64_e32 v[46:47], v[52:53], v[46:47]
	;; [unrolled: 1-line block ×4, first 2 shown]
	ds_load_b128 v[14:17], v39 offset:64
	ds_load_b128 v[18:21], v31 offset:2048
	;; [unrolled: 1-line block ×4, first 2 shown]
	s_wait_dscnt 0x1
	v_mul_f64_e32 v[122:123], v[14:15], v[24:25]
	s_wait_dscnt 0x0
	v_mul_f64_e32 v[124:125], v[28:29], v[20:21]
	v_mul_f64_e32 v[126:127], v[28:29], v[24:25]
	v_fma_f64 v[106:107], v[4:5], v[44:45], v[106:107]
	v_fma_f64 v[108:109], v[2:3], v[48:49], -v[108:109]
	v_fma_f64 v[110:111], v[4:5], v[48:49], v[110:111]
	v_add_f64_e32 v[82:83], v[66:67], v[100:101]
	v_add_f64_e32 v[84:85], v[102:103], v[68:69]
	;; [unrolled: 1-line block ×8, first 2 shown]
	v_mul_f64_e32 v[100:101], v[16:17], v[20:21]
	v_mul_f64_e32 v[102:103], v[14:15], v[20:21]
	;; [unrolled: 1-line block ×5, first 2 shown]
	v_fma_f64 v[98:99], v[2:3], v[44:45], -v[98:99]
	v_fma_f64 v[112:113], v[52:53], v[44:45], -v[112:113]
	v_fma_f64 v[128:129], v[54:55], v[44:45], v[46:47]
	v_fma_f64 v[114:115], v[52:53], v[48:49], -v[114:115]
	v_fma_f64 v[130:131], v[54:55], v[48:49], v[50:51]
	ds_load_b128 v[56:59], v39 offset:80
	ds_load_b128 v[60:63], v31 offset:2560
	;; [unrolled: 1-line block ×8, first 2 shown]
	v_add_f64_e32 v[82:83], v[82:83], v[116:117]
	v_add_f64_e32 v[84:85], v[118:119], v[84:85]
	;; [unrolled: 1-line block ×8, first 2 shown]
	s_wait_dscnt 0x6
	v_mul_f64_e32 v[88:89], v[58:59], v[62:63]
	v_mul_f64_e32 v[90:91], v[56:57], v[62:63]
	s_wait_dscnt 0x5
	v_mul_f64_e32 v[92:93], v[58:59], v[66:67]
	v_mul_f64_e32 v[94:95], v[56:57], v[66:67]
	;; [unrolled: 3-line block ×3, first 2 shown]
	v_mul_f64_e32 v[116:117], v[70:71], v[66:67]
	v_mul_f64_e32 v[66:67], v[68:69], v[66:67]
	v_fma_f64 v[100:101], v[14:15], v[18:19], -v[100:101]
	v_fma_f64 v[102:103], v[16:17], v[18:19], v[102:103]
	v_fma_f64 v[104:105], v[14:15], v[22:23], -v[104:105]
	v_fma_f64 v[118:119], v[16:17], v[22:23], v[122:123]
	;; [unrolled: 2-line block ×4, first 2 shown]
	ds_load_b128 v[14:17], v39 offset:112
	ds_load_b128 v[18:21], v31 offset:3584
	;; [unrolled: 1-line block ×4, first 2 shown]
	s_wait_loadcnt_dscnt 0x0
	s_barrier_signal -1
	s_barrier_wait -1
	global_inv scope:SCOPE_SE
	v_add_f64_e32 v[82:83], v[82:83], v[98:99]
	v_add_f64_e32 v[84:85], v[106:107], v[84:85]
	v_add_f64_e32 v[72:73], v[72:73], v[108:109]
	v_add_f64_e32 v[74:75], v[110:111], v[74:75]
	v_add_f64_e32 v[86:87], v[86:87], v[112:113]
	v_add_f64_e32 v[76:77], v[128:129], v[76:77]
	v_add_f64_e32 v[78:79], v[78:79], v[114:115]
	v_add_f64_e32 v[80:81], v[130:131], v[80:81]
	v_mul_f64_e32 v[98:99], v[4:5], v[46:47]
	v_mul_f64_e32 v[106:107], v[2:3], v[46:47]
	v_mul_f64_e32 v[108:109], v[4:5], v[50:51]
	v_mul_f64_e32 v[110:111], v[2:3], v[50:51]
	v_mul_f64_e32 v[112:113], v[54:55], v[46:47]
	v_mul_f64_e32 v[46:47], v[52:53], v[46:47]
	v_mul_f64_e32 v[114:115], v[54:55], v[50:51]
	v_mul_f64_e32 v[50:51], v[52:53], v[50:51]
	v_fma_f64 v[88:89], v[56:57], v[60:61], -v[88:89]
	v_fma_f64 v[90:91], v[58:59], v[60:61], v[90:91]
	v_fma_f64 v[56:57], v[56:57], v[64:65], -v[92:93]
	v_fma_f64 v[58:59], v[58:59], v[64:65], v[94:95]
	;; [unrolled: 2-line block ×4, first 2 shown]
	v_mul_f64_e32 v[94:95], v[14:15], v[24:25]
	v_mul_f64_e32 v[96:97], v[28:29], v[20:21]
	v_add_f64_e32 v[66:67], v[82:83], v[100:101]
	v_add_f64_e32 v[68:69], v[102:103], v[84:85]
	;; [unrolled: 1-line block ×8, first 2 shown]
	v_mul_f64_e32 v[82:83], v[16:17], v[20:21]
	v_mul_f64_e32 v[84:85], v[14:15], v[20:21]
	;; [unrolled: 1-line block ×6, first 2 shown]
	v_fma_f64 v[98:99], v[2:3], v[44:45], -v[98:99]
	v_fma_f64 v[102:103], v[4:5], v[44:45], v[106:107]
	v_fma_f64 v[2:3], v[2:3], v[48:49], -v[108:109]
	v_fma_f64 v[4:5], v[4:5], v[48:49], v[110:111]
	;; [unrolled: 2-line block ×4, first 2 shown]
	v_add_f64_e32 v[50:51], v[66:67], v[88:89]
	v_add_f64_e32 v[52:53], v[90:91], v[68:69]
	;; [unrolled: 1-line block ×8, first 2 shown]
	v_fma_f64 v[66:67], v[14:15], v[18:19], -v[82:83]
	v_fma_f64 v[68:69], v[16:17], v[18:19], v[84:85]
	v_fma_f64 v[14:15], v[14:15], v[22:23], -v[86:87]
	v_fma_f64 v[16:17], v[16:17], v[22:23], v[94:95]
	;; [unrolled: 2-line block ×4, first 2 shown]
	v_add_f64_e32 v[18:19], v[50:51], v[98:99]
	v_add_f64_e32 v[22:23], v[102:103], v[52:53]
	;; [unrolled: 1-line block ×16, first 2 shown]
	s_wait_alu 0xfffe
	s_cbranch_vccz .LBB258_18
.LBB258_10:                             ;   Parent Loop BB258_7 Depth=1
                                        ; =>  This Inner Loop Header: Depth=2
	v_mov_b32_e32 v2, 0
	v_dual_mov_b32 v3, 0 :: v_dual_mov_b32 v4, 0
	v_mov_b32_e32 v5, 0
	s_and_saveexec_b32 s15, s0
	s_cbranch_execz .LBB258_14
; %bb.11:                               ;   in Loop: Header=BB258_10 Depth=2
	v_mov_b32_e32 v4, 0
	v_mov_b32_e32 v2, 0
	s_wait_alu 0xfffe
	v_dual_mov_b32 v5, 0 :: v_dual_add_nc_u32 v0, s2, v32
	v_mov_b32_e32 v3, 0
	s_mov_b32 s18, exec_lo
	s_delay_alu instid0(VALU_DEP_2)
	v_cmpx_gt_u64_e64 s[8:9], v[0:1]
	s_cbranch_execz .LBB258_13
; %bb.12:                               ;   in Loop: Header=BB258_10 Depth=2
	v_lshlrev_b64_e32 v[2:3], 4, v[0:1]
	s_delay_alu instid0(VALU_DEP_1) | instskip(SKIP_1) | instid1(VALU_DEP_2)
	v_add_co_u32 v2, vcc_lo, v40, v2
	s_wait_alu 0xfffd
	v_add_co_ci_u32_e64 v3, null, v41, v3, vcc_lo
	global_load_b128 v[2:5], v[2:3], off
	s_wait_loadcnt 0x0
	v_xor_b32_e32 v5, 0x80000000, v5
.LBB258_13:                             ;   in Loop: Header=BB258_10 Depth=2
	s_wait_alu 0xfffe
	s_or_b32 exec_lo, exec_lo, s18
.LBB258_14:                             ;   in Loop: Header=BB258_10 Depth=2
	s_wait_alu 0xfffe
	s_or_b32 exec_lo, exec_lo, s15
	v_add_nc_u32_e32 v0, s2, v30
	ds_store_b128 v33, v[2:5]
	v_cmp_le_u64_e32 vcc_lo, s[8:9], v[0:1]
	s_or_b32 s15, vcc_lo, s14
	s_wait_alu 0xfffe
	s_and_saveexec_b32 s18, s15
	s_wait_alu 0xfffe
	s_xor_b32 s15, exec_lo, s18
; %bb.15:                               ;   in Loop: Header=BB258_10 Depth=2
	v_dual_mov_b32 v0, v1 :: v_dual_mov_b32 v3, v1
	v_mov_b32_e32 v2, v1
	ds_store_b128 v34, v[0:3]
; %bb.16:                               ;   in Loop: Header=BB258_10 Depth=2
	s_wait_alu 0xfffe
	s_and_not1_saveexec_b32 s15, s15
	s_cbranch_execz .LBB258_9
; %bb.17:                               ;   in Loop: Header=BB258_10 Depth=2
	v_lshlrev_b64_e32 v[2:3], 4, v[0:1]
	s_delay_alu instid0(VALU_DEP_1) | instskip(SKIP_1) | instid1(VALU_DEP_2)
	v_add_co_u32 v2, vcc_lo, v42, v2
	s_wait_alu 0xfffd
	v_add_co_ci_u32_e64 v3, null, v43, v3, vcc_lo
	global_load_b128 v[2:5], v[2:3], off
	s_wait_loadcnt 0x0
	ds_store_2addr_b64 v34, v[2:3], v[4:5] offset1:1
	s_branch .LBB258_9
.LBB258_18:                             ;   in Loop: Header=BB258_7 Depth=1
	s_mul_u64 s[2:3], s[30:31], s[6:7]
	s_wait_alu 0xfffe
	s_lshl_b64 s[2:3], s[2:3], 4
	s_wait_alu 0xfffe
	s_add_nc_u64 s[2:3], s[26:27], s[2:3]
	s_wait_alu 0xfffe
	v_add_co_u32 v0, vcc_lo, s2, v10
	s_wait_alu 0xfffd
	v_add_co_ci_u32_e64 v40, null, s3, v11, vcc_lo
	s_and_saveexec_b32 s15, s11
	s_cbranch_execz .LBB258_23
; %bb.19:                               ;   in Loop: Header=BB258_7 Depth=1
	v_mul_f64_e32 v[2:3], s[42:43], v[28:29]
	v_mul_f64_e32 v[4:5], s[40:41], v[28:29]
	s_and_b32 vcc_lo, exec_lo, s10
	s_mov_b32 s18, -1
	s_delay_alu instid0(VALU_DEP_2) | instskip(NEXT) | instid1(VALU_DEP_2)
	v_fma_f64 v[2:3], s[40:41], v[26:27], -v[2:3]
	v_fma_f64 v[4:5], s[42:43], v[26:27], v[4:5]
	s_wait_alu 0xfffe
	s_cbranch_vccz .LBB258_21
; %bb.20:                               ;   in Loop: Header=BB258_7 Depth=1
	v_lshlrev_b64_e32 v[26:27], 4, v[6:7]
	s_mov_b32 s18, 0
	s_delay_alu instid0(VALU_DEP_1) | instskip(SKIP_1) | instid1(VALU_DEP_2)
	v_add_co_u32 v41, vcc_lo, v0, v26
	s_wait_alu 0xfffd
	v_add_co_ci_u32_e64 v42, null, v40, v27, vcc_lo
	global_load_b128 v[26:29], v[41:42], off
	s_wait_loadcnt 0x0
	v_mul_f64_e32 v[43:44], s[38:39], v[28:29]
	v_mul_f64_e32 v[28:29], s[36:37], v[28:29]
	s_delay_alu instid0(VALU_DEP_2) | instskip(NEXT) | instid1(VALU_DEP_2)
	v_fma_f64 v[43:44], s[36:37], v[26:27], -v[43:44]
	v_fma_f64 v[28:29], s[38:39], v[26:27], v[28:29]
	s_delay_alu instid0(VALU_DEP_2) | instskip(NEXT) | instid1(VALU_DEP_2)
	v_add_f64_e32 v[26:27], v[2:3], v[43:44]
	v_add_f64_e32 v[28:29], v[4:5], v[28:29]
	global_store_b128 v[41:42], v[26:29], off
.LBB258_21:                             ;   in Loop: Header=BB258_7 Depth=1
	s_wait_alu 0xfffe
	s_and_not1_b32 vcc_lo, exec_lo, s18
	s_wait_alu 0xfffe
	s_cbranch_vccnz .LBB258_23
; %bb.22:                               ;   in Loop: Header=BB258_7 Depth=1
	v_lshlrev_b64_e32 v[26:27], 4, v[6:7]
	s_delay_alu instid0(VALU_DEP_1) | instskip(SKIP_1) | instid1(VALU_DEP_2)
	v_add_co_u32 v26, vcc_lo, v0, v26
	s_wait_alu 0xfffd
	v_add_co_ci_u32_e64 v27, null, v40, v27, vcc_lo
	global_store_b128 v[26:27], v[2:5], off
.LBB258_23:                             ;   in Loop: Header=BB258_7 Depth=1
	s_wait_alu 0xfffe
	s_or_b32 exec_lo, exec_lo, s15
	s_and_saveexec_b32 s15, s12
	s_cbranch_execz .LBB258_28
; %bb.24:                               ;   in Loop: Header=BB258_7 Depth=1
	v_mul_f64_e32 v[2:3], s[42:43], v[24:25]
	v_mul_f64_e32 v[4:5], s[40:41], v[24:25]
	s_and_not1_b32 vcc_lo, exec_lo, s10
	s_mov_b32 s18, -1
	s_delay_alu instid0(VALU_DEP_2) | instskip(NEXT) | instid1(VALU_DEP_2)
	v_fma_f64 v[2:3], s[40:41], v[22:23], -v[2:3]
	v_fma_f64 v[4:5], s[42:43], v[22:23], v[4:5]
	s_wait_alu 0xfffe
	s_cbranch_vccnz .LBB258_26
; %bb.25:                               ;   in Loop: Header=BB258_7 Depth=1
	v_lshlrev_b64_e32 v[22:23], 4, v[8:9]
	s_mov_b32 s18, 0
	s_delay_alu instid0(VALU_DEP_1) | instskip(SKIP_1) | instid1(VALU_DEP_2)
	v_add_co_u32 v26, vcc_lo, v0, v22
	s_wait_alu 0xfffd
	v_add_co_ci_u32_e64 v27, null, v40, v23, vcc_lo
	global_load_b128 v[22:25], v[26:27], off
	s_wait_loadcnt 0x0
	v_mul_f64_e32 v[28:29], s[38:39], v[24:25]
	v_mul_f64_e32 v[24:25], s[36:37], v[24:25]
	s_delay_alu instid0(VALU_DEP_2) | instskip(NEXT) | instid1(VALU_DEP_2)
	v_fma_f64 v[28:29], s[36:37], v[22:23], -v[28:29]
	v_fma_f64 v[24:25], s[38:39], v[22:23], v[24:25]
	s_delay_alu instid0(VALU_DEP_2) | instskip(NEXT) | instid1(VALU_DEP_2)
	v_add_f64_e32 v[22:23], v[2:3], v[28:29]
	v_add_f64_e32 v[24:25], v[4:5], v[24:25]
	global_store_b128 v[26:27], v[22:25], off
.LBB258_26:                             ;   in Loop: Header=BB258_7 Depth=1
	s_wait_alu 0xfffe
	s_and_not1_b32 vcc_lo, exec_lo, s18
	s_wait_alu 0xfffe
	s_cbranch_vccnz .LBB258_28
; %bb.27:                               ;   in Loop: Header=BB258_7 Depth=1
	v_lshlrev_b64_e32 v[22:23], 4, v[8:9]
	s_delay_alu instid0(VALU_DEP_1) | instskip(SKIP_1) | instid1(VALU_DEP_2)
	v_add_co_u32 v22, vcc_lo, v0, v22
	s_wait_alu 0xfffd
	v_add_co_ci_u32_e64 v23, null, v40, v23, vcc_lo
	global_store_b128 v[22:23], v[2:5], off
.LBB258_28:                             ;   in Loop: Header=BB258_7 Depth=1
	s_wait_alu 0xfffe
	s_or_b32 exec_lo, exec_lo, s15
	v_add_co_u32 v0, vcc_lo, s2, v12
	s_wait_alu 0xfffd
	v_add_co_ci_u32_e64 v22, null, s3, v13, vcc_lo
	s_and_saveexec_b32 s2, s4
	s_cbranch_execz .LBB258_33
; %bb.29:                               ;   in Loop: Header=BB258_7 Depth=1
	v_mul_f64_e32 v[2:3], s[42:43], v[20:21]
	v_mul_f64_e32 v[4:5], s[40:41], v[20:21]
	s_and_not1_b32 vcc_lo, exec_lo, s10
	s_mov_b32 s3, -1
	s_delay_alu instid0(VALU_DEP_2) | instskip(NEXT) | instid1(VALU_DEP_2)
	v_fma_f64 v[2:3], s[40:41], v[18:19], -v[2:3]
	v_fma_f64 v[4:5], s[42:43], v[18:19], v[4:5]
	v_lshlrev_b64_e32 v[18:19], 4, v[6:7]
	s_wait_alu 0xfffe
	s_cbranch_vccnz .LBB258_31
; %bb.30:                               ;   in Loop: Header=BB258_7 Depth=1
	s_delay_alu instid0(VALU_DEP_1) | instskip(SKIP_1) | instid1(VALU_DEP_2)
	v_add_co_u32 v20, vcc_lo, v0, v18
	s_wait_alu 0xfffd
	v_add_co_ci_u32_e64 v21, null, v22, v19, vcc_lo
	s_mov_b32 s3, 0
	global_load_b128 v[23:26], v[20:21], off
	s_wait_loadcnt 0x0
	v_mul_f64_e32 v[27:28], s[38:39], v[25:26]
	v_mul_f64_e32 v[25:26], s[36:37], v[25:26]
	s_delay_alu instid0(VALU_DEP_2) | instskip(NEXT) | instid1(VALU_DEP_2)
	v_fma_f64 v[27:28], s[36:37], v[23:24], -v[27:28]
	v_fma_f64 v[25:26], s[38:39], v[23:24], v[25:26]
	s_delay_alu instid0(VALU_DEP_2) | instskip(NEXT) | instid1(VALU_DEP_2)
	v_add_f64_e32 v[23:24], v[2:3], v[27:28]
	v_add_f64_e32 v[25:26], v[4:5], v[25:26]
	global_store_b128 v[20:21], v[23:26], off
.LBB258_31:                             ;   in Loop: Header=BB258_7 Depth=1
	s_wait_alu 0xfffe
	s_and_not1_b32 vcc_lo, exec_lo, s3
	s_wait_alu 0xfffe
	s_cbranch_vccnz .LBB258_33
; %bb.32:                               ;   in Loop: Header=BB258_7 Depth=1
	v_add_co_u32 v18, vcc_lo, v0, v18
	s_wait_alu 0xfffd
	v_add_co_ci_u32_e64 v19, null, v22, v19, vcc_lo
	global_store_b128 v[18:19], v[2:5], off
.LBB258_33:                             ;   in Loop: Header=BB258_7 Depth=1
	s_wait_alu 0xfffe
	s_or_b32 exec_lo, exec_lo, s2
	s_and_saveexec_b32 s2, s1
	s_cbranch_execz .LBB258_6
; %bb.34:                               ;   in Loop: Header=BB258_7 Depth=1
	v_mul_f64_e32 v[2:3], s[42:43], v[14:15]
	v_mul_f64_e32 v[4:5], s[40:41], v[14:15]
	v_lshlrev_b64_e32 v[14:15], 4, v[8:9]
	s_and_not1_b32 vcc_lo, exec_lo, s10
	s_mov_b32 s3, -1
	s_delay_alu instid0(VALU_DEP_3) | instskip(NEXT) | instid1(VALU_DEP_3)
	v_fma_f64 v[2:3], s[40:41], v[16:17], -v[2:3]
	v_fma_f64 v[4:5], s[42:43], v[16:17], v[4:5]
	s_wait_alu 0xfffe
	s_cbranch_vccnz .LBB258_36
; %bb.35:                               ;   in Loop: Header=BB258_7 Depth=1
	v_add_co_u32 v20, vcc_lo, v0, v14
	s_wait_alu 0xfffd
	v_add_co_ci_u32_e64 v21, null, v22, v15, vcc_lo
	s_mov_b32 s3, 0
	global_load_b128 v[16:19], v[20:21], off
	s_wait_loadcnt 0x0
	v_mul_f64_e32 v[23:24], s[38:39], v[18:19]
	v_mul_f64_e32 v[18:19], s[36:37], v[18:19]
	s_delay_alu instid0(VALU_DEP_2) | instskip(NEXT) | instid1(VALU_DEP_2)
	v_fma_f64 v[23:24], s[36:37], v[16:17], -v[23:24]
	v_fma_f64 v[18:19], s[38:39], v[16:17], v[18:19]
	s_delay_alu instid0(VALU_DEP_2) | instskip(NEXT) | instid1(VALU_DEP_2)
	v_add_f64_e32 v[16:17], v[2:3], v[23:24]
	v_add_f64_e32 v[18:19], v[4:5], v[18:19]
	global_store_b128 v[20:21], v[16:19], off
.LBB258_36:                             ;   in Loop: Header=BB258_7 Depth=1
	s_wait_alu 0xfffe
	s_and_not1_b32 vcc_lo, exec_lo, s3
	s_wait_alu 0xfffe
	s_cbranch_vccnz .LBB258_6
; %bb.37:                               ;   in Loop: Header=BB258_7 Depth=1
	v_add_co_u32 v14, vcc_lo, v0, v14
	s_wait_alu 0xfffd
	v_add_co_ci_u32_e64 v15, null, v22, v15, vcc_lo
	global_store_b128 v[14:15], v[2:5], off
	s_branch .LBB258_6
.LBB258_38:
.LBB258_39:
	s_nop 0
	s_sendmsg sendmsg(MSG_DEALLOC_VGPRS)
	s_endpgm
	.section	.rodata,"a",@progbits
	.p2align	6, 0x0
	.amdhsa_kernel _ZL29rocblas_internal_gemmt_kernelIlLi16ELi32ELi8ELc67ELc78ELc85ELb1ELb0E19rocblas_complex_numIdEPKS1_S3_PS1_EviT_T9_T10_S5_lS7_S5_lS6_T11_S5_li
		.amdhsa_group_segment_fixed_size 8192
		.amdhsa_private_segment_fixed_size 0
		.amdhsa_kernarg_size 108
		.amdhsa_user_sgpr_count 2
		.amdhsa_user_sgpr_dispatch_ptr 0
		.amdhsa_user_sgpr_queue_ptr 0
		.amdhsa_user_sgpr_kernarg_segment_ptr 1
		.amdhsa_user_sgpr_dispatch_id 0
		.amdhsa_user_sgpr_private_segment_size 0
		.amdhsa_wavefront_size32 1
		.amdhsa_uses_dynamic_stack 0
		.amdhsa_enable_private_segment 0
		.amdhsa_system_sgpr_workgroup_id_x 1
		.amdhsa_system_sgpr_workgroup_id_y 1
		.amdhsa_system_sgpr_workgroup_id_z 1
		.amdhsa_system_sgpr_workgroup_info 0
		.amdhsa_system_vgpr_workitem_id 1
		.amdhsa_next_free_vgpr 132
		.amdhsa_next_free_sgpr 44
		.amdhsa_reserve_vcc 1
		.amdhsa_float_round_mode_32 0
		.amdhsa_float_round_mode_16_64 0
		.amdhsa_float_denorm_mode_32 3
		.amdhsa_float_denorm_mode_16_64 3
		.amdhsa_fp16_overflow 0
		.amdhsa_workgroup_processor_mode 1
		.amdhsa_memory_ordered 1
		.amdhsa_forward_progress 1
		.amdhsa_inst_pref_size 28
		.amdhsa_round_robin_scheduling 0
		.amdhsa_exception_fp_ieee_invalid_op 0
		.amdhsa_exception_fp_denorm_src 0
		.amdhsa_exception_fp_ieee_div_zero 0
		.amdhsa_exception_fp_ieee_overflow 0
		.amdhsa_exception_fp_ieee_underflow 0
		.amdhsa_exception_fp_ieee_inexact 0
		.amdhsa_exception_int_div_zero 0
	.end_amdhsa_kernel
	.section	.text._ZL29rocblas_internal_gemmt_kernelIlLi16ELi32ELi8ELc67ELc78ELc85ELb1ELb0E19rocblas_complex_numIdEPKS1_S3_PS1_EviT_T9_T10_S5_lS7_S5_lS6_T11_S5_li,"axG",@progbits,_ZL29rocblas_internal_gemmt_kernelIlLi16ELi32ELi8ELc67ELc78ELc85ELb1ELb0E19rocblas_complex_numIdEPKS1_S3_PS1_EviT_T9_T10_S5_lS7_S5_lS6_T11_S5_li,comdat
.Lfunc_end258:
	.size	_ZL29rocblas_internal_gemmt_kernelIlLi16ELi32ELi8ELc67ELc78ELc85ELb1ELb0E19rocblas_complex_numIdEPKS1_S3_PS1_EviT_T9_T10_S5_lS7_S5_lS6_T11_S5_li, .Lfunc_end258-_ZL29rocblas_internal_gemmt_kernelIlLi16ELi32ELi8ELc67ELc78ELc85ELb1ELb0E19rocblas_complex_numIdEPKS1_S3_PS1_EviT_T9_T10_S5_lS7_S5_lS6_T11_S5_li
                                        ; -- End function
	.set _ZL29rocblas_internal_gemmt_kernelIlLi16ELi32ELi8ELc67ELc78ELc85ELb1ELb0E19rocblas_complex_numIdEPKS1_S3_PS1_EviT_T9_T10_S5_lS7_S5_lS6_T11_S5_li.num_vgpr, 132
	.set _ZL29rocblas_internal_gemmt_kernelIlLi16ELi32ELi8ELc67ELc78ELc85ELb1ELb0E19rocblas_complex_numIdEPKS1_S3_PS1_EviT_T9_T10_S5_lS7_S5_lS6_T11_S5_li.num_agpr, 0
	.set _ZL29rocblas_internal_gemmt_kernelIlLi16ELi32ELi8ELc67ELc78ELc85ELb1ELb0E19rocblas_complex_numIdEPKS1_S3_PS1_EviT_T9_T10_S5_lS7_S5_lS6_T11_S5_li.numbered_sgpr, 44
	.set _ZL29rocblas_internal_gemmt_kernelIlLi16ELi32ELi8ELc67ELc78ELc85ELb1ELb0E19rocblas_complex_numIdEPKS1_S3_PS1_EviT_T9_T10_S5_lS7_S5_lS6_T11_S5_li.num_named_barrier, 0
	.set _ZL29rocblas_internal_gemmt_kernelIlLi16ELi32ELi8ELc67ELc78ELc85ELb1ELb0E19rocblas_complex_numIdEPKS1_S3_PS1_EviT_T9_T10_S5_lS7_S5_lS6_T11_S5_li.private_seg_size, 0
	.set _ZL29rocblas_internal_gemmt_kernelIlLi16ELi32ELi8ELc67ELc78ELc85ELb1ELb0E19rocblas_complex_numIdEPKS1_S3_PS1_EviT_T9_T10_S5_lS7_S5_lS6_T11_S5_li.uses_vcc, 1
	.set _ZL29rocblas_internal_gemmt_kernelIlLi16ELi32ELi8ELc67ELc78ELc85ELb1ELb0E19rocblas_complex_numIdEPKS1_S3_PS1_EviT_T9_T10_S5_lS7_S5_lS6_T11_S5_li.uses_flat_scratch, 0
	.set _ZL29rocblas_internal_gemmt_kernelIlLi16ELi32ELi8ELc67ELc78ELc85ELb1ELb0E19rocblas_complex_numIdEPKS1_S3_PS1_EviT_T9_T10_S5_lS7_S5_lS6_T11_S5_li.has_dyn_sized_stack, 0
	.set _ZL29rocblas_internal_gemmt_kernelIlLi16ELi32ELi8ELc67ELc78ELc85ELb1ELb0E19rocblas_complex_numIdEPKS1_S3_PS1_EviT_T9_T10_S5_lS7_S5_lS6_T11_S5_li.has_recursion, 0
	.set _ZL29rocblas_internal_gemmt_kernelIlLi16ELi32ELi8ELc67ELc78ELc85ELb1ELb0E19rocblas_complex_numIdEPKS1_S3_PS1_EviT_T9_T10_S5_lS7_S5_lS6_T11_S5_li.has_indirect_call, 0
	.section	.AMDGPU.csdata,"",@progbits
; Kernel info:
; codeLenInByte = 3460
; TotalNumSgprs: 46
; NumVgprs: 132
; ScratchSize: 0
; MemoryBound: 1
; FloatMode: 240
; IeeeMode: 1
; LDSByteSize: 8192 bytes/workgroup (compile time only)
; SGPRBlocks: 0
; VGPRBlocks: 16
; NumSGPRsForWavesPerEU: 46
; NumVGPRsForWavesPerEU: 132
; Occupancy: 10
; WaveLimiterHint : 0
; COMPUTE_PGM_RSRC2:SCRATCH_EN: 0
; COMPUTE_PGM_RSRC2:USER_SGPR: 2
; COMPUTE_PGM_RSRC2:TRAP_HANDLER: 0
; COMPUTE_PGM_RSRC2:TGID_X_EN: 1
; COMPUTE_PGM_RSRC2:TGID_Y_EN: 1
; COMPUTE_PGM_RSRC2:TGID_Z_EN: 1
; COMPUTE_PGM_RSRC2:TIDIG_COMP_CNT: 1
	.section	.text._ZL29rocblas_internal_gemmt_kernelIlLi16ELi32ELi8ELc67ELc84ELc85ELb1ELb0E19rocblas_complex_numIdEPKS1_S3_PS1_EviT_T9_T10_S5_lS7_S5_lS6_T11_S5_li,"axG",@progbits,_ZL29rocblas_internal_gemmt_kernelIlLi16ELi32ELi8ELc67ELc84ELc85ELb1ELb0E19rocblas_complex_numIdEPKS1_S3_PS1_EviT_T9_T10_S5_lS7_S5_lS6_T11_S5_li,comdat
	.globl	_ZL29rocblas_internal_gemmt_kernelIlLi16ELi32ELi8ELc67ELc84ELc85ELb1ELb0E19rocblas_complex_numIdEPKS1_S3_PS1_EviT_T9_T10_S5_lS7_S5_lS6_T11_S5_li ; -- Begin function _ZL29rocblas_internal_gemmt_kernelIlLi16ELi32ELi8ELc67ELc84ELc85ELb1ELb0E19rocblas_complex_numIdEPKS1_S3_PS1_EviT_T9_T10_S5_lS7_S5_lS6_T11_S5_li
	.p2align	8
	.type	_ZL29rocblas_internal_gemmt_kernelIlLi16ELi32ELi8ELc67ELc84ELc85ELb1ELb0E19rocblas_complex_numIdEPKS1_S3_PS1_EviT_T9_T10_S5_lS7_S5_lS6_T11_S5_li,@function
_ZL29rocblas_internal_gemmt_kernelIlLi16ELi32ELi8ELc67ELc84ELc85ELb1ELb0E19rocblas_complex_numIdEPKS1_S3_PS1_EviT_T9_T10_S5_lS7_S5_lS6_T11_S5_li: ; @_ZL29rocblas_internal_gemmt_kernelIlLi16ELi32ELi8ELc67ELc84ELc85ELb1ELb0E19rocblas_complex_numIdEPKS1_S3_PS1_EviT_T9_T10_S5_lS7_S5_lS6_T11_S5_li
; %bb.0:
	s_clause 0x1
	s_load_b256 s[24:31], s[0:1], 0x48
	s_load_b512 s[8:23], s[0:1], 0x8
	s_wait_kmcnt 0x0
	s_load_b128 s[36:39], s[24:25], 0x0
	s_load_b128 s[40:43], s[10:11], 0x0
	s_wait_kmcnt 0x0
	v_cmp_eq_f64_e64 s3, s[36:37], 1.0
	v_cmp_eq_f64_e64 s2, s[38:39], 0
	s_and_b32 s3, s3, s2
	s_delay_alu instid0(SALU_CYCLE_1)
	s_and_not1_b32 vcc_lo, exec_lo, s3
	s_mov_b32 s3, -1
	s_cbranch_vccnz .LBB259_3
; %bb.1:
	s_cmp_lg_u64 s[8:9], 0
	s_cbranch_scc0 .LBB259_38
; %bb.2:
	v_cmp_neq_f64_e64 s3, s[40:41], 0
	v_cmp_neq_f64_e64 s4, s[42:43], 0
	s_or_b32 s3, s3, s4
.LBB259_3:
	s_delay_alu instid0(SALU_CYCLE_1)
	s_and_b32 vcc_lo, exec_lo, s3
	s_cbranch_vccz .LBB259_39
; %bb.4:
	s_load_b32 s5, s[0:1], 0x68
	s_lshr_b32 s6, ttmp7, 16
	s_wait_kmcnt 0x0
	s_cmp_ge_u32 s6, s5
	s_cbranch_scc1 .LBB259_39
; %bb.5:
	v_dual_mov_b32 v1, 0 :: v_dual_and_b32 v6, 0x3ff, v0
	v_bfe_u32 v7, v0, 10, 10
	s_lshl_b32 s10, ttmp9, 5
	v_and_b32_e32 v30, 7, v0
	s_load_b32 s7, s[0:1], 0x0
	s_ashr_i32 s1, s10, 31
	v_lshl_add_u32 v4, v7, 4, v6
	s_mul_i32 s1, s14, s1
	v_cmp_neq_f64_e64 s3, s[40:41], 0
	v_cmp_neq_f64_e64 s4, s[42:43], 0
	;; [unrolled: 1-line block ×3, first 2 shown]
	v_and_b32_e32 v5, 31, v4
	s_lshl_b32 s0, ttmp7, 5
	v_lshrrev_b32_e32 v10, 3, v4
	s_and_b32 s0, s0, 0x1fffe0
	v_lshrrev_b32_e32 v31, 5, v4
	v_or_b32_e32 v0, s10, v5
	v_add_nc_u32_e32 v11, s0, v7
	v_lshlrev_b32_e32 v4, 4, v5
	v_add_nc_u32_e32 v5, s0, v10
	v_lshl_add_u32 v39, v7, 7, 0x1000
	v_mul_lo_u32 v8, s15, v0
	v_mad_co_u64_u32 v[2:3], null, s14, v0, 0
	v_add_nc_u32_e32 v12, 16, v11
	s_wait_kmcnt 0x0
	v_cmp_gt_i32_e64 s0, s7, v0
	v_lshl_or_b32 v32, v31, 9, v4
	v_cmp_gt_i32_e32 vcc_lo, s7, v5
	v_lshlrev_b32_e32 v0, 4, v5
	v_mad_co_u64_u32 v[4:5], null, s28, v12, 0
	v_add3_u32 v3, v3, s1, v8
	v_lshlrev_b32_e32 v9, 4, v30
	v_lshlrev_b32_e32 v38, 4, v6
	v_add_nc_u32_e32 v6, s10, v6
	v_cmp_gt_i64_e64 s24, s[8:9], 0
	v_lshlrev_b64_e32 v[2:3], 4, v[2:3]
	v_lshl_or_b32 v8, v10, 7, v9
	s_delay_alu instid0(VALU_DEP_2) | instskip(SKIP_1) | instid1(VALU_DEP_3)
	v_add_co_u32 v34, s1, s12, v2
	s_wait_alu 0xf1ff
	v_add_co_ci_u32_e64 v35, null, s13, v3, s1
	v_mad_co_u64_u32 v[2:3], null, s28, v11, 0
	v_add_co_u32 v36, s1, s18, v0
	v_add_nc_u32_e32 v33, 0x1000, v8
	s_wait_alu 0xf1ff
	v_add_co_ci_u32_e64 v37, null, s19, 0, s1
	s_xor_b32 s1, s2, -1
	v_mov_b32_e32 v0, v3
	s_or_b32 s14, s3, s4
	s_wait_alu 0xfffe
	s_or_b32 s10, s11, s1
	v_cmp_gt_i32_e64 s1, s7, v11
	v_cmp_le_i32_e64 s2, v6, v11
	v_mad_co_u64_u32 v[7:8], null, s29, v11, v[0:1]
	v_mov_b32_e32 v0, v5
	v_add_nc_u32_e32 v8, 16, v6
	s_delay_alu instid0(VALU_DEP_4)
	s_and_b32 s11, s1, s2
	v_cmp_gt_i32_e64 s2, s7, v12
	v_cmp_le_i32_e64 s4, v6, v12
	v_mad_co_u64_u32 v[9:10], null, s29, v12, v[0:1]
	v_cmp_le_i32_e64 s3, v8, v11
	v_mov_b32_e32 v3, v7
	v_ashrrev_i32_e32 v7, 31, v6
	s_and_b32 s4, s2, s4
	s_and_b32 s13, s14, s24
	;; [unrolled: 1-line block ×3, first 2 shown]
	v_mov_b32_e32 v5, v9
	v_cmp_le_i32_e64 s1, v8, v12
	v_lshlrev_b64_e32 v[10:11], 4, v[2:3]
	v_ashrrev_i32_e32 v9, 31, v8
	s_mov_b32 s7, 0
	v_lshlrev_b64_e32 v[12:13], 4, v[4:5]
	s_and_b32 s1, s2, s1
	s_xor_b32 s14, vcc_lo, -1
	s_branch .LBB259_7
.LBB259_6:                              ;   in Loop: Header=BB259_7 Depth=1
	s_wait_alu 0xfffe
	s_or_b32 exec_lo, exec_lo, s2
	s_add_co_i32 s6, s6, 0x10000
	s_wait_alu 0xfffe
	s_cmp_lt_u32 s6, s5
	s_cbranch_scc0 .LBB259_39
.LBB259_7:                              ; =>This Loop Header: Depth=1
                                        ;     Child Loop BB259_10 Depth 2
	v_mov_b32_e32 v26, 0
	v_mov_b32_e32 v22, 0
	;; [unrolled: 1-line block ×3, first 2 shown]
	v_dual_mov_b32 v16, 0 :: v_dual_mov_b32 v27, 0
	v_dual_mov_b32 v28, 0 :: v_dual_mov_b32 v23, 0
	;; [unrolled: 1-line block ×5, first 2 shown]
	v_mov_b32_e32 v25, 0
	v_mov_b32_e32 v21, 0
	v_mov_b32_e32 v15, 0
	s_wait_alu 0xfffe
	s_and_not1_b32 vcc_lo, exec_lo, s13
	s_wait_alu 0xfffe
	s_cbranch_vccnz .LBB259_18
; %bb.8:                                ;   in Loop: Header=BB259_7 Depth=1
	s_mul_u64 s[2:3], s[16:17], s[6:7]
	s_mul_u64 s[18:19], s[22:23], s[6:7]
	s_wait_alu 0xfffe
	s_lshl_b64 s[2:3], s[2:3], 4
	v_mov_b32_e32 v14, 0
	s_wait_alu 0xfffe
	v_add_co_u32 v40, vcc_lo, v34, s2
	s_wait_alu 0xfffd
	v_add_co_ci_u32_e64 v41, null, s3, v35, vcc_lo
	s_lshl_b64 s[2:3], s[18:19], 4
	v_mov_b32_e32 v20, 0
	v_mov_b32_e32 v24, 0
	;; [unrolled: 1-line block ×3, first 2 shown]
	s_wait_alu 0xfffe
	v_add_co_u32 v42, vcc_lo, v36, s2
	v_dual_mov_b32 v15, 0 :: v_dual_mov_b32 v16, 0
	v_dual_mov_b32 v21, 0 :: v_dual_mov_b32 v18, 0
	v_dual_mov_b32 v25, 0 :: v_dual_mov_b32 v22, 0
	v_dual_mov_b32 v29, 0 :: v_dual_mov_b32 v26, 0
	v_mov_b32_e32 v17, 0
	v_mov_b32_e32 v19, 0
	;; [unrolled: 1-line block ×4, first 2 shown]
	s_wait_alu 0xfffd
	v_add_co_ci_u32_e64 v43, null, s3, v37, vcc_lo
	s_mov_b64 s[2:3], 0
	s_branch .LBB259_10
.LBB259_9:                              ;   in Loop: Header=BB259_10 Depth=2
	s_wait_alu 0xfffe
	s_or_b32 exec_lo, exec_lo, s15
	s_wait_dscnt 0x0
	s_barrier_signal -1
	s_barrier_wait -1
	global_inv scope:SCOPE_SE
	ds_load_b128 v[2:5], v39
	ds_load_b128 v[44:47], v38
	ds_load_b128 v[48:51], v38 offset:256
	ds_load_b128 v[52:55], v39 offset:2048
	;; [unrolled: 1-line block ×10, first 2 shown]
	s_add_nc_u64 s[2:3], s[2:3], 8
	s_wait_alu 0xfffe
	v_cmp_gt_i64_e64 s15, s[8:9], s[2:3]
	s_and_b32 vcc_lo, exec_lo, s15
	s_wait_dscnt 0xa
	v_mul_f64_e32 v[88:89], v[4:5], v[46:47]
	v_mul_f64_e32 v[90:91], v[2:3], v[46:47]
	s_wait_dscnt 0x9
	v_mul_f64_e32 v[92:93], v[4:5], v[50:51]
	v_mul_f64_e32 v[94:95], v[2:3], v[50:51]
	;; [unrolled: 3-line block ×3, first 2 shown]
	v_mul_f64_e32 v[98:99], v[54:55], v[50:51]
	v_mul_f64_e32 v[50:51], v[52:53], v[50:51]
	s_wait_dscnt 0x5
	v_mul_f64_e32 v[100:101], v[58:59], v[66:67]
	v_mul_f64_e32 v[102:103], v[56:57], v[66:67]
	s_wait_dscnt 0x4
	v_mul_f64_e32 v[104:105], v[58:59], v[70:71]
	v_mul_f64_e32 v[106:107], v[56:57], v[70:71]
	v_mul_f64_e32 v[108:109], v[62:63], v[66:67]
	v_mul_f64_e32 v[66:67], v[60:61], v[66:67]
	v_mul_f64_e32 v[110:111], v[62:63], v[70:71]
	v_mul_f64_e32 v[70:71], v[60:61], v[70:71]
	s_wait_dscnt 0x2
	v_mul_f64_e32 v[116:117], v[74:75], v[78:79]
	v_mul_f64_e32 v[118:119], v[72:73], v[78:79]
	s_wait_dscnt 0x1
	v_mul_f64_e32 v[120:121], v[74:75], v[82:83]
	v_mul_f64_e32 v[122:123], v[72:73], v[82:83]
	s_wait_dscnt 0x0
	v_mul_f64_e32 v[124:125], v[86:87], v[78:79]
	v_mul_f64_e32 v[78:79], v[84:85], v[78:79]
	v_mul_f64_e32 v[126:127], v[86:87], v[82:83]
	v_mul_f64_e32 v[82:83], v[84:85], v[82:83]
	v_fma_f64 v[88:89], v[2:3], v[44:45], -v[88:89]
	v_fma_f64 v[90:91], v[4:5], v[44:45], v[90:91]
	v_fma_f64 v[92:93], v[2:3], v[48:49], -v[92:93]
	v_fma_f64 v[94:95], v[4:5], v[48:49], v[94:95]
	;; [unrolled: 2-line block ×8, first 2 shown]
	ds_load_b128 v[2:5], v39 offset:48
	ds_load_b128 v[44:47], v38 offset:1536
	ds_load_b128 v[48:51], v38 offset:1792
	ds_load_b128 v[52:55], v39 offset:2096
	v_fma_f64 v[116:117], v[72:73], v[76:77], -v[116:117]
	v_fma_f64 v[118:119], v[74:75], v[76:77], v[118:119]
	v_fma_f64 v[72:73], v[72:73], v[80:81], -v[120:121]
	v_fma_f64 v[74:75], v[74:75], v[80:81], v[122:123]
	;; [unrolled: 2-line block ×4, first 2 shown]
	s_wait_dscnt 0x2
	v_mul_f64_e32 v[106:107], v[2:3], v[46:47]
	s_wait_dscnt 0x1
	v_mul_f64_e32 v[108:109], v[4:5], v[50:51]
	v_mul_f64_e32 v[110:111], v[2:3], v[50:51]
	v_add_f64_e32 v[66:67], v[26:27], v[88:89]
	v_add_f64_e32 v[68:69], v[90:91], v[28:29]
	v_add_f64_e32 v[70:71], v[22:23], v[92:93]
	v_add_f64_e32 v[88:89], v[94:95], v[24:25]
	v_add_f64_e32 v[90:91], v[18:19], v[96:97]
	v_add_f64_e32 v[92:93], v[112:113], v[20:21]
	v_add_f64_e32 v[94:95], v[16:17], v[98:99]
	v_add_f64_e32 v[96:97], v[114:115], v[14:15]
	v_mul_f64_e32 v[98:99], v[4:5], v[46:47]
	s_wait_dscnt 0x0
	v_mul_f64_e32 v[112:113], v[54:55], v[46:47]
	v_mul_f64_e32 v[46:47], v[52:53], v[46:47]
	;; [unrolled: 1-line block ×4, first 2 shown]
	ds_load_b128 v[14:17], v39 offset:64
	ds_load_b128 v[18:21], v38 offset:2048
	;; [unrolled: 1-line block ×4, first 2 shown]
	s_wait_dscnt 0x1
	v_mul_f64_e32 v[122:123], v[14:15], v[24:25]
	s_wait_dscnt 0x0
	v_mul_f64_e32 v[124:125], v[28:29], v[20:21]
	v_mul_f64_e32 v[126:127], v[28:29], v[24:25]
	v_fma_f64 v[106:107], v[4:5], v[44:45], v[106:107]
	v_fma_f64 v[108:109], v[2:3], v[48:49], -v[108:109]
	v_fma_f64 v[110:111], v[4:5], v[48:49], v[110:111]
	v_add_f64_e32 v[82:83], v[66:67], v[100:101]
	v_add_f64_e32 v[84:85], v[102:103], v[68:69]
	;; [unrolled: 1-line block ×8, first 2 shown]
	v_mul_f64_e32 v[100:101], v[16:17], v[20:21]
	v_mul_f64_e32 v[102:103], v[14:15], v[20:21]
	;; [unrolled: 1-line block ×5, first 2 shown]
	v_fma_f64 v[98:99], v[2:3], v[44:45], -v[98:99]
	v_fma_f64 v[112:113], v[52:53], v[44:45], -v[112:113]
	v_fma_f64 v[128:129], v[54:55], v[44:45], v[46:47]
	v_fma_f64 v[114:115], v[52:53], v[48:49], -v[114:115]
	v_fma_f64 v[130:131], v[54:55], v[48:49], v[50:51]
	ds_load_b128 v[56:59], v39 offset:80
	ds_load_b128 v[60:63], v38 offset:2560
	;; [unrolled: 1-line block ×8, first 2 shown]
	v_add_f64_e32 v[82:83], v[82:83], v[116:117]
	v_add_f64_e32 v[84:85], v[118:119], v[84:85]
	;; [unrolled: 1-line block ×8, first 2 shown]
	s_wait_dscnt 0x6
	v_mul_f64_e32 v[88:89], v[58:59], v[62:63]
	v_mul_f64_e32 v[90:91], v[56:57], v[62:63]
	s_wait_dscnt 0x5
	v_mul_f64_e32 v[92:93], v[58:59], v[66:67]
	v_mul_f64_e32 v[94:95], v[56:57], v[66:67]
	s_wait_dscnt 0x4
	v_mul_f64_e32 v[96:97], v[70:71], v[62:63]
	v_mul_f64_e32 v[62:63], v[68:69], v[62:63]
	v_mul_f64_e32 v[116:117], v[70:71], v[66:67]
	v_mul_f64_e32 v[66:67], v[68:69], v[66:67]
	v_fma_f64 v[100:101], v[14:15], v[18:19], -v[100:101]
	v_fma_f64 v[102:103], v[16:17], v[18:19], v[102:103]
	v_fma_f64 v[104:105], v[14:15], v[22:23], -v[104:105]
	v_fma_f64 v[118:119], v[16:17], v[22:23], v[122:123]
	;; [unrolled: 2-line block ×4, first 2 shown]
	ds_load_b128 v[14:17], v39 offset:112
	ds_load_b128 v[18:21], v38 offset:3584
	;; [unrolled: 1-line block ×4, first 2 shown]
	s_wait_loadcnt_dscnt 0x0
	s_barrier_signal -1
	s_barrier_wait -1
	global_inv scope:SCOPE_SE
	v_add_f64_e32 v[82:83], v[82:83], v[98:99]
	v_add_f64_e32 v[84:85], v[106:107], v[84:85]
	;; [unrolled: 1-line block ×8, first 2 shown]
	v_mul_f64_e32 v[98:99], v[4:5], v[46:47]
	v_mul_f64_e32 v[106:107], v[2:3], v[46:47]
	;; [unrolled: 1-line block ×8, first 2 shown]
	v_fma_f64 v[88:89], v[56:57], v[60:61], -v[88:89]
	v_fma_f64 v[90:91], v[58:59], v[60:61], v[90:91]
	v_fma_f64 v[56:57], v[56:57], v[64:65], -v[92:93]
	v_fma_f64 v[58:59], v[58:59], v[64:65], v[94:95]
	;; [unrolled: 2-line block ×4, first 2 shown]
	v_mul_f64_e32 v[94:95], v[14:15], v[24:25]
	v_mul_f64_e32 v[96:97], v[28:29], v[20:21]
	v_add_f64_e32 v[66:67], v[82:83], v[100:101]
	v_add_f64_e32 v[68:69], v[102:103], v[84:85]
	;; [unrolled: 1-line block ×8, first 2 shown]
	v_mul_f64_e32 v[82:83], v[16:17], v[20:21]
	v_mul_f64_e32 v[84:85], v[14:15], v[20:21]
	;; [unrolled: 1-line block ×6, first 2 shown]
	v_fma_f64 v[98:99], v[2:3], v[44:45], -v[98:99]
	v_fma_f64 v[102:103], v[4:5], v[44:45], v[106:107]
	v_fma_f64 v[2:3], v[2:3], v[48:49], -v[108:109]
	v_fma_f64 v[4:5], v[4:5], v[48:49], v[110:111]
	;; [unrolled: 2-line block ×4, first 2 shown]
	v_add_f64_e32 v[50:51], v[66:67], v[88:89]
	v_add_f64_e32 v[52:53], v[90:91], v[68:69]
	;; [unrolled: 1-line block ×8, first 2 shown]
	v_fma_f64 v[66:67], v[14:15], v[18:19], -v[82:83]
	v_fma_f64 v[68:69], v[16:17], v[18:19], v[84:85]
	v_fma_f64 v[14:15], v[14:15], v[22:23], -v[86:87]
	v_fma_f64 v[16:17], v[16:17], v[22:23], v[94:95]
	;; [unrolled: 2-line block ×4, first 2 shown]
	v_add_f64_e32 v[18:19], v[50:51], v[98:99]
	v_add_f64_e32 v[22:23], v[102:103], v[52:53]
	;; [unrolled: 1-line block ×16, first 2 shown]
	s_wait_alu 0xfffe
	s_cbranch_vccz .LBB259_18
.LBB259_10:                             ;   Parent Loop BB259_7 Depth=1
                                        ; =>  This Inner Loop Header: Depth=2
	v_mov_b32_e32 v2, 0
	v_dual_mov_b32 v3, 0 :: v_dual_mov_b32 v4, 0
	v_mov_b32_e32 v5, 0
	s_and_saveexec_b32 s15, s0
	s_cbranch_execz .LBB259_14
; %bb.11:                               ;   in Loop: Header=BB259_10 Depth=2
	v_mov_b32_e32 v4, 0
	v_mov_b32_e32 v2, 0
	s_wait_alu 0xfffe
	v_dual_mov_b32 v5, 0 :: v_dual_add_nc_u32 v0, s2, v31
	v_mov_b32_e32 v3, 0
	s_mov_b32 s18, exec_lo
	s_delay_alu instid0(VALU_DEP_2)
	v_cmpx_gt_u64_e64 s[8:9], v[0:1]
	s_cbranch_execz .LBB259_13
; %bb.12:                               ;   in Loop: Header=BB259_10 Depth=2
	v_lshlrev_b64_e32 v[2:3], 4, v[0:1]
	s_delay_alu instid0(VALU_DEP_1) | instskip(SKIP_1) | instid1(VALU_DEP_2)
	v_add_co_u32 v2, vcc_lo, v40, v2
	s_wait_alu 0xfffd
	v_add_co_ci_u32_e64 v3, null, v41, v3, vcc_lo
	global_load_b128 v[2:5], v[2:3], off
	s_wait_loadcnt 0x0
	v_xor_b32_e32 v5, 0x80000000, v5
.LBB259_13:                             ;   in Loop: Header=BB259_10 Depth=2
	s_wait_alu 0xfffe
	s_or_b32 exec_lo, exec_lo, s18
.LBB259_14:                             ;   in Loop: Header=BB259_10 Depth=2
	s_wait_alu 0xfffe
	s_or_b32 exec_lo, exec_lo, s15
	v_add_nc_u32_e32 v0, s2, v30
	ds_store_b128 v32, v[2:5]
	v_cmp_le_u64_e32 vcc_lo, s[8:9], v[0:1]
	s_or_b32 s15, vcc_lo, s14
	s_wait_alu 0xfffe
	s_and_saveexec_b32 s18, s15
	s_wait_alu 0xfffe
	s_xor_b32 s15, exec_lo, s18
; %bb.15:                               ;   in Loop: Header=BB259_10 Depth=2
	v_dual_mov_b32 v0, v1 :: v_dual_mov_b32 v3, v1
	v_mov_b32_e32 v2, v1
	ds_store_b128 v33, v[0:3]
; %bb.16:                               ;   in Loop: Header=BB259_10 Depth=2
	s_wait_alu 0xfffe
	s_and_not1_saveexec_b32 s15, s15
	s_cbranch_execz .LBB259_9
; %bb.17:                               ;   in Loop: Header=BB259_10 Depth=2
	v_mad_co_u64_u32 v[2:3], null, s20, v0, 0
	s_delay_alu instid0(VALU_DEP_1) | instskip(NEXT) | instid1(VALU_DEP_1)
	v_mad_co_u64_u32 v[3:4], null, s21, v0, v[3:4]
	v_lshlrev_b64_e32 v[2:3], 4, v[2:3]
	s_delay_alu instid0(VALU_DEP_1) | instskip(SKIP_1) | instid1(VALU_DEP_2)
	v_add_co_u32 v2, vcc_lo, v42, v2
	s_wait_alu 0xfffd
	v_add_co_ci_u32_e64 v3, null, v43, v3, vcc_lo
	global_load_b128 v[2:5], v[2:3], off
	s_wait_loadcnt 0x0
	ds_store_2addr_b64 v33, v[2:3], v[4:5] offset1:1
	s_branch .LBB259_9
.LBB259_18:                             ;   in Loop: Header=BB259_7 Depth=1
	s_mul_u64 s[2:3], s[30:31], s[6:7]
	s_wait_alu 0xfffe
	s_lshl_b64 s[2:3], s[2:3], 4
	s_wait_alu 0xfffe
	s_add_nc_u64 s[2:3], s[26:27], s[2:3]
	s_wait_alu 0xfffe
	v_add_co_u32 v0, vcc_lo, s2, v10
	s_wait_alu 0xfffd
	v_add_co_ci_u32_e64 v40, null, s3, v11, vcc_lo
	s_and_saveexec_b32 s15, s11
	s_cbranch_execz .LBB259_23
; %bb.19:                               ;   in Loop: Header=BB259_7 Depth=1
	v_mul_f64_e32 v[2:3], s[42:43], v[28:29]
	v_mul_f64_e32 v[4:5], s[40:41], v[28:29]
	s_and_b32 vcc_lo, exec_lo, s10
	s_mov_b32 s18, -1
	s_delay_alu instid0(VALU_DEP_2) | instskip(NEXT) | instid1(VALU_DEP_2)
	v_fma_f64 v[2:3], s[40:41], v[26:27], -v[2:3]
	v_fma_f64 v[4:5], s[42:43], v[26:27], v[4:5]
	s_wait_alu 0xfffe
	s_cbranch_vccz .LBB259_21
; %bb.20:                               ;   in Loop: Header=BB259_7 Depth=1
	v_lshlrev_b64_e32 v[26:27], 4, v[6:7]
	s_mov_b32 s18, 0
	s_delay_alu instid0(VALU_DEP_1) | instskip(SKIP_1) | instid1(VALU_DEP_2)
	v_add_co_u32 v41, vcc_lo, v0, v26
	s_wait_alu 0xfffd
	v_add_co_ci_u32_e64 v42, null, v40, v27, vcc_lo
	global_load_b128 v[26:29], v[41:42], off
	s_wait_loadcnt 0x0
	v_mul_f64_e32 v[43:44], s[38:39], v[28:29]
	v_mul_f64_e32 v[28:29], s[36:37], v[28:29]
	s_delay_alu instid0(VALU_DEP_2) | instskip(NEXT) | instid1(VALU_DEP_2)
	v_fma_f64 v[43:44], s[36:37], v[26:27], -v[43:44]
	v_fma_f64 v[28:29], s[38:39], v[26:27], v[28:29]
	s_delay_alu instid0(VALU_DEP_2) | instskip(NEXT) | instid1(VALU_DEP_2)
	v_add_f64_e32 v[26:27], v[2:3], v[43:44]
	v_add_f64_e32 v[28:29], v[4:5], v[28:29]
	global_store_b128 v[41:42], v[26:29], off
.LBB259_21:                             ;   in Loop: Header=BB259_7 Depth=1
	s_wait_alu 0xfffe
	s_and_not1_b32 vcc_lo, exec_lo, s18
	s_wait_alu 0xfffe
	s_cbranch_vccnz .LBB259_23
; %bb.22:                               ;   in Loop: Header=BB259_7 Depth=1
	v_lshlrev_b64_e32 v[26:27], 4, v[6:7]
	s_delay_alu instid0(VALU_DEP_1) | instskip(SKIP_1) | instid1(VALU_DEP_2)
	v_add_co_u32 v26, vcc_lo, v0, v26
	s_wait_alu 0xfffd
	v_add_co_ci_u32_e64 v27, null, v40, v27, vcc_lo
	global_store_b128 v[26:27], v[2:5], off
.LBB259_23:                             ;   in Loop: Header=BB259_7 Depth=1
	s_wait_alu 0xfffe
	s_or_b32 exec_lo, exec_lo, s15
	s_and_saveexec_b32 s15, s12
	s_cbranch_execz .LBB259_28
; %bb.24:                               ;   in Loop: Header=BB259_7 Depth=1
	v_mul_f64_e32 v[2:3], s[42:43], v[24:25]
	v_mul_f64_e32 v[4:5], s[40:41], v[24:25]
	s_and_not1_b32 vcc_lo, exec_lo, s10
	s_mov_b32 s18, -1
	s_delay_alu instid0(VALU_DEP_2) | instskip(NEXT) | instid1(VALU_DEP_2)
	v_fma_f64 v[2:3], s[40:41], v[22:23], -v[2:3]
	v_fma_f64 v[4:5], s[42:43], v[22:23], v[4:5]
	s_wait_alu 0xfffe
	s_cbranch_vccnz .LBB259_26
; %bb.25:                               ;   in Loop: Header=BB259_7 Depth=1
	v_lshlrev_b64_e32 v[22:23], 4, v[8:9]
	s_mov_b32 s18, 0
	s_delay_alu instid0(VALU_DEP_1) | instskip(SKIP_1) | instid1(VALU_DEP_2)
	v_add_co_u32 v26, vcc_lo, v0, v22
	s_wait_alu 0xfffd
	v_add_co_ci_u32_e64 v27, null, v40, v23, vcc_lo
	global_load_b128 v[22:25], v[26:27], off
	s_wait_loadcnt 0x0
	v_mul_f64_e32 v[28:29], s[38:39], v[24:25]
	v_mul_f64_e32 v[24:25], s[36:37], v[24:25]
	s_delay_alu instid0(VALU_DEP_2) | instskip(NEXT) | instid1(VALU_DEP_2)
	v_fma_f64 v[28:29], s[36:37], v[22:23], -v[28:29]
	v_fma_f64 v[24:25], s[38:39], v[22:23], v[24:25]
	s_delay_alu instid0(VALU_DEP_2) | instskip(NEXT) | instid1(VALU_DEP_2)
	v_add_f64_e32 v[22:23], v[2:3], v[28:29]
	v_add_f64_e32 v[24:25], v[4:5], v[24:25]
	global_store_b128 v[26:27], v[22:25], off
.LBB259_26:                             ;   in Loop: Header=BB259_7 Depth=1
	s_wait_alu 0xfffe
	s_and_not1_b32 vcc_lo, exec_lo, s18
	s_wait_alu 0xfffe
	s_cbranch_vccnz .LBB259_28
; %bb.27:                               ;   in Loop: Header=BB259_7 Depth=1
	v_lshlrev_b64_e32 v[22:23], 4, v[8:9]
	s_delay_alu instid0(VALU_DEP_1) | instskip(SKIP_1) | instid1(VALU_DEP_2)
	v_add_co_u32 v22, vcc_lo, v0, v22
	s_wait_alu 0xfffd
	v_add_co_ci_u32_e64 v23, null, v40, v23, vcc_lo
	global_store_b128 v[22:23], v[2:5], off
.LBB259_28:                             ;   in Loop: Header=BB259_7 Depth=1
	s_wait_alu 0xfffe
	s_or_b32 exec_lo, exec_lo, s15
	v_add_co_u32 v0, vcc_lo, s2, v12
	s_wait_alu 0xfffd
	v_add_co_ci_u32_e64 v22, null, s3, v13, vcc_lo
	s_and_saveexec_b32 s2, s4
	s_cbranch_execz .LBB259_33
; %bb.29:                               ;   in Loop: Header=BB259_7 Depth=1
	v_mul_f64_e32 v[2:3], s[42:43], v[20:21]
	v_mul_f64_e32 v[4:5], s[40:41], v[20:21]
	s_and_not1_b32 vcc_lo, exec_lo, s10
	s_mov_b32 s3, -1
	s_delay_alu instid0(VALU_DEP_2) | instskip(NEXT) | instid1(VALU_DEP_2)
	v_fma_f64 v[2:3], s[40:41], v[18:19], -v[2:3]
	v_fma_f64 v[4:5], s[42:43], v[18:19], v[4:5]
	v_lshlrev_b64_e32 v[18:19], 4, v[6:7]
	s_wait_alu 0xfffe
	s_cbranch_vccnz .LBB259_31
; %bb.30:                               ;   in Loop: Header=BB259_7 Depth=1
	s_delay_alu instid0(VALU_DEP_1) | instskip(SKIP_1) | instid1(VALU_DEP_2)
	v_add_co_u32 v20, vcc_lo, v0, v18
	s_wait_alu 0xfffd
	v_add_co_ci_u32_e64 v21, null, v22, v19, vcc_lo
	s_mov_b32 s3, 0
	global_load_b128 v[23:26], v[20:21], off
	s_wait_loadcnt 0x0
	v_mul_f64_e32 v[27:28], s[38:39], v[25:26]
	v_mul_f64_e32 v[25:26], s[36:37], v[25:26]
	s_delay_alu instid0(VALU_DEP_2) | instskip(NEXT) | instid1(VALU_DEP_2)
	v_fma_f64 v[27:28], s[36:37], v[23:24], -v[27:28]
	v_fma_f64 v[25:26], s[38:39], v[23:24], v[25:26]
	s_delay_alu instid0(VALU_DEP_2) | instskip(NEXT) | instid1(VALU_DEP_2)
	v_add_f64_e32 v[23:24], v[2:3], v[27:28]
	v_add_f64_e32 v[25:26], v[4:5], v[25:26]
	global_store_b128 v[20:21], v[23:26], off
.LBB259_31:                             ;   in Loop: Header=BB259_7 Depth=1
	s_wait_alu 0xfffe
	s_and_not1_b32 vcc_lo, exec_lo, s3
	s_wait_alu 0xfffe
	s_cbranch_vccnz .LBB259_33
; %bb.32:                               ;   in Loop: Header=BB259_7 Depth=1
	v_add_co_u32 v18, vcc_lo, v0, v18
	s_wait_alu 0xfffd
	v_add_co_ci_u32_e64 v19, null, v22, v19, vcc_lo
	global_store_b128 v[18:19], v[2:5], off
.LBB259_33:                             ;   in Loop: Header=BB259_7 Depth=1
	s_wait_alu 0xfffe
	s_or_b32 exec_lo, exec_lo, s2
	s_and_saveexec_b32 s2, s1
	s_cbranch_execz .LBB259_6
; %bb.34:                               ;   in Loop: Header=BB259_7 Depth=1
	v_mul_f64_e32 v[2:3], s[42:43], v[14:15]
	v_mul_f64_e32 v[4:5], s[40:41], v[14:15]
	v_lshlrev_b64_e32 v[14:15], 4, v[8:9]
	s_and_not1_b32 vcc_lo, exec_lo, s10
	s_mov_b32 s3, -1
	s_delay_alu instid0(VALU_DEP_3) | instskip(NEXT) | instid1(VALU_DEP_3)
	v_fma_f64 v[2:3], s[40:41], v[16:17], -v[2:3]
	v_fma_f64 v[4:5], s[42:43], v[16:17], v[4:5]
	s_wait_alu 0xfffe
	s_cbranch_vccnz .LBB259_36
; %bb.35:                               ;   in Loop: Header=BB259_7 Depth=1
	v_add_co_u32 v20, vcc_lo, v0, v14
	s_wait_alu 0xfffd
	v_add_co_ci_u32_e64 v21, null, v22, v15, vcc_lo
	s_mov_b32 s3, 0
	global_load_b128 v[16:19], v[20:21], off
	s_wait_loadcnt 0x0
	v_mul_f64_e32 v[23:24], s[38:39], v[18:19]
	v_mul_f64_e32 v[18:19], s[36:37], v[18:19]
	s_delay_alu instid0(VALU_DEP_2) | instskip(NEXT) | instid1(VALU_DEP_2)
	v_fma_f64 v[23:24], s[36:37], v[16:17], -v[23:24]
	v_fma_f64 v[18:19], s[38:39], v[16:17], v[18:19]
	s_delay_alu instid0(VALU_DEP_2) | instskip(NEXT) | instid1(VALU_DEP_2)
	v_add_f64_e32 v[16:17], v[2:3], v[23:24]
	v_add_f64_e32 v[18:19], v[4:5], v[18:19]
	global_store_b128 v[20:21], v[16:19], off
.LBB259_36:                             ;   in Loop: Header=BB259_7 Depth=1
	s_wait_alu 0xfffe
	s_and_not1_b32 vcc_lo, exec_lo, s3
	s_wait_alu 0xfffe
	s_cbranch_vccnz .LBB259_6
; %bb.37:                               ;   in Loop: Header=BB259_7 Depth=1
	v_add_co_u32 v14, vcc_lo, v0, v14
	s_wait_alu 0xfffd
	v_add_co_ci_u32_e64 v15, null, v22, v15, vcc_lo
	global_store_b128 v[14:15], v[2:5], off
	s_branch .LBB259_6
.LBB259_38:
.LBB259_39:
	s_nop 0
	s_sendmsg sendmsg(MSG_DEALLOC_VGPRS)
	s_endpgm
	.section	.rodata,"a",@progbits
	.p2align	6, 0x0
	.amdhsa_kernel _ZL29rocblas_internal_gemmt_kernelIlLi16ELi32ELi8ELc67ELc84ELc85ELb1ELb0E19rocblas_complex_numIdEPKS1_S3_PS1_EviT_T9_T10_S5_lS7_S5_lS6_T11_S5_li
		.amdhsa_group_segment_fixed_size 8192
		.amdhsa_private_segment_fixed_size 0
		.amdhsa_kernarg_size 108
		.amdhsa_user_sgpr_count 2
		.amdhsa_user_sgpr_dispatch_ptr 0
		.amdhsa_user_sgpr_queue_ptr 0
		.amdhsa_user_sgpr_kernarg_segment_ptr 1
		.amdhsa_user_sgpr_dispatch_id 0
		.amdhsa_user_sgpr_private_segment_size 0
		.amdhsa_wavefront_size32 1
		.amdhsa_uses_dynamic_stack 0
		.amdhsa_enable_private_segment 0
		.amdhsa_system_sgpr_workgroup_id_x 1
		.amdhsa_system_sgpr_workgroup_id_y 1
		.amdhsa_system_sgpr_workgroup_id_z 1
		.amdhsa_system_sgpr_workgroup_info 0
		.amdhsa_system_vgpr_workitem_id 1
		.amdhsa_next_free_vgpr 132
		.amdhsa_next_free_sgpr 44
		.amdhsa_reserve_vcc 1
		.amdhsa_float_round_mode_32 0
		.amdhsa_float_round_mode_16_64 0
		.amdhsa_float_denorm_mode_32 3
		.amdhsa_float_denorm_mode_16_64 3
		.amdhsa_fp16_overflow 0
		.amdhsa_workgroup_processor_mode 1
		.amdhsa_memory_ordered 1
		.amdhsa_forward_progress 1
		.amdhsa_inst_pref_size 27
		.amdhsa_round_robin_scheduling 0
		.amdhsa_exception_fp_ieee_invalid_op 0
		.amdhsa_exception_fp_denorm_src 0
		.amdhsa_exception_fp_ieee_div_zero 0
		.amdhsa_exception_fp_ieee_overflow 0
		.amdhsa_exception_fp_ieee_underflow 0
		.amdhsa_exception_fp_ieee_inexact 0
		.amdhsa_exception_int_div_zero 0
	.end_amdhsa_kernel
	.section	.text._ZL29rocblas_internal_gemmt_kernelIlLi16ELi32ELi8ELc67ELc84ELc85ELb1ELb0E19rocblas_complex_numIdEPKS1_S3_PS1_EviT_T9_T10_S5_lS7_S5_lS6_T11_S5_li,"axG",@progbits,_ZL29rocblas_internal_gemmt_kernelIlLi16ELi32ELi8ELc67ELc84ELc85ELb1ELb0E19rocblas_complex_numIdEPKS1_S3_PS1_EviT_T9_T10_S5_lS7_S5_lS6_T11_S5_li,comdat
.Lfunc_end259:
	.size	_ZL29rocblas_internal_gemmt_kernelIlLi16ELi32ELi8ELc67ELc84ELc85ELb1ELb0E19rocblas_complex_numIdEPKS1_S3_PS1_EviT_T9_T10_S5_lS7_S5_lS6_T11_S5_li, .Lfunc_end259-_ZL29rocblas_internal_gemmt_kernelIlLi16ELi32ELi8ELc67ELc84ELc85ELb1ELb0E19rocblas_complex_numIdEPKS1_S3_PS1_EviT_T9_T10_S5_lS7_S5_lS6_T11_S5_li
                                        ; -- End function
	.set _ZL29rocblas_internal_gemmt_kernelIlLi16ELi32ELi8ELc67ELc84ELc85ELb1ELb0E19rocblas_complex_numIdEPKS1_S3_PS1_EviT_T9_T10_S5_lS7_S5_lS6_T11_S5_li.num_vgpr, 132
	.set _ZL29rocblas_internal_gemmt_kernelIlLi16ELi32ELi8ELc67ELc84ELc85ELb1ELb0E19rocblas_complex_numIdEPKS1_S3_PS1_EviT_T9_T10_S5_lS7_S5_lS6_T11_S5_li.num_agpr, 0
	.set _ZL29rocblas_internal_gemmt_kernelIlLi16ELi32ELi8ELc67ELc84ELc85ELb1ELb0E19rocblas_complex_numIdEPKS1_S3_PS1_EviT_T9_T10_S5_lS7_S5_lS6_T11_S5_li.numbered_sgpr, 44
	.set _ZL29rocblas_internal_gemmt_kernelIlLi16ELi32ELi8ELc67ELc84ELc85ELb1ELb0E19rocblas_complex_numIdEPKS1_S3_PS1_EviT_T9_T10_S5_lS7_S5_lS6_T11_S5_li.num_named_barrier, 0
	.set _ZL29rocblas_internal_gemmt_kernelIlLi16ELi32ELi8ELc67ELc84ELc85ELb1ELb0E19rocblas_complex_numIdEPKS1_S3_PS1_EviT_T9_T10_S5_lS7_S5_lS6_T11_S5_li.private_seg_size, 0
	.set _ZL29rocblas_internal_gemmt_kernelIlLi16ELi32ELi8ELc67ELc84ELc85ELb1ELb0E19rocblas_complex_numIdEPKS1_S3_PS1_EviT_T9_T10_S5_lS7_S5_lS6_T11_S5_li.uses_vcc, 1
	.set _ZL29rocblas_internal_gemmt_kernelIlLi16ELi32ELi8ELc67ELc84ELc85ELb1ELb0E19rocblas_complex_numIdEPKS1_S3_PS1_EviT_T9_T10_S5_lS7_S5_lS6_T11_S5_li.uses_flat_scratch, 0
	.set _ZL29rocblas_internal_gemmt_kernelIlLi16ELi32ELi8ELc67ELc84ELc85ELb1ELb0E19rocblas_complex_numIdEPKS1_S3_PS1_EviT_T9_T10_S5_lS7_S5_lS6_T11_S5_li.has_dyn_sized_stack, 0
	.set _ZL29rocblas_internal_gemmt_kernelIlLi16ELi32ELi8ELc67ELc84ELc85ELb1ELb0E19rocblas_complex_numIdEPKS1_S3_PS1_EviT_T9_T10_S5_lS7_S5_lS6_T11_S5_li.has_recursion, 0
	.set _ZL29rocblas_internal_gemmt_kernelIlLi16ELi32ELi8ELc67ELc84ELc85ELb1ELb0E19rocblas_complex_numIdEPKS1_S3_PS1_EviT_T9_T10_S5_lS7_S5_lS6_T11_S5_li.has_indirect_call, 0
	.section	.AMDGPU.csdata,"",@progbits
; Kernel info:
; codeLenInByte = 3452
; TotalNumSgprs: 46
; NumVgprs: 132
; ScratchSize: 0
; MemoryBound: 1
; FloatMode: 240
; IeeeMode: 1
; LDSByteSize: 8192 bytes/workgroup (compile time only)
; SGPRBlocks: 0
; VGPRBlocks: 16
; NumSGPRsForWavesPerEU: 46
; NumVGPRsForWavesPerEU: 132
; Occupancy: 10
; WaveLimiterHint : 0
; COMPUTE_PGM_RSRC2:SCRATCH_EN: 0
; COMPUTE_PGM_RSRC2:USER_SGPR: 2
; COMPUTE_PGM_RSRC2:TRAP_HANDLER: 0
; COMPUTE_PGM_RSRC2:TGID_X_EN: 1
; COMPUTE_PGM_RSRC2:TGID_Y_EN: 1
; COMPUTE_PGM_RSRC2:TGID_Z_EN: 1
; COMPUTE_PGM_RSRC2:TIDIG_COMP_CNT: 1
	.section	.text._ZL29rocblas_internal_gemmt_kernelIlLi16ELi32ELi8ELc67ELc67ELc85ELb1ELb1E19rocblas_complex_numIdEPKS1_S3_PS1_EviT_T9_T10_S5_lS7_S5_lS6_T11_S5_li,"axG",@progbits,_ZL29rocblas_internal_gemmt_kernelIlLi16ELi32ELi8ELc67ELc67ELc85ELb1ELb1E19rocblas_complex_numIdEPKS1_S3_PS1_EviT_T9_T10_S5_lS7_S5_lS6_T11_S5_li,comdat
	.globl	_ZL29rocblas_internal_gemmt_kernelIlLi16ELi32ELi8ELc67ELc67ELc85ELb1ELb1E19rocblas_complex_numIdEPKS1_S3_PS1_EviT_T9_T10_S5_lS7_S5_lS6_T11_S5_li ; -- Begin function _ZL29rocblas_internal_gemmt_kernelIlLi16ELi32ELi8ELc67ELc67ELc85ELb1ELb1E19rocblas_complex_numIdEPKS1_S3_PS1_EviT_T9_T10_S5_lS7_S5_lS6_T11_S5_li
	.p2align	8
	.type	_ZL29rocblas_internal_gemmt_kernelIlLi16ELi32ELi8ELc67ELc67ELc85ELb1ELb1E19rocblas_complex_numIdEPKS1_S3_PS1_EviT_T9_T10_S5_lS7_S5_lS6_T11_S5_li,@function
_ZL29rocblas_internal_gemmt_kernelIlLi16ELi32ELi8ELc67ELc67ELc85ELb1ELb1E19rocblas_complex_numIdEPKS1_S3_PS1_EviT_T9_T10_S5_lS7_S5_lS6_T11_S5_li: ; @_ZL29rocblas_internal_gemmt_kernelIlLi16ELi32ELi8ELc67ELc67ELc85ELb1ELb1E19rocblas_complex_numIdEPKS1_S3_PS1_EviT_T9_T10_S5_lS7_S5_lS6_T11_S5_li
; %bb.0:
	s_clause 0x1
	s_load_b256 s[20:27], s[0:1], 0x48
	s_load_b512 s[4:19], s[0:1], 0x8
	s_wait_kmcnt 0x0
	s_load_b128 s[28:31], s[20:21], 0x0
	s_load_b128 s[36:39], s[6:7], 0x0
	s_wait_kmcnt 0x0
	v_cmp_eq_f64_e64 s3, s[28:29], 1.0
	v_cmp_eq_f64_e64 s2, s[30:31], 0
	s_and_b32 s3, s3, s2
	s_delay_alu instid0(SALU_CYCLE_1)
	s_and_not1_b32 vcc_lo, exec_lo, s3
	s_mov_b32 s3, -1
	s_cbranch_vccnz .LBB260_3
; %bb.1:
	s_cmp_lg_u64 s[4:5], 0
	s_cbranch_scc0 .LBB260_36
; %bb.2:
	v_cmp_neq_f64_e64 s3, s[36:37], 0
	v_cmp_neq_f64_e64 s6, s[38:39], 0
	s_or_b32 s3, s3, s6
.LBB260_3:
	s_delay_alu instid0(SALU_CYCLE_1)
	s_and_b32 vcc_lo, exec_lo, s3
	s_cbranch_vccz .LBB260_37
; %bb.4:
	s_load_b32 s20, s[0:1], 0x68
	s_lshr_b32 s6, ttmp7, 16
	s_wait_kmcnt 0x0
	s_cmp_ge_u32 s6, s20
	s_cbranch_scc1 .LBB260_37
; %bb.5:
	v_dual_mov_b32 v9, 0 :: v_dual_and_b32 v4, 0x3ff, v0
	v_bfe_u32 v5, v0, 10, 10
	v_cmp_neq_f64_e64 s3, s[36:37], 0
	v_cmp_neq_f64_e64 s7, s[38:39], 0
	s_lshl_b32 s33, ttmp9, 5
	v_and_b32_e32 v34, 7, v0
	v_lshl_add_u32 v2, v5, 4, v4
	s_load_b32 s21, s[0:1], 0x0
	s_ashr_i32 s1, s33, 31
	s_lshl_b32 s0, ttmp7, 5
	s_mul_i32 s1, s10, s1
	v_and_b32_e32 v3, 31, v2
	v_lshlrev_b32_e32 v8, 4, v34
	v_lshrrev_b32_e32 v10, 3, v2
	s_and_b32 s0, s0, 0x1fffe0
	v_lshrrev_b32_e32 v35, 5, v2
	v_or_b32_e32 v6, s33, v3
	v_add_nc_u32_e32 v11, s0, v5
	v_lshlrev_b32_e32 v2, 4, v3
	v_add_nc_u32_e32 v3, s0, v10
	v_cmp_neq_f64_e64 s35, s[28:29], 0
	v_mul_lo_u32 v7, s11, v6
	v_mad_co_u64_u32 v[0:1], null, s10, v6, 0
	v_lshl_or_b32 v36, v35, 9, v2
	v_lshlrev_b32_e32 v2, 4, v3
	v_lshlrev_b32_e32 v42, 4, v4
	v_lshl_add_u32 v43, v5, 7, 0x1000
	s_wait_kmcnt 0x0
	v_cmp_gt_i32_e64 s0, s21, v6
	v_cmp_gt_i64_e64 s34, s[4:5], 0
	v_add3_u32 v1, v1, s1, v7
	v_lshl_or_b32 v7, v10, 7, v8
	v_cmp_gt_i32_e64 s1, s21, v3
	v_add_nc_u32_e32 v10, s33, v4
	s_delay_alu instid0(VALU_DEP_4) | instskip(NEXT) | instid1(VALU_DEP_4)
	v_lshlrev_b64_e32 v[0:1], 4, v[0:1]
	v_add_nc_u32_e32 v37, 0x1000, v7
	v_add_nc_u32_e32 v7, 16, v11
	s_delay_alu instid0(VALU_DEP_4) | instskip(NEXT) | instid1(VALU_DEP_4)
	v_add_nc_u32_e32 v12, 16, v10
	v_add_co_u32 v38, vcc_lo, s8, v0
	s_or_b32 s7, s3, s7
	v_add_co_ci_u32_e64 v39, null, s9, v1, vcc_lo
	v_mad_co_u64_u32 v[0:1], null, s24, v11, 0
	v_add_co_u32 v40, s3, s14, v2
	v_mad_co_u64_u32 v[2:3], null, s24, v7, 0
	v_add_co_ci_u32_e64 v41, null, s15, 0, s3
	s_xor_b32 s8, s2, -1
	v_cmp_gt_i32_e32 vcc_lo, s21, v11
	v_cmp_le_i32_e64 s2, v10, v11
	v_cmp_le_i32_e64 s3, v12, v11
	v_mad_co_u64_u32 v[4:5], null, s25, v11, v[1:2]
	v_mov_b32_e32 v1, v3
	s_delay_alu instid0(VALU_DEP_4) | instskip(NEXT) | instid1(VALU_DEP_3)
	s_and_b32 s9, vcc_lo, s2
	s_and_b32 s10, vcc_lo, s3
	v_cmp_gt_i32_e32 vcc_lo, s21, v7
	v_cmp_le_i32_e64 s2, v10, v7
	v_mad_co_u64_u32 v[5:6], null, s25, v7, v[1:2]
	v_mov_b32_e32 v1, v4
	v_cmp_le_i32_e64 s3, v12, v7
	v_ashrrev_i32_e32 v11, 31, v10
	v_ashrrev_i32_e32 v13, 31, v12
	s_wait_alu 0xfffe
	s_or_b32 s8, s35, s8
	v_lshlrev_b64_e32 v[14:15], 4, v[0:1]
	v_mov_b32_e32 v3, v5
	s_and_b32 s11, s7, s34
	s_and_b32 s14, vcc_lo, s2
	s_and_b32 s15, vcc_lo, s3
	s_mov_b32 s7, 0
	v_lshlrev_b64_e32 v[16:17], 4, v[2:3]
	s_branch .LBB260_7
.LBB260_6:                              ;   in Loop: Header=BB260_7 Depth=1
	s_wait_alu 0xfffe
	s_or_b32 exec_lo, exec_lo, s2
	s_add_co_i32 s6, s6, 0x10000
	s_delay_alu instid0(SALU_CYCLE_1)
	s_cmp_lt_u32 s6, s20
	s_cbranch_scc0 .LBB260_37
.LBB260_7:                              ; =>This Loop Header: Depth=1
                                        ;     Child Loop BB260_10 Depth 2
	v_mov_b32_e32 v30, 0
	v_mov_b32_e32 v26, 0
	v_mov_b32_e32 v22, 0
	v_dual_mov_b32 v20, 0 :: v_dual_mov_b32 v31, 0
	v_dual_mov_b32 v32, 0 :: v_dual_mov_b32 v27, 0
	;; [unrolled: 1-line block ×5, first 2 shown]
	v_mov_b32_e32 v29, 0
	v_mov_b32_e32 v25, 0
	;; [unrolled: 1-line block ×3, first 2 shown]
	s_wait_alu 0xfffe
	s_and_not1_b32 vcc_lo, exec_lo, s11
	s_wait_alu 0xfffe
	s_cbranch_vccnz .LBB260_16
; %bb.8:                                ;   in Loop: Header=BB260_7 Depth=1
	s_mul_u64 s[2:3], s[12:13], s[6:7]
	s_mul_u64 s[24:25], s[18:19], s[6:7]
	s_wait_alu 0xfffe
	s_lshl_b64 s[2:3], s[2:3], 4
	v_mov_b32_e32 v18, 0
	s_wait_alu 0xfffe
	v_add_co_u32 v44, vcc_lo, v38, s2
	s_wait_alu 0xfffd
	v_add_co_ci_u32_e64 v45, null, s3, v39, vcc_lo
	s_lshl_b64 s[2:3], s[24:25], 4
	v_mov_b32_e32 v24, 0
	v_mov_b32_e32 v28, 0
	;; [unrolled: 1-line block ×3, first 2 shown]
	s_wait_alu 0xfffe
	v_add_co_u32 v46, vcc_lo, v40, s2
	v_dual_mov_b32 v19, 0 :: v_dual_mov_b32 v20, 0
	v_dual_mov_b32 v25, 0 :: v_dual_mov_b32 v22, 0
	;; [unrolled: 1-line block ×4, first 2 shown]
	v_mov_b32_e32 v21, 0
	v_mov_b32_e32 v23, 0
	;; [unrolled: 1-line block ×4, first 2 shown]
	s_wait_alu 0xfffd
	v_add_co_ci_u32_e64 v47, null, s3, v41, vcc_lo
	s_mov_b64 s[2:3], 0
	s_branch .LBB260_10
.LBB260_9:                              ;   in Loop: Header=BB260_10 Depth=2
	s_wait_alu 0xfffe
	s_or_b32 exec_lo, exec_lo, s21
	ds_store_b128 v37, v[4:7]
	s_wait_dscnt 0x0
	s_barrier_signal -1
	s_barrier_wait -1
	global_inv scope:SCOPE_SE
	ds_load_b128 v[0:3], v43
	ds_load_b128 v[4:7], v42
	ds_load_b128 v[48:51], v42 offset:256
	ds_load_b128 v[52:55], v43 offset:2048
	;; [unrolled: 1-line block ×10, first 2 shown]
	s_add_nc_u64 s[2:3], s[2:3], 8
	s_wait_alu 0xfffe
	v_cmp_gt_i64_e64 s21, s[4:5], s[2:3]
	s_and_b32 vcc_lo, exec_lo, s21
	s_wait_dscnt 0xa
	v_mul_f64_e32 v[88:89], v[2:3], v[6:7]
	v_mul_f64_e32 v[90:91], v[0:1], v[6:7]
	s_wait_dscnt 0x9
	v_mul_f64_e32 v[92:93], v[2:3], v[50:51]
	v_mul_f64_e32 v[94:95], v[0:1], v[50:51]
	;; [unrolled: 3-line block ×3, first 2 shown]
	v_mul_f64_e32 v[98:99], v[54:55], v[50:51]
	v_mul_f64_e32 v[50:51], v[52:53], v[50:51]
	s_wait_dscnt 0x5
	v_mul_f64_e32 v[100:101], v[58:59], v[66:67]
	v_mul_f64_e32 v[102:103], v[56:57], v[66:67]
	s_wait_dscnt 0x4
	v_mul_f64_e32 v[104:105], v[58:59], v[70:71]
	v_mul_f64_e32 v[106:107], v[56:57], v[70:71]
	v_mul_f64_e32 v[108:109], v[62:63], v[66:67]
	v_mul_f64_e32 v[66:67], v[60:61], v[66:67]
	v_mul_f64_e32 v[110:111], v[62:63], v[70:71]
	v_mul_f64_e32 v[70:71], v[60:61], v[70:71]
	s_wait_dscnt 0x2
	v_mul_f64_e32 v[116:117], v[74:75], v[78:79]
	v_mul_f64_e32 v[118:119], v[72:73], v[78:79]
	s_wait_dscnt 0x1
	v_mul_f64_e32 v[120:121], v[74:75], v[82:83]
	v_mul_f64_e32 v[122:123], v[72:73], v[82:83]
	;; [unrolled: 3-line block ×3, first 2 shown]
	v_mul_f64_e32 v[126:127], v[86:87], v[82:83]
	v_mul_f64_e32 v[82:83], v[84:85], v[82:83]
	v_fma_f64 v[88:89], v[0:1], v[4:5], -v[88:89]
	v_fma_f64 v[90:91], v[2:3], v[4:5], v[90:91]
	v_fma_f64 v[92:93], v[0:1], v[48:49], -v[92:93]
	v_fma_f64 v[94:95], v[2:3], v[48:49], v[94:95]
	;; [unrolled: 2-line block ×8, first 2 shown]
	ds_load_b128 v[0:3], v43 offset:48
	ds_load_b128 v[4:7], v42 offset:1536
	;; [unrolled: 1-line block ×4, first 2 shown]
	v_fma_f64 v[116:117], v[72:73], v[76:77], -v[116:117]
	v_fma_f64 v[118:119], v[74:75], v[76:77], v[118:119]
	v_fma_f64 v[72:73], v[72:73], v[80:81], -v[120:121]
	v_fma_f64 v[74:75], v[74:75], v[80:81], v[122:123]
	;; [unrolled: 2-line block ×4, first 2 shown]
	s_wait_dscnt 0x2
	v_mul_f64_e32 v[106:107], v[0:1], v[6:7]
	s_wait_dscnt 0x1
	v_mul_f64_e32 v[108:109], v[2:3], v[50:51]
	v_mul_f64_e32 v[110:111], v[0:1], v[50:51]
	v_add_f64_e32 v[66:67], v[30:31], v[88:89]
	v_add_f64_e32 v[68:69], v[90:91], v[32:33]
	;; [unrolled: 1-line block ×8, first 2 shown]
	v_mul_f64_e32 v[98:99], v[2:3], v[6:7]
	s_wait_dscnt 0x0
	v_mul_f64_e32 v[112:113], v[54:55], v[6:7]
	v_mul_f64_e32 v[6:7], v[52:53], v[6:7]
	;; [unrolled: 1-line block ×4, first 2 shown]
	ds_load_b128 v[18:21], v43 offset:64
	ds_load_b128 v[22:25], v42 offset:2048
	;; [unrolled: 1-line block ×4, first 2 shown]
	s_wait_dscnt 0x1
	v_mul_f64_e32 v[122:123], v[18:19], v[28:29]
	s_wait_dscnt 0x0
	v_mul_f64_e32 v[124:125], v[32:33], v[24:25]
	v_mul_f64_e32 v[126:127], v[32:33], v[28:29]
	v_fma_f64 v[106:107], v[2:3], v[4:5], v[106:107]
	v_fma_f64 v[108:109], v[0:1], v[48:49], -v[108:109]
	v_fma_f64 v[110:111], v[2:3], v[48:49], v[110:111]
	v_add_f64_e32 v[82:83], v[66:67], v[100:101]
	v_add_f64_e32 v[84:85], v[102:103], v[68:69]
	;; [unrolled: 1-line block ×8, first 2 shown]
	v_mul_f64_e32 v[100:101], v[20:21], v[24:25]
	v_mul_f64_e32 v[102:103], v[18:19], v[24:25]
	;; [unrolled: 1-line block ×5, first 2 shown]
	v_fma_f64 v[98:99], v[0:1], v[4:5], -v[98:99]
	v_fma_f64 v[112:113], v[52:53], v[4:5], -v[112:113]
	v_fma_f64 v[128:129], v[54:55], v[4:5], v[6:7]
	v_fma_f64 v[114:115], v[52:53], v[48:49], -v[114:115]
	v_fma_f64 v[130:131], v[54:55], v[48:49], v[50:51]
	ds_load_b128 v[56:59], v43 offset:80
	ds_load_b128 v[60:63], v42 offset:2560
	;; [unrolled: 1-line block ×8, first 2 shown]
	v_add_f64_e32 v[82:83], v[82:83], v[116:117]
	v_add_f64_e32 v[84:85], v[118:119], v[84:85]
	;; [unrolled: 1-line block ×8, first 2 shown]
	s_wait_dscnt 0x6
	v_mul_f64_e32 v[88:89], v[58:59], v[62:63]
	v_mul_f64_e32 v[90:91], v[56:57], v[62:63]
	s_wait_dscnt 0x5
	v_mul_f64_e32 v[92:93], v[58:59], v[66:67]
	v_mul_f64_e32 v[94:95], v[56:57], v[66:67]
	;; [unrolled: 3-line block ×3, first 2 shown]
	v_mul_f64_e32 v[116:117], v[70:71], v[66:67]
	v_mul_f64_e32 v[66:67], v[68:69], v[66:67]
	v_fma_f64 v[100:101], v[18:19], v[22:23], -v[100:101]
	v_fma_f64 v[102:103], v[20:21], v[22:23], v[102:103]
	v_fma_f64 v[104:105], v[18:19], v[26:27], -v[104:105]
	v_fma_f64 v[118:119], v[20:21], v[26:27], v[122:123]
	;; [unrolled: 2-line block ×4, first 2 shown]
	ds_load_b128 v[18:21], v43 offset:112
	ds_load_b128 v[22:25], v42 offset:3584
	;; [unrolled: 1-line block ×4, first 2 shown]
	s_wait_loadcnt_dscnt 0x0
	s_barrier_signal -1
	s_barrier_wait -1
	global_inv scope:SCOPE_SE
	v_add_f64_e32 v[82:83], v[82:83], v[98:99]
	v_add_f64_e32 v[84:85], v[106:107], v[84:85]
	;; [unrolled: 1-line block ×8, first 2 shown]
	v_mul_f64_e32 v[98:99], v[2:3], v[6:7]
	v_mul_f64_e32 v[106:107], v[0:1], v[6:7]
	;; [unrolled: 1-line block ×8, first 2 shown]
	v_fma_f64 v[88:89], v[56:57], v[60:61], -v[88:89]
	v_fma_f64 v[90:91], v[58:59], v[60:61], v[90:91]
	v_fma_f64 v[56:57], v[56:57], v[64:65], -v[92:93]
	v_fma_f64 v[58:59], v[58:59], v[64:65], v[94:95]
	;; [unrolled: 2-line block ×4, first 2 shown]
	v_mul_f64_e32 v[94:95], v[18:19], v[28:29]
	v_mul_f64_e32 v[96:97], v[32:33], v[24:25]
	v_add_f64_e32 v[66:67], v[82:83], v[100:101]
	v_add_f64_e32 v[68:69], v[102:103], v[84:85]
	;; [unrolled: 1-line block ×8, first 2 shown]
	v_mul_f64_e32 v[82:83], v[20:21], v[24:25]
	v_mul_f64_e32 v[84:85], v[18:19], v[24:25]
	;; [unrolled: 1-line block ×6, first 2 shown]
	v_fma_f64 v[98:99], v[0:1], v[4:5], -v[98:99]
	v_fma_f64 v[102:103], v[2:3], v[4:5], v[106:107]
	v_fma_f64 v[0:1], v[0:1], v[48:49], -v[108:109]
	v_fma_f64 v[2:3], v[2:3], v[48:49], v[110:111]
	;; [unrolled: 2-line block ×4, first 2 shown]
	v_add_f64_e32 v[50:51], v[66:67], v[88:89]
	v_add_f64_e32 v[52:53], v[90:91], v[68:69]
	;; [unrolled: 1-line block ×8, first 2 shown]
	v_fma_f64 v[66:67], v[18:19], v[22:23], -v[82:83]
	v_fma_f64 v[68:69], v[20:21], v[22:23], v[84:85]
	v_fma_f64 v[18:19], v[18:19], v[26:27], -v[86:87]
	v_fma_f64 v[20:21], v[20:21], v[26:27], v[94:95]
	v_fma_f64 v[70:71], v[30:31], v[22:23], -v[96:97]
	v_fma_f64 v[24:25], v[32:33], v[22:23], v[24:25]
	v_fma_f64 v[72:73], v[30:31], v[26:27], -v[100:101]
	v_fma_f64 v[74:75], v[32:33], v[26:27], v[28:29]
	v_add_f64_e32 v[22:23], v[50:51], v[98:99]
	v_add_f64_e32 v[26:27], v[102:103], v[52:53]
	;; [unrolled: 1-line block ×16, first 2 shown]
	s_wait_alu 0xfffe
	s_cbranch_vccz .LBB260_16
.LBB260_10:                             ;   Parent Loop BB260_7 Depth=1
                                        ; =>  This Inner Loop Header: Depth=2
	v_mov_b32_e32 v0, 0
	v_dual_mov_b32 v1, 0 :: v_dual_mov_b32 v2, 0
	v_mov_b32_e32 v3, 0
	s_and_saveexec_b32 s21, s0
	s_cbranch_execz .LBB260_14
; %bb.11:                               ;   in Loop: Header=BB260_10 Depth=2
	v_mov_b32_e32 v2, 0
	v_mov_b32_e32 v0, 0
	s_wait_alu 0xfffe
	v_dual_mov_b32 v3, 0 :: v_dual_add_nc_u32 v8, s2, v35
	v_mov_b32_e32 v1, 0
	s_mov_b32 s24, exec_lo
	s_delay_alu instid0(VALU_DEP_2)
	v_cmpx_gt_u64_e64 s[4:5], v[8:9]
	s_cbranch_execz .LBB260_13
; %bb.12:                               ;   in Loop: Header=BB260_10 Depth=2
	v_lshlrev_b64_e32 v[0:1], 4, v[8:9]
	s_delay_alu instid0(VALU_DEP_1) | instskip(SKIP_1) | instid1(VALU_DEP_2)
	v_add_co_u32 v0, vcc_lo, v44, v0
	s_wait_alu 0xfffd
	v_add_co_ci_u32_e64 v1, null, v45, v1, vcc_lo
	global_load_b128 v[0:3], v[0:1], off
	s_wait_loadcnt 0x0
	v_xor_b32_e32 v3, 0x80000000, v3
.LBB260_13:                             ;   in Loop: Header=BB260_10 Depth=2
	s_wait_alu 0xfffe
	s_or_b32 exec_lo, exec_lo, s24
.LBB260_14:                             ;   in Loop: Header=BB260_10 Depth=2
	s_wait_alu 0xfffe
	s_or_b32 exec_lo, exec_lo, s21
	v_add_nc_u32_e32 v8, s2, v34
	v_mov_b32_e32 v4, 0
	v_dual_mov_b32 v5, 0 :: v_dual_mov_b32 v6, 0
	v_mov_b32_e32 v7, 0
	s_delay_alu instid0(VALU_DEP_4)
	v_cmp_gt_u64_e32 vcc_lo, s[4:5], v[8:9]
	ds_store_b128 v36, v[0:3]
	s_and_b32 s24, vcc_lo, s1
	s_wait_alu 0xfffe
	s_and_saveexec_b32 s21, s24
	s_cbranch_execz .LBB260_9
; %bb.15:                               ;   in Loop: Header=BB260_10 Depth=2
	v_mad_co_u64_u32 v[0:1], null, s16, v8, 0
	s_delay_alu instid0(VALU_DEP_1) | instskip(NEXT) | instid1(VALU_DEP_1)
	v_mad_co_u64_u32 v[1:2], null, s17, v8, v[1:2]
	v_lshlrev_b64_e32 v[0:1], 4, v[0:1]
	s_delay_alu instid0(VALU_DEP_1) | instskip(SKIP_1) | instid1(VALU_DEP_2)
	v_add_co_u32 v0, vcc_lo, v46, v0
	s_wait_alu 0xfffd
	v_add_co_ci_u32_e64 v1, null, v47, v1, vcc_lo
	global_load_b128 v[4:7], v[0:1], off
	s_wait_loadcnt 0x0
	v_xor_b32_e32 v7, 0x80000000, v7
	s_branch .LBB260_9
.LBB260_16:                             ;   in Loop: Header=BB260_7 Depth=1
	s_mul_u64 s[2:3], s[26:27], s[6:7]
	s_wait_alu 0xfffe
	s_lshl_b64 s[2:3], s[2:3], 4
	s_wait_alu 0xfffe
	s_add_nc_u64 s[2:3], s[22:23], s[2:3]
	s_wait_alu 0xfffe
	v_add_co_u32 v4, vcc_lo, s2, v14
	s_wait_alu 0xfffd
	v_add_co_ci_u32_e64 v5, null, s3, v15, vcc_lo
	s_and_saveexec_b32 s21, s9
	s_cbranch_execz .LBB260_21
; %bb.17:                               ;   in Loop: Header=BB260_7 Depth=1
	v_mul_f64_e32 v[0:1], s[38:39], v[32:33]
	v_mul_f64_e32 v[2:3], s[36:37], v[32:33]
	s_and_b32 vcc_lo, exec_lo, s8
	s_mov_b32 s24, -1
	s_delay_alu instid0(VALU_DEP_2) | instskip(NEXT) | instid1(VALU_DEP_2)
	v_fma_f64 v[0:1], s[36:37], v[30:31], -v[0:1]
	v_fma_f64 v[2:3], s[38:39], v[30:31], v[2:3]
	s_wait_alu 0xfffe
	s_cbranch_vccz .LBB260_19
; %bb.18:                               ;   in Loop: Header=BB260_7 Depth=1
	v_lshlrev_b64_e32 v[6:7], 4, v[10:11]
	s_mov_b32 s24, 0
	s_delay_alu instid0(VALU_DEP_1) | instskip(SKIP_1) | instid1(VALU_DEP_2)
	v_add_co_u32 v6, vcc_lo, v4, v6
	s_wait_alu 0xfffd
	v_add_co_ci_u32_e64 v7, null, v5, v7, vcc_lo
	global_load_b128 v[30:33], v[6:7], off
	s_wait_loadcnt 0x0
	v_mul_f64_e32 v[44:45], s[30:31], v[32:33]
	v_mul_f64_e32 v[32:33], s[28:29], v[32:33]
	s_delay_alu instid0(VALU_DEP_2) | instskip(NEXT) | instid1(VALU_DEP_2)
	v_fma_f64 v[44:45], s[28:29], v[30:31], -v[44:45]
	v_fma_f64 v[32:33], s[30:31], v[30:31], v[32:33]
	s_delay_alu instid0(VALU_DEP_2) | instskip(NEXT) | instid1(VALU_DEP_2)
	v_add_f64_e32 v[30:31], v[0:1], v[44:45]
	v_add_f64_e32 v[32:33], v[2:3], v[32:33]
	global_store_b128 v[6:7], v[30:33], off
.LBB260_19:                             ;   in Loop: Header=BB260_7 Depth=1
	s_wait_alu 0xfffe
	s_and_not1_b32 vcc_lo, exec_lo, s24
	s_wait_alu 0xfffe
	s_cbranch_vccnz .LBB260_21
; %bb.20:                               ;   in Loop: Header=BB260_7 Depth=1
	v_lshlrev_b64_e32 v[6:7], 4, v[10:11]
	s_delay_alu instid0(VALU_DEP_1) | instskip(SKIP_1) | instid1(VALU_DEP_2)
	v_add_co_u32 v6, vcc_lo, v4, v6
	s_wait_alu 0xfffd
	v_add_co_ci_u32_e64 v7, null, v5, v7, vcc_lo
	global_store_b128 v[6:7], v[0:3], off
.LBB260_21:                             ;   in Loop: Header=BB260_7 Depth=1
	s_wait_alu 0xfffe
	s_or_b32 exec_lo, exec_lo, s21
	s_and_saveexec_b32 s21, s10
	s_cbranch_execz .LBB260_26
; %bb.22:                               ;   in Loop: Header=BB260_7 Depth=1
	v_mul_f64_e32 v[0:1], s[38:39], v[28:29]
	v_mul_f64_e32 v[2:3], s[36:37], v[28:29]
	s_and_not1_b32 vcc_lo, exec_lo, s8
	s_mov_b32 s24, -1
	s_delay_alu instid0(VALU_DEP_2) | instskip(NEXT) | instid1(VALU_DEP_2)
	v_fma_f64 v[0:1], s[36:37], v[26:27], -v[0:1]
	v_fma_f64 v[2:3], s[38:39], v[26:27], v[2:3]
	s_wait_alu 0xfffe
	s_cbranch_vccnz .LBB260_24
; %bb.23:                               ;   in Loop: Header=BB260_7 Depth=1
	v_lshlrev_b64_e32 v[6:7], 4, v[12:13]
	s_mov_b32 s24, 0
	s_delay_alu instid0(VALU_DEP_1) | instskip(SKIP_1) | instid1(VALU_DEP_2)
	v_add_co_u32 v6, vcc_lo, v4, v6
	s_wait_alu 0xfffd
	v_add_co_ci_u32_e64 v7, null, v5, v7, vcc_lo
	global_load_b128 v[26:29], v[6:7], off
	s_wait_loadcnt 0x0
	v_mul_f64_e32 v[30:31], s[30:31], v[28:29]
	v_mul_f64_e32 v[28:29], s[28:29], v[28:29]
	s_delay_alu instid0(VALU_DEP_2) | instskip(NEXT) | instid1(VALU_DEP_2)
	v_fma_f64 v[30:31], s[28:29], v[26:27], -v[30:31]
	v_fma_f64 v[28:29], s[30:31], v[26:27], v[28:29]
	s_delay_alu instid0(VALU_DEP_2) | instskip(NEXT) | instid1(VALU_DEP_2)
	v_add_f64_e32 v[26:27], v[0:1], v[30:31]
	v_add_f64_e32 v[28:29], v[2:3], v[28:29]
	global_store_b128 v[6:7], v[26:29], off
.LBB260_24:                             ;   in Loop: Header=BB260_7 Depth=1
	s_wait_alu 0xfffe
	s_and_not1_b32 vcc_lo, exec_lo, s24
	s_wait_alu 0xfffe
	s_cbranch_vccnz .LBB260_26
; %bb.25:                               ;   in Loop: Header=BB260_7 Depth=1
	v_lshlrev_b64_e32 v[6:7], 4, v[12:13]
	s_delay_alu instid0(VALU_DEP_1) | instskip(SKIP_1) | instid1(VALU_DEP_2)
	v_add_co_u32 v4, vcc_lo, v4, v6
	s_wait_alu 0xfffd
	v_add_co_ci_u32_e64 v5, null, v5, v7, vcc_lo
	global_store_b128 v[4:5], v[0:3], off
.LBB260_26:                             ;   in Loop: Header=BB260_7 Depth=1
	s_wait_alu 0xfffe
	s_or_b32 exec_lo, exec_lo, s21
	v_add_co_u32 v6, vcc_lo, s2, v16
	s_wait_alu 0xfffd
	v_add_co_ci_u32_e64 v7, null, s3, v17, vcc_lo
	s_and_saveexec_b32 s2, s14
	s_cbranch_execz .LBB260_31
; %bb.27:                               ;   in Loop: Header=BB260_7 Depth=1
	v_mul_f64_e32 v[0:1], s[38:39], v[24:25]
	v_mul_f64_e32 v[2:3], s[36:37], v[24:25]
	v_lshlrev_b64_e32 v[4:5], 4, v[10:11]
	s_and_not1_b32 vcc_lo, exec_lo, s8
	s_mov_b32 s3, -1
	s_delay_alu instid0(VALU_DEP_3) | instskip(NEXT) | instid1(VALU_DEP_3)
	v_fma_f64 v[0:1], s[36:37], v[22:23], -v[0:1]
	v_fma_f64 v[2:3], s[38:39], v[22:23], v[2:3]
	s_wait_alu 0xfffe
	s_cbranch_vccnz .LBB260_29
; %bb.28:                               ;   in Loop: Header=BB260_7 Depth=1
	v_add_co_u32 v26, vcc_lo, v6, v4
	s_wait_alu 0xfffd
	v_add_co_ci_u32_e64 v27, null, v7, v5, vcc_lo
	s_mov_b32 s3, 0
	global_load_b128 v[22:25], v[26:27], off
	s_wait_loadcnt 0x0
	v_mul_f64_e32 v[28:29], s[30:31], v[24:25]
	v_mul_f64_e32 v[24:25], s[28:29], v[24:25]
	s_delay_alu instid0(VALU_DEP_2) | instskip(NEXT) | instid1(VALU_DEP_2)
	v_fma_f64 v[28:29], s[28:29], v[22:23], -v[28:29]
	v_fma_f64 v[24:25], s[30:31], v[22:23], v[24:25]
	s_delay_alu instid0(VALU_DEP_2) | instskip(NEXT) | instid1(VALU_DEP_2)
	v_add_f64_e32 v[22:23], v[0:1], v[28:29]
	v_add_f64_e32 v[24:25], v[2:3], v[24:25]
	global_store_b128 v[26:27], v[22:25], off
.LBB260_29:                             ;   in Loop: Header=BB260_7 Depth=1
	s_wait_alu 0xfffe
	s_and_not1_b32 vcc_lo, exec_lo, s3
	s_wait_alu 0xfffe
	s_cbranch_vccnz .LBB260_31
; %bb.30:                               ;   in Loop: Header=BB260_7 Depth=1
	v_add_co_u32 v4, vcc_lo, v6, v4
	s_wait_alu 0xfffd
	v_add_co_ci_u32_e64 v5, null, v7, v5, vcc_lo
	global_store_b128 v[4:5], v[0:3], off
.LBB260_31:                             ;   in Loop: Header=BB260_7 Depth=1
	s_wait_alu 0xfffe
	s_or_b32 exec_lo, exec_lo, s2
	s_and_saveexec_b32 s2, s15
	s_cbranch_execz .LBB260_6
; %bb.32:                               ;   in Loop: Header=BB260_7 Depth=1
	v_mul_f64_e32 v[0:1], s[38:39], v[18:19]
	v_mul_f64_e32 v[2:3], s[36:37], v[18:19]
	v_lshlrev_b64_e32 v[4:5], 4, v[12:13]
	s_and_not1_b32 vcc_lo, exec_lo, s8
	s_mov_b32 s3, -1
	s_delay_alu instid0(VALU_DEP_3) | instskip(NEXT) | instid1(VALU_DEP_3)
	v_fma_f64 v[0:1], s[36:37], v[20:21], -v[0:1]
	v_fma_f64 v[2:3], s[38:39], v[20:21], v[2:3]
	s_wait_alu 0xfffe
	s_cbranch_vccnz .LBB260_34
; %bb.33:                               ;   in Loop: Header=BB260_7 Depth=1
	v_add_co_u32 v22, vcc_lo, v6, v4
	s_wait_alu 0xfffd
	v_add_co_ci_u32_e64 v23, null, v7, v5, vcc_lo
	s_mov_b32 s3, 0
	global_load_b128 v[18:21], v[22:23], off
	s_wait_loadcnt 0x0
	v_mul_f64_e32 v[24:25], s[30:31], v[20:21]
	v_mul_f64_e32 v[20:21], s[28:29], v[20:21]
	s_delay_alu instid0(VALU_DEP_2) | instskip(NEXT) | instid1(VALU_DEP_2)
	v_fma_f64 v[24:25], s[28:29], v[18:19], -v[24:25]
	v_fma_f64 v[20:21], s[30:31], v[18:19], v[20:21]
	s_delay_alu instid0(VALU_DEP_2) | instskip(NEXT) | instid1(VALU_DEP_2)
	v_add_f64_e32 v[18:19], v[0:1], v[24:25]
	v_add_f64_e32 v[20:21], v[2:3], v[20:21]
	global_store_b128 v[22:23], v[18:21], off
.LBB260_34:                             ;   in Loop: Header=BB260_7 Depth=1
	s_wait_alu 0xfffe
	s_and_not1_b32 vcc_lo, exec_lo, s3
	s_wait_alu 0xfffe
	s_cbranch_vccnz .LBB260_6
; %bb.35:                               ;   in Loop: Header=BB260_7 Depth=1
	v_add_co_u32 v4, vcc_lo, v6, v4
	s_wait_alu 0xfffd
	v_add_co_ci_u32_e64 v5, null, v7, v5, vcc_lo
	global_store_b128 v[4:5], v[0:3], off
	s_branch .LBB260_6
.LBB260_36:
.LBB260_37:
	s_nop 0
	s_sendmsg sendmsg(MSG_DEALLOC_VGPRS)
	s_endpgm
	.section	.rodata,"a",@progbits
	.p2align	6, 0x0
	.amdhsa_kernel _ZL29rocblas_internal_gemmt_kernelIlLi16ELi32ELi8ELc67ELc67ELc85ELb1ELb1E19rocblas_complex_numIdEPKS1_S3_PS1_EviT_T9_T10_S5_lS7_S5_lS6_T11_S5_li
		.amdhsa_group_segment_fixed_size 8192
		.amdhsa_private_segment_fixed_size 0
		.amdhsa_kernarg_size 108
		.amdhsa_user_sgpr_count 2
		.amdhsa_user_sgpr_dispatch_ptr 0
		.amdhsa_user_sgpr_queue_ptr 0
		.amdhsa_user_sgpr_kernarg_segment_ptr 1
		.amdhsa_user_sgpr_dispatch_id 0
		.amdhsa_user_sgpr_private_segment_size 0
		.amdhsa_wavefront_size32 1
		.amdhsa_uses_dynamic_stack 0
		.amdhsa_enable_private_segment 0
		.amdhsa_system_sgpr_workgroup_id_x 1
		.amdhsa_system_sgpr_workgroup_id_y 1
		.amdhsa_system_sgpr_workgroup_id_z 1
		.amdhsa_system_sgpr_workgroup_info 0
		.amdhsa_system_vgpr_workitem_id 1
		.amdhsa_next_free_vgpr 132
		.amdhsa_next_free_sgpr 40
		.amdhsa_reserve_vcc 1
		.amdhsa_float_round_mode_32 0
		.amdhsa_float_round_mode_16_64 0
		.amdhsa_float_denorm_mode_32 3
		.amdhsa_float_denorm_mode_16_64 3
		.amdhsa_fp16_overflow 0
		.amdhsa_workgroup_processor_mode 1
		.amdhsa_memory_ordered 1
		.amdhsa_forward_progress 1
		.amdhsa_inst_pref_size 27
		.amdhsa_round_robin_scheduling 0
		.amdhsa_exception_fp_ieee_invalid_op 0
		.amdhsa_exception_fp_denorm_src 0
		.amdhsa_exception_fp_ieee_div_zero 0
		.amdhsa_exception_fp_ieee_overflow 0
		.amdhsa_exception_fp_ieee_underflow 0
		.amdhsa_exception_fp_ieee_inexact 0
		.amdhsa_exception_int_div_zero 0
	.end_amdhsa_kernel
	.section	.text._ZL29rocblas_internal_gemmt_kernelIlLi16ELi32ELi8ELc67ELc67ELc85ELb1ELb1E19rocblas_complex_numIdEPKS1_S3_PS1_EviT_T9_T10_S5_lS7_S5_lS6_T11_S5_li,"axG",@progbits,_ZL29rocblas_internal_gemmt_kernelIlLi16ELi32ELi8ELc67ELc67ELc85ELb1ELb1E19rocblas_complex_numIdEPKS1_S3_PS1_EviT_T9_T10_S5_lS7_S5_lS6_T11_S5_li,comdat
.Lfunc_end260:
	.size	_ZL29rocblas_internal_gemmt_kernelIlLi16ELi32ELi8ELc67ELc67ELc85ELb1ELb1E19rocblas_complex_numIdEPKS1_S3_PS1_EviT_T9_T10_S5_lS7_S5_lS6_T11_S5_li, .Lfunc_end260-_ZL29rocblas_internal_gemmt_kernelIlLi16ELi32ELi8ELc67ELc67ELc85ELb1ELb1E19rocblas_complex_numIdEPKS1_S3_PS1_EviT_T9_T10_S5_lS7_S5_lS6_T11_S5_li
                                        ; -- End function
	.set _ZL29rocblas_internal_gemmt_kernelIlLi16ELi32ELi8ELc67ELc67ELc85ELb1ELb1E19rocblas_complex_numIdEPKS1_S3_PS1_EviT_T9_T10_S5_lS7_S5_lS6_T11_S5_li.num_vgpr, 132
	.set _ZL29rocblas_internal_gemmt_kernelIlLi16ELi32ELi8ELc67ELc67ELc85ELb1ELb1E19rocblas_complex_numIdEPKS1_S3_PS1_EviT_T9_T10_S5_lS7_S5_lS6_T11_S5_li.num_agpr, 0
	.set _ZL29rocblas_internal_gemmt_kernelIlLi16ELi32ELi8ELc67ELc67ELc85ELb1ELb1E19rocblas_complex_numIdEPKS1_S3_PS1_EviT_T9_T10_S5_lS7_S5_lS6_T11_S5_li.numbered_sgpr, 40
	.set _ZL29rocblas_internal_gemmt_kernelIlLi16ELi32ELi8ELc67ELc67ELc85ELb1ELb1E19rocblas_complex_numIdEPKS1_S3_PS1_EviT_T9_T10_S5_lS7_S5_lS6_T11_S5_li.num_named_barrier, 0
	.set _ZL29rocblas_internal_gemmt_kernelIlLi16ELi32ELi8ELc67ELc67ELc85ELb1ELb1E19rocblas_complex_numIdEPKS1_S3_PS1_EviT_T9_T10_S5_lS7_S5_lS6_T11_S5_li.private_seg_size, 0
	.set _ZL29rocblas_internal_gemmt_kernelIlLi16ELi32ELi8ELc67ELc67ELc85ELb1ELb1E19rocblas_complex_numIdEPKS1_S3_PS1_EviT_T9_T10_S5_lS7_S5_lS6_T11_S5_li.uses_vcc, 1
	.set _ZL29rocblas_internal_gemmt_kernelIlLi16ELi32ELi8ELc67ELc67ELc85ELb1ELb1E19rocblas_complex_numIdEPKS1_S3_PS1_EviT_T9_T10_S5_lS7_S5_lS6_T11_S5_li.uses_flat_scratch, 0
	.set _ZL29rocblas_internal_gemmt_kernelIlLi16ELi32ELi8ELc67ELc67ELc85ELb1ELb1E19rocblas_complex_numIdEPKS1_S3_PS1_EviT_T9_T10_S5_lS7_S5_lS6_T11_S5_li.has_dyn_sized_stack, 0
	.set _ZL29rocblas_internal_gemmt_kernelIlLi16ELi32ELi8ELc67ELc67ELc85ELb1ELb1E19rocblas_complex_numIdEPKS1_S3_PS1_EviT_T9_T10_S5_lS7_S5_lS6_T11_S5_li.has_recursion, 0
	.set _ZL29rocblas_internal_gemmt_kernelIlLi16ELi32ELi8ELc67ELc67ELc85ELb1ELb1E19rocblas_complex_numIdEPKS1_S3_PS1_EviT_T9_T10_S5_lS7_S5_lS6_T11_S5_li.has_indirect_call, 0
	.section	.AMDGPU.csdata,"",@progbits
; Kernel info:
; codeLenInByte = 3424
; TotalNumSgprs: 42
; NumVgprs: 132
; ScratchSize: 0
; MemoryBound: 1
; FloatMode: 240
; IeeeMode: 1
; LDSByteSize: 8192 bytes/workgroup (compile time only)
; SGPRBlocks: 0
; VGPRBlocks: 16
; NumSGPRsForWavesPerEU: 42
; NumVGPRsForWavesPerEU: 132
; Occupancy: 10
; WaveLimiterHint : 0
; COMPUTE_PGM_RSRC2:SCRATCH_EN: 0
; COMPUTE_PGM_RSRC2:USER_SGPR: 2
; COMPUTE_PGM_RSRC2:TRAP_HANDLER: 0
; COMPUTE_PGM_RSRC2:TGID_X_EN: 1
; COMPUTE_PGM_RSRC2:TGID_Y_EN: 1
; COMPUTE_PGM_RSRC2:TGID_Z_EN: 1
; COMPUTE_PGM_RSRC2:TIDIG_COMP_CNT: 1
	.section	.text._ZL29rocblas_internal_gemmt_kernelIlLi16ELi32ELi8ELc78ELc78ELc76ELb0ELb0E19rocblas_complex_numIdEPKS1_S3_PS1_EviT_T9_T10_S5_lS7_S5_lS6_T11_S5_li,"axG",@progbits,_ZL29rocblas_internal_gemmt_kernelIlLi16ELi32ELi8ELc78ELc78ELc76ELb0ELb0E19rocblas_complex_numIdEPKS1_S3_PS1_EviT_T9_T10_S5_lS7_S5_lS6_T11_S5_li,comdat
	.globl	_ZL29rocblas_internal_gemmt_kernelIlLi16ELi32ELi8ELc78ELc78ELc76ELb0ELb0E19rocblas_complex_numIdEPKS1_S3_PS1_EviT_T9_T10_S5_lS7_S5_lS6_T11_S5_li ; -- Begin function _ZL29rocblas_internal_gemmt_kernelIlLi16ELi32ELi8ELc78ELc78ELc76ELb0ELb0E19rocblas_complex_numIdEPKS1_S3_PS1_EviT_T9_T10_S5_lS7_S5_lS6_T11_S5_li
	.p2align	8
	.type	_ZL29rocblas_internal_gemmt_kernelIlLi16ELi32ELi8ELc78ELc78ELc76ELb0ELb0E19rocblas_complex_numIdEPKS1_S3_PS1_EviT_T9_T10_S5_lS7_S5_lS6_T11_S5_li,@function
_ZL29rocblas_internal_gemmt_kernelIlLi16ELi32ELi8ELc78ELc78ELc76ELb0ELb0E19rocblas_complex_numIdEPKS1_S3_PS1_EviT_T9_T10_S5_lS7_S5_lS6_T11_S5_li: ; @_ZL29rocblas_internal_gemmt_kernelIlLi16ELi32ELi8ELc78ELc78ELc76ELb0ELb0E19rocblas_complex_numIdEPKS1_S3_PS1_EviT_T9_T10_S5_lS7_S5_lS6_T11_S5_li
; %bb.0:
	s_clause 0x1
	s_load_b256 s[24:31], s[0:1], 0x48
	s_load_b512 s[8:23], s[0:1], 0x8
	s_wait_kmcnt 0x0
	s_load_b128 s[36:39], s[24:25], 0x0
	s_load_b128 s[40:43], s[10:11], 0x0
	s_wait_kmcnt 0x0
	v_cmp_eq_f64_e64 s3, s[36:37], 1.0
	v_cmp_eq_f64_e64 s2, s[38:39], 0
	s_and_b32 s3, s3, s2
	s_delay_alu instid0(SALU_CYCLE_1)
	s_and_not1_b32 vcc_lo, exec_lo, s3
	s_mov_b32 s3, -1
	s_cbranch_vccnz .LBB261_3
; %bb.1:
	s_cmp_lg_u64 s[8:9], 0
	s_cbranch_scc0 .LBB261_41
; %bb.2:
	v_cmp_neq_f64_e64 s3, s[40:41], 0
	v_cmp_neq_f64_e64 s4, s[42:43], 0
	s_or_b32 s3, s3, s4
.LBB261_3:
	s_delay_alu instid0(SALU_CYCLE_1)
	s_and_b32 vcc_lo, exec_lo, s3
	s_cbranch_vccz .LBB261_42
; %bb.4:
	s_load_b32 s5, s[0:1], 0x68
	s_lshr_b32 s6, ttmp7, 16
	s_wait_kmcnt 0x0
	s_cmp_ge_u32 s6, s5
	s_cbranch_scc1 .LBB261_42
; %bb.5:
	v_and_b32_e32 v2, 0x3ff, v0
	v_bfe_u32 v9, v0, 10, 10
	s_load_b32 s4, s[0:1], 0x0
	s_lshl_b32 s1, ttmp7, 5
	s_lshl_b32 s0, ttmp9, 5
	s_and_b32 s1, s1, 0x1fffe0
	v_lshl_add_u32 v3, v9, 4, v2
	v_add_nc_u32_e32 v14, s1, v9
	v_lshlrev_b32_e32 v31, 4, v2
	v_add_nc_u32_e32 v6, s0, v2
	v_cmp_neq_f64_e64 s11, s[36:37], 0
	v_lshrrev_b32_e32 v5, 3, v3
	v_add_nc_u32_e32 v15, 16, v14
	v_lshrrev_b32_e32 v32, 5, v3
	v_and_b32_e32 v7, 31, v3
	v_mad_co_u64_u32 v[2:3], null, s28, v14, 0
	v_add_nc_u32_e32 v10, s1, v5
	v_mad_co_u64_u32 v[12:13], null, s28, v15, 0
	v_and_b32_e32 v30, 7, v0
	v_or_b32_e32 v4, s0, v7
	s_delay_alu instid0(VALU_DEP_4) | instskip(SKIP_1) | instid1(VALU_DEP_4)
	v_mad_co_u64_u32 v[0:1], null, s20, v10, 0
	v_lshlrev_b32_e32 v16, 4, v7
	v_lshlrev_b32_e32 v11, 4, v30
	v_cmp_neq_f64_e64 s3, s[40:41], 0
	v_cmp_neq_f64_e64 s7, s[42:43], 0
	s_wait_kmcnt 0x0
	v_cmp_gt_i32_e64 s0, s4, v4
	v_cmp_le_i32_e64 s10, s4, v4
	v_mad_co_u64_u32 v[7:8], null, s21, v10, v[1:2]
	v_lshl_or_b32 v8, v5, 7, v11
	v_ashrrev_i32_e32 v5, 31, v4
	s_xor_b32 s2, s2, -1
	v_cmp_gt_i64_e64 s24, s[8:9], 0
	v_lshl_or_b32 v33, v32, 9, v16
	v_dual_mov_b32 v1, v7 :: v_dual_add_nc_u32 v34, 0x1000, v8
	v_lshlrev_b64_e32 v[4:5], 4, v[4:5]
	v_lshl_add_u32 v39, v9, 7, 0x1000
	s_delay_alu instid0(VALU_DEP_3) | instskip(NEXT) | instid1(VALU_DEP_3)
	v_lshlrev_b64_e32 v[0:1], 4, v[0:1]
	v_add_co_u32 v35, s1, s12, v4
	s_wait_alu 0xf1ff
	s_delay_alu instid0(VALU_DEP_4) | instskip(NEXT) | instid1(VALU_DEP_3)
	v_add_co_ci_u32_e64 v36, null, s13, v5, s1
	v_add_co_u32 v37, s1, s18, v0
	s_wait_alu 0xf1ff
	v_add_co_ci_u32_e64 v38, null, s19, v1, s1
	v_mad_co_u64_u32 v[0:1], null, s29, v14, v[3:4]
	v_mov_b32_e32 v1, v13
	s_or_b32 s11, s11, s2
	s_delay_alu instid0(VALU_DEP_1)
	v_mad_co_u64_u32 v[4:5], null, s29, v15, v[1:2]
	v_mov_b32_e32 v1, 0
	v_cmp_gt_i32_e64 s2, s4, v6
	v_dual_mov_b32 v3, v0 :: v_dual_add_nc_u32 v8, 16, v6
	v_cmp_gt_i32_e32 vcc_lo, s4, v10
	s_or_b32 s7, s3, s7
	v_mov_b32_e32 v13, v4
	v_cmp_le_i32_e64 s1, v14, v6
	v_cmp_le_i32_e64 s3, v14, v8
	v_cmp_gt_i32_e64 s4, s4, v8
	v_lshlrev_b64_e32 v[10:11], 4, v[2:3]
	v_lshlrev_b64_e32 v[12:13], 4, v[12:13]
	s_and_b32 s12, s1, s2
	v_cmp_le_i32_e64 s1, v15, v6
	v_ashrrev_i32_e32 v7, 31, v6
	v_ashrrev_i32_e32 v9, 31, v8
	s_and_b32 s13, s3, s4
	s_and_b32 s19, s7, s24
	;; [unrolled: 1-line block ×3, first 2 shown]
	v_cmp_le_i32_e64 s1, v15, v8
	s_mov_b32 s7, 0
                                        ; implicit-def: $vgpr14_vgpr15
	s_and_b32 s1, s1, s4
	s_xor_b32 s4, vcc_lo, -1
	s_branch .LBB261_7
.LBB261_6:                              ;   in Loop: Header=BB261_7 Depth=1
	s_wait_alu 0xfffe
	s_or_b32 exec_lo, exec_lo, s2
	s_add_co_i32 s6, s6, 0x10000
	s_delay_alu instid0(SALU_CYCLE_1)
	s_cmp_lt_u32 s6, s5
	s_cbranch_scc0 .LBB261_42
.LBB261_7:                              ; =>This Loop Header: Depth=1
                                        ;     Child Loop BB261_10 Depth 2
	v_mov_b32_e32 v4, 0
	v_mov_b32_e32 v5, 0
	s_wait_alu 0xfffe
	s_and_not1_b32 vcc_lo, exec_lo, s19
	s_wait_alu 0xfffe
	s_cbranch_vccnz .LBB261_20
; %bb.8:                                ;   in Loop: Header=BB261_7 Depth=1
	s_mul_u64 s[2:3], s[16:17], s[6:7]
	s_mul_u64 s[20:21], s[22:23], s[6:7]
	s_wait_alu 0xfffe
	s_lshl_b64 s[2:3], s[2:3], 4
	v_mov_b32_e32 v16, 0
	s_wait_alu 0xfffe
	v_add_co_u32 v40, vcc_lo, v35, s2
	s_wait_alu 0xfffd
	v_add_co_ci_u32_e64 v41, null, s3, v36, vcc_lo
	s_lshl_b64 s[2:3], s[20:21], 4
	v_mov_b32_e32 v22, 0
	v_mov_b32_e32 v26, 0
	;; [unrolled: 1-line block ×3, first 2 shown]
	s_wait_alu 0xfffe
	v_add_co_u32 v42, vcc_lo, v37, s2
	v_dual_mov_b32 v17, 0 :: v_dual_mov_b32 v18, 0
	v_dual_mov_b32 v23, 0 :: v_dual_mov_b32 v20, 0
	;; [unrolled: 1-line block ×4, first 2 shown]
	v_mov_b32_e32 v19, 0
	v_mov_b32_e32 v21, 0
	v_mov_b32_e32 v25, 0
	v_mov_b32_e32 v5, 0
	s_wait_alu 0xfffd
	v_add_co_ci_u32_e64 v43, null, s3, v38, vcc_lo
	s_mov_b64 s[2:3], 0
	s_branch .LBB261_10
.LBB261_9:                              ;   in Loop: Header=BB261_10 Depth=2
	s_wait_alu 0xfffe
	s_or_b32 exec_lo, exec_lo, s20
	s_wait_dscnt 0x0
	s_barrier_signal -1
	s_barrier_wait -1
	global_inv scope:SCOPE_SE
	ds_load_b128 v[44:47], v39
	ds_load_b128 v[48:51], v39 offset:16
	ds_load_b128 v[52:55], v39 offset:32
	;; [unrolled: 1-line block ×3, first 2 shown]
	ds_load_b128 v[60:63], v31
	s_add_nc_u64 s[2:3], s[2:3], 8
	s_wait_alu 0xfffe
	v_cmp_gt_i64_e64 s20, s[8:9], s[2:3]
	s_and_b32 vcc_lo, exec_lo, s20
	s_wait_dscnt 0x0
	v_mul_f64_e32 v[2:3], v[46:47], v[62:63]
	v_mul_f64_e32 v[64:65], v[44:45], v[62:63]
	s_delay_alu instid0(VALU_DEP_2) | instskip(NEXT) | instid1(VALU_DEP_2)
	v_fma_f64 v[2:3], v[44:45], v[60:61], -v[2:3]
	v_fma_f64 v[64:65], v[46:47], v[60:61], v[64:65]
	s_delay_alu instid0(VALU_DEP_2) | instskip(SKIP_4) | instid1(VALU_DEP_1)
	v_add_f64_e32 v[66:67], v[4:5], v[2:3]
	ds_load_b128 v[2:5], v31 offset:256
	v_add_f64_e32 v[28:29], v[64:65], v[28:29]
	s_wait_dscnt 0x0
	v_mul_f64_e32 v[64:65], v[46:47], v[4:5]
	v_fma_f64 v[64:65], v[44:45], v[2:3], -v[64:65]
	v_mul_f64_e32 v[44:45], v[44:45], v[4:5]
	s_delay_alu instid0(VALU_DEP_1) | instskip(NEXT) | instid1(VALU_DEP_3)
	v_fma_f64 v[44:45], v[46:47], v[2:3], v[44:45]
	v_add_f64_e32 v[46:47], v[24:25], v[64:65]
	s_delay_alu instid0(VALU_DEP_2) | instskip(SKIP_4) | instid1(VALU_DEP_2)
	v_add_f64_e32 v[44:45], v[44:45], v[26:27]
	ds_load_b128 v[24:27], v39 offset:2048
	s_wait_dscnt 0x0
	v_mul_f64_e32 v[64:65], v[26:27], v[62:63]
	v_mul_f64_e32 v[62:63], v[24:25], v[62:63]
	v_fma_f64 v[64:65], v[24:25], v[60:61], -v[64:65]
	s_delay_alu instid0(VALU_DEP_2) | instskip(NEXT) | instid1(VALU_DEP_2)
	v_fma_f64 v[60:61], v[26:27], v[60:61], v[62:63]
	v_add_f64_e32 v[62:63], v[20:21], v[64:65]
	v_mul_f64_e32 v[20:21], v[26:27], v[4:5]
	v_mul_f64_e32 v[4:5], v[24:25], v[4:5]
	s_delay_alu instid0(VALU_DEP_4) | instskip(NEXT) | instid1(VALU_DEP_3)
	v_add_f64_e32 v[60:61], v[60:61], v[22:23]
	v_fma_f64 v[20:21], v[24:25], v[2:3], -v[20:21]
	s_delay_alu instid0(VALU_DEP_3) | instskip(NEXT) | instid1(VALU_DEP_2)
	v_fma_f64 v[2:3], v[26:27], v[2:3], v[4:5]
	v_add_f64_e32 v[24:25], v[18:19], v[20:21]
	s_delay_alu instid0(VALU_DEP_2) | instskip(SKIP_4) | instid1(VALU_DEP_2)
	v_add_f64_e32 v[26:27], v[2:3], v[16:17]
	ds_load_b128 v[2:5], v31 offset:512
	s_wait_dscnt 0x0
	v_mul_f64_e32 v[16:17], v[50:51], v[4:5]
	v_mul_f64_e32 v[18:19], v[48:49], v[4:5]
	v_fma_f64 v[16:17], v[48:49], v[2:3], -v[16:17]
	s_delay_alu instid0(VALU_DEP_2) | instskip(NEXT) | instid1(VALU_DEP_2)
	v_fma_f64 v[18:19], v[50:51], v[2:3], v[18:19]
	v_add_f64_e32 v[64:65], v[66:67], v[16:17]
	s_delay_alu instid0(VALU_DEP_2) | instskip(SKIP_4) | instid1(VALU_DEP_2)
	v_add_f64_e32 v[28:29], v[18:19], v[28:29]
	ds_load_b128 v[16:19], v31 offset:768
	s_wait_dscnt 0x0
	v_mul_f64_e32 v[20:21], v[50:51], v[18:19]
	v_mul_f64_e32 v[22:23], v[48:49], v[18:19]
	v_fma_f64 v[20:21], v[48:49], v[16:17], -v[20:21]
	s_delay_alu instid0(VALU_DEP_2) | instskip(NEXT) | instid1(VALU_DEP_2)
	v_fma_f64 v[22:23], v[50:51], v[16:17], v[22:23]
	v_add_f64_e32 v[46:47], v[46:47], v[20:21]
	s_delay_alu instid0(VALU_DEP_2) | instskip(SKIP_4) | instid1(VALU_DEP_2)
	v_add_f64_e32 v[44:45], v[22:23], v[44:45]
	ds_load_b128 v[20:23], v39 offset:2064
	s_wait_dscnt 0x0
	v_mul_f64_e32 v[48:49], v[22:23], v[4:5]
	v_mul_f64_e32 v[4:5], v[20:21], v[4:5]
	v_fma_f64 v[48:49], v[20:21], v[2:3], -v[48:49]
	s_delay_alu instid0(VALU_DEP_2) | instskip(SKIP_1) | instid1(VALU_DEP_3)
	v_fma_f64 v[2:3], v[22:23], v[2:3], v[4:5]
	v_mul_f64_e32 v[4:5], v[20:21], v[18:19]
	v_add_f64_e32 v[48:49], v[62:63], v[48:49]
	s_delay_alu instid0(VALU_DEP_3) | instskip(SKIP_1) | instid1(VALU_DEP_4)
	v_add_f64_e32 v[50:51], v[2:3], v[60:61]
	v_mul_f64_e32 v[2:3], v[22:23], v[18:19]
	v_fma_f64 v[4:5], v[22:23], v[16:17], v[4:5]
	s_delay_alu instid0(VALU_DEP_2) | instskip(NEXT) | instid1(VALU_DEP_2)
	v_fma_f64 v[2:3], v[20:21], v[16:17], -v[2:3]
	v_add_f64_e32 v[26:27], v[4:5], v[26:27]
	s_delay_alu instid0(VALU_DEP_2) | instskip(SKIP_4) | instid1(VALU_DEP_2)
	v_add_f64_e32 v[24:25], v[24:25], v[2:3]
	ds_load_b128 v[2:5], v31 offset:1024
	s_wait_dscnt 0x0
	v_mul_f64_e32 v[16:17], v[54:55], v[4:5]
	v_mul_f64_e32 v[18:19], v[52:53], v[4:5]
	v_fma_f64 v[16:17], v[52:53], v[2:3], -v[16:17]
	s_delay_alu instid0(VALU_DEP_2) | instskip(NEXT) | instid1(VALU_DEP_2)
	v_fma_f64 v[18:19], v[54:55], v[2:3], v[18:19]
	v_add_f64_e32 v[60:61], v[64:65], v[16:17]
	s_delay_alu instid0(VALU_DEP_2) | instskip(SKIP_4) | instid1(VALU_DEP_2)
	v_add_f64_e32 v[28:29], v[18:19], v[28:29]
	ds_load_b128 v[16:19], v31 offset:1280
	s_wait_dscnt 0x0
	v_mul_f64_e32 v[20:21], v[54:55], v[18:19]
	v_mul_f64_e32 v[22:23], v[52:53], v[18:19]
	v_fma_f64 v[20:21], v[52:53], v[16:17], -v[20:21]
	s_delay_alu instid0(VALU_DEP_2) | instskip(NEXT) | instid1(VALU_DEP_2)
	v_fma_f64 v[22:23], v[54:55], v[16:17], v[22:23]
	v_add_f64_e32 v[46:47], v[46:47], v[20:21]
	s_delay_alu instid0(VALU_DEP_2) | instskip(SKIP_4) | instid1(VALU_DEP_2)
	v_add_f64_e32 v[44:45], v[22:23], v[44:45]
	ds_load_b128 v[20:23], v39 offset:2080
	s_wait_dscnt 0x0
	v_mul_f64_e32 v[52:53], v[22:23], v[4:5]
	v_mul_f64_e32 v[4:5], v[20:21], v[4:5]
	v_fma_f64 v[52:53], v[20:21], v[2:3], -v[52:53]
	s_delay_alu instid0(VALU_DEP_2) | instskip(SKIP_1) | instid1(VALU_DEP_3)
	v_fma_f64 v[2:3], v[22:23], v[2:3], v[4:5]
	v_mul_f64_e32 v[4:5], v[20:21], v[18:19]
	v_add_f64_e32 v[48:49], v[48:49], v[52:53]
	s_delay_alu instid0(VALU_DEP_3) | instskip(SKIP_1) | instid1(VALU_DEP_4)
	v_add_f64_e32 v[50:51], v[2:3], v[50:51]
	v_mul_f64_e32 v[2:3], v[22:23], v[18:19]
	v_fma_f64 v[4:5], v[22:23], v[16:17], v[4:5]
	s_delay_alu instid0(VALU_DEP_2) | instskip(NEXT) | instid1(VALU_DEP_2)
	v_fma_f64 v[2:3], v[20:21], v[16:17], -v[2:3]
	;; [unrolled: 38-line block ×3, first 2 shown]
	v_add_f64_e32 v[26:27], v[4:5], v[26:27]
	s_delay_alu instid0(VALU_DEP_2)
	v_add_f64_e32 v[24:25], v[24:25], v[2:3]
	ds_load_b128 v[2:5], v39 offset:64
	ds_load_b128 v[16:19], v31 offset:2048
	s_wait_dscnt 0x0
	v_mul_f64_e32 v[20:21], v[4:5], v[18:19]
	v_mul_f64_e32 v[22:23], v[2:3], v[18:19]
	s_delay_alu instid0(VALU_DEP_2) | instskip(NEXT) | instid1(VALU_DEP_2)
	v_fma_f64 v[20:21], v[2:3], v[16:17], -v[20:21]
	v_fma_f64 v[22:23], v[4:5], v[16:17], v[22:23]
	s_delay_alu instid0(VALU_DEP_2) | instskip(NEXT) | instid1(VALU_DEP_2)
	v_add_f64_e32 v[52:53], v[52:53], v[20:21]
	v_add_f64_e32 v[28:29], v[22:23], v[28:29]
	ds_load_b128 v[20:23], v31 offset:2304
	s_wait_dscnt 0x0
	v_mul_f64_e32 v[54:55], v[4:5], v[22:23]
	s_delay_alu instid0(VALU_DEP_1) | instskip(SKIP_1) | instid1(VALU_DEP_2)
	v_fma_f64 v[54:55], v[2:3], v[20:21], -v[54:55]
	v_mul_f64_e32 v[2:3], v[2:3], v[22:23]
	v_add_f64_e32 v[46:47], v[46:47], v[54:55]
	s_delay_alu instid0(VALU_DEP_2) | instskip(NEXT) | instid1(VALU_DEP_1)
	v_fma_f64 v[2:3], v[4:5], v[20:21], v[2:3]
	v_add_f64_e32 v[44:45], v[2:3], v[44:45]
	ds_load_b128 v[2:5], v39 offset:2112
	s_wait_dscnt 0x0
	v_mul_f64_e32 v[54:55], v[4:5], v[18:19]
	v_mul_f64_e32 v[18:19], v[2:3], v[18:19]
	s_delay_alu instid0(VALU_DEP_2) | instskip(NEXT) | instid1(VALU_DEP_2)
	v_fma_f64 v[54:55], v[2:3], v[16:17], -v[54:55]
	v_fma_f64 v[16:17], v[4:5], v[16:17], v[18:19]
	s_delay_alu instid0(VALU_DEP_2) | instskip(NEXT) | instid1(VALU_DEP_2)
	v_add_f64_e32 v[48:49], v[48:49], v[54:55]
	v_add_f64_e32 v[50:51], v[16:17], v[50:51]
	v_mul_f64_e32 v[16:17], v[4:5], v[22:23]
	s_delay_alu instid0(VALU_DEP_1) | instskip(SKIP_1) | instid1(VALU_DEP_2)
	v_fma_f64 v[16:17], v[2:3], v[20:21], -v[16:17]
	v_mul_f64_e32 v[2:3], v[2:3], v[22:23]
	v_add_f64_e32 v[24:25], v[24:25], v[16:17]
	s_delay_alu instid0(VALU_DEP_2) | instskip(NEXT) | instid1(VALU_DEP_1)
	v_fma_f64 v[2:3], v[4:5], v[20:21], v[2:3]
	v_add_f64_e32 v[26:27], v[2:3], v[26:27]
	ds_load_b128 v[2:5], v39 offset:80
	ds_load_b128 v[16:19], v31 offset:2560
	s_wait_dscnt 0x0
	v_mul_f64_e32 v[20:21], v[4:5], v[18:19]
	v_mul_f64_e32 v[22:23], v[2:3], v[18:19]
	s_delay_alu instid0(VALU_DEP_2) | instskip(NEXT) | instid1(VALU_DEP_2)
	v_fma_f64 v[20:21], v[2:3], v[16:17], -v[20:21]
	v_fma_f64 v[22:23], v[4:5], v[16:17], v[22:23]
	s_delay_alu instid0(VALU_DEP_2) | instskip(NEXT) | instid1(VALU_DEP_2)
	v_add_f64_e32 v[52:53], v[52:53], v[20:21]
	v_add_f64_e32 v[28:29], v[22:23], v[28:29]
	ds_load_b128 v[20:23], v31 offset:2816
	s_wait_dscnt 0x0
	v_mul_f64_e32 v[54:55], v[4:5], v[22:23]
	s_delay_alu instid0(VALU_DEP_1) | instskip(SKIP_1) | instid1(VALU_DEP_2)
	v_fma_f64 v[54:55], v[2:3], v[20:21], -v[54:55]
	v_mul_f64_e32 v[2:3], v[2:3], v[22:23]
	v_add_f64_e32 v[46:47], v[46:47], v[54:55]
	s_delay_alu instid0(VALU_DEP_2) | instskip(NEXT) | instid1(VALU_DEP_1)
	v_fma_f64 v[2:3], v[4:5], v[20:21], v[2:3]
	v_add_f64_e32 v[44:45], v[2:3], v[44:45]
	ds_load_b128 v[2:5], v39 offset:2128
	s_wait_dscnt 0x0
	v_mul_f64_e32 v[54:55], v[4:5], v[18:19]
	v_mul_f64_e32 v[18:19], v[2:3], v[18:19]
	s_delay_alu instid0(VALU_DEP_2) | instskip(NEXT) | instid1(VALU_DEP_2)
	v_fma_f64 v[54:55], v[2:3], v[16:17], -v[54:55]
	v_fma_f64 v[16:17], v[4:5], v[16:17], v[18:19]
	s_delay_alu instid0(VALU_DEP_2) | instskip(NEXT) | instid1(VALU_DEP_2)
	v_add_f64_e32 v[48:49], v[48:49], v[54:55]
	v_add_f64_e32 v[50:51], v[16:17], v[50:51]
	v_mul_f64_e32 v[16:17], v[4:5], v[22:23]
	s_delay_alu instid0(VALU_DEP_1) | instskip(SKIP_1) | instid1(VALU_DEP_2)
	v_fma_f64 v[16:17], v[2:3], v[20:21], -v[16:17]
	v_mul_f64_e32 v[2:3], v[2:3], v[22:23]
	v_add_f64_e32 v[24:25], v[24:25], v[16:17]
	s_delay_alu instid0(VALU_DEP_2) | instskip(NEXT) | instid1(VALU_DEP_1)
	v_fma_f64 v[2:3], v[4:5], v[20:21], v[2:3]
	v_add_f64_e32 v[26:27], v[2:3], v[26:27]
	ds_load_b128 v[2:5], v39 offset:96
	ds_load_b128 v[16:19], v31 offset:3072
	s_wait_dscnt 0x0
	v_mul_f64_e32 v[20:21], v[4:5], v[18:19]
	v_mul_f64_e32 v[22:23], v[2:3], v[18:19]
	s_delay_alu instid0(VALU_DEP_2) | instskip(NEXT) | instid1(VALU_DEP_2)
	v_fma_f64 v[20:21], v[2:3], v[16:17], -v[20:21]
	v_fma_f64 v[22:23], v[4:5], v[16:17], v[22:23]
	s_delay_alu instid0(VALU_DEP_2) | instskip(NEXT) | instid1(VALU_DEP_2)
	v_add_f64_e32 v[52:53], v[52:53], v[20:21]
	v_add_f64_e32 v[28:29], v[22:23], v[28:29]
	ds_load_b128 v[20:23], v31 offset:3328
	s_wait_dscnt 0x0
	v_mul_f64_e32 v[54:55], v[4:5], v[22:23]
	s_delay_alu instid0(VALU_DEP_1) | instskip(SKIP_1) | instid1(VALU_DEP_2)
	v_fma_f64 v[54:55], v[2:3], v[20:21], -v[54:55]
	v_mul_f64_e32 v[2:3], v[2:3], v[22:23]
	v_add_f64_e32 v[54:55], v[46:47], v[54:55]
	s_delay_alu instid0(VALU_DEP_2) | instskip(NEXT) | instid1(VALU_DEP_1)
	v_fma_f64 v[2:3], v[4:5], v[20:21], v[2:3]
	v_add_f64_e32 v[56:57], v[2:3], v[44:45]
	ds_load_b128 v[2:5], v39 offset:2144
	s_wait_dscnt 0x0
	v_mul_f64_e32 v[44:45], v[4:5], v[18:19]
	v_mul_f64_e32 v[18:19], v[2:3], v[18:19]
	s_delay_alu instid0(VALU_DEP_2) | instskip(NEXT) | instid1(VALU_DEP_2)
	v_fma_f64 v[44:45], v[2:3], v[16:17], -v[44:45]
	v_fma_f64 v[16:17], v[4:5], v[16:17], v[18:19]
	s_delay_alu instid0(VALU_DEP_2) | instskip(NEXT) | instid1(VALU_DEP_2)
	v_add_f64_e32 v[48:49], v[48:49], v[44:45]
	v_add_f64_e32 v[50:51], v[16:17], v[50:51]
	v_mul_f64_e32 v[16:17], v[4:5], v[22:23]
	s_delay_alu instid0(VALU_DEP_1) | instskip(SKIP_1) | instid1(VALU_DEP_2)
	v_fma_f64 v[16:17], v[2:3], v[20:21], -v[16:17]
	v_mul_f64_e32 v[2:3], v[2:3], v[22:23]
	v_add_f64_e32 v[58:59], v[24:25], v[16:17]
	s_delay_alu instid0(VALU_DEP_2)
	v_fma_f64 v[2:3], v[4:5], v[20:21], v[2:3]
	ds_load_b128 v[16:19], v39 offset:112
	ds_load_b128 v[20:23], v31 offset:3584
	;; [unrolled: 1-line block ×3, first 2 shown]
	s_wait_dscnt 0x1
	v_mul_f64_e32 v[24:25], v[16:17], v[22:23]
	v_mul_f64_e32 v[4:5], v[18:19], v[22:23]
	v_add_f64_e32 v[2:3], v[2:3], v[26:27]
	s_delay_alu instid0(VALU_DEP_3) | instskip(NEXT) | instid1(VALU_DEP_3)
	v_fma_f64 v[24:25], v[18:19], v[20:21], v[24:25]
	v_fma_f64 v[4:5], v[16:17], v[20:21], -v[4:5]
	s_delay_alu instid0(VALU_DEP_2) | instskip(SKIP_2) | instid1(VALU_DEP_3)
	v_add_f64_e32 v[28:29], v[24:25], v[28:29]
	s_wait_dscnt 0x0
	v_mul_f64_e32 v[24:25], v[18:19], v[46:47]
	v_add_f64_e32 v[4:5], v[52:53], v[4:5]
	s_delay_alu instid0(VALU_DEP_2) | instskip(SKIP_1) | instid1(VALU_DEP_2)
	v_fma_f64 v[24:25], v[16:17], v[44:45], -v[24:25]
	v_mul_f64_e32 v[16:17], v[16:17], v[46:47]
	v_add_f64_e32 v[24:25], v[54:55], v[24:25]
	s_delay_alu instid0(VALU_DEP_2) | instskip(NEXT) | instid1(VALU_DEP_1)
	v_fma_f64 v[16:17], v[18:19], v[44:45], v[16:17]
	v_add_f64_e32 v[26:27], v[16:17], v[56:57]
	ds_load_b128 v[16:19], v39 offset:2160
	s_wait_loadcnt_dscnt 0x0
	s_barrier_signal -1
	s_barrier_wait -1
	global_inv scope:SCOPE_SE
	v_mul_f64_e32 v[52:53], v[18:19], v[22:23]
	v_mul_f64_e32 v[22:23], v[16:17], v[22:23]
	s_delay_alu instid0(VALU_DEP_2) | instskip(NEXT) | instid1(VALU_DEP_2)
	v_fma_f64 v[52:53], v[16:17], v[20:21], -v[52:53]
	v_fma_f64 v[22:23], v[18:19], v[20:21], v[22:23]
	s_delay_alu instid0(VALU_DEP_2) | instskip(SKIP_1) | instid1(VALU_DEP_3)
	v_add_f64_e32 v[20:21], v[48:49], v[52:53]
	v_mul_f64_e32 v[48:49], v[18:19], v[46:47]
	v_add_f64_e32 v[22:23], v[22:23], v[50:51]
	s_delay_alu instid0(VALU_DEP_2) | instskip(SKIP_1) | instid1(VALU_DEP_1)
	v_fma_f64 v[48:49], v[16:17], v[44:45], -v[48:49]
	v_mul_f64_e32 v[16:17], v[16:17], v[46:47]
	v_fma_f64 v[16:17], v[18:19], v[44:45], v[16:17]
	s_delay_alu instid0(VALU_DEP_3) | instskip(NEXT) | instid1(VALU_DEP_2)
	v_add_f64_e32 v[18:19], v[58:59], v[48:49]
	v_add_f64_e32 v[16:17], v[16:17], v[2:3]
	s_wait_alu 0xfffe
	s_cbranch_vccz .LBB261_21
.LBB261_10:                             ;   Parent Loop BB261_7 Depth=1
                                        ; =>  This Inner Loop Header: Depth=2
	s_mov_b32 s20, 0
	s_mov_b32 s24, s10
	s_and_saveexec_b32 s21, s0
	s_cbranch_execnz .LBB261_18
; %bb.11:                               ;   in Loop: Header=BB261_10 Depth=2
	s_wait_alu 0xfffe
	s_or_b32 exec_lo, exec_lo, s21
	s_and_saveexec_b32 s21, s24
	s_wait_alu 0xfffe
	s_xor_b32 s21, exec_lo, s21
	s_cbranch_execnz .LBB261_19
.LBB261_12:                             ;   in Loop: Header=BB261_10 Depth=2
	s_wait_alu 0xfffe
	s_or_b32 exec_lo, exec_lo, s21
	s_and_saveexec_b32 s21, s20
	s_cbranch_execz .LBB261_14
.LBB261_13:                             ;   in Loop: Header=BB261_10 Depth=2
	v_mul_lo_u32 v0, s15, v14
	v_mul_lo_u32 v44, s14, v15
	v_mad_co_u64_u32 v[2:3], null, s14, v14, 0
	s_delay_alu instid0(VALU_DEP_1) | instskip(NEXT) | instid1(VALU_DEP_1)
	v_add3_u32 v3, v3, v44, v0
	v_lshlrev_b64_e32 v[2:3], 4, v[2:3]
	s_delay_alu instid0(VALU_DEP_1) | instskip(SKIP_1) | instid1(VALU_DEP_2)
	v_add_co_u32 v2, vcc_lo, v40, v2
	s_wait_alu 0xfffd
	v_add_co_ci_u32_e64 v3, null, v41, v3, vcc_lo
	global_load_b128 v[44:47], v[2:3], off
	s_wait_loadcnt 0x0
	ds_store_2addr_b64 v33, v[44:45], v[46:47] offset1:1
.LBB261_14:                             ;   in Loop: Header=BB261_10 Depth=2
	s_wait_alu 0xfffe
	s_or_b32 exec_lo, exec_lo, s21
	v_add_nc_u32_e32 v0, s2, v30
	s_delay_alu instid0(VALU_DEP_1)
	v_cmp_le_u64_e32 vcc_lo, s[8:9], v[0:1]
	s_or_b32 s20, vcc_lo, s4
	s_wait_alu 0xfffe
	s_and_saveexec_b32 s21, s20
	s_wait_alu 0xfffe
	s_xor_b32 s20, exec_lo, s21
; %bb.15:                               ;   in Loop: Header=BB261_10 Depth=2
	v_dual_mov_b32 v0, v1 :: v_dual_mov_b32 v3, v1
	v_mov_b32_e32 v2, v1
	ds_store_b128 v34, v[0:3]
; %bb.16:                               ;   in Loop: Header=BB261_10 Depth=2
	s_wait_alu 0xfffe
	s_and_not1_saveexec_b32 s20, s20
	s_cbranch_execz .LBB261_9
; %bb.17:                               ;   in Loop: Header=BB261_10 Depth=2
	v_lshlrev_b64_e32 v[2:3], 4, v[0:1]
	s_delay_alu instid0(VALU_DEP_1) | instskip(SKIP_1) | instid1(VALU_DEP_2)
	v_add_co_u32 v2, vcc_lo, v42, v2
	s_wait_alu 0xfffd
	v_add_co_ci_u32_e64 v3, null, v43, v3, vcc_lo
	global_load_b128 v[44:47], v[2:3], off
	s_wait_loadcnt 0x0
	ds_store_2addr_b64 v34, v[44:45], v[46:47] offset1:1
	s_branch .LBB261_9
.LBB261_18:                             ;   in Loop: Header=BB261_10 Depth=2
	s_wait_alu 0xfffe
	v_add_nc_u32_e32 v0, s2, v32
	v_mov_b32_e32 v15, v1
	s_and_not1_b32 s24, s10, exec_lo
	s_mov_b32 s20, exec_lo
	s_delay_alu instid0(VALU_DEP_2) | instskip(SKIP_2) | instid1(SALU_CYCLE_1)
	v_cmp_le_u64_e32 vcc_lo, s[8:9], v[0:1]
	v_mov_b32_e32 v14, v0
	s_and_b32 s25, vcc_lo, exec_lo
	s_or_b32 s24, s24, s25
	s_or_b32 exec_lo, exec_lo, s21
	s_and_saveexec_b32 s21, s24
	s_wait_alu 0xfffe
	s_xor_b32 s21, exec_lo, s21
	s_cbranch_execz .LBB261_12
.LBB261_19:                             ;   in Loop: Header=BB261_10 Depth=2
	v_dual_mov_b32 v0, v1 :: v_dual_mov_b32 v3, v1
	v_mov_b32_e32 v2, v1
	s_and_not1_b32 s20, s20, exec_lo
	ds_store_b128 v33, v[0:3]
	s_wait_alu 0xfffe
	s_or_b32 exec_lo, exec_lo, s21
	s_and_saveexec_b32 s21, s20
	s_cbranch_execnz .LBB261_13
	s_branch .LBB261_14
.LBB261_20:                             ;   in Loop: Header=BB261_7 Depth=1
	v_mov_b32_e32 v28, 0
	v_mov_b32_e32 v26, 0
	v_dual_mov_b32 v22, 0 :: v_dual_mov_b32 v29, 0
	v_dual_mov_b32 v24, 0 :: v_dual_mov_b32 v27, 0
	;; [unrolled: 1-line block ×3, first 2 shown]
	v_mov_b32_e32 v18, 0
	v_dual_mov_b32 v16, 0 :: v_dual_mov_b32 v25, 0
	v_mov_b32_e32 v21, 0
	v_mov_b32_e32 v19, 0
	;; [unrolled: 1-line block ×3, first 2 shown]
.LBB261_21:                             ;   in Loop: Header=BB261_7 Depth=1
	s_mul_u64 s[2:3], s[30:31], s[6:7]
	s_wait_alu 0xfffe
	s_lshl_b64 s[2:3], s[2:3], 4
	s_wait_alu 0xfffe
	s_add_nc_u64 s[2:3], s[26:27], s[2:3]
	s_wait_alu 0xfffe
	v_add_co_u32 v0, vcc_lo, s2, v10
	s_wait_alu 0xfffd
	v_add_co_ci_u32_e64 v40, null, s3, v11, vcc_lo
	s_and_saveexec_b32 s20, s12
	s_cbranch_execz .LBB261_26
; %bb.22:                               ;   in Loop: Header=BB261_7 Depth=1
	v_mul_f64_e32 v[2:3], s[42:43], v[28:29]
	v_mul_f64_e32 v[28:29], s[40:41], v[28:29]
	s_and_b32 vcc_lo, exec_lo, s11
	s_mov_b32 s21, -1
	s_delay_alu instid0(VALU_DEP_2) | instskip(NEXT) | instid1(VALU_DEP_2)
	v_fma_f64 v[2:3], s[40:41], v[4:5], -v[2:3]
	v_fma_f64 v[4:5], s[42:43], v[4:5], v[28:29]
	s_wait_alu 0xfffe
	s_cbranch_vccz .LBB261_24
; %bb.23:                               ;   in Loop: Header=BB261_7 Depth=1
	v_lshlrev_b64_e32 v[28:29], 4, v[6:7]
	s_mov_b32 s21, 0
	s_delay_alu instid0(VALU_DEP_1) | instskip(SKIP_1) | instid1(VALU_DEP_2)
	v_add_co_u32 v28, vcc_lo, v0, v28
	s_wait_alu 0xfffd
	v_add_co_ci_u32_e64 v29, null, v40, v29, vcc_lo
	global_load_b128 v[41:44], v[28:29], off
	s_wait_loadcnt 0x0
	v_mul_f64_e32 v[45:46], s[38:39], v[43:44]
	v_mul_f64_e32 v[43:44], s[36:37], v[43:44]
	s_delay_alu instid0(VALU_DEP_2) | instskip(NEXT) | instid1(VALU_DEP_2)
	v_fma_f64 v[45:46], s[36:37], v[41:42], -v[45:46]
	v_fma_f64 v[43:44], s[38:39], v[41:42], v[43:44]
	s_delay_alu instid0(VALU_DEP_2) | instskip(NEXT) | instid1(VALU_DEP_2)
	v_add_f64_e32 v[41:42], v[2:3], v[45:46]
	v_add_f64_e32 v[43:44], v[4:5], v[43:44]
	global_store_b128 v[28:29], v[41:44], off
.LBB261_24:                             ;   in Loop: Header=BB261_7 Depth=1
	s_wait_alu 0xfffe
	s_and_not1_b32 vcc_lo, exec_lo, s21
	s_wait_alu 0xfffe
	s_cbranch_vccnz .LBB261_26
; %bb.25:                               ;   in Loop: Header=BB261_7 Depth=1
	v_lshlrev_b64_e32 v[28:29], 4, v[6:7]
	s_delay_alu instid0(VALU_DEP_1) | instskip(SKIP_1) | instid1(VALU_DEP_2)
	v_add_co_u32 v28, vcc_lo, v0, v28
	s_wait_alu 0xfffd
	v_add_co_ci_u32_e64 v29, null, v40, v29, vcc_lo
	global_store_b128 v[28:29], v[2:5], off
.LBB261_26:                             ;   in Loop: Header=BB261_7 Depth=1
	s_wait_alu 0xfffe
	s_or_b32 exec_lo, exec_lo, s20
	s_and_saveexec_b32 s20, s13
	s_cbranch_execz .LBB261_31
; %bb.27:                               ;   in Loop: Header=BB261_7 Depth=1
	v_mul_f64_e32 v[2:3], s[42:43], v[26:27]
	v_mul_f64_e32 v[4:5], s[40:41], v[26:27]
	s_and_not1_b32 vcc_lo, exec_lo, s11
	s_mov_b32 s21, -1
	s_delay_alu instid0(VALU_DEP_2) | instskip(NEXT) | instid1(VALU_DEP_2)
	v_fma_f64 v[2:3], s[40:41], v[24:25], -v[2:3]
	v_fma_f64 v[4:5], s[42:43], v[24:25], v[4:5]
	s_wait_alu 0xfffe
	s_cbranch_vccnz .LBB261_29
; %bb.28:                               ;   in Loop: Header=BB261_7 Depth=1
	v_lshlrev_b64_e32 v[24:25], 4, v[8:9]
	s_mov_b32 s21, 0
	s_delay_alu instid0(VALU_DEP_1) | instskip(SKIP_1) | instid1(VALU_DEP_2)
	v_add_co_u32 v28, vcc_lo, v0, v24
	s_wait_alu 0xfffd
	v_add_co_ci_u32_e64 v29, null, v40, v25, vcc_lo
	global_load_b128 v[24:27], v[28:29], off
	s_wait_loadcnt 0x0
	v_mul_f64_e32 v[41:42], s[38:39], v[26:27]
	v_mul_f64_e32 v[26:27], s[36:37], v[26:27]
	s_delay_alu instid0(VALU_DEP_2) | instskip(NEXT) | instid1(VALU_DEP_2)
	v_fma_f64 v[41:42], s[36:37], v[24:25], -v[41:42]
	v_fma_f64 v[26:27], s[38:39], v[24:25], v[26:27]
	s_delay_alu instid0(VALU_DEP_2) | instskip(NEXT) | instid1(VALU_DEP_2)
	v_add_f64_e32 v[24:25], v[2:3], v[41:42]
	v_add_f64_e32 v[26:27], v[4:5], v[26:27]
	global_store_b128 v[28:29], v[24:27], off
.LBB261_29:                             ;   in Loop: Header=BB261_7 Depth=1
	s_wait_alu 0xfffe
	s_and_not1_b32 vcc_lo, exec_lo, s21
	s_wait_alu 0xfffe
	s_cbranch_vccnz .LBB261_31
; %bb.30:                               ;   in Loop: Header=BB261_7 Depth=1
	v_lshlrev_b64_e32 v[24:25], 4, v[8:9]
	s_delay_alu instid0(VALU_DEP_1) | instskip(SKIP_1) | instid1(VALU_DEP_2)
	v_add_co_u32 v24, vcc_lo, v0, v24
	s_wait_alu 0xfffd
	v_add_co_ci_u32_e64 v25, null, v40, v25, vcc_lo
	global_store_b128 v[24:25], v[2:5], off
.LBB261_31:                             ;   in Loop: Header=BB261_7 Depth=1
	s_wait_alu 0xfffe
	s_or_b32 exec_lo, exec_lo, s20
	v_add_co_u32 v0, vcc_lo, s2, v12
	s_wait_alu 0xfffd
	v_add_co_ci_u32_e64 v24, null, s3, v13, vcc_lo
	s_and_saveexec_b32 s2, s18
	s_cbranch_execz .LBB261_36
; %bb.32:                               ;   in Loop: Header=BB261_7 Depth=1
	v_mul_f64_e32 v[2:3], s[42:43], v[22:23]
	v_mul_f64_e32 v[4:5], s[40:41], v[22:23]
	s_and_not1_b32 vcc_lo, exec_lo, s11
	s_mov_b32 s3, -1
	s_delay_alu instid0(VALU_DEP_2) | instskip(NEXT) | instid1(VALU_DEP_2)
	v_fma_f64 v[2:3], s[40:41], v[20:21], -v[2:3]
	v_fma_f64 v[4:5], s[42:43], v[20:21], v[4:5]
	v_lshlrev_b64_e32 v[20:21], 4, v[6:7]
	s_wait_alu 0xfffe
	s_cbranch_vccnz .LBB261_34
; %bb.33:                               ;   in Loop: Header=BB261_7 Depth=1
	s_delay_alu instid0(VALU_DEP_1) | instskip(SKIP_1) | instid1(VALU_DEP_2)
	v_add_co_u32 v22, vcc_lo, v0, v20
	s_wait_alu 0xfffd
	v_add_co_ci_u32_e64 v23, null, v24, v21, vcc_lo
	s_mov_b32 s3, 0
	global_load_b128 v[25:28], v[22:23], off
	s_wait_loadcnt 0x0
	v_mul_f64_e32 v[40:41], s[38:39], v[27:28]
	v_mul_f64_e32 v[27:28], s[36:37], v[27:28]
	s_delay_alu instid0(VALU_DEP_2) | instskip(NEXT) | instid1(VALU_DEP_2)
	v_fma_f64 v[40:41], s[36:37], v[25:26], -v[40:41]
	v_fma_f64 v[27:28], s[38:39], v[25:26], v[27:28]
	s_delay_alu instid0(VALU_DEP_2) | instskip(NEXT) | instid1(VALU_DEP_2)
	v_add_f64_e32 v[25:26], v[2:3], v[40:41]
	v_add_f64_e32 v[27:28], v[4:5], v[27:28]
	global_store_b128 v[22:23], v[25:28], off
.LBB261_34:                             ;   in Loop: Header=BB261_7 Depth=1
	s_wait_alu 0xfffe
	s_and_not1_b32 vcc_lo, exec_lo, s3
	s_wait_alu 0xfffe
	s_cbranch_vccnz .LBB261_36
; %bb.35:                               ;   in Loop: Header=BB261_7 Depth=1
	v_add_co_u32 v20, vcc_lo, v0, v20
	s_wait_alu 0xfffd
	v_add_co_ci_u32_e64 v21, null, v24, v21, vcc_lo
	global_store_b128 v[20:21], v[2:5], off
.LBB261_36:                             ;   in Loop: Header=BB261_7 Depth=1
	s_wait_alu 0xfffe
	s_or_b32 exec_lo, exec_lo, s2
	s_and_saveexec_b32 s2, s1
	s_cbranch_execz .LBB261_6
; %bb.37:                               ;   in Loop: Header=BB261_7 Depth=1
	v_mul_f64_e32 v[2:3], s[42:43], v[16:17]
	v_mul_f64_e32 v[4:5], s[40:41], v[16:17]
	v_lshlrev_b64_e32 v[16:17], 4, v[8:9]
	s_and_not1_b32 vcc_lo, exec_lo, s11
	s_mov_b32 s3, -1
	s_delay_alu instid0(VALU_DEP_3) | instskip(NEXT) | instid1(VALU_DEP_3)
	v_fma_f64 v[2:3], s[40:41], v[18:19], -v[2:3]
	v_fma_f64 v[4:5], s[42:43], v[18:19], v[4:5]
	s_wait_alu 0xfffe
	s_cbranch_vccnz .LBB261_39
; %bb.38:                               ;   in Loop: Header=BB261_7 Depth=1
	v_add_co_u32 v22, vcc_lo, v0, v16
	s_wait_alu 0xfffd
	v_add_co_ci_u32_e64 v23, null, v24, v17, vcc_lo
	s_mov_b32 s3, 0
	global_load_b128 v[18:21], v[22:23], off
	s_wait_loadcnt 0x0
	v_mul_f64_e32 v[25:26], s[38:39], v[20:21]
	v_mul_f64_e32 v[20:21], s[36:37], v[20:21]
	s_delay_alu instid0(VALU_DEP_2) | instskip(NEXT) | instid1(VALU_DEP_2)
	v_fma_f64 v[25:26], s[36:37], v[18:19], -v[25:26]
	v_fma_f64 v[20:21], s[38:39], v[18:19], v[20:21]
	s_delay_alu instid0(VALU_DEP_2) | instskip(NEXT) | instid1(VALU_DEP_2)
	v_add_f64_e32 v[18:19], v[2:3], v[25:26]
	v_add_f64_e32 v[20:21], v[4:5], v[20:21]
	global_store_b128 v[22:23], v[18:21], off
.LBB261_39:                             ;   in Loop: Header=BB261_7 Depth=1
	s_wait_alu 0xfffe
	s_and_not1_b32 vcc_lo, exec_lo, s3
	s_wait_alu 0xfffe
	s_cbranch_vccnz .LBB261_6
; %bb.40:                               ;   in Loop: Header=BB261_7 Depth=1
	v_add_co_u32 v16, vcc_lo, v0, v16
	s_wait_alu 0xfffd
	v_add_co_ci_u32_e64 v17, null, v24, v17, vcc_lo
	global_store_b128 v[16:17], v[2:5], off
	s_branch .LBB261_6
.LBB261_41:
.LBB261_42:
	s_endpgm
	.section	.rodata,"a",@progbits
	.p2align	6, 0x0
	.amdhsa_kernel _ZL29rocblas_internal_gemmt_kernelIlLi16ELi32ELi8ELc78ELc78ELc76ELb0ELb0E19rocblas_complex_numIdEPKS1_S3_PS1_EviT_T9_T10_S5_lS7_S5_lS6_T11_S5_li
		.amdhsa_group_segment_fixed_size 8192
		.amdhsa_private_segment_fixed_size 0
		.amdhsa_kernarg_size 108
		.amdhsa_user_sgpr_count 2
		.amdhsa_user_sgpr_dispatch_ptr 0
		.amdhsa_user_sgpr_queue_ptr 0
		.amdhsa_user_sgpr_kernarg_segment_ptr 1
		.amdhsa_user_sgpr_dispatch_id 0
		.amdhsa_user_sgpr_private_segment_size 0
		.amdhsa_wavefront_size32 1
		.amdhsa_uses_dynamic_stack 0
		.amdhsa_enable_private_segment 0
		.amdhsa_system_sgpr_workgroup_id_x 1
		.amdhsa_system_sgpr_workgroup_id_y 1
		.amdhsa_system_sgpr_workgroup_id_z 1
		.amdhsa_system_sgpr_workgroup_info 0
		.amdhsa_system_vgpr_workitem_id 1
		.amdhsa_next_free_vgpr 68
		.amdhsa_next_free_sgpr 44
		.amdhsa_reserve_vcc 1
		.amdhsa_float_round_mode_32 0
		.amdhsa_float_round_mode_16_64 0
		.amdhsa_float_denorm_mode_32 3
		.amdhsa_float_denorm_mode_16_64 3
		.amdhsa_fp16_overflow 0
		.amdhsa_workgroup_processor_mode 1
		.amdhsa_memory_ordered 1
		.amdhsa_forward_progress 1
		.amdhsa_inst_pref_size 30
		.amdhsa_round_robin_scheduling 0
		.amdhsa_exception_fp_ieee_invalid_op 0
		.amdhsa_exception_fp_denorm_src 0
		.amdhsa_exception_fp_ieee_div_zero 0
		.amdhsa_exception_fp_ieee_overflow 0
		.amdhsa_exception_fp_ieee_underflow 0
		.amdhsa_exception_fp_ieee_inexact 0
		.amdhsa_exception_int_div_zero 0
	.end_amdhsa_kernel
	.section	.text._ZL29rocblas_internal_gemmt_kernelIlLi16ELi32ELi8ELc78ELc78ELc76ELb0ELb0E19rocblas_complex_numIdEPKS1_S3_PS1_EviT_T9_T10_S5_lS7_S5_lS6_T11_S5_li,"axG",@progbits,_ZL29rocblas_internal_gemmt_kernelIlLi16ELi32ELi8ELc78ELc78ELc76ELb0ELb0E19rocblas_complex_numIdEPKS1_S3_PS1_EviT_T9_T10_S5_lS7_S5_lS6_T11_S5_li,comdat
.Lfunc_end261:
	.size	_ZL29rocblas_internal_gemmt_kernelIlLi16ELi32ELi8ELc78ELc78ELc76ELb0ELb0E19rocblas_complex_numIdEPKS1_S3_PS1_EviT_T9_T10_S5_lS7_S5_lS6_T11_S5_li, .Lfunc_end261-_ZL29rocblas_internal_gemmt_kernelIlLi16ELi32ELi8ELc78ELc78ELc76ELb0ELb0E19rocblas_complex_numIdEPKS1_S3_PS1_EviT_T9_T10_S5_lS7_S5_lS6_T11_S5_li
                                        ; -- End function
	.set _ZL29rocblas_internal_gemmt_kernelIlLi16ELi32ELi8ELc78ELc78ELc76ELb0ELb0E19rocblas_complex_numIdEPKS1_S3_PS1_EviT_T9_T10_S5_lS7_S5_lS6_T11_S5_li.num_vgpr, 68
	.set _ZL29rocblas_internal_gemmt_kernelIlLi16ELi32ELi8ELc78ELc78ELc76ELb0ELb0E19rocblas_complex_numIdEPKS1_S3_PS1_EviT_T9_T10_S5_lS7_S5_lS6_T11_S5_li.num_agpr, 0
	.set _ZL29rocblas_internal_gemmt_kernelIlLi16ELi32ELi8ELc78ELc78ELc76ELb0ELb0E19rocblas_complex_numIdEPKS1_S3_PS1_EviT_T9_T10_S5_lS7_S5_lS6_T11_S5_li.numbered_sgpr, 44
	.set _ZL29rocblas_internal_gemmt_kernelIlLi16ELi32ELi8ELc78ELc78ELc76ELb0ELb0E19rocblas_complex_numIdEPKS1_S3_PS1_EviT_T9_T10_S5_lS7_S5_lS6_T11_S5_li.num_named_barrier, 0
	.set _ZL29rocblas_internal_gemmt_kernelIlLi16ELi32ELi8ELc78ELc78ELc76ELb0ELb0E19rocblas_complex_numIdEPKS1_S3_PS1_EviT_T9_T10_S5_lS7_S5_lS6_T11_S5_li.private_seg_size, 0
	.set _ZL29rocblas_internal_gemmt_kernelIlLi16ELi32ELi8ELc78ELc78ELc76ELb0ELb0E19rocblas_complex_numIdEPKS1_S3_PS1_EviT_T9_T10_S5_lS7_S5_lS6_T11_S5_li.uses_vcc, 1
	.set _ZL29rocblas_internal_gemmt_kernelIlLi16ELi32ELi8ELc78ELc78ELc76ELb0ELb0E19rocblas_complex_numIdEPKS1_S3_PS1_EviT_T9_T10_S5_lS7_S5_lS6_T11_S5_li.uses_flat_scratch, 0
	.set _ZL29rocblas_internal_gemmt_kernelIlLi16ELi32ELi8ELc78ELc78ELc76ELb0ELb0E19rocblas_complex_numIdEPKS1_S3_PS1_EviT_T9_T10_S5_lS7_S5_lS6_T11_S5_li.has_dyn_sized_stack, 0
	.set _ZL29rocblas_internal_gemmt_kernelIlLi16ELi32ELi8ELc78ELc78ELc76ELb0ELb0E19rocblas_complex_numIdEPKS1_S3_PS1_EviT_T9_T10_S5_lS7_S5_lS6_T11_S5_li.has_recursion, 0
	.set _ZL29rocblas_internal_gemmt_kernelIlLi16ELi32ELi8ELc78ELc78ELc76ELb0ELb0E19rocblas_complex_numIdEPKS1_S3_PS1_EviT_T9_T10_S5_lS7_S5_lS6_T11_S5_li.has_indirect_call, 0
	.section	.AMDGPU.csdata,"",@progbits
; Kernel info:
; codeLenInByte = 3824
; TotalNumSgprs: 46
; NumVgprs: 68
; ScratchSize: 0
; MemoryBound: 0
; FloatMode: 240
; IeeeMode: 1
; LDSByteSize: 8192 bytes/workgroup (compile time only)
; SGPRBlocks: 0
; VGPRBlocks: 8
; NumSGPRsForWavesPerEU: 46
; NumVGPRsForWavesPerEU: 68
; Occupancy: 16
; WaveLimiterHint : 0
; COMPUTE_PGM_RSRC2:SCRATCH_EN: 0
; COMPUTE_PGM_RSRC2:USER_SGPR: 2
; COMPUTE_PGM_RSRC2:TRAP_HANDLER: 0
; COMPUTE_PGM_RSRC2:TGID_X_EN: 1
; COMPUTE_PGM_RSRC2:TGID_Y_EN: 1
; COMPUTE_PGM_RSRC2:TGID_Z_EN: 1
; COMPUTE_PGM_RSRC2:TIDIG_COMP_CNT: 1
	.section	.text._ZL29rocblas_internal_gemmt_kernelIlLi16ELi32ELi8ELc78ELc84ELc76ELb0ELb0E19rocblas_complex_numIdEPKS1_S3_PS1_EviT_T9_T10_S5_lS7_S5_lS6_T11_S5_li,"axG",@progbits,_ZL29rocblas_internal_gemmt_kernelIlLi16ELi32ELi8ELc78ELc84ELc76ELb0ELb0E19rocblas_complex_numIdEPKS1_S3_PS1_EviT_T9_T10_S5_lS7_S5_lS6_T11_S5_li,comdat
	.globl	_ZL29rocblas_internal_gemmt_kernelIlLi16ELi32ELi8ELc78ELc84ELc76ELb0ELb0E19rocblas_complex_numIdEPKS1_S3_PS1_EviT_T9_T10_S5_lS7_S5_lS6_T11_S5_li ; -- Begin function _ZL29rocblas_internal_gemmt_kernelIlLi16ELi32ELi8ELc78ELc84ELc76ELb0ELb0E19rocblas_complex_numIdEPKS1_S3_PS1_EviT_T9_T10_S5_lS7_S5_lS6_T11_S5_li
	.p2align	8
	.type	_ZL29rocblas_internal_gemmt_kernelIlLi16ELi32ELi8ELc78ELc84ELc76ELb0ELb0E19rocblas_complex_numIdEPKS1_S3_PS1_EviT_T9_T10_S5_lS7_S5_lS6_T11_S5_li,@function
_ZL29rocblas_internal_gemmt_kernelIlLi16ELi32ELi8ELc78ELc84ELc76ELb0ELb0E19rocblas_complex_numIdEPKS1_S3_PS1_EviT_T9_T10_S5_lS7_S5_lS6_T11_S5_li: ; @_ZL29rocblas_internal_gemmt_kernelIlLi16ELi32ELi8ELc78ELc84ELc76ELb0ELb0E19rocblas_complex_numIdEPKS1_S3_PS1_EviT_T9_T10_S5_lS7_S5_lS6_T11_S5_li
; %bb.0:
	s_clause 0x1
	s_load_b256 s[24:31], s[0:1], 0x48
	s_load_b512 s[8:23], s[0:1], 0x8
	s_wait_kmcnt 0x0
	s_load_b128 s[36:39], s[24:25], 0x0
	s_load_b128 s[40:43], s[10:11], 0x0
	s_wait_kmcnt 0x0
	v_cmp_eq_f64_e64 s3, s[36:37], 1.0
	v_cmp_eq_f64_e64 s2, s[38:39], 0
	s_and_b32 s3, s3, s2
	s_delay_alu instid0(SALU_CYCLE_1)
	s_and_not1_b32 vcc_lo, exec_lo, s3
	s_mov_b32 s3, -1
	s_cbranch_vccnz .LBB262_3
; %bb.1:
	s_cmp_lg_u64 s[8:9], 0
	s_cbranch_scc0 .LBB262_41
; %bb.2:
	v_cmp_neq_f64_e64 s3, s[40:41], 0
	v_cmp_neq_f64_e64 s4, s[42:43], 0
	s_or_b32 s3, s3, s4
.LBB262_3:
	s_delay_alu instid0(SALU_CYCLE_1)
	s_and_b32 vcc_lo, exec_lo, s3
	s_cbranch_vccz .LBB262_42
; %bb.4:
	s_load_b32 s5, s[0:1], 0x68
	s_lshr_b32 s6, ttmp7, 16
	s_wait_kmcnt 0x0
	s_cmp_ge_u32 s6, s5
	s_cbranch_scc1 .LBB262_42
; %bb.5:
	v_dual_mov_b32 v1, 0 :: v_dual_and_b32 v6, 0x3ff, v0
	v_bfe_u32 v7, v0, 10, 10
	v_and_b32_e32 v30, 7, v0
	s_load_b32 s7, s[0:1], 0x0
	v_cmp_neq_f64_e64 s25, s[36:37], 0
	s_lshl_b32 s0, ttmp7, 5
	v_lshl_add_u32 v0, v7, 4, v6
	s_lshl_b32 s11, ttmp9, 5
	s_and_b32 s0, s0, 0x1fffe0
	v_cmp_neq_f64_e64 s3, s[40:41], 0
	v_add_nc_u32_e32 v11, s0, v7
	v_and_b32_e32 v8, 31, v0
	v_cmp_neq_f64_e64 s4, s[42:43], 0
	v_lshrrev_b32_e32 v31, 5, v0
	v_lshrrev_b32_e32 v0, 3, v0
	v_mad_co_u64_u32 v[4:5], null, s28, v11, 0
	v_or_b32_e32 v2, s11, v8
	v_lshlrev_b32_e32 v9, 4, v30
	s_delay_alu instid0(VALU_DEP_4)
	v_add_nc_u32_e32 v10, s0, v0
	v_add_nc_u32_e32 v12, 16, v11
	v_lshlrev_b32_e32 v8, 4, v8
	v_ashrrev_i32_e32 v3, 31, v2
	s_wait_kmcnt 0x0
	v_cmp_gt_i32_e64 s0, s7, v2
	v_cmp_le_i32_e64 s10, s7, v2
	v_lshl_or_b32 v0, v0, 7, v9
	v_lshl_or_b32 v32, v31, 9, v8
	v_lshlrev_b64_e32 v[2:3], 4, v[2:3]
	v_lshl_add_u32 v39, v7, 7, 0x1000
	v_lshlrev_b32_e32 v38, 4, v6
	v_add_nc_u32_e32 v33, 0x1000, v0
	v_lshlrev_b32_e32 v0, 4, v10
	v_add_nc_u32_e32 v6, s11, v6
	v_add_co_u32 v34, s1, s12, v2
	s_wait_alu 0xf1ff
	v_add_co_ci_u32_e64 v35, null, s13, v3, s1
	v_mad_co_u64_u32 v[2:3], null, s28, v12, 0
	v_add_co_u32 v36, s1, s18, v0
	v_mov_b32_e32 v0, v5
	v_cmp_gt_i32_e32 vcc_lo, s7, v10
	s_wait_alu 0xf1ff
	v_add_co_ci_u32_e64 v37, null, s19, 0, s1
	s_xor_b32 s1, s2, -1
	v_mad_co_u64_u32 v[7:8], null, s29, v11, v[0:1]
	v_mov_b32_e32 v0, v3
	s_wait_alu 0xfffe
	s_or_b32 s11, s25, s1
	v_cmp_le_i32_e64 s1, v11, v6
	v_cmp_gt_i32_e64 s2, s7, v6
	v_add_nc_u32_e32 v8, 16, v6
	v_mad_co_u64_u32 v[9:10], null, s29, v12, v[0:1]
	v_mov_b32_e32 v5, v7
	s_delay_alu instid0(VALU_DEP_4)
	s_and_b32 s12, s1, s2
	v_cmp_le_i32_e64 s1, v12, v6
	v_cmp_gt_i64_e64 s24, s[8:9], 0
	s_or_b32 s33, s3, s4
	v_cmp_le_i32_e64 s3, v11, v8
	v_mov_b32_e32 v3, v9
	v_cmp_gt_i32_e64 s4, s7, v8
	s_and_b32 s18, s1, s2
	v_cmp_le_i32_e64 s1, v12, v8
	v_lshlrev_b64_e32 v[10:11], 4, v[4:5]
	v_lshlrev_b64_e32 v[12:13], 4, v[2:3]
	v_ashrrev_i32_e32 v7, 31, v6
	v_ashrrev_i32_e32 v9, 31, v8
	s_and_b32 s13, s3, s4
	s_and_b32 s19, s33, s24
	;; [unrolled: 1-line block ×3, first 2 shown]
	s_mov_b32 s7, 0
	s_xor_b32 s4, vcc_lo, -1
                                        ; implicit-def: $vgpr14_vgpr15
	s_branch .LBB262_7
.LBB262_6:                              ;   in Loop: Header=BB262_7 Depth=1
	s_wait_alu 0xfffe
	s_or_b32 exec_lo, exec_lo, s2
	s_add_co_i32 s6, s6, 0x10000
	s_wait_alu 0xfffe
	s_cmp_lt_u32 s6, s5
	s_cbranch_scc0 .LBB262_42
.LBB262_7:                              ; =>This Loop Header: Depth=1
                                        ;     Child Loop BB262_10 Depth 2
	v_mov_b32_e32 v4, 0
	v_mov_b32_e32 v5, 0
	s_wait_alu 0xfffe
	s_and_not1_b32 vcc_lo, exec_lo, s19
	s_wait_alu 0xfffe
	s_cbranch_vccnz .LBB262_20
; %bb.8:                                ;   in Loop: Header=BB262_7 Depth=1
	s_mul_u64 s[2:3], s[16:17], s[6:7]
	s_mul_u64 s[24:25], s[22:23], s[6:7]
	s_wait_alu 0xfffe
	s_lshl_b64 s[2:3], s[2:3], 4
	v_mov_b32_e32 v16, 0
	s_wait_alu 0xfffe
	v_add_co_u32 v40, vcc_lo, v34, s2
	s_wait_alu 0xfffd
	v_add_co_ci_u32_e64 v41, null, s3, v35, vcc_lo
	s_lshl_b64 s[2:3], s[24:25], 4
	v_mov_b32_e32 v22, 0
	v_mov_b32_e32 v26, 0
	;; [unrolled: 1-line block ×3, first 2 shown]
	s_wait_alu 0xfffe
	v_add_co_u32 v42, vcc_lo, v36, s2
	v_dual_mov_b32 v17, 0 :: v_dual_mov_b32 v18, 0
	v_dual_mov_b32 v23, 0 :: v_dual_mov_b32 v20, 0
	;; [unrolled: 1-line block ×4, first 2 shown]
	v_mov_b32_e32 v19, 0
	v_mov_b32_e32 v21, 0
	;; [unrolled: 1-line block ×4, first 2 shown]
	s_wait_alu 0xfffd
	v_add_co_ci_u32_e64 v43, null, s3, v37, vcc_lo
	s_mov_b64 s[2:3], 0
	s_branch .LBB262_10
.LBB262_9:                              ;   in Loop: Header=BB262_10 Depth=2
	s_or_b32 exec_lo, exec_lo, s24
	s_wait_dscnt 0x0
	s_barrier_signal -1
	s_barrier_wait -1
	global_inv scope:SCOPE_SE
	ds_load_b128 v[44:47], v39
	ds_load_b128 v[48:51], v39 offset:16
	ds_load_b128 v[52:55], v39 offset:32
	;; [unrolled: 1-line block ×3, first 2 shown]
	ds_load_b128 v[60:63], v38
	s_add_nc_u64 s[2:3], s[2:3], 8
	s_wait_alu 0xfffe
	v_cmp_gt_i64_e64 s24, s[8:9], s[2:3]
	s_and_b32 vcc_lo, exec_lo, s24
	s_wait_dscnt 0x0
	v_mul_f64_e32 v[2:3], v[46:47], v[62:63]
	v_mul_f64_e32 v[64:65], v[44:45], v[62:63]
	s_delay_alu instid0(VALU_DEP_2) | instskip(NEXT) | instid1(VALU_DEP_2)
	v_fma_f64 v[2:3], v[44:45], v[60:61], -v[2:3]
	v_fma_f64 v[64:65], v[46:47], v[60:61], v[64:65]
	s_delay_alu instid0(VALU_DEP_2) | instskip(SKIP_4) | instid1(VALU_DEP_1)
	v_add_f64_e32 v[66:67], v[4:5], v[2:3]
	ds_load_b128 v[2:5], v38 offset:256
	v_add_f64_e32 v[28:29], v[64:65], v[28:29]
	s_wait_dscnt 0x0
	v_mul_f64_e32 v[64:65], v[46:47], v[4:5]
	v_fma_f64 v[64:65], v[44:45], v[2:3], -v[64:65]
	v_mul_f64_e32 v[44:45], v[44:45], v[4:5]
	s_delay_alu instid0(VALU_DEP_1) | instskip(NEXT) | instid1(VALU_DEP_3)
	v_fma_f64 v[44:45], v[46:47], v[2:3], v[44:45]
	v_add_f64_e32 v[46:47], v[24:25], v[64:65]
	s_delay_alu instid0(VALU_DEP_2) | instskip(SKIP_4) | instid1(VALU_DEP_2)
	v_add_f64_e32 v[44:45], v[44:45], v[26:27]
	ds_load_b128 v[24:27], v39 offset:2048
	s_wait_dscnt 0x0
	v_mul_f64_e32 v[64:65], v[26:27], v[62:63]
	v_mul_f64_e32 v[62:63], v[24:25], v[62:63]
	v_fma_f64 v[64:65], v[24:25], v[60:61], -v[64:65]
	s_delay_alu instid0(VALU_DEP_2) | instskip(NEXT) | instid1(VALU_DEP_2)
	v_fma_f64 v[60:61], v[26:27], v[60:61], v[62:63]
	v_add_f64_e32 v[62:63], v[20:21], v[64:65]
	v_mul_f64_e32 v[20:21], v[26:27], v[4:5]
	v_mul_f64_e32 v[4:5], v[24:25], v[4:5]
	s_delay_alu instid0(VALU_DEP_4) | instskip(NEXT) | instid1(VALU_DEP_3)
	v_add_f64_e32 v[60:61], v[60:61], v[22:23]
	v_fma_f64 v[20:21], v[24:25], v[2:3], -v[20:21]
	s_delay_alu instid0(VALU_DEP_3) | instskip(NEXT) | instid1(VALU_DEP_2)
	v_fma_f64 v[2:3], v[26:27], v[2:3], v[4:5]
	v_add_f64_e32 v[24:25], v[18:19], v[20:21]
	s_delay_alu instid0(VALU_DEP_2) | instskip(SKIP_4) | instid1(VALU_DEP_2)
	v_add_f64_e32 v[26:27], v[2:3], v[16:17]
	ds_load_b128 v[2:5], v38 offset:512
	s_wait_dscnt 0x0
	v_mul_f64_e32 v[16:17], v[50:51], v[4:5]
	v_mul_f64_e32 v[18:19], v[48:49], v[4:5]
	v_fma_f64 v[16:17], v[48:49], v[2:3], -v[16:17]
	s_delay_alu instid0(VALU_DEP_2) | instskip(NEXT) | instid1(VALU_DEP_2)
	v_fma_f64 v[18:19], v[50:51], v[2:3], v[18:19]
	v_add_f64_e32 v[64:65], v[66:67], v[16:17]
	s_delay_alu instid0(VALU_DEP_2) | instskip(SKIP_4) | instid1(VALU_DEP_2)
	v_add_f64_e32 v[28:29], v[18:19], v[28:29]
	ds_load_b128 v[16:19], v38 offset:768
	s_wait_dscnt 0x0
	v_mul_f64_e32 v[20:21], v[50:51], v[18:19]
	v_mul_f64_e32 v[22:23], v[48:49], v[18:19]
	v_fma_f64 v[20:21], v[48:49], v[16:17], -v[20:21]
	s_delay_alu instid0(VALU_DEP_2) | instskip(NEXT) | instid1(VALU_DEP_2)
	v_fma_f64 v[22:23], v[50:51], v[16:17], v[22:23]
	v_add_f64_e32 v[46:47], v[46:47], v[20:21]
	s_delay_alu instid0(VALU_DEP_2) | instskip(SKIP_4) | instid1(VALU_DEP_2)
	v_add_f64_e32 v[44:45], v[22:23], v[44:45]
	ds_load_b128 v[20:23], v39 offset:2064
	s_wait_dscnt 0x0
	v_mul_f64_e32 v[48:49], v[22:23], v[4:5]
	v_mul_f64_e32 v[4:5], v[20:21], v[4:5]
	v_fma_f64 v[48:49], v[20:21], v[2:3], -v[48:49]
	s_delay_alu instid0(VALU_DEP_2) | instskip(SKIP_1) | instid1(VALU_DEP_3)
	v_fma_f64 v[2:3], v[22:23], v[2:3], v[4:5]
	v_mul_f64_e32 v[4:5], v[20:21], v[18:19]
	v_add_f64_e32 v[48:49], v[62:63], v[48:49]
	s_delay_alu instid0(VALU_DEP_3) | instskip(SKIP_1) | instid1(VALU_DEP_4)
	v_add_f64_e32 v[50:51], v[2:3], v[60:61]
	v_mul_f64_e32 v[2:3], v[22:23], v[18:19]
	v_fma_f64 v[4:5], v[22:23], v[16:17], v[4:5]
	s_delay_alu instid0(VALU_DEP_2) | instskip(NEXT) | instid1(VALU_DEP_2)
	v_fma_f64 v[2:3], v[20:21], v[16:17], -v[2:3]
	v_add_f64_e32 v[26:27], v[4:5], v[26:27]
	s_delay_alu instid0(VALU_DEP_2) | instskip(SKIP_4) | instid1(VALU_DEP_2)
	v_add_f64_e32 v[24:25], v[24:25], v[2:3]
	ds_load_b128 v[2:5], v38 offset:1024
	s_wait_dscnt 0x0
	v_mul_f64_e32 v[16:17], v[54:55], v[4:5]
	v_mul_f64_e32 v[18:19], v[52:53], v[4:5]
	v_fma_f64 v[16:17], v[52:53], v[2:3], -v[16:17]
	s_delay_alu instid0(VALU_DEP_2) | instskip(NEXT) | instid1(VALU_DEP_2)
	v_fma_f64 v[18:19], v[54:55], v[2:3], v[18:19]
	v_add_f64_e32 v[60:61], v[64:65], v[16:17]
	s_delay_alu instid0(VALU_DEP_2) | instskip(SKIP_4) | instid1(VALU_DEP_2)
	v_add_f64_e32 v[28:29], v[18:19], v[28:29]
	ds_load_b128 v[16:19], v38 offset:1280
	s_wait_dscnt 0x0
	v_mul_f64_e32 v[20:21], v[54:55], v[18:19]
	v_mul_f64_e32 v[22:23], v[52:53], v[18:19]
	v_fma_f64 v[20:21], v[52:53], v[16:17], -v[20:21]
	s_delay_alu instid0(VALU_DEP_2) | instskip(NEXT) | instid1(VALU_DEP_2)
	v_fma_f64 v[22:23], v[54:55], v[16:17], v[22:23]
	v_add_f64_e32 v[46:47], v[46:47], v[20:21]
	s_delay_alu instid0(VALU_DEP_2) | instskip(SKIP_4) | instid1(VALU_DEP_2)
	v_add_f64_e32 v[44:45], v[22:23], v[44:45]
	ds_load_b128 v[20:23], v39 offset:2080
	s_wait_dscnt 0x0
	v_mul_f64_e32 v[52:53], v[22:23], v[4:5]
	v_mul_f64_e32 v[4:5], v[20:21], v[4:5]
	v_fma_f64 v[52:53], v[20:21], v[2:3], -v[52:53]
	s_delay_alu instid0(VALU_DEP_2) | instskip(SKIP_1) | instid1(VALU_DEP_3)
	v_fma_f64 v[2:3], v[22:23], v[2:3], v[4:5]
	v_mul_f64_e32 v[4:5], v[20:21], v[18:19]
	v_add_f64_e32 v[48:49], v[48:49], v[52:53]
	s_delay_alu instid0(VALU_DEP_3) | instskip(SKIP_1) | instid1(VALU_DEP_4)
	v_add_f64_e32 v[50:51], v[2:3], v[50:51]
	v_mul_f64_e32 v[2:3], v[22:23], v[18:19]
	v_fma_f64 v[4:5], v[22:23], v[16:17], v[4:5]
	s_delay_alu instid0(VALU_DEP_2) | instskip(NEXT) | instid1(VALU_DEP_2)
	v_fma_f64 v[2:3], v[20:21], v[16:17], -v[2:3]
	;; [unrolled: 38-line block ×3, first 2 shown]
	v_add_f64_e32 v[26:27], v[4:5], v[26:27]
	s_delay_alu instid0(VALU_DEP_2)
	v_add_f64_e32 v[24:25], v[24:25], v[2:3]
	ds_load_b128 v[2:5], v39 offset:64
	ds_load_b128 v[16:19], v38 offset:2048
	s_wait_dscnt 0x0
	v_mul_f64_e32 v[20:21], v[4:5], v[18:19]
	v_mul_f64_e32 v[22:23], v[2:3], v[18:19]
	s_delay_alu instid0(VALU_DEP_2) | instskip(NEXT) | instid1(VALU_DEP_2)
	v_fma_f64 v[20:21], v[2:3], v[16:17], -v[20:21]
	v_fma_f64 v[22:23], v[4:5], v[16:17], v[22:23]
	s_delay_alu instid0(VALU_DEP_2) | instskip(NEXT) | instid1(VALU_DEP_2)
	v_add_f64_e32 v[52:53], v[52:53], v[20:21]
	v_add_f64_e32 v[28:29], v[22:23], v[28:29]
	ds_load_b128 v[20:23], v38 offset:2304
	s_wait_dscnt 0x0
	v_mul_f64_e32 v[54:55], v[4:5], v[22:23]
	s_delay_alu instid0(VALU_DEP_1) | instskip(SKIP_1) | instid1(VALU_DEP_2)
	v_fma_f64 v[54:55], v[2:3], v[20:21], -v[54:55]
	v_mul_f64_e32 v[2:3], v[2:3], v[22:23]
	v_add_f64_e32 v[46:47], v[46:47], v[54:55]
	s_delay_alu instid0(VALU_DEP_2) | instskip(NEXT) | instid1(VALU_DEP_1)
	v_fma_f64 v[2:3], v[4:5], v[20:21], v[2:3]
	v_add_f64_e32 v[44:45], v[2:3], v[44:45]
	ds_load_b128 v[2:5], v39 offset:2112
	s_wait_dscnt 0x0
	v_mul_f64_e32 v[54:55], v[4:5], v[18:19]
	v_mul_f64_e32 v[18:19], v[2:3], v[18:19]
	s_delay_alu instid0(VALU_DEP_2) | instskip(NEXT) | instid1(VALU_DEP_2)
	v_fma_f64 v[54:55], v[2:3], v[16:17], -v[54:55]
	v_fma_f64 v[16:17], v[4:5], v[16:17], v[18:19]
	s_delay_alu instid0(VALU_DEP_2) | instskip(NEXT) | instid1(VALU_DEP_2)
	v_add_f64_e32 v[48:49], v[48:49], v[54:55]
	v_add_f64_e32 v[50:51], v[16:17], v[50:51]
	v_mul_f64_e32 v[16:17], v[4:5], v[22:23]
	s_delay_alu instid0(VALU_DEP_1) | instskip(SKIP_1) | instid1(VALU_DEP_2)
	v_fma_f64 v[16:17], v[2:3], v[20:21], -v[16:17]
	v_mul_f64_e32 v[2:3], v[2:3], v[22:23]
	v_add_f64_e32 v[24:25], v[24:25], v[16:17]
	s_delay_alu instid0(VALU_DEP_2) | instskip(NEXT) | instid1(VALU_DEP_1)
	v_fma_f64 v[2:3], v[4:5], v[20:21], v[2:3]
	v_add_f64_e32 v[26:27], v[2:3], v[26:27]
	ds_load_b128 v[2:5], v39 offset:80
	ds_load_b128 v[16:19], v38 offset:2560
	s_wait_dscnt 0x0
	v_mul_f64_e32 v[20:21], v[4:5], v[18:19]
	v_mul_f64_e32 v[22:23], v[2:3], v[18:19]
	s_delay_alu instid0(VALU_DEP_2) | instskip(NEXT) | instid1(VALU_DEP_2)
	v_fma_f64 v[20:21], v[2:3], v[16:17], -v[20:21]
	v_fma_f64 v[22:23], v[4:5], v[16:17], v[22:23]
	s_delay_alu instid0(VALU_DEP_2) | instskip(NEXT) | instid1(VALU_DEP_2)
	v_add_f64_e32 v[52:53], v[52:53], v[20:21]
	v_add_f64_e32 v[28:29], v[22:23], v[28:29]
	ds_load_b128 v[20:23], v38 offset:2816
	s_wait_dscnt 0x0
	v_mul_f64_e32 v[54:55], v[4:5], v[22:23]
	s_delay_alu instid0(VALU_DEP_1) | instskip(SKIP_1) | instid1(VALU_DEP_2)
	v_fma_f64 v[54:55], v[2:3], v[20:21], -v[54:55]
	v_mul_f64_e32 v[2:3], v[2:3], v[22:23]
	v_add_f64_e32 v[46:47], v[46:47], v[54:55]
	s_delay_alu instid0(VALU_DEP_2) | instskip(NEXT) | instid1(VALU_DEP_1)
	v_fma_f64 v[2:3], v[4:5], v[20:21], v[2:3]
	v_add_f64_e32 v[44:45], v[2:3], v[44:45]
	ds_load_b128 v[2:5], v39 offset:2128
	s_wait_dscnt 0x0
	v_mul_f64_e32 v[54:55], v[4:5], v[18:19]
	v_mul_f64_e32 v[18:19], v[2:3], v[18:19]
	s_delay_alu instid0(VALU_DEP_2) | instskip(NEXT) | instid1(VALU_DEP_2)
	v_fma_f64 v[54:55], v[2:3], v[16:17], -v[54:55]
	v_fma_f64 v[16:17], v[4:5], v[16:17], v[18:19]
	s_delay_alu instid0(VALU_DEP_2) | instskip(NEXT) | instid1(VALU_DEP_2)
	v_add_f64_e32 v[48:49], v[48:49], v[54:55]
	v_add_f64_e32 v[50:51], v[16:17], v[50:51]
	v_mul_f64_e32 v[16:17], v[4:5], v[22:23]
	s_delay_alu instid0(VALU_DEP_1) | instskip(SKIP_1) | instid1(VALU_DEP_2)
	v_fma_f64 v[16:17], v[2:3], v[20:21], -v[16:17]
	v_mul_f64_e32 v[2:3], v[2:3], v[22:23]
	v_add_f64_e32 v[24:25], v[24:25], v[16:17]
	s_delay_alu instid0(VALU_DEP_2) | instskip(NEXT) | instid1(VALU_DEP_1)
	v_fma_f64 v[2:3], v[4:5], v[20:21], v[2:3]
	v_add_f64_e32 v[26:27], v[2:3], v[26:27]
	ds_load_b128 v[2:5], v39 offset:96
	ds_load_b128 v[16:19], v38 offset:3072
	s_wait_dscnt 0x0
	v_mul_f64_e32 v[20:21], v[4:5], v[18:19]
	v_mul_f64_e32 v[22:23], v[2:3], v[18:19]
	s_delay_alu instid0(VALU_DEP_2) | instskip(NEXT) | instid1(VALU_DEP_2)
	v_fma_f64 v[20:21], v[2:3], v[16:17], -v[20:21]
	v_fma_f64 v[22:23], v[4:5], v[16:17], v[22:23]
	s_delay_alu instid0(VALU_DEP_2) | instskip(NEXT) | instid1(VALU_DEP_2)
	v_add_f64_e32 v[52:53], v[52:53], v[20:21]
	v_add_f64_e32 v[28:29], v[22:23], v[28:29]
	ds_load_b128 v[20:23], v38 offset:3328
	s_wait_dscnt 0x0
	v_mul_f64_e32 v[54:55], v[4:5], v[22:23]
	s_delay_alu instid0(VALU_DEP_1) | instskip(SKIP_1) | instid1(VALU_DEP_2)
	v_fma_f64 v[54:55], v[2:3], v[20:21], -v[54:55]
	v_mul_f64_e32 v[2:3], v[2:3], v[22:23]
	v_add_f64_e32 v[54:55], v[46:47], v[54:55]
	s_delay_alu instid0(VALU_DEP_2) | instskip(NEXT) | instid1(VALU_DEP_1)
	v_fma_f64 v[2:3], v[4:5], v[20:21], v[2:3]
	v_add_f64_e32 v[56:57], v[2:3], v[44:45]
	ds_load_b128 v[2:5], v39 offset:2144
	s_wait_dscnt 0x0
	v_mul_f64_e32 v[44:45], v[4:5], v[18:19]
	v_mul_f64_e32 v[18:19], v[2:3], v[18:19]
	s_delay_alu instid0(VALU_DEP_2) | instskip(NEXT) | instid1(VALU_DEP_2)
	v_fma_f64 v[44:45], v[2:3], v[16:17], -v[44:45]
	v_fma_f64 v[16:17], v[4:5], v[16:17], v[18:19]
	s_delay_alu instid0(VALU_DEP_2) | instskip(NEXT) | instid1(VALU_DEP_2)
	v_add_f64_e32 v[48:49], v[48:49], v[44:45]
	v_add_f64_e32 v[50:51], v[16:17], v[50:51]
	v_mul_f64_e32 v[16:17], v[4:5], v[22:23]
	s_delay_alu instid0(VALU_DEP_1) | instskip(SKIP_1) | instid1(VALU_DEP_2)
	v_fma_f64 v[16:17], v[2:3], v[20:21], -v[16:17]
	v_mul_f64_e32 v[2:3], v[2:3], v[22:23]
	v_add_f64_e32 v[58:59], v[24:25], v[16:17]
	s_delay_alu instid0(VALU_DEP_2)
	v_fma_f64 v[2:3], v[4:5], v[20:21], v[2:3]
	ds_load_b128 v[16:19], v39 offset:112
	ds_load_b128 v[20:23], v38 offset:3584
	;; [unrolled: 1-line block ×3, first 2 shown]
	s_wait_dscnt 0x1
	v_mul_f64_e32 v[24:25], v[16:17], v[22:23]
	v_mul_f64_e32 v[4:5], v[18:19], v[22:23]
	v_add_f64_e32 v[2:3], v[2:3], v[26:27]
	s_delay_alu instid0(VALU_DEP_3) | instskip(NEXT) | instid1(VALU_DEP_3)
	v_fma_f64 v[24:25], v[18:19], v[20:21], v[24:25]
	v_fma_f64 v[4:5], v[16:17], v[20:21], -v[4:5]
	s_delay_alu instid0(VALU_DEP_2) | instskip(SKIP_2) | instid1(VALU_DEP_3)
	v_add_f64_e32 v[28:29], v[24:25], v[28:29]
	s_wait_dscnt 0x0
	v_mul_f64_e32 v[24:25], v[18:19], v[46:47]
	v_add_f64_e32 v[4:5], v[52:53], v[4:5]
	s_delay_alu instid0(VALU_DEP_2) | instskip(SKIP_1) | instid1(VALU_DEP_2)
	v_fma_f64 v[24:25], v[16:17], v[44:45], -v[24:25]
	v_mul_f64_e32 v[16:17], v[16:17], v[46:47]
	v_add_f64_e32 v[24:25], v[54:55], v[24:25]
	s_delay_alu instid0(VALU_DEP_2) | instskip(NEXT) | instid1(VALU_DEP_1)
	v_fma_f64 v[16:17], v[18:19], v[44:45], v[16:17]
	v_add_f64_e32 v[26:27], v[16:17], v[56:57]
	ds_load_b128 v[16:19], v39 offset:2160
	s_wait_loadcnt_dscnt 0x0
	s_barrier_signal -1
	s_barrier_wait -1
	global_inv scope:SCOPE_SE
	v_mul_f64_e32 v[52:53], v[18:19], v[22:23]
	v_mul_f64_e32 v[22:23], v[16:17], v[22:23]
	s_delay_alu instid0(VALU_DEP_2) | instskip(NEXT) | instid1(VALU_DEP_2)
	v_fma_f64 v[52:53], v[16:17], v[20:21], -v[52:53]
	v_fma_f64 v[22:23], v[18:19], v[20:21], v[22:23]
	s_delay_alu instid0(VALU_DEP_2) | instskip(SKIP_1) | instid1(VALU_DEP_3)
	v_add_f64_e32 v[20:21], v[48:49], v[52:53]
	v_mul_f64_e32 v[48:49], v[18:19], v[46:47]
	v_add_f64_e32 v[22:23], v[22:23], v[50:51]
	s_delay_alu instid0(VALU_DEP_2) | instskip(SKIP_1) | instid1(VALU_DEP_1)
	v_fma_f64 v[48:49], v[16:17], v[44:45], -v[48:49]
	v_mul_f64_e32 v[16:17], v[16:17], v[46:47]
	v_fma_f64 v[16:17], v[18:19], v[44:45], v[16:17]
	s_delay_alu instid0(VALU_DEP_3) | instskip(NEXT) | instid1(VALU_DEP_2)
	v_add_f64_e32 v[18:19], v[58:59], v[48:49]
	v_add_f64_e32 v[16:17], v[16:17], v[2:3]
	s_wait_alu 0xfffe
	s_cbranch_vccz .LBB262_21
.LBB262_10:                             ;   Parent Loop BB262_7 Depth=1
                                        ; =>  This Inner Loop Header: Depth=2
	s_mov_b32 s24, 0
	s_mov_b32 s28, s10
	s_and_saveexec_b32 s25, s0
	s_cbranch_execnz .LBB262_18
; %bb.11:                               ;   in Loop: Header=BB262_10 Depth=2
	s_or_b32 exec_lo, exec_lo, s25
	s_wait_alu 0xfffe
	s_and_saveexec_b32 s25, s28
	s_delay_alu instid0(SALU_CYCLE_1)
	s_xor_b32 s25, exec_lo, s25
	s_cbranch_execnz .LBB262_19
.LBB262_12:                             ;   in Loop: Header=BB262_10 Depth=2
	s_or_b32 exec_lo, exec_lo, s25
	s_and_saveexec_b32 s25, s24
	s_cbranch_execz .LBB262_14
.LBB262_13:                             ;   in Loop: Header=BB262_10 Depth=2
	v_mul_lo_u32 v0, s15, v14
	v_mul_lo_u32 v44, s14, v15
	v_mad_co_u64_u32 v[2:3], null, s14, v14, 0
	s_delay_alu instid0(VALU_DEP_1) | instskip(NEXT) | instid1(VALU_DEP_1)
	v_add3_u32 v3, v3, v44, v0
	v_lshlrev_b64_e32 v[2:3], 4, v[2:3]
	s_delay_alu instid0(VALU_DEP_1) | instskip(SKIP_1) | instid1(VALU_DEP_2)
	v_add_co_u32 v2, vcc_lo, v40, v2
	s_wait_alu 0xfffd
	v_add_co_ci_u32_e64 v3, null, v41, v3, vcc_lo
	global_load_b128 v[44:47], v[2:3], off
	s_wait_loadcnt 0x0
	ds_store_2addr_b64 v32, v[44:45], v[46:47] offset1:1
.LBB262_14:                             ;   in Loop: Header=BB262_10 Depth=2
	s_or_b32 exec_lo, exec_lo, s25
	v_add_nc_u32_e32 v0, s2, v30
	s_delay_alu instid0(VALU_DEP_1) | instskip(SKIP_1) | instid1(SALU_CYCLE_1)
	v_cmp_le_u64_e32 vcc_lo, s[8:9], v[0:1]
	s_or_b32 s24, vcc_lo, s4
	s_and_saveexec_b32 s25, s24
	s_delay_alu instid0(SALU_CYCLE_1)
	s_xor_b32 s24, exec_lo, s25
; %bb.15:                               ;   in Loop: Header=BB262_10 Depth=2
	v_dual_mov_b32 v0, v1 :: v_dual_mov_b32 v3, v1
	v_mov_b32_e32 v2, v1
	ds_store_b128 v33, v[0:3]
; %bb.16:                               ;   in Loop: Header=BB262_10 Depth=2
	s_and_not1_saveexec_b32 s24, s24
	s_cbranch_execz .LBB262_9
; %bb.17:                               ;   in Loop: Header=BB262_10 Depth=2
	v_mad_co_u64_u32 v[2:3], null, s20, v0, 0
	s_delay_alu instid0(VALU_DEP_1) | instskip(NEXT) | instid1(VALU_DEP_1)
	v_mad_co_u64_u32 v[44:45], null, s21, v0, v[3:4]
	v_mov_b32_e32 v3, v44
	s_delay_alu instid0(VALU_DEP_1) | instskip(NEXT) | instid1(VALU_DEP_1)
	v_lshlrev_b64_e32 v[2:3], 4, v[2:3]
	v_add_co_u32 v2, vcc_lo, v42, v2
	s_wait_alu 0xfffd
	s_delay_alu instid0(VALU_DEP_2)
	v_add_co_ci_u32_e64 v3, null, v43, v3, vcc_lo
	global_load_b128 v[44:47], v[2:3], off
	s_wait_loadcnt 0x0
	ds_store_2addr_b64 v33, v[44:45], v[46:47] offset1:1
	s_branch .LBB262_9
.LBB262_18:                             ;   in Loop: Header=BB262_10 Depth=2
	s_wait_alu 0xfffe
	v_add_nc_u32_e32 v0, s2, v31
	v_mov_b32_e32 v15, v1
	s_and_not1_b32 s28, s10, exec_lo
	s_mov_b32 s24, exec_lo
	s_delay_alu instid0(VALU_DEP_2)
	v_cmp_le_u64_e32 vcc_lo, s[8:9], v[0:1]
	v_mov_b32_e32 v14, v0
	s_and_b32 s29, vcc_lo, exec_lo
	s_wait_alu 0xfffe
	s_or_b32 s28, s28, s29
	s_or_b32 exec_lo, exec_lo, s25
	s_wait_alu 0xfffe
	s_and_saveexec_b32 s25, s28
	s_delay_alu instid0(SALU_CYCLE_1)
	s_xor_b32 s25, exec_lo, s25
	s_cbranch_execz .LBB262_12
.LBB262_19:                             ;   in Loop: Header=BB262_10 Depth=2
	v_dual_mov_b32 v0, v1 :: v_dual_mov_b32 v3, v1
	v_mov_b32_e32 v2, v1
	s_and_not1_b32 s24, s24, exec_lo
	ds_store_b128 v32, v[0:3]
	s_or_b32 exec_lo, exec_lo, s25
	s_and_saveexec_b32 s25, s24
	s_cbranch_execnz .LBB262_13
	s_branch .LBB262_14
.LBB262_20:                             ;   in Loop: Header=BB262_7 Depth=1
	v_mov_b32_e32 v28, 0
	v_mov_b32_e32 v26, 0
	v_dual_mov_b32 v22, 0 :: v_dual_mov_b32 v29, 0
	v_dual_mov_b32 v24, 0 :: v_dual_mov_b32 v27, 0
	;; [unrolled: 1-line block ×3, first 2 shown]
	v_mov_b32_e32 v18, 0
	v_dual_mov_b32 v16, 0 :: v_dual_mov_b32 v25, 0
	v_mov_b32_e32 v21, 0
	v_mov_b32_e32 v19, 0
	;; [unrolled: 1-line block ×3, first 2 shown]
.LBB262_21:                             ;   in Loop: Header=BB262_7 Depth=1
	s_mul_u64 s[2:3], s[30:31], s[6:7]
	s_wait_alu 0xfffe
	s_lshl_b64 s[2:3], s[2:3], 4
	s_wait_alu 0xfffe
	s_add_nc_u64 s[2:3], s[26:27], s[2:3]
	s_wait_alu 0xfffe
	v_add_co_u32 v0, vcc_lo, s2, v10
	s_wait_alu 0xfffd
	v_add_co_ci_u32_e64 v40, null, s3, v11, vcc_lo
	s_and_saveexec_b32 s24, s12
	s_cbranch_execz .LBB262_26
; %bb.22:                               ;   in Loop: Header=BB262_7 Depth=1
	v_mul_f64_e32 v[2:3], s[42:43], v[28:29]
	v_mul_f64_e32 v[28:29], s[40:41], v[28:29]
	s_and_b32 vcc_lo, exec_lo, s11
	s_mov_b32 s25, -1
	s_delay_alu instid0(VALU_DEP_2) | instskip(NEXT) | instid1(VALU_DEP_2)
	v_fma_f64 v[2:3], s[40:41], v[4:5], -v[2:3]
	v_fma_f64 v[4:5], s[42:43], v[4:5], v[28:29]
	s_wait_alu 0xfffe
	s_cbranch_vccz .LBB262_24
; %bb.23:                               ;   in Loop: Header=BB262_7 Depth=1
	v_lshlrev_b64_e32 v[28:29], 4, v[6:7]
	s_mov_b32 s25, 0
	s_delay_alu instid0(VALU_DEP_1) | instskip(SKIP_1) | instid1(VALU_DEP_2)
	v_add_co_u32 v28, vcc_lo, v0, v28
	s_wait_alu 0xfffd
	v_add_co_ci_u32_e64 v29, null, v40, v29, vcc_lo
	global_load_b128 v[41:44], v[28:29], off
	s_wait_loadcnt 0x0
	v_mul_f64_e32 v[45:46], s[38:39], v[43:44]
	v_mul_f64_e32 v[43:44], s[36:37], v[43:44]
	s_delay_alu instid0(VALU_DEP_2) | instskip(NEXT) | instid1(VALU_DEP_2)
	v_fma_f64 v[45:46], s[36:37], v[41:42], -v[45:46]
	v_fma_f64 v[43:44], s[38:39], v[41:42], v[43:44]
	s_delay_alu instid0(VALU_DEP_2) | instskip(NEXT) | instid1(VALU_DEP_2)
	v_add_f64_e32 v[41:42], v[2:3], v[45:46]
	v_add_f64_e32 v[43:44], v[4:5], v[43:44]
	global_store_b128 v[28:29], v[41:44], off
.LBB262_24:                             ;   in Loop: Header=BB262_7 Depth=1
	s_and_not1_b32 vcc_lo, exec_lo, s25
	s_wait_alu 0xfffe
	s_cbranch_vccnz .LBB262_26
; %bb.25:                               ;   in Loop: Header=BB262_7 Depth=1
	v_lshlrev_b64_e32 v[28:29], 4, v[6:7]
	s_delay_alu instid0(VALU_DEP_1) | instskip(SKIP_1) | instid1(VALU_DEP_2)
	v_add_co_u32 v28, vcc_lo, v0, v28
	s_wait_alu 0xfffd
	v_add_co_ci_u32_e64 v29, null, v40, v29, vcc_lo
	global_store_b128 v[28:29], v[2:5], off
.LBB262_26:                             ;   in Loop: Header=BB262_7 Depth=1
	s_or_b32 exec_lo, exec_lo, s24
	s_and_saveexec_b32 s24, s13
	s_cbranch_execz .LBB262_31
; %bb.27:                               ;   in Loop: Header=BB262_7 Depth=1
	v_mul_f64_e32 v[2:3], s[42:43], v[26:27]
	v_mul_f64_e32 v[4:5], s[40:41], v[26:27]
	s_and_not1_b32 vcc_lo, exec_lo, s11
	s_mov_b32 s25, -1
	s_delay_alu instid0(VALU_DEP_2) | instskip(NEXT) | instid1(VALU_DEP_2)
	v_fma_f64 v[2:3], s[40:41], v[24:25], -v[2:3]
	v_fma_f64 v[4:5], s[42:43], v[24:25], v[4:5]
	s_wait_alu 0xfffe
	s_cbranch_vccnz .LBB262_29
; %bb.28:                               ;   in Loop: Header=BB262_7 Depth=1
	v_lshlrev_b64_e32 v[24:25], 4, v[8:9]
	s_mov_b32 s25, 0
	s_delay_alu instid0(VALU_DEP_1) | instskip(SKIP_1) | instid1(VALU_DEP_2)
	v_add_co_u32 v28, vcc_lo, v0, v24
	s_wait_alu 0xfffd
	v_add_co_ci_u32_e64 v29, null, v40, v25, vcc_lo
	global_load_b128 v[24:27], v[28:29], off
	s_wait_loadcnt 0x0
	v_mul_f64_e32 v[41:42], s[38:39], v[26:27]
	v_mul_f64_e32 v[26:27], s[36:37], v[26:27]
	s_delay_alu instid0(VALU_DEP_2) | instskip(NEXT) | instid1(VALU_DEP_2)
	v_fma_f64 v[41:42], s[36:37], v[24:25], -v[41:42]
	v_fma_f64 v[26:27], s[38:39], v[24:25], v[26:27]
	s_delay_alu instid0(VALU_DEP_2) | instskip(NEXT) | instid1(VALU_DEP_2)
	v_add_f64_e32 v[24:25], v[2:3], v[41:42]
	v_add_f64_e32 v[26:27], v[4:5], v[26:27]
	global_store_b128 v[28:29], v[24:27], off
.LBB262_29:                             ;   in Loop: Header=BB262_7 Depth=1
	s_and_not1_b32 vcc_lo, exec_lo, s25
	s_wait_alu 0xfffe
	s_cbranch_vccnz .LBB262_31
; %bb.30:                               ;   in Loop: Header=BB262_7 Depth=1
	v_lshlrev_b64_e32 v[24:25], 4, v[8:9]
	s_delay_alu instid0(VALU_DEP_1) | instskip(SKIP_1) | instid1(VALU_DEP_2)
	v_add_co_u32 v24, vcc_lo, v0, v24
	s_wait_alu 0xfffd
	v_add_co_ci_u32_e64 v25, null, v40, v25, vcc_lo
	global_store_b128 v[24:25], v[2:5], off
.LBB262_31:                             ;   in Loop: Header=BB262_7 Depth=1
	s_or_b32 exec_lo, exec_lo, s24
	v_add_co_u32 v0, vcc_lo, s2, v12
	s_wait_alu 0xfffd
	v_add_co_ci_u32_e64 v24, null, s3, v13, vcc_lo
	s_and_saveexec_b32 s2, s18
	s_cbranch_execz .LBB262_36
; %bb.32:                               ;   in Loop: Header=BB262_7 Depth=1
	v_mul_f64_e32 v[2:3], s[42:43], v[22:23]
	v_mul_f64_e32 v[4:5], s[40:41], v[22:23]
	s_and_not1_b32 vcc_lo, exec_lo, s11
	s_mov_b32 s3, -1
	s_delay_alu instid0(VALU_DEP_2) | instskip(NEXT) | instid1(VALU_DEP_2)
	v_fma_f64 v[2:3], s[40:41], v[20:21], -v[2:3]
	v_fma_f64 v[4:5], s[42:43], v[20:21], v[4:5]
	v_lshlrev_b64_e32 v[20:21], 4, v[6:7]
	s_wait_alu 0xfffe
	s_cbranch_vccnz .LBB262_34
; %bb.33:                               ;   in Loop: Header=BB262_7 Depth=1
	s_delay_alu instid0(VALU_DEP_1) | instskip(SKIP_1) | instid1(VALU_DEP_2)
	v_add_co_u32 v22, vcc_lo, v0, v20
	s_wait_alu 0xfffd
	v_add_co_ci_u32_e64 v23, null, v24, v21, vcc_lo
	s_mov_b32 s3, 0
	global_load_b128 v[25:28], v[22:23], off
	s_wait_loadcnt 0x0
	v_mul_f64_e32 v[40:41], s[38:39], v[27:28]
	v_mul_f64_e32 v[27:28], s[36:37], v[27:28]
	s_delay_alu instid0(VALU_DEP_2) | instskip(NEXT) | instid1(VALU_DEP_2)
	v_fma_f64 v[40:41], s[36:37], v[25:26], -v[40:41]
	v_fma_f64 v[27:28], s[38:39], v[25:26], v[27:28]
	s_delay_alu instid0(VALU_DEP_2) | instskip(NEXT) | instid1(VALU_DEP_2)
	v_add_f64_e32 v[25:26], v[2:3], v[40:41]
	v_add_f64_e32 v[27:28], v[4:5], v[27:28]
	global_store_b128 v[22:23], v[25:28], off
.LBB262_34:                             ;   in Loop: Header=BB262_7 Depth=1
	s_wait_alu 0xfffe
	s_and_not1_b32 vcc_lo, exec_lo, s3
	s_wait_alu 0xfffe
	s_cbranch_vccnz .LBB262_36
; %bb.35:                               ;   in Loop: Header=BB262_7 Depth=1
	v_add_co_u32 v20, vcc_lo, v0, v20
	s_wait_alu 0xfffd
	v_add_co_ci_u32_e64 v21, null, v24, v21, vcc_lo
	global_store_b128 v[20:21], v[2:5], off
.LBB262_36:                             ;   in Loop: Header=BB262_7 Depth=1
	s_wait_alu 0xfffe
	s_or_b32 exec_lo, exec_lo, s2
	s_and_saveexec_b32 s2, s1
	s_cbranch_execz .LBB262_6
; %bb.37:                               ;   in Loop: Header=BB262_7 Depth=1
	v_mul_f64_e32 v[2:3], s[42:43], v[16:17]
	v_mul_f64_e32 v[4:5], s[40:41], v[16:17]
	v_lshlrev_b64_e32 v[16:17], 4, v[8:9]
	s_and_not1_b32 vcc_lo, exec_lo, s11
	s_mov_b32 s3, -1
	s_delay_alu instid0(VALU_DEP_3) | instskip(NEXT) | instid1(VALU_DEP_3)
	v_fma_f64 v[2:3], s[40:41], v[18:19], -v[2:3]
	v_fma_f64 v[4:5], s[42:43], v[18:19], v[4:5]
	s_wait_alu 0xfffe
	s_cbranch_vccnz .LBB262_39
; %bb.38:                               ;   in Loop: Header=BB262_7 Depth=1
	v_add_co_u32 v22, vcc_lo, v0, v16
	s_wait_alu 0xfffd
	v_add_co_ci_u32_e64 v23, null, v24, v17, vcc_lo
	s_mov_b32 s3, 0
	global_load_b128 v[18:21], v[22:23], off
	s_wait_loadcnt 0x0
	v_mul_f64_e32 v[25:26], s[38:39], v[20:21]
	v_mul_f64_e32 v[20:21], s[36:37], v[20:21]
	s_delay_alu instid0(VALU_DEP_2) | instskip(NEXT) | instid1(VALU_DEP_2)
	v_fma_f64 v[25:26], s[36:37], v[18:19], -v[25:26]
	v_fma_f64 v[20:21], s[38:39], v[18:19], v[20:21]
	s_delay_alu instid0(VALU_DEP_2) | instskip(NEXT) | instid1(VALU_DEP_2)
	v_add_f64_e32 v[18:19], v[2:3], v[25:26]
	v_add_f64_e32 v[20:21], v[4:5], v[20:21]
	global_store_b128 v[22:23], v[18:21], off
.LBB262_39:                             ;   in Loop: Header=BB262_7 Depth=1
	s_wait_alu 0xfffe
	s_and_not1_b32 vcc_lo, exec_lo, s3
	s_wait_alu 0xfffe
	s_cbranch_vccnz .LBB262_6
; %bb.40:                               ;   in Loop: Header=BB262_7 Depth=1
	v_add_co_u32 v16, vcc_lo, v0, v16
	s_wait_alu 0xfffd
	v_add_co_ci_u32_e64 v17, null, v24, v17, vcc_lo
	global_store_b128 v[16:17], v[2:5], off
	s_branch .LBB262_6
.LBB262_41:
.LBB262_42:
	s_endpgm
	.section	.rodata,"a",@progbits
	.p2align	6, 0x0
	.amdhsa_kernel _ZL29rocblas_internal_gemmt_kernelIlLi16ELi32ELi8ELc78ELc84ELc76ELb0ELb0E19rocblas_complex_numIdEPKS1_S3_PS1_EviT_T9_T10_S5_lS7_S5_lS6_T11_S5_li
		.amdhsa_group_segment_fixed_size 8192
		.amdhsa_private_segment_fixed_size 0
		.amdhsa_kernarg_size 108
		.amdhsa_user_sgpr_count 2
		.amdhsa_user_sgpr_dispatch_ptr 0
		.amdhsa_user_sgpr_queue_ptr 0
		.amdhsa_user_sgpr_kernarg_segment_ptr 1
		.amdhsa_user_sgpr_dispatch_id 0
		.amdhsa_user_sgpr_private_segment_size 0
		.amdhsa_wavefront_size32 1
		.amdhsa_uses_dynamic_stack 0
		.amdhsa_enable_private_segment 0
		.amdhsa_system_sgpr_workgroup_id_x 1
		.amdhsa_system_sgpr_workgroup_id_y 1
		.amdhsa_system_sgpr_workgroup_id_z 1
		.amdhsa_system_sgpr_workgroup_info 0
		.amdhsa_system_vgpr_workitem_id 1
		.amdhsa_next_free_vgpr 68
		.amdhsa_next_free_sgpr 44
		.amdhsa_reserve_vcc 1
		.amdhsa_float_round_mode_32 0
		.amdhsa_float_round_mode_16_64 0
		.amdhsa_float_denorm_mode_32 3
		.amdhsa_float_denorm_mode_16_64 3
		.amdhsa_fp16_overflow 0
		.amdhsa_workgroup_processor_mode 1
		.amdhsa_memory_ordered 1
		.amdhsa_forward_progress 1
		.amdhsa_inst_pref_size 30
		.amdhsa_round_robin_scheduling 0
		.amdhsa_exception_fp_ieee_invalid_op 0
		.amdhsa_exception_fp_denorm_src 0
		.amdhsa_exception_fp_ieee_div_zero 0
		.amdhsa_exception_fp_ieee_overflow 0
		.amdhsa_exception_fp_ieee_underflow 0
		.amdhsa_exception_fp_ieee_inexact 0
		.amdhsa_exception_int_div_zero 0
	.end_amdhsa_kernel
	.section	.text._ZL29rocblas_internal_gemmt_kernelIlLi16ELi32ELi8ELc78ELc84ELc76ELb0ELb0E19rocblas_complex_numIdEPKS1_S3_PS1_EviT_T9_T10_S5_lS7_S5_lS6_T11_S5_li,"axG",@progbits,_ZL29rocblas_internal_gemmt_kernelIlLi16ELi32ELi8ELc78ELc84ELc76ELb0ELb0E19rocblas_complex_numIdEPKS1_S3_PS1_EviT_T9_T10_S5_lS7_S5_lS6_T11_S5_li,comdat
.Lfunc_end262:
	.size	_ZL29rocblas_internal_gemmt_kernelIlLi16ELi32ELi8ELc78ELc84ELc76ELb0ELb0E19rocblas_complex_numIdEPKS1_S3_PS1_EviT_T9_T10_S5_lS7_S5_lS6_T11_S5_li, .Lfunc_end262-_ZL29rocblas_internal_gemmt_kernelIlLi16ELi32ELi8ELc78ELc84ELc76ELb0ELb0E19rocblas_complex_numIdEPKS1_S3_PS1_EviT_T9_T10_S5_lS7_S5_lS6_T11_S5_li
                                        ; -- End function
	.set _ZL29rocblas_internal_gemmt_kernelIlLi16ELi32ELi8ELc78ELc84ELc76ELb0ELb0E19rocblas_complex_numIdEPKS1_S3_PS1_EviT_T9_T10_S5_lS7_S5_lS6_T11_S5_li.num_vgpr, 68
	.set _ZL29rocblas_internal_gemmt_kernelIlLi16ELi32ELi8ELc78ELc84ELc76ELb0ELb0E19rocblas_complex_numIdEPKS1_S3_PS1_EviT_T9_T10_S5_lS7_S5_lS6_T11_S5_li.num_agpr, 0
	.set _ZL29rocblas_internal_gemmt_kernelIlLi16ELi32ELi8ELc78ELc84ELc76ELb0ELb0E19rocblas_complex_numIdEPKS1_S3_PS1_EviT_T9_T10_S5_lS7_S5_lS6_T11_S5_li.numbered_sgpr, 44
	.set _ZL29rocblas_internal_gemmt_kernelIlLi16ELi32ELi8ELc78ELc84ELc76ELb0ELb0E19rocblas_complex_numIdEPKS1_S3_PS1_EviT_T9_T10_S5_lS7_S5_lS6_T11_S5_li.num_named_barrier, 0
	.set _ZL29rocblas_internal_gemmt_kernelIlLi16ELi32ELi8ELc78ELc84ELc76ELb0ELb0E19rocblas_complex_numIdEPKS1_S3_PS1_EviT_T9_T10_S5_lS7_S5_lS6_T11_S5_li.private_seg_size, 0
	.set _ZL29rocblas_internal_gemmt_kernelIlLi16ELi32ELi8ELc78ELc84ELc76ELb0ELb0E19rocblas_complex_numIdEPKS1_S3_PS1_EviT_T9_T10_S5_lS7_S5_lS6_T11_S5_li.uses_vcc, 1
	.set _ZL29rocblas_internal_gemmt_kernelIlLi16ELi32ELi8ELc78ELc84ELc76ELb0ELb0E19rocblas_complex_numIdEPKS1_S3_PS1_EviT_T9_T10_S5_lS7_S5_lS6_T11_S5_li.uses_flat_scratch, 0
	.set _ZL29rocblas_internal_gemmt_kernelIlLi16ELi32ELi8ELc78ELc84ELc76ELb0ELb0E19rocblas_complex_numIdEPKS1_S3_PS1_EviT_T9_T10_S5_lS7_S5_lS6_T11_S5_li.has_dyn_sized_stack, 0
	.set _ZL29rocblas_internal_gemmt_kernelIlLi16ELi32ELi8ELc78ELc84ELc76ELb0ELb0E19rocblas_complex_numIdEPKS1_S3_PS1_EviT_T9_T10_S5_lS7_S5_lS6_T11_S5_li.has_recursion, 0
	.set _ZL29rocblas_internal_gemmt_kernelIlLi16ELi32ELi8ELc78ELc84ELc76ELb0ELb0E19rocblas_complex_numIdEPKS1_S3_PS1_EviT_T9_T10_S5_lS7_S5_lS6_T11_S5_li.has_indirect_call, 0
	.section	.AMDGPU.csdata,"",@progbits
; Kernel info:
; codeLenInByte = 3800
; TotalNumSgprs: 46
; NumVgprs: 68
; ScratchSize: 0
; MemoryBound: 0
; FloatMode: 240
; IeeeMode: 1
; LDSByteSize: 8192 bytes/workgroup (compile time only)
; SGPRBlocks: 0
; VGPRBlocks: 8
; NumSGPRsForWavesPerEU: 46
; NumVGPRsForWavesPerEU: 68
; Occupancy: 16
; WaveLimiterHint : 0
; COMPUTE_PGM_RSRC2:SCRATCH_EN: 0
; COMPUTE_PGM_RSRC2:USER_SGPR: 2
; COMPUTE_PGM_RSRC2:TRAP_HANDLER: 0
; COMPUTE_PGM_RSRC2:TGID_X_EN: 1
; COMPUTE_PGM_RSRC2:TGID_Y_EN: 1
; COMPUTE_PGM_RSRC2:TGID_Z_EN: 1
; COMPUTE_PGM_RSRC2:TIDIG_COMP_CNT: 1
	.section	.text._ZL29rocblas_internal_gemmt_kernelIlLi16ELi32ELi8ELc78ELc67ELc76ELb0ELb1E19rocblas_complex_numIdEPKS1_S3_PS1_EviT_T9_T10_S5_lS7_S5_lS6_T11_S5_li,"axG",@progbits,_ZL29rocblas_internal_gemmt_kernelIlLi16ELi32ELi8ELc78ELc67ELc76ELb0ELb1E19rocblas_complex_numIdEPKS1_S3_PS1_EviT_T9_T10_S5_lS7_S5_lS6_T11_S5_li,comdat
	.globl	_ZL29rocblas_internal_gemmt_kernelIlLi16ELi32ELi8ELc78ELc67ELc76ELb0ELb1E19rocblas_complex_numIdEPKS1_S3_PS1_EviT_T9_T10_S5_lS7_S5_lS6_T11_S5_li ; -- Begin function _ZL29rocblas_internal_gemmt_kernelIlLi16ELi32ELi8ELc78ELc67ELc76ELb0ELb1E19rocblas_complex_numIdEPKS1_S3_PS1_EviT_T9_T10_S5_lS7_S5_lS6_T11_S5_li
	.p2align	8
	.type	_ZL29rocblas_internal_gemmt_kernelIlLi16ELi32ELi8ELc78ELc67ELc76ELb0ELb1E19rocblas_complex_numIdEPKS1_S3_PS1_EviT_T9_T10_S5_lS7_S5_lS6_T11_S5_li,@function
_ZL29rocblas_internal_gemmt_kernelIlLi16ELi32ELi8ELc78ELc67ELc76ELb0ELb1E19rocblas_complex_numIdEPKS1_S3_PS1_EviT_T9_T10_S5_lS7_S5_lS6_T11_S5_li: ; @_ZL29rocblas_internal_gemmt_kernelIlLi16ELi32ELi8ELc78ELc67ELc76ELb0ELb1E19rocblas_complex_numIdEPKS1_S3_PS1_EviT_T9_T10_S5_lS7_S5_lS6_T11_S5_li
; %bb.0:
	s_clause 0x1
	s_load_b256 s[24:31], s[0:1], 0x48
	s_load_b512 s[8:23], s[0:1], 0x8
	s_wait_kmcnt 0x0
	s_load_b128 s[36:39], s[24:25], 0x0
	s_load_b128 s[40:43], s[10:11], 0x0
	s_wait_kmcnt 0x0
	v_cmp_eq_f64_e64 s3, s[36:37], 1.0
	v_cmp_eq_f64_e64 s2, s[38:39], 0
	s_and_b32 s3, s3, s2
	s_delay_alu instid0(SALU_CYCLE_1)
	s_and_not1_b32 vcc_lo, exec_lo, s3
	s_mov_b32 s3, -1
	s_cbranch_vccnz .LBB263_3
; %bb.1:
	s_cmp_lg_u64 s[8:9], 0
	s_cbranch_scc0 .LBB263_39
; %bb.2:
	v_cmp_neq_f64_e64 s3, s[40:41], 0
	v_cmp_neq_f64_e64 s4, s[42:43], 0
	s_or_b32 s3, s3, s4
.LBB263_3:
	s_delay_alu instid0(SALU_CYCLE_1)
	s_and_b32 vcc_lo, exec_lo, s3
	s_cbranch_vccz .LBB263_40
; %bb.4:
	s_load_b32 s5, s[0:1], 0x68
	s_lshr_b32 s6, ttmp7, 16
	s_wait_kmcnt 0x0
	s_cmp_ge_u32 s6, s5
	s_cbranch_scc1 .LBB263_40
; %bb.5:
	v_cmp_neq_f64_e64 s3, s[40:41], 0
	v_cmp_neq_f64_e64 s4, s[42:43], 0
	v_dual_mov_b32 v1, 0 :: v_dual_and_b32 v6, 0x3ff, v0
	v_bfe_u32 v7, v0, 10, 10
	v_and_b32_e32 v32, 7, v0
	s_load_b32 s7, s[0:1], 0x0
	s_lshl_b32 s0, ttmp7, 5
	s_lshl_b32 s11, ttmp9, 5
	v_lshl_add_u32 v0, v7, 4, v6
	s_and_b32 s0, s0, 0x1fffe0
	v_cmp_neq_f64_e64 s25, s[36:37], 0
	v_add_nc_u32_e32 v11, s0, v7
	v_lshl_add_u32 v41, v7, 7, 0x1000
	v_and_b32_e32 v8, 31, v0
	v_lshrrev_b32_e32 v33, 5, v0
	v_lshrrev_b32_e32 v0, 3, v0
	v_mad_co_u64_u32 v[4:5], null, s28, v11, 0
	s_delay_alu instid0(VALU_DEP_4) | instskip(SKIP_1) | instid1(VALU_DEP_4)
	v_or_b32_e32 v2, s11, v8
	v_lshlrev_b32_e32 v9, 4, v32
	v_add_nc_u32_e32 v10, s0, v0
	v_add_nc_u32_e32 v12, 16, v11
	v_lshlrev_b32_e32 v8, 4, v8
	v_ashrrev_i32_e32 v3, 31, v2
	v_lshl_or_b32 v0, v0, 7, v9
	s_wait_kmcnt 0x0
	v_cmp_gt_i32_e64 s0, s7, v2
	v_cmp_le_i32_e64 s10, s7, v2
	v_lshl_or_b32 v34, v33, 9, v8
	v_lshlrev_b64_e32 v[2:3], 4, v[2:3]
	v_add_nc_u32_e32 v35, 0x1000, v0
	v_lshlrev_b32_e32 v0, 4, v10
	v_lshlrev_b32_e32 v40, 4, v6
	v_add_nc_u32_e32 v6, s11, v6
	v_cmp_gt_i32_e64 s1, s7, v10
	v_add_co_u32 v36, vcc_lo, s12, v2
	s_delay_alu instid0(VALU_DEP_1)
	v_add_co_ci_u32_e64 v37, null, s13, v3, vcc_lo
	v_mad_co_u64_u32 v[2:3], null, s28, v12, 0
	s_or_b32 s33, s3, s4
	v_add_co_u32 v38, s3, s18, v0
	v_mov_b32_e32 v0, v5
	v_add_co_ci_u32_e64 v39, null, s19, 0, s3
	s_xor_b32 s11, s2, -1
	v_cmp_gt_i32_e64 s2, s7, v6
	v_mad_co_u64_u32 v[7:8], null, s29, v11, v[0:1]
	v_mov_b32_e32 v0, v3
	v_add_nc_u32_e32 v8, 16, v6
	v_cmp_le_i32_e32 vcc_lo, v11, v6
	v_cmp_gt_i64_e64 s24, s[8:9], 0
	s_wait_alu 0xfffe
	s_or_b32 s11, s25, s11
	v_mad_co_u64_u32 v[9:10], null, s29, v12, v[0:1]
	v_cmp_le_i32_e64 s3, v11, v8
	v_cmp_gt_i32_e64 s4, s7, v8
	v_mov_b32_e32 v5, v7
	s_and_b32 s12, vcc_lo, s2
	v_cmp_le_i32_e32 vcc_lo, v12, v6
	v_ashrrev_i32_e32 v7, 31, v6
	v_mov_b32_e32 v3, v9
	s_and_b32 s13, s3, s4
	v_cmp_le_i32_e64 s3, v12, v8
	v_lshlrev_b64_e32 v[10:11], 4, v[4:5]
	v_ashrrev_i32_e32 v9, 31, v8
	v_lshlrev_b64_e32 v[12:13], 4, v[2:3]
	s_and_b32 s18, s33, s24
	s_and_b32 s19, vcc_lo, s2
	s_and_b32 s4, s3, s4
	s_mov_b32 s7, 0
                                        ; implicit-def: $vgpr14_vgpr15
	s_branch .LBB263_7
.LBB263_6:                              ;   in Loop: Header=BB263_7 Depth=1
	s_wait_alu 0xfffe
	s_or_b32 exec_lo, exec_lo, s2
	s_add_co_i32 s6, s6, 0x10000
	s_wait_alu 0xfffe
	s_cmp_lt_u32 s6, s5
	s_cbranch_scc0 .LBB263_40
.LBB263_7:                              ; =>This Loop Header: Depth=1
                                        ;     Child Loop BB263_10 Depth 2
	v_mov_b32_e32 v28, 0
	v_mov_b32_e32 v29, 0
	s_wait_alu 0xfffe
	s_and_not1_b32 vcc_lo, exec_lo, s18
	s_wait_alu 0xfffe
	s_cbranch_vccnz .LBB263_18
; %bb.8:                                ;   in Loop: Header=BB263_7 Depth=1
	s_mul_u64 s[2:3], s[16:17], s[6:7]
	s_mul_u64 s[24:25], s[22:23], s[6:7]
	s_wait_alu 0xfffe
	s_lshl_b64 s[2:3], s[2:3], 4
	v_mov_b32_e32 v16, 0
	s_wait_alu 0xfffe
	v_add_co_u32 v42, vcc_lo, v36, s2
	s_wait_alu 0xfffd
	v_add_co_ci_u32_e64 v43, null, s3, v37, vcc_lo
	s_lshl_b64 s[2:3], s[24:25], 4
	v_mov_b32_e32 v22, 0
	v_mov_b32_e32 v26, 0
	;; [unrolled: 1-line block ×3, first 2 shown]
	s_wait_alu 0xfffe
	v_add_co_u32 v44, vcc_lo, v38, s2
	v_dual_mov_b32 v17, 0 :: v_dual_mov_b32 v18, 0
	v_dual_mov_b32 v23, 0 :: v_dual_mov_b32 v20, 0
	;; [unrolled: 1-line block ×4, first 2 shown]
	v_mov_b32_e32 v19, 0
	v_mov_b32_e32 v21, 0
	;; [unrolled: 1-line block ×4, first 2 shown]
	s_wait_alu 0xfffd
	v_add_co_ci_u32_e64 v45, null, s3, v39, vcc_lo
	s_mov_b64 s[2:3], 0
	s_branch .LBB263_10
.LBB263_9:                              ;   in Loop: Header=BB263_10 Depth=2
	s_or_b32 exec_lo, exec_lo, s24
	ds_store_b128 v35, v[2:5]
	s_wait_dscnt 0x0
	s_barrier_signal -1
	s_barrier_wait -1
	global_inv scope:SCOPE_SE
	ds_load_b128 v[2:5], v41
	ds_load_b128 v[46:49], v40
	ds_load_b128 v[50:53], v40 offset:256
	ds_load_b128 v[54:57], v41 offset:2048
	;; [unrolled: 1-line block ×10, first 2 shown]
	s_add_nc_u64 s[2:3], s[2:3], 8
	s_wait_alu 0xfffe
	v_cmp_gt_i64_e64 s24, s[8:9], s[2:3]
	s_and_b32 vcc_lo, exec_lo, s24
	s_wait_dscnt 0xa
	v_mul_f64_e32 v[90:91], v[4:5], v[48:49]
	v_mul_f64_e32 v[92:93], v[2:3], v[48:49]
	s_wait_dscnt 0x9
	v_mul_f64_e32 v[94:95], v[4:5], v[52:53]
	v_mul_f64_e32 v[96:97], v[2:3], v[52:53]
	;; [unrolled: 3-line block ×3, first 2 shown]
	v_mul_f64_e32 v[100:101], v[56:57], v[52:53]
	v_mul_f64_e32 v[52:53], v[54:55], v[52:53]
	s_wait_dscnt 0x5
	v_mul_f64_e32 v[102:103], v[60:61], v[68:69]
	v_mul_f64_e32 v[104:105], v[58:59], v[68:69]
	s_wait_dscnt 0x4
	v_mul_f64_e32 v[106:107], v[60:61], v[72:73]
	v_mul_f64_e32 v[108:109], v[58:59], v[72:73]
	;; [unrolled: 1-line block ×6, first 2 shown]
	s_wait_dscnt 0x2
	v_mul_f64_e32 v[118:119], v[76:77], v[80:81]
	v_mul_f64_e32 v[120:121], v[74:75], v[80:81]
	s_wait_dscnt 0x1
	v_mul_f64_e32 v[122:123], v[76:77], v[84:85]
	v_mul_f64_e32 v[124:125], v[74:75], v[84:85]
	;; [unrolled: 3-line block ×3, first 2 shown]
	v_mul_f64_e32 v[128:129], v[88:89], v[84:85]
	v_mul_f64_e32 v[84:85], v[86:87], v[84:85]
	v_fma_f64 v[90:91], v[2:3], v[46:47], -v[90:91]
	v_fma_f64 v[92:93], v[4:5], v[46:47], v[92:93]
	v_fma_f64 v[94:95], v[2:3], v[50:51], -v[94:95]
	v_fma_f64 v[96:97], v[4:5], v[50:51], v[96:97]
	;; [unrolled: 2-line block ×8, first 2 shown]
	ds_load_b128 v[2:5], v41 offset:48
	ds_load_b128 v[46:49], v40 offset:1536
	;; [unrolled: 1-line block ×4, first 2 shown]
	v_fma_f64 v[118:119], v[74:75], v[78:79], -v[118:119]
	v_fma_f64 v[120:121], v[76:77], v[78:79], v[120:121]
	v_fma_f64 v[74:75], v[74:75], v[82:83], -v[122:123]
	v_fma_f64 v[76:77], v[76:77], v[82:83], v[124:125]
	;; [unrolled: 2-line block ×4, first 2 shown]
	s_wait_dscnt 0x2
	v_mul_f64_e32 v[108:109], v[2:3], v[48:49]
	s_wait_dscnt 0x1
	v_mul_f64_e32 v[110:111], v[4:5], v[52:53]
	v_mul_f64_e32 v[112:113], v[2:3], v[52:53]
	v_add_f64_e32 v[68:69], v[28:29], v[90:91]
	v_add_f64_e32 v[70:71], v[92:93], v[30:31]
	;; [unrolled: 1-line block ×8, first 2 shown]
	v_mul_f64_e32 v[100:101], v[4:5], v[48:49]
	s_wait_dscnt 0x0
	v_mul_f64_e32 v[114:115], v[56:57], v[48:49]
	v_mul_f64_e32 v[48:49], v[54:55], v[48:49]
	;; [unrolled: 1-line block ×4, first 2 shown]
	ds_load_b128 v[16:19], v41 offset:64
	ds_load_b128 v[20:23], v40 offset:2048
	;; [unrolled: 1-line block ×4, first 2 shown]
	s_wait_dscnt 0x1
	v_mul_f64_e32 v[124:125], v[16:17], v[26:27]
	s_wait_dscnt 0x0
	v_mul_f64_e32 v[126:127], v[30:31], v[22:23]
	v_mul_f64_e32 v[128:129], v[30:31], v[26:27]
	v_fma_f64 v[108:109], v[4:5], v[46:47], v[108:109]
	v_fma_f64 v[110:111], v[2:3], v[50:51], -v[110:111]
	v_fma_f64 v[112:113], v[4:5], v[50:51], v[112:113]
	v_add_f64_e32 v[84:85], v[68:69], v[102:103]
	v_add_f64_e32 v[86:87], v[104:105], v[70:71]
	;; [unrolled: 1-line block ×8, first 2 shown]
	v_mul_f64_e32 v[102:103], v[18:19], v[22:23]
	v_mul_f64_e32 v[104:105], v[16:17], v[22:23]
	;; [unrolled: 1-line block ×5, first 2 shown]
	v_fma_f64 v[100:101], v[2:3], v[46:47], -v[100:101]
	v_fma_f64 v[114:115], v[54:55], v[46:47], -v[114:115]
	v_fma_f64 v[130:131], v[56:57], v[46:47], v[48:49]
	v_fma_f64 v[116:117], v[54:55], v[50:51], -v[116:117]
	v_fma_f64 v[132:133], v[56:57], v[50:51], v[52:53]
	ds_load_b128 v[58:61], v41 offset:80
	ds_load_b128 v[62:65], v40 offset:2560
	;; [unrolled: 1-line block ×8, first 2 shown]
	v_add_f64_e32 v[84:85], v[84:85], v[118:119]
	v_add_f64_e32 v[86:87], v[120:121], v[86:87]
	;; [unrolled: 1-line block ×8, first 2 shown]
	s_wait_dscnt 0x6
	v_mul_f64_e32 v[90:91], v[60:61], v[64:65]
	v_mul_f64_e32 v[92:93], v[58:59], v[64:65]
	s_wait_dscnt 0x5
	v_mul_f64_e32 v[94:95], v[60:61], v[68:69]
	v_mul_f64_e32 v[96:97], v[58:59], v[68:69]
	;; [unrolled: 3-line block ×3, first 2 shown]
	v_mul_f64_e32 v[118:119], v[72:73], v[68:69]
	v_mul_f64_e32 v[68:69], v[70:71], v[68:69]
	v_fma_f64 v[102:103], v[16:17], v[20:21], -v[102:103]
	v_fma_f64 v[104:105], v[18:19], v[20:21], v[104:105]
	v_fma_f64 v[106:107], v[16:17], v[24:25], -v[106:107]
	v_fma_f64 v[120:121], v[18:19], v[24:25], v[124:125]
	;; [unrolled: 2-line block ×4, first 2 shown]
	ds_load_b128 v[16:19], v41 offset:112
	ds_load_b128 v[20:23], v40 offset:3584
	;; [unrolled: 1-line block ×4, first 2 shown]
	s_wait_loadcnt_dscnt 0x0
	s_barrier_signal -1
	s_barrier_wait -1
	global_inv scope:SCOPE_SE
	v_add_f64_e32 v[84:85], v[84:85], v[100:101]
	v_add_f64_e32 v[86:87], v[108:109], v[86:87]
	;; [unrolled: 1-line block ×8, first 2 shown]
	v_mul_f64_e32 v[100:101], v[4:5], v[48:49]
	v_mul_f64_e32 v[108:109], v[2:3], v[48:49]
	;; [unrolled: 1-line block ×8, first 2 shown]
	v_fma_f64 v[90:91], v[58:59], v[62:63], -v[90:91]
	v_fma_f64 v[92:93], v[60:61], v[62:63], v[92:93]
	v_fma_f64 v[58:59], v[58:59], v[66:67], -v[94:95]
	v_fma_f64 v[60:61], v[60:61], v[66:67], v[96:97]
	v_fma_f64 v[94:95], v[70:71], v[62:63], -v[98:99]
	v_fma_f64 v[62:63], v[72:73], v[62:63], v[64:65]
	v_fma_f64 v[64:65], v[70:71], v[66:67], -v[118:119]
	v_fma_f64 v[66:67], v[72:73], v[66:67], v[68:69]
	v_mul_f64_e32 v[96:97], v[16:17], v[26:27]
	v_mul_f64_e32 v[98:99], v[30:31], v[22:23]
	v_add_f64_e32 v[68:69], v[84:85], v[102:103]
	v_add_f64_e32 v[70:71], v[104:105], v[86:87]
	;; [unrolled: 1-line block ×8, first 2 shown]
	v_mul_f64_e32 v[84:85], v[18:19], v[22:23]
	v_mul_f64_e32 v[86:87], v[16:17], v[22:23]
	;; [unrolled: 1-line block ×6, first 2 shown]
	v_fma_f64 v[100:101], v[2:3], v[46:47], -v[100:101]
	v_fma_f64 v[104:105], v[4:5], v[46:47], v[108:109]
	v_fma_f64 v[2:3], v[2:3], v[50:51], -v[110:111]
	v_fma_f64 v[4:5], v[4:5], v[50:51], v[112:113]
	;; [unrolled: 2-line block ×4, first 2 shown]
	v_add_f64_e32 v[52:53], v[68:69], v[90:91]
	v_add_f64_e32 v[54:55], v[92:93], v[70:71]
	;; [unrolled: 1-line block ×8, first 2 shown]
	v_fma_f64 v[68:69], v[16:17], v[20:21], -v[84:85]
	v_fma_f64 v[70:71], v[18:19], v[20:21], v[86:87]
	v_fma_f64 v[16:17], v[16:17], v[24:25], -v[88:89]
	v_fma_f64 v[18:19], v[18:19], v[24:25], v[96:97]
	;; [unrolled: 2-line block ×4, first 2 shown]
	v_add_f64_e32 v[20:21], v[52:53], v[100:101]
	v_add_f64_e32 v[24:25], v[104:105], v[54:55]
	;; [unrolled: 1-line block ×16, first 2 shown]
	s_wait_alu 0xfffe
	s_cbranch_vccz .LBB263_19
.LBB263_10:                             ;   Parent Loop BB263_7 Depth=1
                                        ; =>  This Inner Loop Header: Depth=2
	s_mov_b32 s24, 0
	s_mov_b32 s28, s10
	s_and_saveexec_b32 s25, s0
	s_cbranch_execnz .LBB263_16
; %bb.11:                               ;   in Loop: Header=BB263_10 Depth=2
	s_or_b32 exec_lo, exec_lo, s25
	s_wait_alu 0xfffe
	s_and_saveexec_b32 s25, s28
	s_delay_alu instid0(SALU_CYCLE_1)
	s_xor_b32 s25, exec_lo, s25
	s_cbranch_execnz .LBB263_17
.LBB263_12:                             ;   in Loop: Header=BB263_10 Depth=2
	s_or_b32 exec_lo, exec_lo, s25
	s_and_saveexec_b32 s25, s24
	s_cbranch_execz .LBB263_14
.LBB263_13:                             ;   in Loop: Header=BB263_10 Depth=2
	v_mul_lo_u32 v0, s15, v14
	v_mul_lo_u32 v4, s14, v15
	v_mad_co_u64_u32 v[2:3], null, s14, v14, 0
	s_delay_alu instid0(VALU_DEP_1) | instskip(NEXT) | instid1(VALU_DEP_1)
	v_add3_u32 v3, v3, v4, v0
	v_lshlrev_b64_e32 v[2:3], 4, v[2:3]
	s_delay_alu instid0(VALU_DEP_1) | instskip(SKIP_1) | instid1(VALU_DEP_2)
	v_add_co_u32 v2, vcc_lo, v42, v2
	s_wait_alu 0xfffd
	v_add_co_ci_u32_e64 v3, null, v43, v3, vcc_lo
	global_load_b128 v[2:5], v[2:3], off
	s_wait_loadcnt 0x0
	ds_store_2addr_b64 v34, v[2:3], v[4:5] offset1:1
.LBB263_14:                             ;   in Loop: Header=BB263_10 Depth=2
	s_or_b32 exec_lo, exec_lo, s25
	v_add_nc_u32_e32 v0, s2, v32
	v_mov_b32_e32 v2, 0
	v_dual_mov_b32 v3, 0 :: v_dual_mov_b32 v4, 0
	v_mov_b32_e32 v5, 0
	s_delay_alu instid0(VALU_DEP_4) | instskip(SKIP_1) | instid1(SALU_CYCLE_1)
	v_cmp_gt_u64_e32 vcc_lo, s[8:9], v[0:1]
	s_and_b32 s25, vcc_lo, s1
	s_and_saveexec_b32 s24, s25
	s_cbranch_execz .LBB263_9
; %bb.15:                               ;   in Loop: Header=BB263_10 Depth=2
	v_mad_co_u64_u32 v[2:3], null, s20, v0, 0
	s_delay_alu instid0(VALU_DEP_1) | instskip(NEXT) | instid1(VALU_DEP_1)
	v_mad_co_u64_u32 v[3:4], null, s21, v0, v[3:4]
	v_lshlrev_b64_e32 v[2:3], 4, v[2:3]
	s_delay_alu instid0(VALU_DEP_1) | instskip(SKIP_1) | instid1(VALU_DEP_2)
	v_add_co_u32 v2, vcc_lo, v44, v2
	s_wait_alu 0xfffd
	v_add_co_ci_u32_e64 v3, null, v45, v3, vcc_lo
	global_load_b128 v[2:5], v[2:3], off
	s_wait_loadcnt 0x0
	v_xor_b32_e32 v5, 0x80000000, v5
	s_branch .LBB263_9
.LBB263_16:                             ;   in Loop: Header=BB263_10 Depth=2
	s_wait_alu 0xfffe
	v_add_nc_u32_e32 v0, s2, v33
	v_mov_b32_e32 v15, v1
	s_and_not1_b32 s28, s10, exec_lo
	s_mov_b32 s24, exec_lo
	s_delay_alu instid0(VALU_DEP_2)
	v_cmp_le_u64_e32 vcc_lo, s[8:9], v[0:1]
	v_mov_b32_e32 v14, v0
	s_and_b32 s29, vcc_lo, exec_lo
	s_wait_alu 0xfffe
	s_or_b32 s28, s28, s29
	s_or_b32 exec_lo, exec_lo, s25
	s_wait_alu 0xfffe
	s_and_saveexec_b32 s25, s28
	s_delay_alu instid0(SALU_CYCLE_1)
	s_xor_b32 s25, exec_lo, s25
	s_cbranch_execz .LBB263_12
.LBB263_17:                             ;   in Loop: Header=BB263_10 Depth=2
	v_dual_mov_b32 v0, v1 :: v_dual_mov_b32 v3, v1
	v_mov_b32_e32 v2, v1
	s_and_not1_b32 s24, s24, exec_lo
	ds_store_b128 v34, v[0:3]
	s_or_b32 exec_lo, exec_lo, s25
	s_and_saveexec_b32 s25, s24
	s_cbranch_execnz .LBB263_13
	s_branch .LBB263_14
.LBB263_18:                             ;   in Loop: Header=BB263_7 Depth=1
	v_mov_b32_e32 v30, 0
	v_mov_b32_e32 v26, 0
	v_dual_mov_b32 v22, 0 :: v_dual_mov_b32 v31, 0
	v_dual_mov_b32 v24, 0 :: v_dual_mov_b32 v27, 0
	;; [unrolled: 1-line block ×3, first 2 shown]
	v_mov_b32_e32 v18, 0
	v_dual_mov_b32 v16, 0 :: v_dual_mov_b32 v25, 0
	v_mov_b32_e32 v21, 0
	v_mov_b32_e32 v19, 0
	;; [unrolled: 1-line block ×3, first 2 shown]
.LBB263_19:                             ;   in Loop: Header=BB263_7 Depth=1
	s_mul_u64 s[2:3], s[30:31], s[6:7]
	s_wait_alu 0xfffe
	s_lshl_b64 s[2:3], s[2:3], 4
	s_wait_alu 0xfffe
	s_add_nc_u64 s[2:3], s[26:27], s[2:3]
	s_wait_alu 0xfffe
	v_add_co_u32 v0, vcc_lo, s2, v10
	s_wait_alu 0xfffd
	v_add_co_ci_u32_e64 v42, null, s3, v11, vcc_lo
	s_and_saveexec_b32 s24, s12
	s_cbranch_execz .LBB263_24
; %bb.20:                               ;   in Loop: Header=BB263_7 Depth=1
	v_mul_f64_e32 v[2:3], s[42:43], v[30:31]
	v_mul_f64_e32 v[4:5], s[40:41], v[30:31]
	s_and_b32 vcc_lo, exec_lo, s11
	s_mov_b32 s25, -1
	s_delay_alu instid0(VALU_DEP_2) | instskip(NEXT) | instid1(VALU_DEP_2)
	v_fma_f64 v[2:3], s[40:41], v[28:29], -v[2:3]
	v_fma_f64 v[4:5], s[42:43], v[28:29], v[4:5]
	s_wait_alu 0xfffe
	s_cbranch_vccz .LBB263_22
; %bb.21:                               ;   in Loop: Header=BB263_7 Depth=1
	v_lshlrev_b64_e32 v[28:29], 4, v[6:7]
	s_mov_b32 s25, 0
	s_delay_alu instid0(VALU_DEP_1) | instskip(SKIP_1) | instid1(VALU_DEP_2)
	v_add_co_u32 v43, vcc_lo, v0, v28
	s_wait_alu 0xfffd
	v_add_co_ci_u32_e64 v44, null, v42, v29, vcc_lo
	global_load_b128 v[28:31], v[43:44], off
	s_wait_loadcnt 0x0
	v_mul_f64_e32 v[45:46], s[38:39], v[30:31]
	v_mul_f64_e32 v[30:31], s[36:37], v[30:31]
	s_delay_alu instid0(VALU_DEP_2) | instskip(NEXT) | instid1(VALU_DEP_2)
	v_fma_f64 v[45:46], s[36:37], v[28:29], -v[45:46]
	v_fma_f64 v[30:31], s[38:39], v[28:29], v[30:31]
	s_delay_alu instid0(VALU_DEP_2) | instskip(NEXT) | instid1(VALU_DEP_2)
	v_add_f64_e32 v[28:29], v[2:3], v[45:46]
	v_add_f64_e32 v[30:31], v[4:5], v[30:31]
	global_store_b128 v[43:44], v[28:31], off
.LBB263_22:                             ;   in Loop: Header=BB263_7 Depth=1
	s_and_not1_b32 vcc_lo, exec_lo, s25
	s_wait_alu 0xfffe
	s_cbranch_vccnz .LBB263_24
; %bb.23:                               ;   in Loop: Header=BB263_7 Depth=1
	v_lshlrev_b64_e32 v[28:29], 4, v[6:7]
	s_delay_alu instid0(VALU_DEP_1) | instskip(SKIP_1) | instid1(VALU_DEP_2)
	v_add_co_u32 v28, vcc_lo, v0, v28
	s_wait_alu 0xfffd
	v_add_co_ci_u32_e64 v29, null, v42, v29, vcc_lo
	global_store_b128 v[28:29], v[2:5], off
.LBB263_24:                             ;   in Loop: Header=BB263_7 Depth=1
	s_or_b32 exec_lo, exec_lo, s24
	s_and_saveexec_b32 s24, s13
	s_cbranch_execz .LBB263_29
; %bb.25:                               ;   in Loop: Header=BB263_7 Depth=1
	v_mul_f64_e32 v[2:3], s[42:43], v[26:27]
	v_mul_f64_e32 v[4:5], s[40:41], v[26:27]
	s_and_not1_b32 vcc_lo, exec_lo, s11
	s_mov_b32 s25, -1
	s_delay_alu instid0(VALU_DEP_2) | instskip(NEXT) | instid1(VALU_DEP_2)
	v_fma_f64 v[2:3], s[40:41], v[24:25], -v[2:3]
	v_fma_f64 v[4:5], s[42:43], v[24:25], v[4:5]
	s_wait_alu 0xfffe
	s_cbranch_vccnz .LBB263_27
; %bb.26:                               ;   in Loop: Header=BB263_7 Depth=1
	v_lshlrev_b64_e32 v[24:25], 4, v[8:9]
	s_mov_b32 s25, 0
	s_delay_alu instid0(VALU_DEP_1) | instskip(SKIP_1) | instid1(VALU_DEP_2)
	v_add_co_u32 v28, vcc_lo, v0, v24
	s_wait_alu 0xfffd
	v_add_co_ci_u32_e64 v29, null, v42, v25, vcc_lo
	global_load_b128 v[24:27], v[28:29], off
	s_wait_loadcnt 0x0
	v_mul_f64_e32 v[30:31], s[38:39], v[26:27]
	v_mul_f64_e32 v[26:27], s[36:37], v[26:27]
	s_delay_alu instid0(VALU_DEP_2) | instskip(NEXT) | instid1(VALU_DEP_2)
	v_fma_f64 v[30:31], s[36:37], v[24:25], -v[30:31]
	v_fma_f64 v[26:27], s[38:39], v[24:25], v[26:27]
	s_delay_alu instid0(VALU_DEP_2) | instskip(NEXT) | instid1(VALU_DEP_2)
	v_add_f64_e32 v[24:25], v[2:3], v[30:31]
	v_add_f64_e32 v[26:27], v[4:5], v[26:27]
	global_store_b128 v[28:29], v[24:27], off
.LBB263_27:                             ;   in Loop: Header=BB263_7 Depth=1
	s_and_not1_b32 vcc_lo, exec_lo, s25
	s_wait_alu 0xfffe
	s_cbranch_vccnz .LBB263_29
; %bb.28:                               ;   in Loop: Header=BB263_7 Depth=1
	v_lshlrev_b64_e32 v[24:25], 4, v[8:9]
	s_delay_alu instid0(VALU_DEP_1) | instskip(SKIP_1) | instid1(VALU_DEP_2)
	v_add_co_u32 v24, vcc_lo, v0, v24
	s_wait_alu 0xfffd
	v_add_co_ci_u32_e64 v25, null, v42, v25, vcc_lo
	global_store_b128 v[24:25], v[2:5], off
.LBB263_29:                             ;   in Loop: Header=BB263_7 Depth=1
	s_or_b32 exec_lo, exec_lo, s24
	v_add_co_u32 v0, vcc_lo, s2, v12
	s_wait_alu 0xfffd
	v_add_co_ci_u32_e64 v24, null, s3, v13, vcc_lo
	s_and_saveexec_b32 s2, s19
	s_cbranch_execz .LBB263_34
; %bb.30:                               ;   in Loop: Header=BB263_7 Depth=1
	v_mul_f64_e32 v[2:3], s[42:43], v[22:23]
	v_mul_f64_e32 v[4:5], s[40:41], v[22:23]
	s_and_not1_b32 vcc_lo, exec_lo, s11
	s_mov_b32 s3, -1
	s_delay_alu instid0(VALU_DEP_2) | instskip(NEXT) | instid1(VALU_DEP_2)
	v_fma_f64 v[2:3], s[40:41], v[20:21], -v[2:3]
	v_fma_f64 v[4:5], s[42:43], v[20:21], v[4:5]
	v_lshlrev_b64_e32 v[20:21], 4, v[6:7]
	s_wait_alu 0xfffe
	s_cbranch_vccnz .LBB263_32
; %bb.31:                               ;   in Loop: Header=BB263_7 Depth=1
	s_delay_alu instid0(VALU_DEP_1) | instskip(SKIP_1) | instid1(VALU_DEP_2)
	v_add_co_u32 v22, vcc_lo, v0, v20
	s_wait_alu 0xfffd
	v_add_co_ci_u32_e64 v23, null, v24, v21, vcc_lo
	s_mov_b32 s3, 0
	global_load_b128 v[25:28], v[22:23], off
	s_wait_loadcnt 0x0
	v_mul_f64_e32 v[29:30], s[38:39], v[27:28]
	v_mul_f64_e32 v[27:28], s[36:37], v[27:28]
	s_delay_alu instid0(VALU_DEP_2) | instskip(NEXT) | instid1(VALU_DEP_2)
	v_fma_f64 v[29:30], s[36:37], v[25:26], -v[29:30]
	v_fma_f64 v[27:28], s[38:39], v[25:26], v[27:28]
	s_delay_alu instid0(VALU_DEP_2) | instskip(NEXT) | instid1(VALU_DEP_2)
	v_add_f64_e32 v[25:26], v[2:3], v[29:30]
	v_add_f64_e32 v[27:28], v[4:5], v[27:28]
	global_store_b128 v[22:23], v[25:28], off
.LBB263_32:                             ;   in Loop: Header=BB263_7 Depth=1
	s_wait_alu 0xfffe
	s_and_not1_b32 vcc_lo, exec_lo, s3
	s_wait_alu 0xfffe
	s_cbranch_vccnz .LBB263_34
; %bb.33:                               ;   in Loop: Header=BB263_7 Depth=1
	v_add_co_u32 v20, vcc_lo, v0, v20
	s_wait_alu 0xfffd
	v_add_co_ci_u32_e64 v21, null, v24, v21, vcc_lo
	global_store_b128 v[20:21], v[2:5], off
.LBB263_34:                             ;   in Loop: Header=BB263_7 Depth=1
	s_wait_alu 0xfffe
	s_or_b32 exec_lo, exec_lo, s2
	s_and_saveexec_b32 s2, s4
	s_cbranch_execz .LBB263_6
; %bb.35:                               ;   in Loop: Header=BB263_7 Depth=1
	v_mul_f64_e32 v[2:3], s[42:43], v[16:17]
	v_mul_f64_e32 v[4:5], s[40:41], v[16:17]
	v_lshlrev_b64_e32 v[16:17], 4, v[8:9]
	s_and_not1_b32 vcc_lo, exec_lo, s11
	s_mov_b32 s3, -1
	s_delay_alu instid0(VALU_DEP_3) | instskip(NEXT) | instid1(VALU_DEP_3)
	v_fma_f64 v[2:3], s[40:41], v[18:19], -v[2:3]
	v_fma_f64 v[4:5], s[42:43], v[18:19], v[4:5]
	s_wait_alu 0xfffe
	s_cbranch_vccnz .LBB263_37
; %bb.36:                               ;   in Loop: Header=BB263_7 Depth=1
	v_add_co_u32 v22, vcc_lo, v0, v16
	s_wait_alu 0xfffd
	v_add_co_ci_u32_e64 v23, null, v24, v17, vcc_lo
	s_mov_b32 s3, 0
	global_load_b128 v[18:21], v[22:23], off
	s_wait_loadcnt 0x0
	v_mul_f64_e32 v[25:26], s[38:39], v[20:21]
	v_mul_f64_e32 v[20:21], s[36:37], v[20:21]
	s_delay_alu instid0(VALU_DEP_2) | instskip(NEXT) | instid1(VALU_DEP_2)
	v_fma_f64 v[25:26], s[36:37], v[18:19], -v[25:26]
	v_fma_f64 v[20:21], s[38:39], v[18:19], v[20:21]
	s_delay_alu instid0(VALU_DEP_2) | instskip(NEXT) | instid1(VALU_DEP_2)
	v_add_f64_e32 v[18:19], v[2:3], v[25:26]
	v_add_f64_e32 v[20:21], v[4:5], v[20:21]
	global_store_b128 v[22:23], v[18:21], off
.LBB263_37:                             ;   in Loop: Header=BB263_7 Depth=1
	s_wait_alu 0xfffe
	s_and_not1_b32 vcc_lo, exec_lo, s3
	s_wait_alu 0xfffe
	s_cbranch_vccnz .LBB263_6
; %bb.38:                               ;   in Loop: Header=BB263_7 Depth=1
	v_add_co_u32 v16, vcc_lo, v0, v16
	s_wait_alu 0xfffd
	v_add_co_ci_u32_e64 v17, null, v24, v17, vcc_lo
	global_store_b128 v[16:17], v[2:5], off
	s_branch .LBB263_6
.LBB263_39:
.LBB263_40:
	s_nop 0
	s_sendmsg sendmsg(MSG_DEALLOC_VGPRS)
	s_endpgm
	.section	.rodata,"a",@progbits
	.p2align	6, 0x0
	.amdhsa_kernel _ZL29rocblas_internal_gemmt_kernelIlLi16ELi32ELi8ELc78ELc67ELc76ELb0ELb1E19rocblas_complex_numIdEPKS1_S3_PS1_EviT_T9_T10_S5_lS7_S5_lS6_T11_S5_li
		.amdhsa_group_segment_fixed_size 8192
		.amdhsa_private_segment_fixed_size 0
		.amdhsa_kernarg_size 108
		.amdhsa_user_sgpr_count 2
		.amdhsa_user_sgpr_dispatch_ptr 0
		.amdhsa_user_sgpr_queue_ptr 0
		.amdhsa_user_sgpr_kernarg_segment_ptr 1
		.amdhsa_user_sgpr_dispatch_id 0
		.amdhsa_user_sgpr_private_segment_size 0
		.amdhsa_wavefront_size32 1
		.amdhsa_uses_dynamic_stack 0
		.amdhsa_enable_private_segment 0
		.amdhsa_system_sgpr_workgroup_id_x 1
		.amdhsa_system_sgpr_workgroup_id_y 1
		.amdhsa_system_sgpr_workgroup_id_z 1
		.amdhsa_system_sgpr_workgroup_info 0
		.amdhsa_system_vgpr_workitem_id 1
		.amdhsa_next_free_vgpr 134
		.amdhsa_next_free_sgpr 44
		.amdhsa_reserve_vcc 1
		.amdhsa_float_round_mode_32 0
		.amdhsa_float_round_mode_16_64 0
		.amdhsa_float_denorm_mode_32 3
		.amdhsa_float_denorm_mode_16_64 3
		.amdhsa_fp16_overflow 0
		.amdhsa_workgroup_processor_mode 1
		.amdhsa_memory_ordered 1
		.amdhsa_forward_progress 1
		.amdhsa_inst_pref_size 28
		.amdhsa_round_robin_scheduling 0
		.amdhsa_exception_fp_ieee_invalid_op 0
		.amdhsa_exception_fp_denorm_src 0
		.amdhsa_exception_fp_ieee_div_zero 0
		.amdhsa_exception_fp_ieee_overflow 0
		.amdhsa_exception_fp_ieee_underflow 0
		.amdhsa_exception_fp_ieee_inexact 0
		.amdhsa_exception_int_div_zero 0
	.end_amdhsa_kernel
	.section	.text._ZL29rocblas_internal_gemmt_kernelIlLi16ELi32ELi8ELc78ELc67ELc76ELb0ELb1E19rocblas_complex_numIdEPKS1_S3_PS1_EviT_T9_T10_S5_lS7_S5_lS6_T11_S5_li,"axG",@progbits,_ZL29rocblas_internal_gemmt_kernelIlLi16ELi32ELi8ELc78ELc67ELc76ELb0ELb1E19rocblas_complex_numIdEPKS1_S3_PS1_EviT_T9_T10_S5_lS7_S5_lS6_T11_S5_li,comdat
.Lfunc_end263:
	.size	_ZL29rocblas_internal_gemmt_kernelIlLi16ELi32ELi8ELc78ELc67ELc76ELb0ELb1E19rocblas_complex_numIdEPKS1_S3_PS1_EviT_T9_T10_S5_lS7_S5_lS6_T11_S5_li, .Lfunc_end263-_ZL29rocblas_internal_gemmt_kernelIlLi16ELi32ELi8ELc78ELc67ELc76ELb0ELb1E19rocblas_complex_numIdEPKS1_S3_PS1_EviT_T9_T10_S5_lS7_S5_lS6_T11_S5_li
                                        ; -- End function
	.set _ZL29rocblas_internal_gemmt_kernelIlLi16ELi32ELi8ELc78ELc67ELc76ELb0ELb1E19rocblas_complex_numIdEPKS1_S3_PS1_EviT_T9_T10_S5_lS7_S5_lS6_T11_S5_li.num_vgpr, 134
	.set _ZL29rocblas_internal_gemmt_kernelIlLi16ELi32ELi8ELc78ELc67ELc76ELb0ELb1E19rocblas_complex_numIdEPKS1_S3_PS1_EviT_T9_T10_S5_lS7_S5_lS6_T11_S5_li.num_agpr, 0
	.set _ZL29rocblas_internal_gemmt_kernelIlLi16ELi32ELi8ELc78ELc67ELc76ELb0ELb1E19rocblas_complex_numIdEPKS1_S3_PS1_EviT_T9_T10_S5_lS7_S5_lS6_T11_S5_li.numbered_sgpr, 44
	.set _ZL29rocblas_internal_gemmt_kernelIlLi16ELi32ELi8ELc78ELc67ELc76ELb0ELb1E19rocblas_complex_numIdEPKS1_S3_PS1_EviT_T9_T10_S5_lS7_S5_lS6_T11_S5_li.num_named_barrier, 0
	.set _ZL29rocblas_internal_gemmt_kernelIlLi16ELi32ELi8ELc78ELc67ELc76ELb0ELb1E19rocblas_complex_numIdEPKS1_S3_PS1_EviT_T9_T10_S5_lS7_S5_lS6_T11_S5_li.private_seg_size, 0
	.set _ZL29rocblas_internal_gemmt_kernelIlLi16ELi32ELi8ELc78ELc67ELc76ELb0ELb1E19rocblas_complex_numIdEPKS1_S3_PS1_EviT_T9_T10_S5_lS7_S5_lS6_T11_S5_li.uses_vcc, 1
	.set _ZL29rocblas_internal_gemmt_kernelIlLi16ELi32ELi8ELc78ELc67ELc76ELb0ELb1E19rocblas_complex_numIdEPKS1_S3_PS1_EviT_T9_T10_S5_lS7_S5_lS6_T11_S5_li.uses_flat_scratch, 0
	.set _ZL29rocblas_internal_gemmt_kernelIlLi16ELi32ELi8ELc78ELc67ELc76ELb0ELb1E19rocblas_complex_numIdEPKS1_S3_PS1_EviT_T9_T10_S5_lS7_S5_lS6_T11_S5_li.has_dyn_sized_stack, 0
	.set _ZL29rocblas_internal_gemmt_kernelIlLi16ELi32ELi8ELc78ELc67ELc76ELb0ELb1E19rocblas_complex_numIdEPKS1_S3_PS1_EviT_T9_T10_S5_lS7_S5_lS6_T11_S5_li.has_recursion, 0
	.set _ZL29rocblas_internal_gemmt_kernelIlLi16ELi32ELi8ELc78ELc67ELc76ELb0ELb1E19rocblas_complex_numIdEPKS1_S3_PS1_EviT_T9_T10_S5_lS7_S5_lS6_T11_S5_li.has_indirect_call, 0
	.section	.AMDGPU.csdata,"",@progbits
; Kernel info:
; codeLenInByte = 3492
; TotalNumSgprs: 46
; NumVgprs: 134
; ScratchSize: 0
; MemoryBound: 1
; FloatMode: 240
; IeeeMode: 1
; LDSByteSize: 8192 bytes/workgroup (compile time only)
; SGPRBlocks: 0
; VGPRBlocks: 16
; NumSGPRsForWavesPerEU: 46
; NumVGPRsForWavesPerEU: 134
; Occupancy: 10
; WaveLimiterHint : 0
; COMPUTE_PGM_RSRC2:SCRATCH_EN: 0
; COMPUTE_PGM_RSRC2:USER_SGPR: 2
; COMPUTE_PGM_RSRC2:TRAP_HANDLER: 0
; COMPUTE_PGM_RSRC2:TGID_X_EN: 1
; COMPUTE_PGM_RSRC2:TGID_Y_EN: 1
; COMPUTE_PGM_RSRC2:TGID_Z_EN: 1
; COMPUTE_PGM_RSRC2:TIDIG_COMP_CNT: 1
	.section	.text._ZL29rocblas_internal_gemmt_kernelIlLi16ELi32ELi8ELc84ELc78ELc76ELb0ELb0E19rocblas_complex_numIdEPKS1_S3_PS1_EviT_T9_T10_S5_lS7_S5_lS6_T11_S5_li,"axG",@progbits,_ZL29rocblas_internal_gemmt_kernelIlLi16ELi32ELi8ELc84ELc78ELc76ELb0ELb0E19rocblas_complex_numIdEPKS1_S3_PS1_EviT_T9_T10_S5_lS7_S5_lS6_T11_S5_li,comdat
	.globl	_ZL29rocblas_internal_gemmt_kernelIlLi16ELi32ELi8ELc84ELc78ELc76ELb0ELb0E19rocblas_complex_numIdEPKS1_S3_PS1_EviT_T9_T10_S5_lS7_S5_lS6_T11_S5_li ; -- Begin function _ZL29rocblas_internal_gemmt_kernelIlLi16ELi32ELi8ELc84ELc78ELc76ELb0ELb0E19rocblas_complex_numIdEPKS1_S3_PS1_EviT_T9_T10_S5_lS7_S5_lS6_T11_S5_li
	.p2align	8
	.type	_ZL29rocblas_internal_gemmt_kernelIlLi16ELi32ELi8ELc84ELc78ELc76ELb0ELb0E19rocblas_complex_numIdEPKS1_S3_PS1_EviT_T9_T10_S5_lS7_S5_lS6_T11_S5_li,@function
_ZL29rocblas_internal_gemmt_kernelIlLi16ELi32ELi8ELc84ELc78ELc76ELb0ELb0E19rocblas_complex_numIdEPKS1_S3_PS1_EviT_T9_T10_S5_lS7_S5_lS6_T11_S5_li: ; @_ZL29rocblas_internal_gemmt_kernelIlLi16ELi32ELi8ELc84ELc78ELc76ELb0ELb0E19rocblas_complex_numIdEPKS1_S3_PS1_EviT_T9_T10_S5_lS7_S5_lS6_T11_S5_li
; %bb.0:
	s_clause 0x1
	s_load_b256 s[24:31], s[0:1], 0x48
	s_load_b512 s[8:23], s[0:1], 0x8
	s_wait_kmcnt 0x0
	s_load_b128 s[36:39], s[24:25], 0x0
	s_load_b128 s[40:43], s[10:11], 0x0
	s_wait_kmcnt 0x0
	v_cmp_eq_f64_e64 s3, s[36:37], 1.0
	v_cmp_eq_f64_e64 s2, s[38:39], 0
	s_and_b32 s3, s3, s2
	s_delay_alu instid0(SALU_CYCLE_1)
	s_and_not1_b32 vcc_lo, exec_lo, s3
	s_mov_b32 s3, -1
	s_cbranch_vccnz .LBB264_3
; %bb.1:
	s_cmp_lg_u64 s[8:9], 0
	s_cbranch_scc0 .LBB264_41
; %bb.2:
	v_cmp_neq_f64_e64 s3, s[40:41], 0
	v_cmp_neq_f64_e64 s4, s[42:43], 0
	s_or_b32 s3, s3, s4
.LBB264_3:
	s_delay_alu instid0(SALU_CYCLE_1)
	s_and_b32 vcc_lo, exec_lo, s3
	s_cbranch_vccz .LBB264_42
; %bb.4:
	s_load_b32 s5, s[0:1], 0x68
	s_lshr_b32 s6, ttmp7, 16
	s_wait_kmcnt 0x0
	s_cmp_ge_u32 s6, s5
	s_cbranch_scc1 .LBB264_42
; %bb.5:
	v_and_b32_e32 v8, 0x3ff, v0
	v_bfe_u32 v9, v0, 10, 10
	s_load_b32 s7, s[0:1], 0x0
	s_lshl_b32 s0, ttmp7, 5
	s_lshl_b32 s11, ttmp9, 5
	s_and_b32 s0, s0, 0x1fffe0
	v_lshl_add_u32 v2, v9, 4, v8
	v_add_nc_u32_e32 v15, s0, v9
	v_and_b32_e32 v30, 7, v0
	v_cmp_neq_f64_e64 s25, s[36:37], 0
	s_ashr_i32 s1, s11, 31
	v_lshrrev_b32_e32 v10, 3, v2
	v_and_b32_e32 v12, 31, v2
	v_mad_co_u64_u32 v[4:5], null, s28, v15, 0
	v_lshrrev_b32_e32 v32, 5, v2
	s_delay_alu instid0(VALU_DEP_4) | instskip(NEXT) | instid1(VALU_DEP_4)
	v_add_nc_u32_e32 v11, s0, v10
	v_or_b32_e32 v13, s11, v12
	s_wait_alu 0xfffe
	s_mul_i32 s1, s14, s1
	v_cmp_neq_f64_e64 s3, s[40:41], 0
	v_cmp_neq_f64_e64 s4, s[42:43], 0
	v_mad_co_u64_u32 v[0:1], null, s20, v11, 0
	v_mad_co_u64_u32 v[2:3], null, s14, v13, 0
	v_mul_lo_u32 v16, s15, v13
	v_add_nc_u32_e32 v17, 16, v15
	v_cmp_gt_i64_e64 s24, s[8:9], 0
	s_wait_kmcnt 0x0
	v_cmp_gt_i32_e64 s0, s7, v13
	v_cmp_le_i32_e64 s10, s7, v13
	v_lshl_add_u32 v39, v9, 7, 0x1000
	v_mad_co_u64_u32 v[6:7], null, s21, v11, v[1:2]
	v_lshlrev_b32_e32 v1, 4, v12
	s_wait_alu 0xfffe
	v_add3_u32 v3, v3, s1, v16
	s_delay_alu instid0(VALU_DEP_2) | instskip(NEXT) | instid1(VALU_DEP_4)
	v_lshl_or_b32 v33, v32, 9, v1
	v_mov_b32_e32 v1, v6
	s_delay_alu instid0(VALU_DEP_3) | instskip(SKIP_2) | instid1(VALU_DEP_4)
	v_lshlrev_b64_e32 v[2:3], 4, v[2:3]
	v_add_nc_u32_e32 v6, s11, v8
	v_lshlrev_b32_e32 v31, 4, v8
	v_lshlrev_b64_e32 v[0:1], 4, v[0:1]
	s_delay_alu instid0(VALU_DEP_4) | instskip(SKIP_3) | instid1(VALU_DEP_4)
	v_add_co_u32 v35, s1, s12, v2
	s_wait_alu 0xf1ff
	v_add_co_ci_u32_e64 v36, null, s13, v3, s1
	v_mad_co_u64_u32 v[2:3], null, s28, v17, 0
	v_add_co_u32 v37, s1, s18, v0
	v_mov_b32_e32 v0, v5
	s_wait_alu 0xf1ff
	v_add_co_ci_u32_e64 v38, null, s19, v1, s1
	v_cmp_gt_i32_e32 vcc_lo, s7, v11
	s_xor_b32 s1, s2, -1
	v_mad_co_u64_u32 v[0:1], null, s29, v15, v[0:1]
	v_dual_mov_b32 v1, v3 :: v_dual_lshlrev_b32 v14, 4, v30
	s_wait_alu 0xfffe
	s_or_b32 s11, s25, s1
	v_cmp_le_i32_e64 s1, v15, v6
	v_cmp_gt_i32_e64 s2, s7, v6
	v_add_nc_u32_e32 v8, 16, v6
	v_lshl_or_b32 v7, v10, 7, v14
	v_mad_co_u64_u32 v[10:11], null, s29, v17, v[1:2]
	s_and_b32 s12, s1, s2
	v_cmp_le_i32_e64 s1, v17, v6
	v_mov_b32_e32 v5, v0
	s_or_b32 s15, s3, s4
	v_cmp_le_i32_e64 s3, v15, v8
	v_cmp_gt_i32_e64 s4, s7, v8
	v_mov_b32_e32 v3, v10
	s_and_b32 s14, s1, s2
	v_cmp_le_i32_e64 s1, v17, v8
	v_lshlrev_b64_e32 v[10:11], 4, v[4:5]
	v_dual_mov_b32 v1, 0 :: v_dual_add_nc_u32 v34, 0x1000, v7
	v_lshlrev_b64_e32 v[12:13], 4, v[2:3]
	v_ashrrev_i32_e32 v7, 31, v6
	v_ashrrev_i32_e32 v9, 31, v8
	s_and_b32 s13, s3, s4
	s_wait_alu 0xfffe
	s_and_b32 s15, s15, s24
	s_and_b32 s1, s1, s4
	s_mov_b32 s7, 0
	s_xor_b32 s4, vcc_lo, -1
                                        ; implicit-def: $vgpr14_vgpr15
	s_branch .LBB264_7
.LBB264_6:                              ;   in Loop: Header=BB264_7 Depth=1
	s_wait_alu 0xfffe
	s_or_b32 exec_lo, exec_lo, s2
	s_add_co_i32 s6, s6, 0x10000
	s_wait_alu 0xfffe
	s_cmp_lt_u32 s6, s5
	s_cbranch_scc0 .LBB264_42
.LBB264_7:                              ; =>This Loop Header: Depth=1
                                        ;     Child Loop BB264_10 Depth 2
	v_mov_b32_e32 v4, 0
	v_mov_b32_e32 v5, 0
	s_wait_alu 0xfffe
	s_and_not1_b32 vcc_lo, exec_lo, s15
	s_wait_alu 0xfffe
	s_cbranch_vccnz .LBB264_20
; %bb.8:                                ;   in Loop: Header=BB264_7 Depth=1
	s_mul_u64 s[2:3], s[16:17], s[6:7]
	s_mul_u64 s[18:19], s[22:23], s[6:7]
	s_wait_alu 0xfffe
	s_lshl_b64 s[2:3], s[2:3], 4
	v_mov_b32_e32 v16, 0
	s_wait_alu 0xfffe
	v_add_co_u32 v40, vcc_lo, v35, s2
	s_wait_alu 0xfffd
	v_add_co_ci_u32_e64 v41, null, s3, v36, vcc_lo
	s_lshl_b64 s[2:3], s[18:19], 4
	v_mov_b32_e32 v22, 0
	v_mov_b32_e32 v26, 0
	v_mov_b32_e32 v28, 0
	s_wait_alu 0xfffe
	v_add_co_u32 v42, vcc_lo, v37, s2
	v_dual_mov_b32 v17, 0 :: v_dual_mov_b32 v18, 0
	v_dual_mov_b32 v23, 0 :: v_dual_mov_b32 v20, 0
	;; [unrolled: 1-line block ×4, first 2 shown]
	v_mov_b32_e32 v19, 0
	v_mov_b32_e32 v21, 0
	;; [unrolled: 1-line block ×4, first 2 shown]
	s_wait_alu 0xfffd
	v_add_co_ci_u32_e64 v43, null, s3, v38, vcc_lo
	s_mov_b64 s[2:3], 0
	s_branch .LBB264_10
.LBB264_9:                              ;   in Loop: Header=BB264_10 Depth=2
	s_wait_alu 0xfffe
	s_or_b32 exec_lo, exec_lo, s18
	s_wait_dscnt 0x0
	s_barrier_signal -1
	s_barrier_wait -1
	global_inv scope:SCOPE_SE
	ds_load_b128 v[44:47], v39
	ds_load_b128 v[48:51], v39 offset:16
	ds_load_b128 v[52:55], v39 offset:32
	;; [unrolled: 1-line block ×3, first 2 shown]
	ds_load_b128 v[60:63], v31
	s_add_nc_u64 s[2:3], s[2:3], 8
	s_wait_alu 0xfffe
	v_cmp_gt_i64_e64 s18, s[8:9], s[2:3]
	s_and_b32 vcc_lo, exec_lo, s18
	s_wait_dscnt 0x0
	v_mul_f64_e32 v[2:3], v[46:47], v[62:63]
	v_mul_f64_e32 v[64:65], v[44:45], v[62:63]
	s_delay_alu instid0(VALU_DEP_2) | instskip(NEXT) | instid1(VALU_DEP_2)
	v_fma_f64 v[2:3], v[44:45], v[60:61], -v[2:3]
	v_fma_f64 v[64:65], v[46:47], v[60:61], v[64:65]
	s_delay_alu instid0(VALU_DEP_2) | instskip(SKIP_4) | instid1(VALU_DEP_1)
	v_add_f64_e32 v[66:67], v[4:5], v[2:3]
	ds_load_b128 v[2:5], v31 offset:256
	v_add_f64_e32 v[28:29], v[64:65], v[28:29]
	s_wait_dscnt 0x0
	v_mul_f64_e32 v[64:65], v[46:47], v[4:5]
	v_fma_f64 v[64:65], v[44:45], v[2:3], -v[64:65]
	v_mul_f64_e32 v[44:45], v[44:45], v[4:5]
	s_delay_alu instid0(VALU_DEP_1) | instskip(NEXT) | instid1(VALU_DEP_3)
	v_fma_f64 v[44:45], v[46:47], v[2:3], v[44:45]
	v_add_f64_e32 v[46:47], v[24:25], v[64:65]
	s_delay_alu instid0(VALU_DEP_2) | instskip(SKIP_4) | instid1(VALU_DEP_2)
	v_add_f64_e32 v[44:45], v[44:45], v[26:27]
	ds_load_b128 v[24:27], v39 offset:2048
	s_wait_dscnt 0x0
	v_mul_f64_e32 v[64:65], v[26:27], v[62:63]
	v_mul_f64_e32 v[62:63], v[24:25], v[62:63]
	v_fma_f64 v[64:65], v[24:25], v[60:61], -v[64:65]
	s_delay_alu instid0(VALU_DEP_2) | instskip(NEXT) | instid1(VALU_DEP_2)
	v_fma_f64 v[60:61], v[26:27], v[60:61], v[62:63]
	v_add_f64_e32 v[62:63], v[20:21], v[64:65]
	v_mul_f64_e32 v[20:21], v[26:27], v[4:5]
	v_mul_f64_e32 v[4:5], v[24:25], v[4:5]
	s_delay_alu instid0(VALU_DEP_4) | instskip(NEXT) | instid1(VALU_DEP_3)
	v_add_f64_e32 v[60:61], v[60:61], v[22:23]
	v_fma_f64 v[20:21], v[24:25], v[2:3], -v[20:21]
	s_delay_alu instid0(VALU_DEP_3) | instskip(NEXT) | instid1(VALU_DEP_2)
	v_fma_f64 v[2:3], v[26:27], v[2:3], v[4:5]
	v_add_f64_e32 v[24:25], v[18:19], v[20:21]
	s_delay_alu instid0(VALU_DEP_2) | instskip(SKIP_4) | instid1(VALU_DEP_2)
	v_add_f64_e32 v[26:27], v[2:3], v[16:17]
	ds_load_b128 v[2:5], v31 offset:512
	s_wait_dscnt 0x0
	v_mul_f64_e32 v[16:17], v[50:51], v[4:5]
	v_mul_f64_e32 v[18:19], v[48:49], v[4:5]
	v_fma_f64 v[16:17], v[48:49], v[2:3], -v[16:17]
	s_delay_alu instid0(VALU_DEP_2) | instskip(NEXT) | instid1(VALU_DEP_2)
	v_fma_f64 v[18:19], v[50:51], v[2:3], v[18:19]
	v_add_f64_e32 v[64:65], v[66:67], v[16:17]
	s_delay_alu instid0(VALU_DEP_2) | instskip(SKIP_4) | instid1(VALU_DEP_2)
	v_add_f64_e32 v[28:29], v[18:19], v[28:29]
	ds_load_b128 v[16:19], v31 offset:768
	s_wait_dscnt 0x0
	v_mul_f64_e32 v[20:21], v[50:51], v[18:19]
	v_mul_f64_e32 v[22:23], v[48:49], v[18:19]
	v_fma_f64 v[20:21], v[48:49], v[16:17], -v[20:21]
	s_delay_alu instid0(VALU_DEP_2) | instskip(NEXT) | instid1(VALU_DEP_2)
	v_fma_f64 v[22:23], v[50:51], v[16:17], v[22:23]
	v_add_f64_e32 v[46:47], v[46:47], v[20:21]
	s_delay_alu instid0(VALU_DEP_2) | instskip(SKIP_4) | instid1(VALU_DEP_2)
	v_add_f64_e32 v[44:45], v[22:23], v[44:45]
	ds_load_b128 v[20:23], v39 offset:2064
	s_wait_dscnt 0x0
	v_mul_f64_e32 v[48:49], v[22:23], v[4:5]
	v_mul_f64_e32 v[4:5], v[20:21], v[4:5]
	v_fma_f64 v[48:49], v[20:21], v[2:3], -v[48:49]
	s_delay_alu instid0(VALU_DEP_2) | instskip(SKIP_1) | instid1(VALU_DEP_3)
	v_fma_f64 v[2:3], v[22:23], v[2:3], v[4:5]
	v_mul_f64_e32 v[4:5], v[20:21], v[18:19]
	v_add_f64_e32 v[48:49], v[62:63], v[48:49]
	s_delay_alu instid0(VALU_DEP_3) | instskip(SKIP_1) | instid1(VALU_DEP_4)
	v_add_f64_e32 v[50:51], v[2:3], v[60:61]
	v_mul_f64_e32 v[2:3], v[22:23], v[18:19]
	v_fma_f64 v[4:5], v[22:23], v[16:17], v[4:5]
	s_delay_alu instid0(VALU_DEP_2) | instskip(NEXT) | instid1(VALU_DEP_2)
	v_fma_f64 v[2:3], v[20:21], v[16:17], -v[2:3]
	v_add_f64_e32 v[26:27], v[4:5], v[26:27]
	s_delay_alu instid0(VALU_DEP_2) | instskip(SKIP_4) | instid1(VALU_DEP_2)
	v_add_f64_e32 v[24:25], v[24:25], v[2:3]
	ds_load_b128 v[2:5], v31 offset:1024
	s_wait_dscnt 0x0
	v_mul_f64_e32 v[16:17], v[54:55], v[4:5]
	v_mul_f64_e32 v[18:19], v[52:53], v[4:5]
	v_fma_f64 v[16:17], v[52:53], v[2:3], -v[16:17]
	s_delay_alu instid0(VALU_DEP_2) | instskip(NEXT) | instid1(VALU_DEP_2)
	v_fma_f64 v[18:19], v[54:55], v[2:3], v[18:19]
	v_add_f64_e32 v[60:61], v[64:65], v[16:17]
	s_delay_alu instid0(VALU_DEP_2) | instskip(SKIP_4) | instid1(VALU_DEP_2)
	v_add_f64_e32 v[28:29], v[18:19], v[28:29]
	ds_load_b128 v[16:19], v31 offset:1280
	s_wait_dscnt 0x0
	v_mul_f64_e32 v[20:21], v[54:55], v[18:19]
	v_mul_f64_e32 v[22:23], v[52:53], v[18:19]
	v_fma_f64 v[20:21], v[52:53], v[16:17], -v[20:21]
	s_delay_alu instid0(VALU_DEP_2) | instskip(NEXT) | instid1(VALU_DEP_2)
	v_fma_f64 v[22:23], v[54:55], v[16:17], v[22:23]
	v_add_f64_e32 v[46:47], v[46:47], v[20:21]
	s_delay_alu instid0(VALU_DEP_2) | instskip(SKIP_4) | instid1(VALU_DEP_2)
	v_add_f64_e32 v[44:45], v[22:23], v[44:45]
	ds_load_b128 v[20:23], v39 offset:2080
	s_wait_dscnt 0x0
	v_mul_f64_e32 v[52:53], v[22:23], v[4:5]
	v_mul_f64_e32 v[4:5], v[20:21], v[4:5]
	v_fma_f64 v[52:53], v[20:21], v[2:3], -v[52:53]
	s_delay_alu instid0(VALU_DEP_2) | instskip(SKIP_1) | instid1(VALU_DEP_3)
	v_fma_f64 v[2:3], v[22:23], v[2:3], v[4:5]
	v_mul_f64_e32 v[4:5], v[20:21], v[18:19]
	v_add_f64_e32 v[48:49], v[48:49], v[52:53]
	s_delay_alu instid0(VALU_DEP_3) | instskip(SKIP_1) | instid1(VALU_DEP_4)
	v_add_f64_e32 v[50:51], v[2:3], v[50:51]
	v_mul_f64_e32 v[2:3], v[22:23], v[18:19]
	v_fma_f64 v[4:5], v[22:23], v[16:17], v[4:5]
	s_delay_alu instid0(VALU_DEP_2) | instskip(NEXT) | instid1(VALU_DEP_2)
	v_fma_f64 v[2:3], v[20:21], v[16:17], -v[2:3]
	;; [unrolled: 38-line block ×3, first 2 shown]
	v_add_f64_e32 v[26:27], v[4:5], v[26:27]
	s_delay_alu instid0(VALU_DEP_2)
	v_add_f64_e32 v[24:25], v[24:25], v[2:3]
	ds_load_b128 v[2:5], v39 offset:64
	ds_load_b128 v[16:19], v31 offset:2048
	s_wait_dscnt 0x0
	v_mul_f64_e32 v[20:21], v[4:5], v[18:19]
	v_mul_f64_e32 v[22:23], v[2:3], v[18:19]
	s_delay_alu instid0(VALU_DEP_2) | instskip(NEXT) | instid1(VALU_DEP_2)
	v_fma_f64 v[20:21], v[2:3], v[16:17], -v[20:21]
	v_fma_f64 v[22:23], v[4:5], v[16:17], v[22:23]
	s_delay_alu instid0(VALU_DEP_2) | instskip(NEXT) | instid1(VALU_DEP_2)
	v_add_f64_e32 v[52:53], v[52:53], v[20:21]
	v_add_f64_e32 v[28:29], v[22:23], v[28:29]
	ds_load_b128 v[20:23], v31 offset:2304
	s_wait_dscnt 0x0
	v_mul_f64_e32 v[54:55], v[4:5], v[22:23]
	s_delay_alu instid0(VALU_DEP_1) | instskip(SKIP_1) | instid1(VALU_DEP_2)
	v_fma_f64 v[54:55], v[2:3], v[20:21], -v[54:55]
	v_mul_f64_e32 v[2:3], v[2:3], v[22:23]
	v_add_f64_e32 v[46:47], v[46:47], v[54:55]
	s_delay_alu instid0(VALU_DEP_2) | instskip(NEXT) | instid1(VALU_DEP_1)
	v_fma_f64 v[2:3], v[4:5], v[20:21], v[2:3]
	v_add_f64_e32 v[44:45], v[2:3], v[44:45]
	ds_load_b128 v[2:5], v39 offset:2112
	s_wait_dscnt 0x0
	v_mul_f64_e32 v[54:55], v[4:5], v[18:19]
	v_mul_f64_e32 v[18:19], v[2:3], v[18:19]
	s_delay_alu instid0(VALU_DEP_2) | instskip(NEXT) | instid1(VALU_DEP_2)
	v_fma_f64 v[54:55], v[2:3], v[16:17], -v[54:55]
	v_fma_f64 v[16:17], v[4:5], v[16:17], v[18:19]
	s_delay_alu instid0(VALU_DEP_2) | instskip(NEXT) | instid1(VALU_DEP_2)
	v_add_f64_e32 v[48:49], v[48:49], v[54:55]
	v_add_f64_e32 v[50:51], v[16:17], v[50:51]
	v_mul_f64_e32 v[16:17], v[4:5], v[22:23]
	s_delay_alu instid0(VALU_DEP_1) | instskip(SKIP_1) | instid1(VALU_DEP_2)
	v_fma_f64 v[16:17], v[2:3], v[20:21], -v[16:17]
	v_mul_f64_e32 v[2:3], v[2:3], v[22:23]
	v_add_f64_e32 v[24:25], v[24:25], v[16:17]
	s_delay_alu instid0(VALU_DEP_2) | instskip(NEXT) | instid1(VALU_DEP_1)
	v_fma_f64 v[2:3], v[4:5], v[20:21], v[2:3]
	v_add_f64_e32 v[26:27], v[2:3], v[26:27]
	ds_load_b128 v[2:5], v39 offset:80
	ds_load_b128 v[16:19], v31 offset:2560
	s_wait_dscnt 0x0
	v_mul_f64_e32 v[20:21], v[4:5], v[18:19]
	v_mul_f64_e32 v[22:23], v[2:3], v[18:19]
	s_delay_alu instid0(VALU_DEP_2) | instskip(NEXT) | instid1(VALU_DEP_2)
	v_fma_f64 v[20:21], v[2:3], v[16:17], -v[20:21]
	v_fma_f64 v[22:23], v[4:5], v[16:17], v[22:23]
	s_delay_alu instid0(VALU_DEP_2) | instskip(NEXT) | instid1(VALU_DEP_2)
	v_add_f64_e32 v[52:53], v[52:53], v[20:21]
	v_add_f64_e32 v[28:29], v[22:23], v[28:29]
	ds_load_b128 v[20:23], v31 offset:2816
	s_wait_dscnt 0x0
	v_mul_f64_e32 v[54:55], v[4:5], v[22:23]
	s_delay_alu instid0(VALU_DEP_1) | instskip(SKIP_1) | instid1(VALU_DEP_2)
	v_fma_f64 v[54:55], v[2:3], v[20:21], -v[54:55]
	v_mul_f64_e32 v[2:3], v[2:3], v[22:23]
	v_add_f64_e32 v[46:47], v[46:47], v[54:55]
	s_delay_alu instid0(VALU_DEP_2) | instskip(NEXT) | instid1(VALU_DEP_1)
	v_fma_f64 v[2:3], v[4:5], v[20:21], v[2:3]
	v_add_f64_e32 v[44:45], v[2:3], v[44:45]
	ds_load_b128 v[2:5], v39 offset:2128
	s_wait_dscnt 0x0
	v_mul_f64_e32 v[54:55], v[4:5], v[18:19]
	v_mul_f64_e32 v[18:19], v[2:3], v[18:19]
	s_delay_alu instid0(VALU_DEP_2) | instskip(NEXT) | instid1(VALU_DEP_2)
	v_fma_f64 v[54:55], v[2:3], v[16:17], -v[54:55]
	v_fma_f64 v[16:17], v[4:5], v[16:17], v[18:19]
	s_delay_alu instid0(VALU_DEP_2) | instskip(NEXT) | instid1(VALU_DEP_2)
	v_add_f64_e32 v[48:49], v[48:49], v[54:55]
	v_add_f64_e32 v[50:51], v[16:17], v[50:51]
	v_mul_f64_e32 v[16:17], v[4:5], v[22:23]
	s_delay_alu instid0(VALU_DEP_1) | instskip(SKIP_1) | instid1(VALU_DEP_2)
	v_fma_f64 v[16:17], v[2:3], v[20:21], -v[16:17]
	v_mul_f64_e32 v[2:3], v[2:3], v[22:23]
	v_add_f64_e32 v[24:25], v[24:25], v[16:17]
	s_delay_alu instid0(VALU_DEP_2) | instskip(NEXT) | instid1(VALU_DEP_1)
	v_fma_f64 v[2:3], v[4:5], v[20:21], v[2:3]
	v_add_f64_e32 v[26:27], v[2:3], v[26:27]
	ds_load_b128 v[2:5], v39 offset:96
	ds_load_b128 v[16:19], v31 offset:3072
	s_wait_dscnt 0x0
	v_mul_f64_e32 v[20:21], v[4:5], v[18:19]
	v_mul_f64_e32 v[22:23], v[2:3], v[18:19]
	s_delay_alu instid0(VALU_DEP_2) | instskip(NEXT) | instid1(VALU_DEP_2)
	v_fma_f64 v[20:21], v[2:3], v[16:17], -v[20:21]
	v_fma_f64 v[22:23], v[4:5], v[16:17], v[22:23]
	s_delay_alu instid0(VALU_DEP_2) | instskip(NEXT) | instid1(VALU_DEP_2)
	v_add_f64_e32 v[52:53], v[52:53], v[20:21]
	v_add_f64_e32 v[28:29], v[22:23], v[28:29]
	ds_load_b128 v[20:23], v31 offset:3328
	s_wait_dscnt 0x0
	v_mul_f64_e32 v[54:55], v[4:5], v[22:23]
	s_delay_alu instid0(VALU_DEP_1) | instskip(SKIP_1) | instid1(VALU_DEP_2)
	v_fma_f64 v[54:55], v[2:3], v[20:21], -v[54:55]
	v_mul_f64_e32 v[2:3], v[2:3], v[22:23]
	v_add_f64_e32 v[54:55], v[46:47], v[54:55]
	s_delay_alu instid0(VALU_DEP_2) | instskip(NEXT) | instid1(VALU_DEP_1)
	v_fma_f64 v[2:3], v[4:5], v[20:21], v[2:3]
	v_add_f64_e32 v[56:57], v[2:3], v[44:45]
	ds_load_b128 v[2:5], v39 offset:2144
	s_wait_dscnt 0x0
	v_mul_f64_e32 v[44:45], v[4:5], v[18:19]
	v_mul_f64_e32 v[18:19], v[2:3], v[18:19]
	s_delay_alu instid0(VALU_DEP_2) | instskip(NEXT) | instid1(VALU_DEP_2)
	v_fma_f64 v[44:45], v[2:3], v[16:17], -v[44:45]
	v_fma_f64 v[16:17], v[4:5], v[16:17], v[18:19]
	s_delay_alu instid0(VALU_DEP_2) | instskip(NEXT) | instid1(VALU_DEP_2)
	v_add_f64_e32 v[48:49], v[48:49], v[44:45]
	v_add_f64_e32 v[50:51], v[16:17], v[50:51]
	v_mul_f64_e32 v[16:17], v[4:5], v[22:23]
	s_delay_alu instid0(VALU_DEP_1) | instskip(SKIP_1) | instid1(VALU_DEP_2)
	v_fma_f64 v[16:17], v[2:3], v[20:21], -v[16:17]
	v_mul_f64_e32 v[2:3], v[2:3], v[22:23]
	v_add_f64_e32 v[58:59], v[24:25], v[16:17]
	s_delay_alu instid0(VALU_DEP_2)
	v_fma_f64 v[2:3], v[4:5], v[20:21], v[2:3]
	ds_load_b128 v[16:19], v39 offset:112
	ds_load_b128 v[20:23], v31 offset:3584
	;; [unrolled: 1-line block ×3, first 2 shown]
	s_wait_dscnt 0x1
	v_mul_f64_e32 v[24:25], v[16:17], v[22:23]
	v_mul_f64_e32 v[4:5], v[18:19], v[22:23]
	v_add_f64_e32 v[2:3], v[2:3], v[26:27]
	s_delay_alu instid0(VALU_DEP_3) | instskip(NEXT) | instid1(VALU_DEP_3)
	v_fma_f64 v[24:25], v[18:19], v[20:21], v[24:25]
	v_fma_f64 v[4:5], v[16:17], v[20:21], -v[4:5]
	s_delay_alu instid0(VALU_DEP_2) | instskip(SKIP_2) | instid1(VALU_DEP_3)
	v_add_f64_e32 v[28:29], v[24:25], v[28:29]
	s_wait_dscnt 0x0
	v_mul_f64_e32 v[24:25], v[18:19], v[46:47]
	v_add_f64_e32 v[4:5], v[52:53], v[4:5]
	s_delay_alu instid0(VALU_DEP_2) | instskip(SKIP_1) | instid1(VALU_DEP_2)
	v_fma_f64 v[24:25], v[16:17], v[44:45], -v[24:25]
	v_mul_f64_e32 v[16:17], v[16:17], v[46:47]
	v_add_f64_e32 v[24:25], v[54:55], v[24:25]
	s_delay_alu instid0(VALU_DEP_2) | instskip(NEXT) | instid1(VALU_DEP_1)
	v_fma_f64 v[16:17], v[18:19], v[44:45], v[16:17]
	v_add_f64_e32 v[26:27], v[16:17], v[56:57]
	ds_load_b128 v[16:19], v39 offset:2160
	s_wait_loadcnt_dscnt 0x0
	s_barrier_signal -1
	s_barrier_wait -1
	global_inv scope:SCOPE_SE
	v_mul_f64_e32 v[52:53], v[18:19], v[22:23]
	v_mul_f64_e32 v[22:23], v[16:17], v[22:23]
	s_delay_alu instid0(VALU_DEP_2) | instskip(NEXT) | instid1(VALU_DEP_2)
	v_fma_f64 v[52:53], v[16:17], v[20:21], -v[52:53]
	v_fma_f64 v[22:23], v[18:19], v[20:21], v[22:23]
	s_delay_alu instid0(VALU_DEP_2) | instskip(SKIP_1) | instid1(VALU_DEP_3)
	v_add_f64_e32 v[20:21], v[48:49], v[52:53]
	v_mul_f64_e32 v[48:49], v[18:19], v[46:47]
	v_add_f64_e32 v[22:23], v[22:23], v[50:51]
	s_delay_alu instid0(VALU_DEP_2) | instskip(SKIP_1) | instid1(VALU_DEP_1)
	v_fma_f64 v[48:49], v[16:17], v[44:45], -v[48:49]
	v_mul_f64_e32 v[16:17], v[16:17], v[46:47]
	v_fma_f64 v[16:17], v[18:19], v[44:45], v[16:17]
	s_delay_alu instid0(VALU_DEP_3) | instskip(NEXT) | instid1(VALU_DEP_2)
	v_add_f64_e32 v[18:19], v[58:59], v[48:49]
	v_add_f64_e32 v[16:17], v[16:17], v[2:3]
	s_wait_alu 0xfffe
	s_cbranch_vccz .LBB264_21
.LBB264_10:                             ;   Parent Loop BB264_7 Depth=1
                                        ; =>  This Inner Loop Header: Depth=2
	s_mov_b32 s18, 0
	s_mov_b32 s20, s10
	s_and_saveexec_b32 s19, s0
	s_cbranch_execnz .LBB264_18
; %bb.11:                               ;   in Loop: Header=BB264_10 Depth=2
	s_wait_alu 0xfffe
	s_or_b32 exec_lo, exec_lo, s19
	s_and_saveexec_b32 s19, s20
	s_wait_alu 0xfffe
	s_xor_b32 s19, exec_lo, s19
	s_cbranch_execnz .LBB264_19
.LBB264_12:                             ;   in Loop: Header=BB264_10 Depth=2
	s_wait_alu 0xfffe
	s_or_b32 exec_lo, exec_lo, s19
	s_and_saveexec_b32 s19, s18
	s_cbranch_execz .LBB264_14
.LBB264_13:                             ;   in Loop: Header=BB264_10 Depth=2
	v_lshlrev_b64_e32 v[2:3], 4, v[14:15]
	s_delay_alu instid0(VALU_DEP_1) | instskip(SKIP_1) | instid1(VALU_DEP_2)
	v_add_co_u32 v2, vcc_lo, v40, v2
	s_wait_alu 0xfffd
	v_add_co_ci_u32_e64 v3, null, v41, v3, vcc_lo
	global_load_b128 v[44:47], v[2:3], off
	s_wait_loadcnt 0x0
	ds_store_2addr_b64 v33, v[44:45], v[46:47] offset1:1
.LBB264_14:                             ;   in Loop: Header=BB264_10 Depth=2
	s_wait_alu 0xfffe
	s_or_b32 exec_lo, exec_lo, s19
	v_add_nc_u32_e32 v0, s2, v30
	s_delay_alu instid0(VALU_DEP_1)
	v_cmp_le_u64_e32 vcc_lo, s[8:9], v[0:1]
	s_or_b32 s18, vcc_lo, s4
	s_wait_alu 0xfffe
	s_and_saveexec_b32 s19, s18
	s_wait_alu 0xfffe
	s_xor_b32 s18, exec_lo, s19
; %bb.15:                               ;   in Loop: Header=BB264_10 Depth=2
	v_dual_mov_b32 v0, v1 :: v_dual_mov_b32 v3, v1
	v_mov_b32_e32 v2, v1
	ds_store_b128 v34, v[0:3]
; %bb.16:                               ;   in Loop: Header=BB264_10 Depth=2
	s_wait_alu 0xfffe
	s_and_not1_saveexec_b32 s18, s18
	s_cbranch_execz .LBB264_9
; %bb.17:                               ;   in Loop: Header=BB264_10 Depth=2
	v_lshlrev_b64_e32 v[2:3], 4, v[0:1]
	s_delay_alu instid0(VALU_DEP_1) | instskip(SKIP_1) | instid1(VALU_DEP_2)
	v_add_co_u32 v2, vcc_lo, v42, v2
	s_wait_alu 0xfffd
	v_add_co_ci_u32_e64 v3, null, v43, v3, vcc_lo
	global_load_b128 v[44:47], v[2:3], off
	s_wait_loadcnt 0x0
	ds_store_2addr_b64 v34, v[44:45], v[46:47] offset1:1
	s_branch .LBB264_9
.LBB264_18:                             ;   in Loop: Header=BB264_10 Depth=2
	s_wait_alu 0xfffe
	v_add_nc_u32_e32 v0, s2, v32
	v_mov_b32_e32 v15, v1
	s_and_not1_b32 s20, s10, exec_lo
	s_mov_b32 s18, exec_lo
	s_delay_alu instid0(VALU_DEP_2)
	v_cmp_le_u64_e32 vcc_lo, s[8:9], v[0:1]
	v_mov_b32_e32 v14, v0
	s_and_b32 s21, vcc_lo, exec_lo
	s_wait_alu 0xfffe
	s_or_b32 s20, s20, s21
	s_or_b32 exec_lo, exec_lo, s19
	s_wait_alu 0xfffe
	s_and_saveexec_b32 s19, s20
	s_wait_alu 0xfffe
	s_xor_b32 s19, exec_lo, s19
	s_cbranch_execz .LBB264_12
.LBB264_19:                             ;   in Loop: Header=BB264_10 Depth=2
	v_dual_mov_b32 v0, v1 :: v_dual_mov_b32 v3, v1
	v_mov_b32_e32 v2, v1
	s_and_not1_b32 s18, s18, exec_lo
	ds_store_b128 v33, v[0:3]
	s_wait_alu 0xfffe
	s_or_b32 exec_lo, exec_lo, s19
	s_and_saveexec_b32 s19, s18
	s_cbranch_execnz .LBB264_13
	s_branch .LBB264_14
.LBB264_20:                             ;   in Loop: Header=BB264_7 Depth=1
	v_mov_b32_e32 v28, 0
	v_mov_b32_e32 v26, 0
	v_dual_mov_b32 v22, 0 :: v_dual_mov_b32 v29, 0
	v_dual_mov_b32 v24, 0 :: v_dual_mov_b32 v27, 0
	;; [unrolled: 1-line block ×3, first 2 shown]
	v_mov_b32_e32 v18, 0
	v_dual_mov_b32 v16, 0 :: v_dual_mov_b32 v25, 0
	v_mov_b32_e32 v21, 0
	v_mov_b32_e32 v19, 0
	;; [unrolled: 1-line block ×3, first 2 shown]
.LBB264_21:                             ;   in Loop: Header=BB264_7 Depth=1
	s_mul_u64 s[2:3], s[30:31], s[6:7]
	s_wait_alu 0xfffe
	s_lshl_b64 s[2:3], s[2:3], 4
	s_wait_alu 0xfffe
	s_add_nc_u64 s[2:3], s[26:27], s[2:3]
	s_wait_alu 0xfffe
	v_add_co_u32 v0, vcc_lo, s2, v10
	s_wait_alu 0xfffd
	v_add_co_ci_u32_e64 v40, null, s3, v11, vcc_lo
	s_and_saveexec_b32 s18, s12
	s_cbranch_execz .LBB264_26
; %bb.22:                               ;   in Loop: Header=BB264_7 Depth=1
	v_mul_f64_e32 v[2:3], s[42:43], v[28:29]
	v_mul_f64_e32 v[28:29], s[40:41], v[28:29]
	s_and_b32 vcc_lo, exec_lo, s11
	s_mov_b32 s19, -1
	s_delay_alu instid0(VALU_DEP_2) | instskip(NEXT) | instid1(VALU_DEP_2)
	v_fma_f64 v[2:3], s[40:41], v[4:5], -v[2:3]
	v_fma_f64 v[4:5], s[42:43], v[4:5], v[28:29]
	s_wait_alu 0xfffe
	s_cbranch_vccz .LBB264_24
; %bb.23:                               ;   in Loop: Header=BB264_7 Depth=1
	v_lshlrev_b64_e32 v[28:29], 4, v[6:7]
	s_mov_b32 s19, 0
	s_delay_alu instid0(VALU_DEP_1) | instskip(SKIP_1) | instid1(VALU_DEP_2)
	v_add_co_u32 v28, vcc_lo, v0, v28
	s_wait_alu 0xfffd
	v_add_co_ci_u32_e64 v29, null, v40, v29, vcc_lo
	global_load_b128 v[41:44], v[28:29], off
	s_wait_loadcnt 0x0
	v_mul_f64_e32 v[45:46], s[38:39], v[43:44]
	v_mul_f64_e32 v[43:44], s[36:37], v[43:44]
	s_delay_alu instid0(VALU_DEP_2) | instskip(NEXT) | instid1(VALU_DEP_2)
	v_fma_f64 v[45:46], s[36:37], v[41:42], -v[45:46]
	v_fma_f64 v[43:44], s[38:39], v[41:42], v[43:44]
	s_delay_alu instid0(VALU_DEP_2) | instskip(NEXT) | instid1(VALU_DEP_2)
	v_add_f64_e32 v[41:42], v[2:3], v[45:46]
	v_add_f64_e32 v[43:44], v[4:5], v[43:44]
	global_store_b128 v[28:29], v[41:44], off
.LBB264_24:                             ;   in Loop: Header=BB264_7 Depth=1
	s_wait_alu 0xfffe
	s_and_not1_b32 vcc_lo, exec_lo, s19
	s_wait_alu 0xfffe
	s_cbranch_vccnz .LBB264_26
; %bb.25:                               ;   in Loop: Header=BB264_7 Depth=1
	v_lshlrev_b64_e32 v[28:29], 4, v[6:7]
	s_delay_alu instid0(VALU_DEP_1) | instskip(SKIP_1) | instid1(VALU_DEP_2)
	v_add_co_u32 v28, vcc_lo, v0, v28
	s_wait_alu 0xfffd
	v_add_co_ci_u32_e64 v29, null, v40, v29, vcc_lo
	global_store_b128 v[28:29], v[2:5], off
.LBB264_26:                             ;   in Loop: Header=BB264_7 Depth=1
	s_wait_alu 0xfffe
	s_or_b32 exec_lo, exec_lo, s18
	s_and_saveexec_b32 s18, s13
	s_cbranch_execz .LBB264_31
; %bb.27:                               ;   in Loop: Header=BB264_7 Depth=1
	v_mul_f64_e32 v[2:3], s[42:43], v[26:27]
	v_mul_f64_e32 v[4:5], s[40:41], v[26:27]
	s_and_not1_b32 vcc_lo, exec_lo, s11
	s_mov_b32 s19, -1
	s_delay_alu instid0(VALU_DEP_2) | instskip(NEXT) | instid1(VALU_DEP_2)
	v_fma_f64 v[2:3], s[40:41], v[24:25], -v[2:3]
	v_fma_f64 v[4:5], s[42:43], v[24:25], v[4:5]
	s_wait_alu 0xfffe
	s_cbranch_vccnz .LBB264_29
; %bb.28:                               ;   in Loop: Header=BB264_7 Depth=1
	v_lshlrev_b64_e32 v[24:25], 4, v[8:9]
	s_mov_b32 s19, 0
	s_delay_alu instid0(VALU_DEP_1) | instskip(SKIP_1) | instid1(VALU_DEP_2)
	v_add_co_u32 v28, vcc_lo, v0, v24
	s_wait_alu 0xfffd
	v_add_co_ci_u32_e64 v29, null, v40, v25, vcc_lo
	global_load_b128 v[24:27], v[28:29], off
	s_wait_loadcnt 0x0
	v_mul_f64_e32 v[41:42], s[38:39], v[26:27]
	v_mul_f64_e32 v[26:27], s[36:37], v[26:27]
	s_delay_alu instid0(VALU_DEP_2) | instskip(NEXT) | instid1(VALU_DEP_2)
	v_fma_f64 v[41:42], s[36:37], v[24:25], -v[41:42]
	v_fma_f64 v[26:27], s[38:39], v[24:25], v[26:27]
	s_delay_alu instid0(VALU_DEP_2) | instskip(NEXT) | instid1(VALU_DEP_2)
	v_add_f64_e32 v[24:25], v[2:3], v[41:42]
	v_add_f64_e32 v[26:27], v[4:5], v[26:27]
	global_store_b128 v[28:29], v[24:27], off
.LBB264_29:                             ;   in Loop: Header=BB264_7 Depth=1
	s_wait_alu 0xfffe
	s_and_not1_b32 vcc_lo, exec_lo, s19
	s_wait_alu 0xfffe
	s_cbranch_vccnz .LBB264_31
; %bb.30:                               ;   in Loop: Header=BB264_7 Depth=1
	v_lshlrev_b64_e32 v[24:25], 4, v[8:9]
	s_delay_alu instid0(VALU_DEP_1) | instskip(SKIP_1) | instid1(VALU_DEP_2)
	v_add_co_u32 v24, vcc_lo, v0, v24
	s_wait_alu 0xfffd
	v_add_co_ci_u32_e64 v25, null, v40, v25, vcc_lo
	global_store_b128 v[24:25], v[2:5], off
.LBB264_31:                             ;   in Loop: Header=BB264_7 Depth=1
	s_wait_alu 0xfffe
	s_or_b32 exec_lo, exec_lo, s18
	v_add_co_u32 v0, vcc_lo, s2, v12
	s_wait_alu 0xfffd
	v_add_co_ci_u32_e64 v24, null, s3, v13, vcc_lo
	s_and_saveexec_b32 s2, s14
	s_cbranch_execz .LBB264_36
; %bb.32:                               ;   in Loop: Header=BB264_7 Depth=1
	v_mul_f64_e32 v[2:3], s[42:43], v[22:23]
	v_mul_f64_e32 v[4:5], s[40:41], v[22:23]
	s_and_not1_b32 vcc_lo, exec_lo, s11
	s_mov_b32 s3, -1
	s_delay_alu instid0(VALU_DEP_2) | instskip(NEXT) | instid1(VALU_DEP_2)
	v_fma_f64 v[2:3], s[40:41], v[20:21], -v[2:3]
	v_fma_f64 v[4:5], s[42:43], v[20:21], v[4:5]
	v_lshlrev_b64_e32 v[20:21], 4, v[6:7]
	s_wait_alu 0xfffe
	s_cbranch_vccnz .LBB264_34
; %bb.33:                               ;   in Loop: Header=BB264_7 Depth=1
	s_delay_alu instid0(VALU_DEP_1) | instskip(SKIP_1) | instid1(VALU_DEP_2)
	v_add_co_u32 v22, vcc_lo, v0, v20
	s_wait_alu 0xfffd
	v_add_co_ci_u32_e64 v23, null, v24, v21, vcc_lo
	s_mov_b32 s3, 0
	global_load_b128 v[25:28], v[22:23], off
	s_wait_loadcnt 0x0
	v_mul_f64_e32 v[40:41], s[38:39], v[27:28]
	v_mul_f64_e32 v[27:28], s[36:37], v[27:28]
	s_delay_alu instid0(VALU_DEP_2) | instskip(NEXT) | instid1(VALU_DEP_2)
	v_fma_f64 v[40:41], s[36:37], v[25:26], -v[40:41]
	v_fma_f64 v[27:28], s[38:39], v[25:26], v[27:28]
	s_delay_alu instid0(VALU_DEP_2) | instskip(NEXT) | instid1(VALU_DEP_2)
	v_add_f64_e32 v[25:26], v[2:3], v[40:41]
	v_add_f64_e32 v[27:28], v[4:5], v[27:28]
	global_store_b128 v[22:23], v[25:28], off
.LBB264_34:                             ;   in Loop: Header=BB264_7 Depth=1
	s_wait_alu 0xfffe
	s_and_not1_b32 vcc_lo, exec_lo, s3
	s_wait_alu 0xfffe
	s_cbranch_vccnz .LBB264_36
; %bb.35:                               ;   in Loop: Header=BB264_7 Depth=1
	v_add_co_u32 v20, vcc_lo, v0, v20
	s_wait_alu 0xfffd
	v_add_co_ci_u32_e64 v21, null, v24, v21, vcc_lo
	global_store_b128 v[20:21], v[2:5], off
.LBB264_36:                             ;   in Loop: Header=BB264_7 Depth=1
	s_wait_alu 0xfffe
	s_or_b32 exec_lo, exec_lo, s2
	s_and_saveexec_b32 s2, s1
	s_cbranch_execz .LBB264_6
; %bb.37:                               ;   in Loop: Header=BB264_7 Depth=1
	v_mul_f64_e32 v[2:3], s[42:43], v[16:17]
	v_mul_f64_e32 v[4:5], s[40:41], v[16:17]
	v_lshlrev_b64_e32 v[16:17], 4, v[8:9]
	s_and_not1_b32 vcc_lo, exec_lo, s11
	s_mov_b32 s3, -1
	s_delay_alu instid0(VALU_DEP_3) | instskip(NEXT) | instid1(VALU_DEP_3)
	v_fma_f64 v[2:3], s[40:41], v[18:19], -v[2:3]
	v_fma_f64 v[4:5], s[42:43], v[18:19], v[4:5]
	s_wait_alu 0xfffe
	s_cbranch_vccnz .LBB264_39
; %bb.38:                               ;   in Loop: Header=BB264_7 Depth=1
	v_add_co_u32 v22, vcc_lo, v0, v16
	s_wait_alu 0xfffd
	v_add_co_ci_u32_e64 v23, null, v24, v17, vcc_lo
	s_mov_b32 s3, 0
	global_load_b128 v[18:21], v[22:23], off
	s_wait_loadcnt 0x0
	v_mul_f64_e32 v[25:26], s[38:39], v[20:21]
	v_mul_f64_e32 v[20:21], s[36:37], v[20:21]
	s_delay_alu instid0(VALU_DEP_2) | instskip(NEXT) | instid1(VALU_DEP_2)
	v_fma_f64 v[25:26], s[36:37], v[18:19], -v[25:26]
	v_fma_f64 v[20:21], s[38:39], v[18:19], v[20:21]
	s_delay_alu instid0(VALU_DEP_2) | instskip(NEXT) | instid1(VALU_DEP_2)
	v_add_f64_e32 v[18:19], v[2:3], v[25:26]
	v_add_f64_e32 v[20:21], v[4:5], v[20:21]
	global_store_b128 v[22:23], v[18:21], off
.LBB264_39:                             ;   in Loop: Header=BB264_7 Depth=1
	s_wait_alu 0xfffe
	s_and_not1_b32 vcc_lo, exec_lo, s3
	s_wait_alu 0xfffe
	s_cbranch_vccnz .LBB264_6
; %bb.40:                               ;   in Loop: Header=BB264_7 Depth=1
	v_add_co_u32 v16, vcc_lo, v0, v16
	s_wait_alu 0xfffd
	v_add_co_ci_u32_e64 v17, null, v24, v17, vcc_lo
	global_store_b128 v[16:17], v[2:5], off
	s_branch .LBB264_6
.LBB264_41:
.LBB264_42:
	s_endpgm
	.section	.rodata,"a",@progbits
	.p2align	6, 0x0
	.amdhsa_kernel _ZL29rocblas_internal_gemmt_kernelIlLi16ELi32ELi8ELc84ELc78ELc76ELb0ELb0E19rocblas_complex_numIdEPKS1_S3_PS1_EviT_T9_T10_S5_lS7_S5_lS6_T11_S5_li
		.amdhsa_group_segment_fixed_size 8192
		.amdhsa_private_segment_fixed_size 0
		.amdhsa_kernarg_size 108
		.amdhsa_user_sgpr_count 2
		.amdhsa_user_sgpr_dispatch_ptr 0
		.amdhsa_user_sgpr_queue_ptr 0
		.amdhsa_user_sgpr_kernarg_segment_ptr 1
		.amdhsa_user_sgpr_dispatch_id 0
		.amdhsa_user_sgpr_private_segment_size 0
		.amdhsa_wavefront_size32 1
		.amdhsa_uses_dynamic_stack 0
		.amdhsa_enable_private_segment 0
		.amdhsa_system_sgpr_workgroup_id_x 1
		.amdhsa_system_sgpr_workgroup_id_y 1
		.amdhsa_system_sgpr_workgroup_id_z 1
		.amdhsa_system_sgpr_workgroup_info 0
		.amdhsa_system_vgpr_workitem_id 1
		.amdhsa_next_free_vgpr 68
		.amdhsa_next_free_sgpr 44
		.amdhsa_reserve_vcc 1
		.amdhsa_float_round_mode_32 0
		.amdhsa_float_round_mode_16_64 0
		.amdhsa_float_denorm_mode_32 3
		.amdhsa_float_denorm_mode_16_64 3
		.amdhsa_fp16_overflow 0
		.amdhsa_workgroup_processor_mode 1
		.amdhsa_memory_ordered 1
		.amdhsa_forward_progress 1
		.amdhsa_inst_pref_size 31
		.amdhsa_round_robin_scheduling 0
		.amdhsa_exception_fp_ieee_invalid_op 0
		.amdhsa_exception_fp_denorm_src 0
		.amdhsa_exception_fp_ieee_div_zero 0
		.amdhsa_exception_fp_ieee_overflow 0
		.amdhsa_exception_fp_ieee_underflow 0
		.amdhsa_exception_fp_ieee_inexact 0
		.amdhsa_exception_int_div_zero 0
	.end_amdhsa_kernel
	.section	.text._ZL29rocblas_internal_gemmt_kernelIlLi16ELi32ELi8ELc84ELc78ELc76ELb0ELb0E19rocblas_complex_numIdEPKS1_S3_PS1_EviT_T9_T10_S5_lS7_S5_lS6_T11_S5_li,"axG",@progbits,_ZL29rocblas_internal_gemmt_kernelIlLi16ELi32ELi8ELc84ELc78ELc76ELb0ELb0E19rocblas_complex_numIdEPKS1_S3_PS1_EviT_T9_T10_S5_lS7_S5_lS6_T11_S5_li,comdat
.Lfunc_end264:
	.size	_ZL29rocblas_internal_gemmt_kernelIlLi16ELi32ELi8ELc84ELc78ELc76ELb0ELb0E19rocblas_complex_numIdEPKS1_S3_PS1_EviT_T9_T10_S5_lS7_S5_lS6_T11_S5_li, .Lfunc_end264-_ZL29rocblas_internal_gemmt_kernelIlLi16ELi32ELi8ELc84ELc78ELc76ELb0ELb0E19rocblas_complex_numIdEPKS1_S3_PS1_EviT_T9_T10_S5_lS7_S5_lS6_T11_S5_li
                                        ; -- End function
	.set _ZL29rocblas_internal_gemmt_kernelIlLi16ELi32ELi8ELc84ELc78ELc76ELb0ELb0E19rocblas_complex_numIdEPKS1_S3_PS1_EviT_T9_T10_S5_lS7_S5_lS6_T11_S5_li.num_vgpr, 68
	.set _ZL29rocblas_internal_gemmt_kernelIlLi16ELi32ELi8ELc84ELc78ELc76ELb0ELb0E19rocblas_complex_numIdEPKS1_S3_PS1_EviT_T9_T10_S5_lS7_S5_lS6_T11_S5_li.num_agpr, 0
	.set _ZL29rocblas_internal_gemmt_kernelIlLi16ELi32ELi8ELc84ELc78ELc76ELb0ELb0E19rocblas_complex_numIdEPKS1_S3_PS1_EviT_T9_T10_S5_lS7_S5_lS6_T11_S5_li.numbered_sgpr, 44
	.set _ZL29rocblas_internal_gemmt_kernelIlLi16ELi32ELi8ELc84ELc78ELc76ELb0ELb0E19rocblas_complex_numIdEPKS1_S3_PS1_EviT_T9_T10_S5_lS7_S5_lS6_T11_S5_li.num_named_barrier, 0
	.set _ZL29rocblas_internal_gemmt_kernelIlLi16ELi32ELi8ELc84ELc78ELc76ELb0ELb0E19rocblas_complex_numIdEPKS1_S3_PS1_EviT_T9_T10_S5_lS7_S5_lS6_T11_S5_li.private_seg_size, 0
	.set _ZL29rocblas_internal_gemmt_kernelIlLi16ELi32ELi8ELc84ELc78ELc76ELb0ELb0E19rocblas_complex_numIdEPKS1_S3_PS1_EviT_T9_T10_S5_lS7_S5_lS6_T11_S5_li.uses_vcc, 1
	.set _ZL29rocblas_internal_gemmt_kernelIlLi16ELi32ELi8ELc84ELc78ELc76ELb0ELb0E19rocblas_complex_numIdEPKS1_S3_PS1_EviT_T9_T10_S5_lS7_S5_lS6_T11_S5_li.uses_flat_scratch, 0
	.set _ZL29rocblas_internal_gemmt_kernelIlLi16ELi32ELi8ELc84ELc78ELc76ELb0ELb0E19rocblas_complex_numIdEPKS1_S3_PS1_EviT_T9_T10_S5_lS7_S5_lS6_T11_S5_li.has_dyn_sized_stack, 0
	.set _ZL29rocblas_internal_gemmt_kernelIlLi16ELi32ELi8ELc84ELc78ELc76ELb0ELb0E19rocblas_complex_numIdEPKS1_S3_PS1_EviT_T9_T10_S5_lS7_S5_lS6_T11_S5_li.has_recursion, 0
	.set _ZL29rocblas_internal_gemmt_kernelIlLi16ELi32ELi8ELc84ELc78ELc76ELb0ELb0E19rocblas_complex_numIdEPKS1_S3_PS1_EviT_T9_T10_S5_lS7_S5_lS6_T11_S5_li.has_indirect_call, 0
	.section	.AMDGPU.csdata,"",@progbits
; Kernel info:
; codeLenInByte = 3844
; TotalNumSgprs: 46
; NumVgprs: 68
; ScratchSize: 0
; MemoryBound: 0
; FloatMode: 240
; IeeeMode: 1
; LDSByteSize: 8192 bytes/workgroup (compile time only)
; SGPRBlocks: 0
; VGPRBlocks: 8
; NumSGPRsForWavesPerEU: 46
; NumVGPRsForWavesPerEU: 68
; Occupancy: 16
; WaveLimiterHint : 0
; COMPUTE_PGM_RSRC2:SCRATCH_EN: 0
; COMPUTE_PGM_RSRC2:USER_SGPR: 2
; COMPUTE_PGM_RSRC2:TRAP_HANDLER: 0
; COMPUTE_PGM_RSRC2:TGID_X_EN: 1
; COMPUTE_PGM_RSRC2:TGID_Y_EN: 1
; COMPUTE_PGM_RSRC2:TGID_Z_EN: 1
; COMPUTE_PGM_RSRC2:TIDIG_COMP_CNT: 1
	.section	.text._ZL29rocblas_internal_gemmt_kernelIlLi16ELi32ELi8ELc84ELc84ELc76ELb0ELb0E19rocblas_complex_numIdEPKS1_S3_PS1_EviT_T9_T10_S5_lS7_S5_lS6_T11_S5_li,"axG",@progbits,_ZL29rocblas_internal_gemmt_kernelIlLi16ELi32ELi8ELc84ELc84ELc76ELb0ELb0E19rocblas_complex_numIdEPKS1_S3_PS1_EviT_T9_T10_S5_lS7_S5_lS6_T11_S5_li,comdat
	.globl	_ZL29rocblas_internal_gemmt_kernelIlLi16ELi32ELi8ELc84ELc84ELc76ELb0ELb0E19rocblas_complex_numIdEPKS1_S3_PS1_EviT_T9_T10_S5_lS7_S5_lS6_T11_S5_li ; -- Begin function _ZL29rocblas_internal_gemmt_kernelIlLi16ELi32ELi8ELc84ELc84ELc76ELb0ELb0E19rocblas_complex_numIdEPKS1_S3_PS1_EviT_T9_T10_S5_lS7_S5_lS6_T11_S5_li
	.p2align	8
	.type	_ZL29rocblas_internal_gemmt_kernelIlLi16ELi32ELi8ELc84ELc84ELc76ELb0ELb0E19rocblas_complex_numIdEPKS1_S3_PS1_EviT_T9_T10_S5_lS7_S5_lS6_T11_S5_li,@function
_ZL29rocblas_internal_gemmt_kernelIlLi16ELi32ELi8ELc84ELc84ELc76ELb0ELb0E19rocblas_complex_numIdEPKS1_S3_PS1_EviT_T9_T10_S5_lS7_S5_lS6_T11_S5_li: ; @_ZL29rocblas_internal_gemmt_kernelIlLi16ELi32ELi8ELc84ELc84ELc76ELb0ELb0E19rocblas_complex_numIdEPKS1_S3_PS1_EviT_T9_T10_S5_lS7_S5_lS6_T11_S5_li
; %bb.0:
	s_clause 0x1
	s_load_b256 s[24:31], s[0:1], 0x48
	s_load_b512 s[8:23], s[0:1], 0x8
	s_wait_kmcnt 0x0
	s_load_b128 s[36:39], s[24:25], 0x0
	s_load_b128 s[40:43], s[10:11], 0x0
	s_wait_kmcnt 0x0
	v_cmp_eq_f64_e64 s3, s[36:37], 1.0
	v_cmp_eq_f64_e64 s2, s[38:39], 0
	s_and_b32 s3, s3, s2
	s_delay_alu instid0(SALU_CYCLE_1)
	s_and_not1_b32 vcc_lo, exec_lo, s3
	s_mov_b32 s3, -1
	s_cbranch_vccnz .LBB265_3
; %bb.1:
	s_cmp_lg_u64 s[8:9], 0
	s_cbranch_scc0 .LBB265_41
; %bb.2:
	v_cmp_neq_f64_e64 s3, s[40:41], 0
	v_cmp_neq_f64_e64 s4, s[42:43], 0
	s_or_b32 s3, s3, s4
.LBB265_3:
	s_delay_alu instid0(SALU_CYCLE_1)
	s_and_b32 vcc_lo, exec_lo, s3
	s_cbranch_vccz .LBB265_42
; %bb.4:
	s_load_b32 s5, s[0:1], 0x68
	s_lshr_b32 s6, ttmp7, 16
	s_wait_kmcnt 0x0
	s_cmp_ge_u32 s6, s5
	s_cbranch_scc1 .LBB265_42
; %bb.5:
	v_dual_mov_b32 v1, 0 :: v_dual_and_b32 v6, 0x3ff, v0
	v_bfe_u32 v7, v0, 10, 10
	v_and_b32_e32 v30, 7, v0
	s_lshl_b32 s11, ttmp9, 5
	s_load_b32 s7, s[0:1], 0x0
	s_ashr_i32 s1, s11, 31
	v_lshl_add_u32 v4, v7, 4, v6
	s_mul_i32 s1, s14, s1
	v_cmp_neq_f64_e64 s25, s[36:37], 0
	s_lshl_b32 s0, ttmp7, 5
	v_cmp_neq_f64_e64 s3, s[40:41], 0
	v_and_b32_e32 v0, 31, v4
	s_and_b32 s0, s0, 0x1fffe0
	v_lshrrev_b32_e32 v9, 3, v4
	v_add_nc_u32_e32 v11, s0, v7
	v_lshrrev_b32_e32 v31, 5, v4
	v_or_b32_e32 v5, s11, v0
	v_lshlrev_b32_e32 v0, 4, v0
	v_add_nc_u32_e32 v4, s0, v9
	v_cmp_neq_f64_e64 s4, s[42:43], 0
	v_lshlrev_b32_e32 v10, 4, v30
	v_mul_lo_u32 v8, s15, v5
	v_mad_co_u64_u32 v[2:3], null, s14, v5, 0
	v_lshl_or_b32 v32, v31, 9, v0
	v_lshlrev_b32_e32 v0, 4, v4
	s_wait_kmcnt 0x0
	v_cmp_gt_i32_e64 s0, s7, v5
	v_cmp_le_i32_e64 s10, s7, v5
	v_cmp_gt_i32_e32 vcc_lo, s7, v4
	v_lshl_add_u32 v39, v7, 7, 0x1000
	v_add3_u32 v3, v3, s1, v8
	v_lshl_or_b32 v8, v9, 7, v10
	v_lshlrev_b32_e32 v38, 4, v6
	v_add_nc_u32_e32 v6, s11, v6
	v_cmp_gt_i64_e64 s24, s[8:9], 0
	v_lshlrev_b64_e32 v[2:3], 4, v[2:3]
                                        ; implicit-def: $vgpr14_vgpr15
	s_delay_alu instid0(VALU_DEP_1) | instskip(SKIP_1) | instid1(VALU_DEP_2)
	v_add_co_u32 v34, s1, s12, v2
	s_wait_alu 0xf1ff
	v_add_co_ci_u32_e64 v35, null, s13, v3, s1
	v_mad_co_u64_u32 v[2:3], null, s28, v11, 0
	v_add_co_u32 v36, s1, s18, v0
	s_wait_alu 0xf1ff
	v_add_co_ci_u32_e64 v37, null, s19, 0, s1
	s_xor_b32 s1, s2, -1
	v_cmp_gt_i32_e64 s2, s7, v6
	v_mov_b32_e32 v0, v3
	v_add_nc_u32_e32 v12, 16, v11
	s_wait_alu 0xfffe
	s_or_b32 s11, s25, s1
	v_cmp_le_i32_e64 s1, v11, v6
	s_or_b32 s15, s3, s4
	v_mad_co_u64_u32 v[4:5], null, s28, v12, 0
	v_add_nc_u32_e32 v33, 0x1000, v8
	v_mad_co_u64_u32 v[7:8], null, s29, v11, v[0:1]
	v_add_nc_u32_e32 v8, 16, v6
	s_and_b32 s12, s1, s2
	v_cmp_le_i32_e64 s1, v12, v6
	v_mov_b32_e32 v0, v5
	s_wait_alu 0xfffe
	s_and_b32 s15, s15, s24
	v_cmp_le_i32_e64 s3, v11, v8
	v_mov_b32_e32 v3, v7
	v_cmp_gt_i32_e64 s4, s7, v8
	v_mad_co_u64_u32 v[9:10], null, s29, v12, v[0:1]
	s_and_b32 s14, s1, s2
	v_cmp_le_i32_e64 s1, v12, v8
	v_lshlrev_b64_e32 v[10:11], 4, v[2:3]
	v_ashrrev_i32_e32 v7, 31, v6
	s_and_b32 s13, s3, s4
	s_mov_b32 s7, 0
	v_mov_b32_e32 v5, v9
	v_ashrrev_i32_e32 v9, 31, v8
	s_and_b32 s1, s1, s4
	s_xor_b32 s4, vcc_lo, -1
	s_delay_alu instid0(VALU_DEP_2)
	v_lshlrev_b64_e32 v[12:13], 4, v[4:5]
	s_branch .LBB265_7
.LBB265_6:                              ;   in Loop: Header=BB265_7 Depth=1
	s_wait_alu 0xfffe
	s_or_b32 exec_lo, exec_lo, s2
	s_add_co_i32 s6, s6, 0x10000
	s_wait_alu 0xfffe
	s_cmp_lt_u32 s6, s5
	s_cbranch_scc0 .LBB265_42
.LBB265_7:                              ; =>This Loop Header: Depth=1
                                        ;     Child Loop BB265_10 Depth 2
	v_mov_b32_e32 v4, 0
	v_mov_b32_e32 v5, 0
	s_wait_alu 0xfffe
	s_and_not1_b32 vcc_lo, exec_lo, s15
	s_wait_alu 0xfffe
	s_cbranch_vccnz .LBB265_20
; %bb.8:                                ;   in Loop: Header=BB265_7 Depth=1
	s_mul_u64 s[2:3], s[16:17], s[6:7]
	s_mul_u64 s[18:19], s[22:23], s[6:7]
	s_wait_alu 0xfffe
	s_lshl_b64 s[2:3], s[2:3], 4
	v_mov_b32_e32 v16, 0
	s_wait_alu 0xfffe
	v_add_co_u32 v40, vcc_lo, v34, s2
	s_wait_alu 0xfffd
	v_add_co_ci_u32_e64 v41, null, s3, v35, vcc_lo
	s_lshl_b64 s[2:3], s[18:19], 4
	v_mov_b32_e32 v22, 0
	v_mov_b32_e32 v26, 0
	;; [unrolled: 1-line block ×3, first 2 shown]
	s_wait_alu 0xfffe
	v_add_co_u32 v42, vcc_lo, v36, s2
	v_dual_mov_b32 v17, 0 :: v_dual_mov_b32 v18, 0
	v_dual_mov_b32 v23, 0 :: v_dual_mov_b32 v20, 0
	;; [unrolled: 1-line block ×4, first 2 shown]
	v_mov_b32_e32 v19, 0
	v_mov_b32_e32 v21, 0
	;; [unrolled: 1-line block ×4, first 2 shown]
	s_wait_alu 0xfffd
	v_add_co_ci_u32_e64 v43, null, s3, v37, vcc_lo
	s_mov_b64 s[2:3], 0
	s_branch .LBB265_10
.LBB265_9:                              ;   in Loop: Header=BB265_10 Depth=2
	s_wait_alu 0xfffe
	s_or_b32 exec_lo, exec_lo, s18
	s_wait_dscnt 0x0
	s_barrier_signal -1
	s_barrier_wait -1
	global_inv scope:SCOPE_SE
	ds_load_b128 v[44:47], v39
	ds_load_b128 v[48:51], v39 offset:16
	ds_load_b128 v[52:55], v39 offset:32
	;; [unrolled: 1-line block ×3, first 2 shown]
	ds_load_b128 v[60:63], v38
	s_add_nc_u64 s[2:3], s[2:3], 8
	s_wait_alu 0xfffe
	v_cmp_gt_i64_e64 s18, s[8:9], s[2:3]
	s_and_b32 vcc_lo, exec_lo, s18
	s_wait_dscnt 0x0
	v_mul_f64_e32 v[2:3], v[46:47], v[62:63]
	v_mul_f64_e32 v[64:65], v[44:45], v[62:63]
	s_delay_alu instid0(VALU_DEP_2) | instskip(NEXT) | instid1(VALU_DEP_2)
	v_fma_f64 v[2:3], v[44:45], v[60:61], -v[2:3]
	v_fma_f64 v[64:65], v[46:47], v[60:61], v[64:65]
	s_delay_alu instid0(VALU_DEP_2) | instskip(SKIP_4) | instid1(VALU_DEP_1)
	v_add_f64_e32 v[66:67], v[4:5], v[2:3]
	ds_load_b128 v[2:5], v38 offset:256
	v_add_f64_e32 v[28:29], v[64:65], v[28:29]
	s_wait_dscnt 0x0
	v_mul_f64_e32 v[64:65], v[46:47], v[4:5]
	v_fma_f64 v[64:65], v[44:45], v[2:3], -v[64:65]
	v_mul_f64_e32 v[44:45], v[44:45], v[4:5]
	s_delay_alu instid0(VALU_DEP_1) | instskip(NEXT) | instid1(VALU_DEP_3)
	v_fma_f64 v[44:45], v[46:47], v[2:3], v[44:45]
	v_add_f64_e32 v[46:47], v[24:25], v[64:65]
	s_delay_alu instid0(VALU_DEP_2) | instskip(SKIP_4) | instid1(VALU_DEP_2)
	v_add_f64_e32 v[44:45], v[44:45], v[26:27]
	ds_load_b128 v[24:27], v39 offset:2048
	s_wait_dscnt 0x0
	v_mul_f64_e32 v[64:65], v[26:27], v[62:63]
	v_mul_f64_e32 v[62:63], v[24:25], v[62:63]
	v_fma_f64 v[64:65], v[24:25], v[60:61], -v[64:65]
	s_delay_alu instid0(VALU_DEP_2) | instskip(NEXT) | instid1(VALU_DEP_2)
	v_fma_f64 v[60:61], v[26:27], v[60:61], v[62:63]
	v_add_f64_e32 v[62:63], v[20:21], v[64:65]
	v_mul_f64_e32 v[20:21], v[26:27], v[4:5]
	v_mul_f64_e32 v[4:5], v[24:25], v[4:5]
	s_delay_alu instid0(VALU_DEP_4) | instskip(NEXT) | instid1(VALU_DEP_3)
	v_add_f64_e32 v[60:61], v[60:61], v[22:23]
	v_fma_f64 v[20:21], v[24:25], v[2:3], -v[20:21]
	s_delay_alu instid0(VALU_DEP_3) | instskip(NEXT) | instid1(VALU_DEP_2)
	v_fma_f64 v[2:3], v[26:27], v[2:3], v[4:5]
	v_add_f64_e32 v[24:25], v[18:19], v[20:21]
	s_delay_alu instid0(VALU_DEP_2) | instskip(SKIP_4) | instid1(VALU_DEP_2)
	v_add_f64_e32 v[26:27], v[2:3], v[16:17]
	ds_load_b128 v[2:5], v38 offset:512
	s_wait_dscnt 0x0
	v_mul_f64_e32 v[16:17], v[50:51], v[4:5]
	v_mul_f64_e32 v[18:19], v[48:49], v[4:5]
	v_fma_f64 v[16:17], v[48:49], v[2:3], -v[16:17]
	s_delay_alu instid0(VALU_DEP_2) | instskip(NEXT) | instid1(VALU_DEP_2)
	v_fma_f64 v[18:19], v[50:51], v[2:3], v[18:19]
	v_add_f64_e32 v[64:65], v[66:67], v[16:17]
	s_delay_alu instid0(VALU_DEP_2) | instskip(SKIP_4) | instid1(VALU_DEP_2)
	v_add_f64_e32 v[28:29], v[18:19], v[28:29]
	ds_load_b128 v[16:19], v38 offset:768
	s_wait_dscnt 0x0
	v_mul_f64_e32 v[20:21], v[50:51], v[18:19]
	v_mul_f64_e32 v[22:23], v[48:49], v[18:19]
	v_fma_f64 v[20:21], v[48:49], v[16:17], -v[20:21]
	s_delay_alu instid0(VALU_DEP_2) | instskip(NEXT) | instid1(VALU_DEP_2)
	v_fma_f64 v[22:23], v[50:51], v[16:17], v[22:23]
	v_add_f64_e32 v[46:47], v[46:47], v[20:21]
	s_delay_alu instid0(VALU_DEP_2) | instskip(SKIP_4) | instid1(VALU_DEP_2)
	v_add_f64_e32 v[44:45], v[22:23], v[44:45]
	ds_load_b128 v[20:23], v39 offset:2064
	s_wait_dscnt 0x0
	v_mul_f64_e32 v[48:49], v[22:23], v[4:5]
	v_mul_f64_e32 v[4:5], v[20:21], v[4:5]
	v_fma_f64 v[48:49], v[20:21], v[2:3], -v[48:49]
	s_delay_alu instid0(VALU_DEP_2) | instskip(SKIP_1) | instid1(VALU_DEP_3)
	v_fma_f64 v[2:3], v[22:23], v[2:3], v[4:5]
	v_mul_f64_e32 v[4:5], v[20:21], v[18:19]
	v_add_f64_e32 v[48:49], v[62:63], v[48:49]
	s_delay_alu instid0(VALU_DEP_3) | instskip(SKIP_1) | instid1(VALU_DEP_4)
	v_add_f64_e32 v[50:51], v[2:3], v[60:61]
	v_mul_f64_e32 v[2:3], v[22:23], v[18:19]
	v_fma_f64 v[4:5], v[22:23], v[16:17], v[4:5]
	s_delay_alu instid0(VALU_DEP_2) | instskip(NEXT) | instid1(VALU_DEP_2)
	v_fma_f64 v[2:3], v[20:21], v[16:17], -v[2:3]
	v_add_f64_e32 v[26:27], v[4:5], v[26:27]
	s_delay_alu instid0(VALU_DEP_2) | instskip(SKIP_4) | instid1(VALU_DEP_2)
	v_add_f64_e32 v[24:25], v[24:25], v[2:3]
	ds_load_b128 v[2:5], v38 offset:1024
	s_wait_dscnt 0x0
	v_mul_f64_e32 v[16:17], v[54:55], v[4:5]
	v_mul_f64_e32 v[18:19], v[52:53], v[4:5]
	v_fma_f64 v[16:17], v[52:53], v[2:3], -v[16:17]
	s_delay_alu instid0(VALU_DEP_2) | instskip(NEXT) | instid1(VALU_DEP_2)
	v_fma_f64 v[18:19], v[54:55], v[2:3], v[18:19]
	v_add_f64_e32 v[60:61], v[64:65], v[16:17]
	s_delay_alu instid0(VALU_DEP_2) | instskip(SKIP_4) | instid1(VALU_DEP_2)
	v_add_f64_e32 v[28:29], v[18:19], v[28:29]
	ds_load_b128 v[16:19], v38 offset:1280
	s_wait_dscnt 0x0
	v_mul_f64_e32 v[20:21], v[54:55], v[18:19]
	v_mul_f64_e32 v[22:23], v[52:53], v[18:19]
	v_fma_f64 v[20:21], v[52:53], v[16:17], -v[20:21]
	s_delay_alu instid0(VALU_DEP_2) | instskip(NEXT) | instid1(VALU_DEP_2)
	v_fma_f64 v[22:23], v[54:55], v[16:17], v[22:23]
	v_add_f64_e32 v[46:47], v[46:47], v[20:21]
	s_delay_alu instid0(VALU_DEP_2) | instskip(SKIP_4) | instid1(VALU_DEP_2)
	v_add_f64_e32 v[44:45], v[22:23], v[44:45]
	ds_load_b128 v[20:23], v39 offset:2080
	s_wait_dscnt 0x0
	v_mul_f64_e32 v[52:53], v[22:23], v[4:5]
	v_mul_f64_e32 v[4:5], v[20:21], v[4:5]
	v_fma_f64 v[52:53], v[20:21], v[2:3], -v[52:53]
	s_delay_alu instid0(VALU_DEP_2) | instskip(SKIP_1) | instid1(VALU_DEP_3)
	v_fma_f64 v[2:3], v[22:23], v[2:3], v[4:5]
	v_mul_f64_e32 v[4:5], v[20:21], v[18:19]
	v_add_f64_e32 v[48:49], v[48:49], v[52:53]
	s_delay_alu instid0(VALU_DEP_3) | instskip(SKIP_1) | instid1(VALU_DEP_4)
	v_add_f64_e32 v[50:51], v[2:3], v[50:51]
	v_mul_f64_e32 v[2:3], v[22:23], v[18:19]
	v_fma_f64 v[4:5], v[22:23], v[16:17], v[4:5]
	s_delay_alu instid0(VALU_DEP_2) | instskip(NEXT) | instid1(VALU_DEP_2)
	v_fma_f64 v[2:3], v[20:21], v[16:17], -v[2:3]
	;; [unrolled: 38-line block ×3, first 2 shown]
	v_add_f64_e32 v[26:27], v[4:5], v[26:27]
	s_delay_alu instid0(VALU_DEP_2)
	v_add_f64_e32 v[24:25], v[24:25], v[2:3]
	ds_load_b128 v[2:5], v39 offset:64
	ds_load_b128 v[16:19], v38 offset:2048
	s_wait_dscnt 0x0
	v_mul_f64_e32 v[20:21], v[4:5], v[18:19]
	v_mul_f64_e32 v[22:23], v[2:3], v[18:19]
	s_delay_alu instid0(VALU_DEP_2) | instskip(NEXT) | instid1(VALU_DEP_2)
	v_fma_f64 v[20:21], v[2:3], v[16:17], -v[20:21]
	v_fma_f64 v[22:23], v[4:5], v[16:17], v[22:23]
	s_delay_alu instid0(VALU_DEP_2) | instskip(NEXT) | instid1(VALU_DEP_2)
	v_add_f64_e32 v[52:53], v[52:53], v[20:21]
	v_add_f64_e32 v[28:29], v[22:23], v[28:29]
	ds_load_b128 v[20:23], v38 offset:2304
	s_wait_dscnt 0x0
	v_mul_f64_e32 v[54:55], v[4:5], v[22:23]
	s_delay_alu instid0(VALU_DEP_1) | instskip(SKIP_1) | instid1(VALU_DEP_2)
	v_fma_f64 v[54:55], v[2:3], v[20:21], -v[54:55]
	v_mul_f64_e32 v[2:3], v[2:3], v[22:23]
	v_add_f64_e32 v[46:47], v[46:47], v[54:55]
	s_delay_alu instid0(VALU_DEP_2) | instskip(NEXT) | instid1(VALU_DEP_1)
	v_fma_f64 v[2:3], v[4:5], v[20:21], v[2:3]
	v_add_f64_e32 v[44:45], v[2:3], v[44:45]
	ds_load_b128 v[2:5], v39 offset:2112
	s_wait_dscnt 0x0
	v_mul_f64_e32 v[54:55], v[4:5], v[18:19]
	v_mul_f64_e32 v[18:19], v[2:3], v[18:19]
	s_delay_alu instid0(VALU_DEP_2) | instskip(NEXT) | instid1(VALU_DEP_2)
	v_fma_f64 v[54:55], v[2:3], v[16:17], -v[54:55]
	v_fma_f64 v[16:17], v[4:5], v[16:17], v[18:19]
	s_delay_alu instid0(VALU_DEP_2) | instskip(NEXT) | instid1(VALU_DEP_2)
	v_add_f64_e32 v[48:49], v[48:49], v[54:55]
	v_add_f64_e32 v[50:51], v[16:17], v[50:51]
	v_mul_f64_e32 v[16:17], v[4:5], v[22:23]
	s_delay_alu instid0(VALU_DEP_1) | instskip(SKIP_1) | instid1(VALU_DEP_2)
	v_fma_f64 v[16:17], v[2:3], v[20:21], -v[16:17]
	v_mul_f64_e32 v[2:3], v[2:3], v[22:23]
	v_add_f64_e32 v[24:25], v[24:25], v[16:17]
	s_delay_alu instid0(VALU_DEP_2) | instskip(NEXT) | instid1(VALU_DEP_1)
	v_fma_f64 v[2:3], v[4:5], v[20:21], v[2:3]
	v_add_f64_e32 v[26:27], v[2:3], v[26:27]
	ds_load_b128 v[2:5], v39 offset:80
	ds_load_b128 v[16:19], v38 offset:2560
	s_wait_dscnt 0x0
	v_mul_f64_e32 v[20:21], v[4:5], v[18:19]
	v_mul_f64_e32 v[22:23], v[2:3], v[18:19]
	s_delay_alu instid0(VALU_DEP_2) | instskip(NEXT) | instid1(VALU_DEP_2)
	v_fma_f64 v[20:21], v[2:3], v[16:17], -v[20:21]
	v_fma_f64 v[22:23], v[4:5], v[16:17], v[22:23]
	s_delay_alu instid0(VALU_DEP_2) | instskip(NEXT) | instid1(VALU_DEP_2)
	v_add_f64_e32 v[52:53], v[52:53], v[20:21]
	v_add_f64_e32 v[28:29], v[22:23], v[28:29]
	ds_load_b128 v[20:23], v38 offset:2816
	s_wait_dscnt 0x0
	v_mul_f64_e32 v[54:55], v[4:5], v[22:23]
	s_delay_alu instid0(VALU_DEP_1) | instskip(SKIP_1) | instid1(VALU_DEP_2)
	v_fma_f64 v[54:55], v[2:3], v[20:21], -v[54:55]
	v_mul_f64_e32 v[2:3], v[2:3], v[22:23]
	v_add_f64_e32 v[46:47], v[46:47], v[54:55]
	s_delay_alu instid0(VALU_DEP_2) | instskip(NEXT) | instid1(VALU_DEP_1)
	v_fma_f64 v[2:3], v[4:5], v[20:21], v[2:3]
	v_add_f64_e32 v[44:45], v[2:3], v[44:45]
	ds_load_b128 v[2:5], v39 offset:2128
	s_wait_dscnt 0x0
	v_mul_f64_e32 v[54:55], v[4:5], v[18:19]
	v_mul_f64_e32 v[18:19], v[2:3], v[18:19]
	s_delay_alu instid0(VALU_DEP_2) | instskip(NEXT) | instid1(VALU_DEP_2)
	v_fma_f64 v[54:55], v[2:3], v[16:17], -v[54:55]
	v_fma_f64 v[16:17], v[4:5], v[16:17], v[18:19]
	s_delay_alu instid0(VALU_DEP_2) | instskip(NEXT) | instid1(VALU_DEP_2)
	v_add_f64_e32 v[48:49], v[48:49], v[54:55]
	v_add_f64_e32 v[50:51], v[16:17], v[50:51]
	v_mul_f64_e32 v[16:17], v[4:5], v[22:23]
	s_delay_alu instid0(VALU_DEP_1) | instskip(SKIP_1) | instid1(VALU_DEP_2)
	v_fma_f64 v[16:17], v[2:3], v[20:21], -v[16:17]
	v_mul_f64_e32 v[2:3], v[2:3], v[22:23]
	v_add_f64_e32 v[24:25], v[24:25], v[16:17]
	s_delay_alu instid0(VALU_DEP_2) | instskip(NEXT) | instid1(VALU_DEP_1)
	v_fma_f64 v[2:3], v[4:5], v[20:21], v[2:3]
	v_add_f64_e32 v[26:27], v[2:3], v[26:27]
	ds_load_b128 v[2:5], v39 offset:96
	ds_load_b128 v[16:19], v38 offset:3072
	s_wait_dscnt 0x0
	v_mul_f64_e32 v[20:21], v[4:5], v[18:19]
	v_mul_f64_e32 v[22:23], v[2:3], v[18:19]
	s_delay_alu instid0(VALU_DEP_2) | instskip(NEXT) | instid1(VALU_DEP_2)
	v_fma_f64 v[20:21], v[2:3], v[16:17], -v[20:21]
	v_fma_f64 v[22:23], v[4:5], v[16:17], v[22:23]
	s_delay_alu instid0(VALU_DEP_2) | instskip(NEXT) | instid1(VALU_DEP_2)
	v_add_f64_e32 v[52:53], v[52:53], v[20:21]
	v_add_f64_e32 v[28:29], v[22:23], v[28:29]
	ds_load_b128 v[20:23], v38 offset:3328
	s_wait_dscnt 0x0
	v_mul_f64_e32 v[54:55], v[4:5], v[22:23]
	s_delay_alu instid0(VALU_DEP_1) | instskip(SKIP_1) | instid1(VALU_DEP_2)
	v_fma_f64 v[54:55], v[2:3], v[20:21], -v[54:55]
	v_mul_f64_e32 v[2:3], v[2:3], v[22:23]
	v_add_f64_e32 v[54:55], v[46:47], v[54:55]
	s_delay_alu instid0(VALU_DEP_2) | instskip(NEXT) | instid1(VALU_DEP_1)
	v_fma_f64 v[2:3], v[4:5], v[20:21], v[2:3]
	v_add_f64_e32 v[56:57], v[2:3], v[44:45]
	ds_load_b128 v[2:5], v39 offset:2144
	s_wait_dscnt 0x0
	v_mul_f64_e32 v[44:45], v[4:5], v[18:19]
	v_mul_f64_e32 v[18:19], v[2:3], v[18:19]
	s_delay_alu instid0(VALU_DEP_2) | instskip(NEXT) | instid1(VALU_DEP_2)
	v_fma_f64 v[44:45], v[2:3], v[16:17], -v[44:45]
	v_fma_f64 v[16:17], v[4:5], v[16:17], v[18:19]
	s_delay_alu instid0(VALU_DEP_2) | instskip(NEXT) | instid1(VALU_DEP_2)
	v_add_f64_e32 v[48:49], v[48:49], v[44:45]
	v_add_f64_e32 v[50:51], v[16:17], v[50:51]
	v_mul_f64_e32 v[16:17], v[4:5], v[22:23]
	s_delay_alu instid0(VALU_DEP_1) | instskip(SKIP_1) | instid1(VALU_DEP_2)
	v_fma_f64 v[16:17], v[2:3], v[20:21], -v[16:17]
	v_mul_f64_e32 v[2:3], v[2:3], v[22:23]
	v_add_f64_e32 v[58:59], v[24:25], v[16:17]
	s_delay_alu instid0(VALU_DEP_2)
	v_fma_f64 v[2:3], v[4:5], v[20:21], v[2:3]
	ds_load_b128 v[16:19], v39 offset:112
	ds_load_b128 v[20:23], v38 offset:3584
	;; [unrolled: 1-line block ×3, first 2 shown]
	s_wait_dscnt 0x1
	v_mul_f64_e32 v[24:25], v[16:17], v[22:23]
	v_mul_f64_e32 v[4:5], v[18:19], v[22:23]
	v_add_f64_e32 v[2:3], v[2:3], v[26:27]
	s_delay_alu instid0(VALU_DEP_3) | instskip(NEXT) | instid1(VALU_DEP_3)
	v_fma_f64 v[24:25], v[18:19], v[20:21], v[24:25]
	v_fma_f64 v[4:5], v[16:17], v[20:21], -v[4:5]
	s_delay_alu instid0(VALU_DEP_2) | instskip(SKIP_2) | instid1(VALU_DEP_3)
	v_add_f64_e32 v[28:29], v[24:25], v[28:29]
	s_wait_dscnt 0x0
	v_mul_f64_e32 v[24:25], v[18:19], v[46:47]
	v_add_f64_e32 v[4:5], v[52:53], v[4:5]
	s_delay_alu instid0(VALU_DEP_2) | instskip(SKIP_1) | instid1(VALU_DEP_2)
	v_fma_f64 v[24:25], v[16:17], v[44:45], -v[24:25]
	v_mul_f64_e32 v[16:17], v[16:17], v[46:47]
	v_add_f64_e32 v[24:25], v[54:55], v[24:25]
	s_delay_alu instid0(VALU_DEP_2) | instskip(NEXT) | instid1(VALU_DEP_1)
	v_fma_f64 v[16:17], v[18:19], v[44:45], v[16:17]
	v_add_f64_e32 v[26:27], v[16:17], v[56:57]
	ds_load_b128 v[16:19], v39 offset:2160
	s_wait_loadcnt_dscnt 0x0
	s_barrier_signal -1
	s_barrier_wait -1
	global_inv scope:SCOPE_SE
	v_mul_f64_e32 v[52:53], v[18:19], v[22:23]
	v_mul_f64_e32 v[22:23], v[16:17], v[22:23]
	s_delay_alu instid0(VALU_DEP_2) | instskip(NEXT) | instid1(VALU_DEP_2)
	v_fma_f64 v[52:53], v[16:17], v[20:21], -v[52:53]
	v_fma_f64 v[22:23], v[18:19], v[20:21], v[22:23]
	s_delay_alu instid0(VALU_DEP_2) | instskip(SKIP_1) | instid1(VALU_DEP_3)
	v_add_f64_e32 v[20:21], v[48:49], v[52:53]
	v_mul_f64_e32 v[48:49], v[18:19], v[46:47]
	v_add_f64_e32 v[22:23], v[22:23], v[50:51]
	s_delay_alu instid0(VALU_DEP_2) | instskip(SKIP_1) | instid1(VALU_DEP_1)
	v_fma_f64 v[48:49], v[16:17], v[44:45], -v[48:49]
	v_mul_f64_e32 v[16:17], v[16:17], v[46:47]
	v_fma_f64 v[16:17], v[18:19], v[44:45], v[16:17]
	s_delay_alu instid0(VALU_DEP_3) | instskip(NEXT) | instid1(VALU_DEP_2)
	v_add_f64_e32 v[18:19], v[58:59], v[48:49]
	v_add_f64_e32 v[16:17], v[16:17], v[2:3]
	s_wait_alu 0xfffe
	s_cbranch_vccz .LBB265_21
.LBB265_10:                             ;   Parent Loop BB265_7 Depth=1
                                        ; =>  This Inner Loop Header: Depth=2
	s_mov_b32 s18, 0
	s_mov_b32 s24, s10
	s_and_saveexec_b32 s19, s0
	s_cbranch_execnz .LBB265_18
; %bb.11:                               ;   in Loop: Header=BB265_10 Depth=2
	s_wait_alu 0xfffe
	s_or_b32 exec_lo, exec_lo, s19
	s_and_saveexec_b32 s19, s24
	s_wait_alu 0xfffe
	s_xor_b32 s19, exec_lo, s19
	s_cbranch_execnz .LBB265_19
.LBB265_12:                             ;   in Loop: Header=BB265_10 Depth=2
	s_wait_alu 0xfffe
	s_or_b32 exec_lo, exec_lo, s19
	s_and_saveexec_b32 s19, s18
	s_cbranch_execz .LBB265_14
.LBB265_13:                             ;   in Loop: Header=BB265_10 Depth=2
	v_lshlrev_b64_e32 v[2:3], 4, v[14:15]
	s_delay_alu instid0(VALU_DEP_1) | instskip(SKIP_1) | instid1(VALU_DEP_2)
	v_add_co_u32 v2, vcc_lo, v40, v2
	s_wait_alu 0xfffd
	v_add_co_ci_u32_e64 v3, null, v41, v3, vcc_lo
	global_load_b128 v[44:47], v[2:3], off
	s_wait_loadcnt 0x0
	ds_store_2addr_b64 v32, v[44:45], v[46:47] offset1:1
.LBB265_14:                             ;   in Loop: Header=BB265_10 Depth=2
	s_wait_alu 0xfffe
	s_or_b32 exec_lo, exec_lo, s19
	v_add_nc_u32_e32 v0, s2, v30
	s_delay_alu instid0(VALU_DEP_1)
	v_cmp_le_u64_e32 vcc_lo, s[8:9], v[0:1]
	s_or_b32 s18, vcc_lo, s4
	s_wait_alu 0xfffe
	s_and_saveexec_b32 s19, s18
	s_wait_alu 0xfffe
	s_xor_b32 s18, exec_lo, s19
; %bb.15:                               ;   in Loop: Header=BB265_10 Depth=2
	v_dual_mov_b32 v0, v1 :: v_dual_mov_b32 v3, v1
	v_mov_b32_e32 v2, v1
	ds_store_b128 v33, v[0:3]
; %bb.16:                               ;   in Loop: Header=BB265_10 Depth=2
	s_wait_alu 0xfffe
	s_and_not1_saveexec_b32 s18, s18
	s_cbranch_execz .LBB265_9
; %bb.17:                               ;   in Loop: Header=BB265_10 Depth=2
	v_mad_co_u64_u32 v[2:3], null, s20, v0, 0
	s_delay_alu instid0(VALU_DEP_1) | instskip(NEXT) | instid1(VALU_DEP_1)
	v_mad_co_u64_u32 v[44:45], null, s21, v0, v[3:4]
	v_mov_b32_e32 v3, v44
	s_delay_alu instid0(VALU_DEP_1) | instskip(NEXT) | instid1(VALU_DEP_1)
	v_lshlrev_b64_e32 v[2:3], 4, v[2:3]
	v_add_co_u32 v2, vcc_lo, v42, v2
	s_wait_alu 0xfffd
	s_delay_alu instid0(VALU_DEP_2)
	v_add_co_ci_u32_e64 v3, null, v43, v3, vcc_lo
	global_load_b128 v[44:47], v[2:3], off
	s_wait_loadcnt 0x0
	ds_store_2addr_b64 v33, v[44:45], v[46:47] offset1:1
	s_branch .LBB265_9
.LBB265_18:                             ;   in Loop: Header=BB265_10 Depth=2
	s_wait_alu 0xfffe
	v_add_nc_u32_e32 v0, s2, v31
	v_mov_b32_e32 v15, v1
	s_and_not1_b32 s24, s10, exec_lo
	s_mov_b32 s18, exec_lo
	s_delay_alu instid0(VALU_DEP_2) | instskip(SKIP_2) | instid1(SALU_CYCLE_1)
	v_cmp_le_u64_e32 vcc_lo, s[8:9], v[0:1]
	v_mov_b32_e32 v14, v0
	s_and_b32 s25, vcc_lo, exec_lo
	s_or_b32 s24, s24, s25
	s_or_b32 exec_lo, exec_lo, s19
	s_and_saveexec_b32 s19, s24
	s_wait_alu 0xfffe
	s_xor_b32 s19, exec_lo, s19
	s_cbranch_execz .LBB265_12
.LBB265_19:                             ;   in Loop: Header=BB265_10 Depth=2
	v_dual_mov_b32 v0, v1 :: v_dual_mov_b32 v3, v1
	v_mov_b32_e32 v2, v1
	s_and_not1_b32 s18, s18, exec_lo
	ds_store_b128 v32, v[0:3]
	s_wait_alu 0xfffe
	s_or_b32 exec_lo, exec_lo, s19
	s_and_saveexec_b32 s19, s18
	s_cbranch_execnz .LBB265_13
	s_branch .LBB265_14
.LBB265_20:                             ;   in Loop: Header=BB265_7 Depth=1
	v_mov_b32_e32 v28, 0
	v_mov_b32_e32 v26, 0
	v_dual_mov_b32 v22, 0 :: v_dual_mov_b32 v29, 0
	v_dual_mov_b32 v24, 0 :: v_dual_mov_b32 v27, 0
	;; [unrolled: 1-line block ×3, first 2 shown]
	v_mov_b32_e32 v18, 0
	v_dual_mov_b32 v16, 0 :: v_dual_mov_b32 v25, 0
	v_mov_b32_e32 v21, 0
	v_mov_b32_e32 v19, 0
	;; [unrolled: 1-line block ×3, first 2 shown]
.LBB265_21:                             ;   in Loop: Header=BB265_7 Depth=1
	s_mul_u64 s[2:3], s[30:31], s[6:7]
	s_wait_alu 0xfffe
	s_lshl_b64 s[2:3], s[2:3], 4
	s_wait_alu 0xfffe
	s_add_nc_u64 s[2:3], s[26:27], s[2:3]
	s_wait_alu 0xfffe
	v_add_co_u32 v0, vcc_lo, s2, v10
	s_wait_alu 0xfffd
	v_add_co_ci_u32_e64 v40, null, s3, v11, vcc_lo
	s_and_saveexec_b32 s18, s12
	s_cbranch_execz .LBB265_26
; %bb.22:                               ;   in Loop: Header=BB265_7 Depth=1
	v_mul_f64_e32 v[2:3], s[42:43], v[28:29]
	v_mul_f64_e32 v[28:29], s[40:41], v[28:29]
	s_and_b32 vcc_lo, exec_lo, s11
	s_mov_b32 s19, -1
	s_delay_alu instid0(VALU_DEP_2) | instskip(NEXT) | instid1(VALU_DEP_2)
	v_fma_f64 v[2:3], s[40:41], v[4:5], -v[2:3]
	v_fma_f64 v[4:5], s[42:43], v[4:5], v[28:29]
	s_wait_alu 0xfffe
	s_cbranch_vccz .LBB265_24
; %bb.23:                               ;   in Loop: Header=BB265_7 Depth=1
	v_lshlrev_b64_e32 v[28:29], 4, v[6:7]
	s_mov_b32 s19, 0
	s_delay_alu instid0(VALU_DEP_1) | instskip(SKIP_1) | instid1(VALU_DEP_2)
	v_add_co_u32 v28, vcc_lo, v0, v28
	s_wait_alu 0xfffd
	v_add_co_ci_u32_e64 v29, null, v40, v29, vcc_lo
	global_load_b128 v[41:44], v[28:29], off
	s_wait_loadcnt 0x0
	v_mul_f64_e32 v[45:46], s[38:39], v[43:44]
	v_mul_f64_e32 v[43:44], s[36:37], v[43:44]
	s_delay_alu instid0(VALU_DEP_2) | instskip(NEXT) | instid1(VALU_DEP_2)
	v_fma_f64 v[45:46], s[36:37], v[41:42], -v[45:46]
	v_fma_f64 v[43:44], s[38:39], v[41:42], v[43:44]
	s_delay_alu instid0(VALU_DEP_2) | instskip(NEXT) | instid1(VALU_DEP_2)
	v_add_f64_e32 v[41:42], v[2:3], v[45:46]
	v_add_f64_e32 v[43:44], v[4:5], v[43:44]
	global_store_b128 v[28:29], v[41:44], off
.LBB265_24:                             ;   in Loop: Header=BB265_7 Depth=1
	s_wait_alu 0xfffe
	s_and_not1_b32 vcc_lo, exec_lo, s19
	s_wait_alu 0xfffe
	s_cbranch_vccnz .LBB265_26
; %bb.25:                               ;   in Loop: Header=BB265_7 Depth=1
	v_lshlrev_b64_e32 v[28:29], 4, v[6:7]
	s_delay_alu instid0(VALU_DEP_1) | instskip(SKIP_1) | instid1(VALU_DEP_2)
	v_add_co_u32 v28, vcc_lo, v0, v28
	s_wait_alu 0xfffd
	v_add_co_ci_u32_e64 v29, null, v40, v29, vcc_lo
	global_store_b128 v[28:29], v[2:5], off
.LBB265_26:                             ;   in Loop: Header=BB265_7 Depth=1
	s_wait_alu 0xfffe
	s_or_b32 exec_lo, exec_lo, s18
	s_and_saveexec_b32 s18, s13
	s_cbranch_execz .LBB265_31
; %bb.27:                               ;   in Loop: Header=BB265_7 Depth=1
	v_mul_f64_e32 v[2:3], s[42:43], v[26:27]
	v_mul_f64_e32 v[4:5], s[40:41], v[26:27]
	s_and_not1_b32 vcc_lo, exec_lo, s11
	s_mov_b32 s19, -1
	s_delay_alu instid0(VALU_DEP_2) | instskip(NEXT) | instid1(VALU_DEP_2)
	v_fma_f64 v[2:3], s[40:41], v[24:25], -v[2:3]
	v_fma_f64 v[4:5], s[42:43], v[24:25], v[4:5]
	s_wait_alu 0xfffe
	s_cbranch_vccnz .LBB265_29
; %bb.28:                               ;   in Loop: Header=BB265_7 Depth=1
	v_lshlrev_b64_e32 v[24:25], 4, v[8:9]
	s_mov_b32 s19, 0
	s_delay_alu instid0(VALU_DEP_1) | instskip(SKIP_1) | instid1(VALU_DEP_2)
	v_add_co_u32 v28, vcc_lo, v0, v24
	s_wait_alu 0xfffd
	v_add_co_ci_u32_e64 v29, null, v40, v25, vcc_lo
	global_load_b128 v[24:27], v[28:29], off
	s_wait_loadcnt 0x0
	v_mul_f64_e32 v[41:42], s[38:39], v[26:27]
	v_mul_f64_e32 v[26:27], s[36:37], v[26:27]
	s_delay_alu instid0(VALU_DEP_2) | instskip(NEXT) | instid1(VALU_DEP_2)
	v_fma_f64 v[41:42], s[36:37], v[24:25], -v[41:42]
	v_fma_f64 v[26:27], s[38:39], v[24:25], v[26:27]
	s_delay_alu instid0(VALU_DEP_2) | instskip(NEXT) | instid1(VALU_DEP_2)
	v_add_f64_e32 v[24:25], v[2:3], v[41:42]
	v_add_f64_e32 v[26:27], v[4:5], v[26:27]
	global_store_b128 v[28:29], v[24:27], off
.LBB265_29:                             ;   in Loop: Header=BB265_7 Depth=1
	s_wait_alu 0xfffe
	s_and_not1_b32 vcc_lo, exec_lo, s19
	s_wait_alu 0xfffe
	s_cbranch_vccnz .LBB265_31
; %bb.30:                               ;   in Loop: Header=BB265_7 Depth=1
	v_lshlrev_b64_e32 v[24:25], 4, v[8:9]
	s_delay_alu instid0(VALU_DEP_1) | instskip(SKIP_1) | instid1(VALU_DEP_2)
	v_add_co_u32 v24, vcc_lo, v0, v24
	s_wait_alu 0xfffd
	v_add_co_ci_u32_e64 v25, null, v40, v25, vcc_lo
	global_store_b128 v[24:25], v[2:5], off
.LBB265_31:                             ;   in Loop: Header=BB265_7 Depth=1
	s_wait_alu 0xfffe
	s_or_b32 exec_lo, exec_lo, s18
	v_add_co_u32 v0, vcc_lo, s2, v12
	s_wait_alu 0xfffd
	v_add_co_ci_u32_e64 v24, null, s3, v13, vcc_lo
	s_and_saveexec_b32 s2, s14
	s_cbranch_execz .LBB265_36
; %bb.32:                               ;   in Loop: Header=BB265_7 Depth=1
	v_mul_f64_e32 v[2:3], s[42:43], v[22:23]
	v_mul_f64_e32 v[4:5], s[40:41], v[22:23]
	s_and_not1_b32 vcc_lo, exec_lo, s11
	s_mov_b32 s3, -1
	s_delay_alu instid0(VALU_DEP_2) | instskip(NEXT) | instid1(VALU_DEP_2)
	v_fma_f64 v[2:3], s[40:41], v[20:21], -v[2:3]
	v_fma_f64 v[4:5], s[42:43], v[20:21], v[4:5]
	v_lshlrev_b64_e32 v[20:21], 4, v[6:7]
	s_wait_alu 0xfffe
	s_cbranch_vccnz .LBB265_34
; %bb.33:                               ;   in Loop: Header=BB265_7 Depth=1
	s_delay_alu instid0(VALU_DEP_1) | instskip(SKIP_1) | instid1(VALU_DEP_2)
	v_add_co_u32 v22, vcc_lo, v0, v20
	s_wait_alu 0xfffd
	v_add_co_ci_u32_e64 v23, null, v24, v21, vcc_lo
	s_mov_b32 s3, 0
	global_load_b128 v[25:28], v[22:23], off
	s_wait_loadcnt 0x0
	v_mul_f64_e32 v[40:41], s[38:39], v[27:28]
	v_mul_f64_e32 v[27:28], s[36:37], v[27:28]
	s_delay_alu instid0(VALU_DEP_2) | instskip(NEXT) | instid1(VALU_DEP_2)
	v_fma_f64 v[40:41], s[36:37], v[25:26], -v[40:41]
	v_fma_f64 v[27:28], s[38:39], v[25:26], v[27:28]
	s_delay_alu instid0(VALU_DEP_2) | instskip(NEXT) | instid1(VALU_DEP_2)
	v_add_f64_e32 v[25:26], v[2:3], v[40:41]
	v_add_f64_e32 v[27:28], v[4:5], v[27:28]
	global_store_b128 v[22:23], v[25:28], off
.LBB265_34:                             ;   in Loop: Header=BB265_7 Depth=1
	s_wait_alu 0xfffe
	s_and_not1_b32 vcc_lo, exec_lo, s3
	s_wait_alu 0xfffe
	s_cbranch_vccnz .LBB265_36
; %bb.35:                               ;   in Loop: Header=BB265_7 Depth=1
	v_add_co_u32 v20, vcc_lo, v0, v20
	s_wait_alu 0xfffd
	v_add_co_ci_u32_e64 v21, null, v24, v21, vcc_lo
	global_store_b128 v[20:21], v[2:5], off
.LBB265_36:                             ;   in Loop: Header=BB265_7 Depth=1
	s_wait_alu 0xfffe
	s_or_b32 exec_lo, exec_lo, s2
	s_and_saveexec_b32 s2, s1
	s_cbranch_execz .LBB265_6
; %bb.37:                               ;   in Loop: Header=BB265_7 Depth=1
	v_mul_f64_e32 v[2:3], s[42:43], v[16:17]
	v_mul_f64_e32 v[4:5], s[40:41], v[16:17]
	v_lshlrev_b64_e32 v[16:17], 4, v[8:9]
	s_and_not1_b32 vcc_lo, exec_lo, s11
	s_mov_b32 s3, -1
	s_delay_alu instid0(VALU_DEP_3) | instskip(NEXT) | instid1(VALU_DEP_3)
	v_fma_f64 v[2:3], s[40:41], v[18:19], -v[2:3]
	v_fma_f64 v[4:5], s[42:43], v[18:19], v[4:5]
	s_wait_alu 0xfffe
	s_cbranch_vccnz .LBB265_39
; %bb.38:                               ;   in Loop: Header=BB265_7 Depth=1
	v_add_co_u32 v22, vcc_lo, v0, v16
	s_wait_alu 0xfffd
	v_add_co_ci_u32_e64 v23, null, v24, v17, vcc_lo
	s_mov_b32 s3, 0
	global_load_b128 v[18:21], v[22:23], off
	s_wait_loadcnt 0x0
	v_mul_f64_e32 v[25:26], s[38:39], v[20:21]
	v_mul_f64_e32 v[20:21], s[36:37], v[20:21]
	s_delay_alu instid0(VALU_DEP_2) | instskip(NEXT) | instid1(VALU_DEP_2)
	v_fma_f64 v[25:26], s[36:37], v[18:19], -v[25:26]
	v_fma_f64 v[20:21], s[38:39], v[18:19], v[20:21]
	s_delay_alu instid0(VALU_DEP_2) | instskip(NEXT) | instid1(VALU_DEP_2)
	v_add_f64_e32 v[18:19], v[2:3], v[25:26]
	v_add_f64_e32 v[20:21], v[4:5], v[20:21]
	global_store_b128 v[22:23], v[18:21], off
.LBB265_39:                             ;   in Loop: Header=BB265_7 Depth=1
	s_wait_alu 0xfffe
	s_and_not1_b32 vcc_lo, exec_lo, s3
	s_wait_alu 0xfffe
	s_cbranch_vccnz .LBB265_6
; %bb.40:                               ;   in Loop: Header=BB265_7 Depth=1
	v_add_co_u32 v16, vcc_lo, v0, v16
	s_wait_alu 0xfffd
	v_add_co_ci_u32_e64 v17, null, v24, v17, vcc_lo
	global_store_b128 v[16:17], v[2:5], off
	s_branch .LBB265_6
.LBB265_41:
.LBB265_42:
	s_endpgm
	.section	.rodata,"a",@progbits
	.p2align	6, 0x0
	.amdhsa_kernel _ZL29rocblas_internal_gemmt_kernelIlLi16ELi32ELi8ELc84ELc84ELc76ELb0ELb0E19rocblas_complex_numIdEPKS1_S3_PS1_EviT_T9_T10_S5_lS7_S5_lS6_T11_S5_li
		.amdhsa_group_segment_fixed_size 8192
		.amdhsa_private_segment_fixed_size 0
		.amdhsa_kernarg_size 108
		.amdhsa_user_sgpr_count 2
		.amdhsa_user_sgpr_dispatch_ptr 0
		.amdhsa_user_sgpr_queue_ptr 0
		.amdhsa_user_sgpr_kernarg_segment_ptr 1
		.amdhsa_user_sgpr_dispatch_id 0
		.amdhsa_user_sgpr_private_segment_size 0
		.amdhsa_wavefront_size32 1
		.amdhsa_uses_dynamic_stack 0
		.amdhsa_enable_private_segment 0
		.amdhsa_system_sgpr_workgroup_id_x 1
		.amdhsa_system_sgpr_workgroup_id_y 1
		.amdhsa_system_sgpr_workgroup_id_z 1
		.amdhsa_system_sgpr_workgroup_info 0
		.amdhsa_system_vgpr_workitem_id 1
		.amdhsa_next_free_vgpr 68
		.amdhsa_next_free_sgpr 44
		.amdhsa_reserve_vcc 1
		.amdhsa_float_round_mode_32 0
		.amdhsa_float_round_mode_16_64 0
		.amdhsa_float_denorm_mode_32 3
		.amdhsa_float_denorm_mode_16_64 3
		.amdhsa_fp16_overflow 0
		.amdhsa_workgroup_processor_mode 1
		.amdhsa_memory_ordered 1
		.amdhsa_forward_progress 1
		.amdhsa_inst_pref_size 30
		.amdhsa_round_robin_scheduling 0
		.amdhsa_exception_fp_ieee_invalid_op 0
		.amdhsa_exception_fp_denorm_src 0
		.amdhsa_exception_fp_ieee_div_zero 0
		.amdhsa_exception_fp_ieee_overflow 0
		.amdhsa_exception_fp_ieee_underflow 0
		.amdhsa_exception_fp_ieee_inexact 0
		.amdhsa_exception_int_div_zero 0
	.end_amdhsa_kernel
	.section	.text._ZL29rocblas_internal_gemmt_kernelIlLi16ELi32ELi8ELc84ELc84ELc76ELb0ELb0E19rocblas_complex_numIdEPKS1_S3_PS1_EviT_T9_T10_S5_lS7_S5_lS6_T11_S5_li,"axG",@progbits,_ZL29rocblas_internal_gemmt_kernelIlLi16ELi32ELi8ELc84ELc84ELc76ELb0ELb0E19rocblas_complex_numIdEPKS1_S3_PS1_EviT_T9_T10_S5_lS7_S5_lS6_T11_S5_li,comdat
.Lfunc_end265:
	.size	_ZL29rocblas_internal_gemmt_kernelIlLi16ELi32ELi8ELc84ELc84ELc76ELb0ELb0E19rocblas_complex_numIdEPKS1_S3_PS1_EviT_T9_T10_S5_lS7_S5_lS6_T11_S5_li, .Lfunc_end265-_ZL29rocblas_internal_gemmt_kernelIlLi16ELi32ELi8ELc84ELc84ELc76ELb0ELb0E19rocblas_complex_numIdEPKS1_S3_PS1_EviT_T9_T10_S5_lS7_S5_lS6_T11_S5_li
                                        ; -- End function
	.set _ZL29rocblas_internal_gemmt_kernelIlLi16ELi32ELi8ELc84ELc84ELc76ELb0ELb0E19rocblas_complex_numIdEPKS1_S3_PS1_EviT_T9_T10_S5_lS7_S5_lS6_T11_S5_li.num_vgpr, 68
	.set _ZL29rocblas_internal_gemmt_kernelIlLi16ELi32ELi8ELc84ELc84ELc76ELb0ELb0E19rocblas_complex_numIdEPKS1_S3_PS1_EviT_T9_T10_S5_lS7_S5_lS6_T11_S5_li.num_agpr, 0
	.set _ZL29rocblas_internal_gemmt_kernelIlLi16ELi32ELi8ELc84ELc84ELc76ELb0ELb0E19rocblas_complex_numIdEPKS1_S3_PS1_EviT_T9_T10_S5_lS7_S5_lS6_T11_S5_li.numbered_sgpr, 44
	.set _ZL29rocblas_internal_gemmt_kernelIlLi16ELi32ELi8ELc84ELc84ELc76ELb0ELb0E19rocblas_complex_numIdEPKS1_S3_PS1_EviT_T9_T10_S5_lS7_S5_lS6_T11_S5_li.num_named_barrier, 0
	.set _ZL29rocblas_internal_gemmt_kernelIlLi16ELi32ELi8ELc84ELc84ELc76ELb0ELb0E19rocblas_complex_numIdEPKS1_S3_PS1_EviT_T9_T10_S5_lS7_S5_lS6_T11_S5_li.private_seg_size, 0
	.set _ZL29rocblas_internal_gemmt_kernelIlLi16ELi32ELi8ELc84ELc84ELc76ELb0ELb0E19rocblas_complex_numIdEPKS1_S3_PS1_EviT_T9_T10_S5_lS7_S5_lS6_T11_S5_li.uses_vcc, 1
	.set _ZL29rocblas_internal_gemmt_kernelIlLi16ELi32ELi8ELc84ELc84ELc76ELb0ELb0E19rocblas_complex_numIdEPKS1_S3_PS1_EviT_T9_T10_S5_lS7_S5_lS6_T11_S5_li.uses_flat_scratch, 0
	.set _ZL29rocblas_internal_gemmt_kernelIlLi16ELi32ELi8ELc84ELc84ELc76ELb0ELb0E19rocblas_complex_numIdEPKS1_S3_PS1_EviT_T9_T10_S5_lS7_S5_lS6_T11_S5_li.has_dyn_sized_stack, 0
	.set _ZL29rocblas_internal_gemmt_kernelIlLi16ELi32ELi8ELc84ELc84ELc76ELb0ELb0E19rocblas_complex_numIdEPKS1_S3_PS1_EviT_T9_T10_S5_lS7_S5_lS6_T11_S5_li.has_recursion, 0
	.set _ZL29rocblas_internal_gemmt_kernelIlLi16ELi32ELi8ELc84ELc84ELc76ELb0ELb0E19rocblas_complex_numIdEPKS1_S3_PS1_EviT_T9_T10_S5_lS7_S5_lS6_T11_S5_li.has_indirect_call, 0
	.section	.AMDGPU.csdata,"",@progbits
; Kernel info:
; codeLenInByte = 3828
; TotalNumSgprs: 46
; NumVgprs: 68
; ScratchSize: 0
; MemoryBound: 0
; FloatMode: 240
; IeeeMode: 1
; LDSByteSize: 8192 bytes/workgroup (compile time only)
; SGPRBlocks: 0
; VGPRBlocks: 8
; NumSGPRsForWavesPerEU: 46
; NumVGPRsForWavesPerEU: 68
; Occupancy: 16
; WaveLimiterHint : 0
; COMPUTE_PGM_RSRC2:SCRATCH_EN: 0
; COMPUTE_PGM_RSRC2:USER_SGPR: 2
; COMPUTE_PGM_RSRC2:TRAP_HANDLER: 0
; COMPUTE_PGM_RSRC2:TGID_X_EN: 1
; COMPUTE_PGM_RSRC2:TGID_Y_EN: 1
; COMPUTE_PGM_RSRC2:TGID_Z_EN: 1
; COMPUTE_PGM_RSRC2:TIDIG_COMP_CNT: 1
	.section	.text._ZL29rocblas_internal_gemmt_kernelIlLi16ELi32ELi8ELc84ELc67ELc76ELb0ELb1E19rocblas_complex_numIdEPKS1_S3_PS1_EviT_T9_T10_S5_lS7_S5_lS6_T11_S5_li,"axG",@progbits,_ZL29rocblas_internal_gemmt_kernelIlLi16ELi32ELi8ELc84ELc67ELc76ELb0ELb1E19rocblas_complex_numIdEPKS1_S3_PS1_EviT_T9_T10_S5_lS7_S5_lS6_T11_S5_li,comdat
	.globl	_ZL29rocblas_internal_gemmt_kernelIlLi16ELi32ELi8ELc84ELc67ELc76ELb0ELb1E19rocblas_complex_numIdEPKS1_S3_PS1_EviT_T9_T10_S5_lS7_S5_lS6_T11_S5_li ; -- Begin function _ZL29rocblas_internal_gemmt_kernelIlLi16ELi32ELi8ELc84ELc67ELc76ELb0ELb1E19rocblas_complex_numIdEPKS1_S3_PS1_EviT_T9_T10_S5_lS7_S5_lS6_T11_S5_li
	.p2align	8
	.type	_ZL29rocblas_internal_gemmt_kernelIlLi16ELi32ELi8ELc84ELc67ELc76ELb0ELb1E19rocblas_complex_numIdEPKS1_S3_PS1_EviT_T9_T10_S5_lS7_S5_lS6_T11_S5_li,@function
_ZL29rocblas_internal_gemmt_kernelIlLi16ELi32ELi8ELc84ELc67ELc76ELb0ELb1E19rocblas_complex_numIdEPKS1_S3_PS1_EviT_T9_T10_S5_lS7_S5_lS6_T11_S5_li: ; @_ZL29rocblas_internal_gemmt_kernelIlLi16ELi32ELi8ELc84ELc67ELc76ELb0ELb1E19rocblas_complex_numIdEPKS1_S3_PS1_EviT_T9_T10_S5_lS7_S5_lS6_T11_S5_li
; %bb.0:
	s_clause 0x1
	s_load_b256 s[24:31], s[0:1], 0x48
	s_load_b512 s[8:23], s[0:1], 0x8
	s_wait_kmcnt 0x0
	s_load_b128 s[36:39], s[24:25], 0x0
	s_load_b128 s[40:43], s[10:11], 0x0
	s_wait_kmcnt 0x0
	v_cmp_eq_f64_e64 s3, s[36:37], 1.0
	v_cmp_eq_f64_e64 s2, s[38:39], 0
	s_and_b32 s3, s3, s2
	s_delay_alu instid0(SALU_CYCLE_1)
	s_and_not1_b32 vcc_lo, exec_lo, s3
	s_mov_b32 s3, -1
	s_cbranch_vccnz .LBB266_3
; %bb.1:
	s_cmp_lg_u64 s[8:9], 0
	s_cbranch_scc0 .LBB266_39
; %bb.2:
	v_cmp_neq_f64_e64 s3, s[40:41], 0
	v_cmp_neq_f64_e64 s4, s[42:43], 0
	s_or_b32 s3, s3, s4
.LBB266_3:
	s_delay_alu instid0(SALU_CYCLE_1)
	s_and_b32 vcc_lo, exec_lo, s3
	s_cbranch_vccz .LBB266_40
; %bb.4:
	s_load_b32 s5, s[0:1], 0x68
	s_lshr_b32 s6, ttmp7, 16
	s_wait_kmcnt 0x0
	s_cmp_ge_u32 s6, s5
	s_cbranch_scc1 .LBB266_40
; %bb.5:
	v_dual_mov_b32 v1, 0 :: v_dual_and_b32 v6, 0x3ff, v0
	v_bfe_u32 v7, v0, 10, 10
	v_and_b32_e32 v32, 7, v0
	v_cmp_neq_f64_e64 s3, s[40:41], 0
	v_cmp_neq_f64_e64 s4, s[42:43], 0
	s_lshl_b32 s11, ttmp9, 5
	v_lshl_add_u32 v4, v7, 4, v6
	s_load_b32 s7, s[0:1], 0x0
	s_ashr_i32 s1, s11, 31
	s_lshl_b32 s0, ttmp7, 5
	s_mul_i32 s1, s14, s1
	v_and_b32_e32 v0, 31, v4
	s_and_b32 s0, s0, 0x1fffe0
	v_lshrrev_b32_e32 v9, 3, v4
	v_add_nc_u32_e32 v11, s0, v7
	v_lshrrev_b32_e32 v33, 5, v4
	v_or_b32_e32 v5, s11, v0
	v_lshlrev_b32_e32 v0, 4, v0
	v_add_nc_u32_e32 v4, s0, v9
	v_cmp_neq_f64_e64 s25, s[36:37], 0
	v_lshlrev_b32_e32 v10, 4, v32
	v_mul_lo_u32 v8, s15, v5
	v_mad_co_u64_u32 v[2:3], null, s14, v5, 0
	v_lshl_or_b32 v34, v33, 9, v0
	v_lshlrev_b32_e32 v0, 4, v4
	v_lshl_add_u32 v41, v7, 7, 0x1000
	s_wait_kmcnt 0x0
	v_cmp_gt_i32_e64 s0, s7, v5
	v_cmp_le_i32_e64 s10, s7, v5
	v_lshlrev_b32_e32 v40, 4, v6
	v_add3_u32 v3, v3, s1, v8
	v_cmp_gt_i32_e64 s1, s7, v4
	v_lshl_or_b32 v8, v9, 7, v10
	v_add_nc_u32_e32 v6, s11, v6
	s_xor_b32 s11, s2, -1
	v_lshlrev_b64_e32 v[2:3], 4, v[2:3]
	v_cmp_gt_i64_e64 s24, s[8:9], 0
                                        ; implicit-def: $vgpr14_vgpr15
	s_delay_alu instid0(VALU_DEP_3) | instskip(NEXT) | instid1(VALU_DEP_3)
	v_cmp_gt_i32_e64 s2, s7, v6
	v_add_co_u32 v36, vcc_lo, s12, v2
	s_delay_alu instid0(VALU_DEP_1) | instskip(SKIP_3) | instid1(VALU_DEP_1)
	v_add_co_ci_u32_e64 v37, null, s13, v3, vcc_lo
	v_mad_co_u64_u32 v[2:3], null, s28, v11, 0
	s_or_b32 s14, s3, s4
	v_add_co_u32 v38, s3, s18, v0
	v_add_co_ci_u32_e64 v39, null, s19, 0, s3
	s_wait_alu 0xfffe
	s_and_b32 s14, s14, s24
	v_mov_b32_e32 v0, v3
	v_add_nc_u32_e32 v12, 16, v11
	v_cmp_le_i32_e32 vcc_lo, v11, v6
	s_or_b32 s11, s25, s11
	s_delay_alu instid0(VALU_DEP_2)
	v_mad_co_u64_u32 v[4:5], null, s28, v12, 0
	v_add_nc_u32_e32 v35, 0x1000, v8
	v_mad_co_u64_u32 v[7:8], null, s29, v11, v[0:1]
	v_add_nc_u32_e32 v8, 16, v6
	s_and_b32 s12, vcc_lo, s2
	v_cmp_le_i32_e32 vcc_lo, v12, v6
	v_mov_b32_e32 v0, v5
	s_delay_alu instid0(VALU_DEP_3) | instskip(SKIP_2) | instid1(VALU_DEP_4)
	v_cmp_le_i32_e64 s3, v11, v8
	v_cmp_gt_i32_e64 s4, s7, v8
	v_mov_b32_e32 v3, v7
	v_mad_co_u64_u32 v[9:10], null, s29, v12, v[0:1]
	v_ashrrev_i32_e32 v7, 31, v6
	s_delay_alu instid0(VALU_DEP_4)
	s_and_b32 s13, s3, s4
	v_cmp_le_i32_e64 s3, v12, v8
	v_lshlrev_b64_e32 v[10:11], 4, v[2:3]
	s_and_b32 s15, vcc_lo, s2
	s_mov_b32 s7, 0
	v_mov_b32_e32 v5, v9
	v_ashrrev_i32_e32 v9, 31, v8
	s_and_b32 s4, s3, s4
	s_delay_alu instid0(VALU_DEP_2)
	v_lshlrev_b64_e32 v[12:13], 4, v[4:5]
	s_branch .LBB266_7
.LBB266_6:                              ;   in Loop: Header=BB266_7 Depth=1
	s_wait_alu 0xfffe
	s_or_b32 exec_lo, exec_lo, s2
	s_add_co_i32 s6, s6, 0x10000
	s_wait_alu 0xfffe
	s_cmp_lt_u32 s6, s5
	s_cbranch_scc0 .LBB266_40
.LBB266_7:                              ; =>This Loop Header: Depth=1
                                        ;     Child Loop BB266_10 Depth 2
	v_mov_b32_e32 v28, 0
	v_mov_b32_e32 v29, 0
	s_wait_alu 0xfffe
	s_and_not1_b32 vcc_lo, exec_lo, s14
	s_wait_alu 0xfffe
	s_cbranch_vccnz .LBB266_18
; %bb.8:                                ;   in Loop: Header=BB266_7 Depth=1
	s_mul_u64 s[2:3], s[16:17], s[6:7]
	s_mul_u64 s[18:19], s[22:23], s[6:7]
	s_wait_alu 0xfffe
	s_lshl_b64 s[2:3], s[2:3], 4
	v_mov_b32_e32 v16, 0
	s_wait_alu 0xfffe
	v_add_co_u32 v42, vcc_lo, v36, s2
	s_wait_alu 0xfffd
	v_add_co_ci_u32_e64 v43, null, s3, v37, vcc_lo
	s_lshl_b64 s[2:3], s[18:19], 4
	v_mov_b32_e32 v22, 0
	v_mov_b32_e32 v26, 0
	;; [unrolled: 1-line block ×3, first 2 shown]
	s_wait_alu 0xfffe
	v_add_co_u32 v44, vcc_lo, v38, s2
	v_dual_mov_b32 v17, 0 :: v_dual_mov_b32 v18, 0
	v_dual_mov_b32 v23, 0 :: v_dual_mov_b32 v20, 0
	v_dual_mov_b32 v27, 0 :: v_dual_mov_b32 v24, 0
	v_dual_mov_b32 v31, 0 :: v_dual_mov_b32 v28, 0
	v_mov_b32_e32 v19, 0
	v_mov_b32_e32 v21, 0
	;; [unrolled: 1-line block ×4, first 2 shown]
	s_wait_alu 0xfffd
	v_add_co_ci_u32_e64 v45, null, s3, v39, vcc_lo
	s_mov_b64 s[2:3], 0
	s_branch .LBB266_10
.LBB266_9:                              ;   in Loop: Header=BB266_10 Depth=2
	s_wait_alu 0xfffe
	s_or_b32 exec_lo, exec_lo, s18
	ds_store_b128 v35, v[2:5]
	s_wait_dscnt 0x0
	s_barrier_signal -1
	s_barrier_wait -1
	global_inv scope:SCOPE_SE
	ds_load_b128 v[2:5], v41
	ds_load_b128 v[46:49], v40
	ds_load_b128 v[50:53], v40 offset:256
	ds_load_b128 v[54:57], v41 offset:2048
	;; [unrolled: 1-line block ×10, first 2 shown]
	s_add_nc_u64 s[2:3], s[2:3], 8
	s_wait_alu 0xfffe
	v_cmp_gt_i64_e64 s18, s[8:9], s[2:3]
	s_and_b32 vcc_lo, exec_lo, s18
	s_wait_dscnt 0xa
	v_mul_f64_e32 v[90:91], v[4:5], v[48:49]
	v_mul_f64_e32 v[92:93], v[2:3], v[48:49]
	s_wait_dscnt 0x9
	v_mul_f64_e32 v[94:95], v[4:5], v[52:53]
	v_mul_f64_e32 v[96:97], v[2:3], v[52:53]
	;; [unrolled: 3-line block ×3, first 2 shown]
	v_mul_f64_e32 v[100:101], v[56:57], v[52:53]
	v_mul_f64_e32 v[52:53], v[54:55], v[52:53]
	s_wait_dscnt 0x5
	v_mul_f64_e32 v[102:103], v[60:61], v[68:69]
	v_mul_f64_e32 v[104:105], v[58:59], v[68:69]
	s_wait_dscnt 0x4
	v_mul_f64_e32 v[106:107], v[60:61], v[72:73]
	v_mul_f64_e32 v[108:109], v[58:59], v[72:73]
	;; [unrolled: 1-line block ×6, first 2 shown]
	s_wait_dscnt 0x2
	v_mul_f64_e32 v[118:119], v[76:77], v[80:81]
	v_mul_f64_e32 v[120:121], v[74:75], v[80:81]
	s_wait_dscnt 0x1
	v_mul_f64_e32 v[122:123], v[76:77], v[84:85]
	v_mul_f64_e32 v[124:125], v[74:75], v[84:85]
	s_wait_dscnt 0x0
	v_mul_f64_e32 v[126:127], v[88:89], v[80:81]
	v_mul_f64_e32 v[80:81], v[86:87], v[80:81]
	v_mul_f64_e32 v[128:129], v[88:89], v[84:85]
	v_mul_f64_e32 v[84:85], v[86:87], v[84:85]
	v_fma_f64 v[90:91], v[2:3], v[46:47], -v[90:91]
	v_fma_f64 v[92:93], v[4:5], v[46:47], v[92:93]
	v_fma_f64 v[94:95], v[2:3], v[50:51], -v[94:95]
	v_fma_f64 v[96:97], v[4:5], v[50:51], v[96:97]
	;; [unrolled: 2-line block ×8, first 2 shown]
	ds_load_b128 v[2:5], v41 offset:48
	ds_load_b128 v[46:49], v40 offset:1536
	;; [unrolled: 1-line block ×4, first 2 shown]
	v_fma_f64 v[118:119], v[74:75], v[78:79], -v[118:119]
	v_fma_f64 v[120:121], v[76:77], v[78:79], v[120:121]
	v_fma_f64 v[74:75], v[74:75], v[82:83], -v[122:123]
	v_fma_f64 v[76:77], v[76:77], v[82:83], v[124:125]
	;; [unrolled: 2-line block ×4, first 2 shown]
	s_wait_dscnt 0x2
	v_mul_f64_e32 v[108:109], v[2:3], v[48:49]
	s_wait_dscnt 0x1
	v_mul_f64_e32 v[110:111], v[4:5], v[52:53]
	v_mul_f64_e32 v[112:113], v[2:3], v[52:53]
	v_add_f64_e32 v[68:69], v[28:29], v[90:91]
	v_add_f64_e32 v[70:71], v[92:93], v[30:31]
	;; [unrolled: 1-line block ×8, first 2 shown]
	v_mul_f64_e32 v[100:101], v[4:5], v[48:49]
	s_wait_dscnt 0x0
	v_mul_f64_e32 v[114:115], v[56:57], v[48:49]
	v_mul_f64_e32 v[48:49], v[54:55], v[48:49]
	;; [unrolled: 1-line block ×4, first 2 shown]
	ds_load_b128 v[16:19], v41 offset:64
	ds_load_b128 v[20:23], v40 offset:2048
	;; [unrolled: 1-line block ×4, first 2 shown]
	s_wait_dscnt 0x1
	v_mul_f64_e32 v[124:125], v[16:17], v[26:27]
	s_wait_dscnt 0x0
	v_mul_f64_e32 v[126:127], v[30:31], v[22:23]
	v_mul_f64_e32 v[128:129], v[30:31], v[26:27]
	v_fma_f64 v[108:109], v[4:5], v[46:47], v[108:109]
	v_fma_f64 v[110:111], v[2:3], v[50:51], -v[110:111]
	v_fma_f64 v[112:113], v[4:5], v[50:51], v[112:113]
	v_add_f64_e32 v[84:85], v[68:69], v[102:103]
	v_add_f64_e32 v[86:87], v[104:105], v[70:71]
	;; [unrolled: 1-line block ×8, first 2 shown]
	v_mul_f64_e32 v[102:103], v[18:19], v[22:23]
	v_mul_f64_e32 v[104:105], v[16:17], v[22:23]
	;; [unrolled: 1-line block ×5, first 2 shown]
	v_fma_f64 v[100:101], v[2:3], v[46:47], -v[100:101]
	v_fma_f64 v[114:115], v[54:55], v[46:47], -v[114:115]
	v_fma_f64 v[130:131], v[56:57], v[46:47], v[48:49]
	v_fma_f64 v[116:117], v[54:55], v[50:51], -v[116:117]
	v_fma_f64 v[132:133], v[56:57], v[50:51], v[52:53]
	ds_load_b128 v[58:61], v41 offset:80
	ds_load_b128 v[62:65], v40 offset:2560
	;; [unrolled: 1-line block ×8, first 2 shown]
	v_add_f64_e32 v[84:85], v[84:85], v[118:119]
	v_add_f64_e32 v[86:87], v[120:121], v[86:87]
	v_add_f64_e32 v[74:75], v[88:89], v[74:75]
	v_add_f64_e32 v[76:77], v[76:77], v[90:91]
	v_add_f64_e32 v[88:89], v[92:93], v[122:123]
	v_add_f64_e32 v[78:79], v[78:79], v[94:95]
	v_add_f64_e32 v[80:81], v[96:97], v[80:81]
	v_add_f64_e32 v[82:83], v[82:83], v[98:99]
	s_wait_dscnt 0x6
	v_mul_f64_e32 v[90:91], v[60:61], v[64:65]
	v_mul_f64_e32 v[92:93], v[58:59], v[64:65]
	s_wait_dscnt 0x5
	v_mul_f64_e32 v[94:95], v[60:61], v[68:69]
	v_mul_f64_e32 v[96:97], v[58:59], v[68:69]
	;; [unrolled: 3-line block ×3, first 2 shown]
	v_mul_f64_e32 v[118:119], v[72:73], v[68:69]
	v_mul_f64_e32 v[68:69], v[70:71], v[68:69]
	v_fma_f64 v[102:103], v[16:17], v[20:21], -v[102:103]
	v_fma_f64 v[104:105], v[18:19], v[20:21], v[104:105]
	v_fma_f64 v[106:107], v[16:17], v[24:25], -v[106:107]
	v_fma_f64 v[120:121], v[18:19], v[24:25], v[124:125]
	;; [unrolled: 2-line block ×4, first 2 shown]
	ds_load_b128 v[16:19], v41 offset:112
	ds_load_b128 v[20:23], v40 offset:3584
	;; [unrolled: 1-line block ×4, first 2 shown]
	s_wait_loadcnt_dscnt 0x0
	s_barrier_signal -1
	s_barrier_wait -1
	global_inv scope:SCOPE_SE
	v_add_f64_e32 v[84:85], v[84:85], v[100:101]
	v_add_f64_e32 v[86:87], v[108:109], v[86:87]
	;; [unrolled: 1-line block ×8, first 2 shown]
	v_mul_f64_e32 v[100:101], v[4:5], v[48:49]
	v_mul_f64_e32 v[108:109], v[2:3], v[48:49]
	;; [unrolled: 1-line block ×8, first 2 shown]
	v_fma_f64 v[90:91], v[58:59], v[62:63], -v[90:91]
	v_fma_f64 v[92:93], v[60:61], v[62:63], v[92:93]
	v_fma_f64 v[58:59], v[58:59], v[66:67], -v[94:95]
	v_fma_f64 v[60:61], v[60:61], v[66:67], v[96:97]
	;; [unrolled: 2-line block ×4, first 2 shown]
	v_mul_f64_e32 v[96:97], v[16:17], v[26:27]
	v_mul_f64_e32 v[98:99], v[30:31], v[22:23]
	v_add_f64_e32 v[68:69], v[84:85], v[102:103]
	v_add_f64_e32 v[70:71], v[104:105], v[86:87]
	;; [unrolled: 1-line block ×8, first 2 shown]
	v_mul_f64_e32 v[84:85], v[18:19], v[22:23]
	v_mul_f64_e32 v[86:87], v[16:17], v[22:23]
	;; [unrolled: 1-line block ×6, first 2 shown]
	v_fma_f64 v[100:101], v[2:3], v[46:47], -v[100:101]
	v_fma_f64 v[104:105], v[4:5], v[46:47], v[108:109]
	v_fma_f64 v[2:3], v[2:3], v[50:51], -v[110:111]
	v_fma_f64 v[4:5], v[4:5], v[50:51], v[112:113]
	;; [unrolled: 2-line block ×4, first 2 shown]
	v_add_f64_e32 v[52:53], v[68:69], v[90:91]
	v_add_f64_e32 v[54:55], v[92:93], v[70:71]
	;; [unrolled: 1-line block ×8, first 2 shown]
	v_fma_f64 v[68:69], v[16:17], v[20:21], -v[84:85]
	v_fma_f64 v[70:71], v[18:19], v[20:21], v[86:87]
	v_fma_f64 v[16:17], v[16:17], v[24:25], -v[88:89]
	v_fma_f64 v[18:19], v[18:19], v[24:25], v[96:97]
	v_fma_f64 v[72:73], v[28:29], v[20:21], -v[98:99]
	v_fma_f64 v[22:23], v[30:31], v[20:21], v[22:23]
	v_fma_f64 v[74:75], v[28:29], v[24:25], -v[102:103]
	v_fma_f64 v[76:77], v[30:31], v[24:25], v[26:27]
	v_add_f64_e32 v[20:21], v[52:53], v[100:101]
	v_add_f64_e32 v[24:25], v[104:105], v[54:55]
	v_add_f64_e32 v[2:3], v[56:57], v[2:3]
	v_add_f64_e32 v[4:5], v[4:5], v[58:59]
	v_add_f64_e32 v[52:53], v[60:61], v[106:107]
	v_add_f64_e32 v[46:47], v[46:47], v[62:63]
	v_add_f64_e32 v[48:49], v[64:65], v[48:49]
	v_add_f64_e32 v[50:51], v[50:51], v[66:67]
	v_add_f64_e32 v[28:29], v[20:21], v[68:69]
	v_add_f64_e32 v[30:31], v[70:71], v[24:25]
	v_add_f64_e32 v[24:25], v[2:3], v[16:17]
	v_add_f64_e32 v[26:27], v[18:19], v[4:5]
	v_add_f64_e32 v[20:21], v[52:53], v[72:73]
	v_add_f64_e32 v[22:23], v[22:23], v[46:47]
	v_add_f64_e32 v[18:19], v[48:49], v[74:75]
	v_add_f64_e32 v[16:17], v[76:77], v[50:51]
	s_wait_alu 0xfffe
	s_cbranch_vccz .LBB266_19
.LBB266_10:                             ;   Parent Loop BB266_7 Depth=1
                                        ; =>  This Inner Loop Header: Depth=2
	s_mov_b32 s18, 0
	s_mov_b32 s24, s10
	s_and_saveexec_b32 s19, s0
	s_cbranch_execnz .LBB266_16
; %bb.11:                               ;   in Loop: Header=BB266_10 Depth=2
	s_wait_alu 0xfffe
	s_or_b32 exec_lo, exec_lo, s19
	s_and_saveexec_b32 s19, s24
	s_wait_alu 0xfffe
	s_xor_b32 s19, exec_lo, s19
	s_cbranch_execnz .LBB266_17
.LBB266_12:                             ;   in Loop: Header=BB266_10 Depth=2
	s_wait_alu 0xfffe
	s_or_b32 exec_lo, exec_lo, s19
	s_and_saveexec_b32 s19, s18
	s_cbranch_execz .LBB266_14
.LBB266_13:                             ;   in Loop: Header=BB266_10 Depth=2
	v_lshlrev_b64_e32 v[2:3], 4, v[14:15]
	s_delay_alu instid0(VALU_DEP_1) | instskip(SKIP_1) | instid1(VALU_DEP_2)
	v_add_co_u32 v2, vcc_lo, v42, v2
	s_wait_alu 0xfffd
	v_add_co_ci_u32_e64 v3, null, v43, v3, vcc_lo
	global_load_b128 v[2:5], v[2:3], off
	s_wait_loadcnt 0x0
	ds_store_2addr_b64 v34, v[2:3], v[4:5] offset1:1
.LBB266_14:                             ;   in Loop: Header=BB266_10 Depth=2
	s_wait_alu 0xfffe
	s_or_b32 exec_lo, exec_lo, s19
	v_add_nc_u32_e32 v0, s2, v32
	v_mov_b32_e32 v2, 0
	v_dual_mov_b32 v3, 0 :: v_dual_mov_b32 v4, 0
	v_mov_b32_e32 v5, 0
	s_delay_alu instid0(VALU_DEP_4)
	v_cmp_gt_u64_e32 vcc_lo, s[8:9], v[0:1]
	s_and_b32 s19, vcc_lo, s1
	s_wait_alu 0xfffe
	s_and_saveexec_b32 s18, s19
	s_cbranch_execz .LBB266_9
; %bb.15:                               ;   in Loop: Header=BB266_10 Depth=2
	v_mad_co_u64_u32 v[2:3], null, s20, v0, 0
	s_delay_alu instid0(VALU_DEP_1) | instskip(NEXT) | instid1(VALU_DEP_1)
	v_mad_co_u64_u32 v[3:4], null, s21, v0, v[3:4]
	v_lshlrev_b64_e32 v[2:3], 4, v[2:3]
	s_delay_alu instid0(VALU_DEP_1) | instskip(SKIP_1) | instid1(VALU_DEP_2)
	v_add_co_u32 v2, vcc_lo, v44, v2
	s_wait_alu 0xfffd
	v_add_co_ci_u32_e64 v3, null, v45, v3, vcc_lo
	global_load_b128 v[2:5], v[2:3], off
	s_wait_loadcnt 0x0
	v_xor_b32_e32 v5, 0x80000000, v5
	s_branch .LBB266_9
.LBB266_16:                             ;   in Loop: Header=BB266_10 Depth=2
	s_wait_alu 0xfffe
	v_add_nc_u32_e32 v0, s2, v33
	v_mov_b32_e32 v15, v1
	s_and_not1_b32 s24, s10, exec_lo
	s_mov_b32 s18, exec_lo
	s_delay_alu instid0(VALU_DEP_2) | instskip(SKIP_2) | instid1(SALU_CYCLE_1)
	v_cmp_le_u64_e32 vcc_lo, s[8:9], v[0:1]
	v_mov_b32_e32 v14, v0
	s_and_b32 s25, vcc_lo, exec_lo
	s_or_b32 s24, s24, s25
	s_or_b32 exec_lo, exec_lo, s19
	s_and_saveexec_b32 s19, s24
	s_wait_alu 0xfffe
	s_xor_b32 s19, exec_lo, s19
	s_cbranch_execz .LBB266_12
.LBB266_17:                             ;   in Loop: Header=BB266_10 Depth=2
	v_dual_mov_b32 v0, v1 :: v_dual_mov_b32 v3, v1
	v_mov_b32_e32 v2, v1
	s_and_not1_b32 s18, s18, exec_lo
	ds_store_b128 v34, v[0:3]
	s_wait_alu 0xfffe
	s_or_b32 exec_lo, exec_lo, s19
	s_and_saveexec_b32 s19, s18
	s_cbranch_execnz .LBB266_13
	s_branch .LBB266_14
.LBB266_18:                             ;   in Loop: Header=BB266_7 Depth=1
	v_mov_b32_e32 v30, 0
	v_mov_b32_e32 v26, 0
	v_dual_mov_b32 v22, 0 :: v_dual_mov_b32 v31, 0
	v_dual_mov_b32 v24, 0 :: v_dual_mov_b32 v27, 0
	;; [unrolled: 1-line block ×3, first 2 shown]
	v_mov_b32_e32 v18, 0
	v_dual_mov_b32 v16, 0 :: v_dual_mov_b32 v25, 0
	v_mov_b32_e32 v21, 0
	v_mov_b32_e32 v19, 0
	;; [unrolled: 1-line block ×3, first 2 shown]
.LBB266_19:                             ;   in Loop: Header=BB266_7 Depth=1
	s_mul_u64 s[2:3], s[30:31], s[6:7]
	s_wait_alu 0xfffe
	s_lshl_b64 s[2:3], s[2:3], 4
	s_wait_alu 0xfffe
	s_add_nc_u64 s[2:3], s[26:27], s[2:3]
	s_wait_alu 0xfffe
	v_add_co_u32 v0, vcc_lo, s2, v10
	s_wait_alu 0xfffd
	v_add_co_ci_u32_e64 v42, null, s3, v11, vcc_lo
	s_and_saveexec_b32 s18, s12
	s_cbranch_execz .LBB266_24
; %bb.20:                               ;   in Loop: Header=BB266_7 Depth=1
	v_mul_f64_e32 v[2:3], s[42:43], v[30:31]
	v_mul_f64_e32 v[4:5], s[40:41], v[30:31]
	s_and_b32 vcc_lo, exec_lo, s11
	s_mov_b32 s19, -1
	s_delay_alu instid0(VALU_DEP_2) | instskip(NEXT) | instid1(VALU_DEP_2)
	v_fma_f64 v[2:3], s[40:41], v[28:29], -v[2:3]
	v_fma_f64 v[4:5], s[42:43], v[28:29], v[4:5]
	s_wait_alu 0xfffe
	s_cbranch_vccz .LBB266_22
; %bb.21:                               ;   in Loop: Header=BB266_7 Depth=1
	v_lshlrev_b64_e32 v[28:29], 4, v[6:7]
	s_mov_b32 s19, 0
	s_delay_alu instid0(VALU_DEP_1) | instskip(SKIP_1) | instid1(VALU_DEP_2)
	v_add_co_u32 v43, vcc_lo, v0, v28
	s_wait_alu 0xfffd
	v_add_co_ci_u32_e64 v44, null, v42, v29, vcc_lo
	global_load_b128 v[28:31], v[43:44], off
	s_wait_loadcnt 0x0
	v_mul_f64_e32 v[45:46], s[38:39], v[30:31]
	v_mul_f64_e32 v[30:31], s[36:37], v[30:31]
	s_delay_alu instid0(VALU_DEP_2) | instskip(NEXT) | instid1(VALU_DEP_2)
	v_fma_f64 v[45:46], s[36:37], v[28:29], -v[45:46]
	v_fma_f64 v[30:31], s[38:39], v[28:29], v[30:31]
	s_delay_alu instid0(VALU_DEP_2) | instskip(NEXT) | instid1(VALU_DEP_2)
	v_add_f64_e32 v[28:29], v[2:3], v[45:46]
	v_add_f64_e32 v[30:31], v[4:5], v[30:31]
	global_store_b128 v[43:44], v[28:31], off
.LBB266_22:                             ;   in Loop: Header=BB266_7 Depth=1
	s_wait_alu 0xfffe
	s_and_not1_b32 vcc_lo, exec_lo, s19
	s_wait_alu 0xfffe
	s_cbranch_vccnz .LBB266_24
; %bb.23:                               ;   in Loop: Header=BB266_7 Depth=1
	v_lshlrev_b64_e32 v[28:29], 4, v[6:7]
	s_delay_alu instid0(VALU_DEP_1) | instskip(SKIP_1) | instid1(VALU_DEP_2)
	v_add_co_u32 v28, vcc_lo, v0, v28
	s_wait_alu 0xfffd
	v_add_co_ci_u32_e64 v29, null, v42, v29, vcc_lo
	global_store_b128 v[28:29], v[2:5], off
.LBB266_24:                             ;   in Loop: Header=BB266_7 Depth=1
	s_wait_alu 0xfffe
	s_or_b32 exec_lo, exec_lo, s18
	s_and_saveexec_b32 s18, s13
	s_cbranch_execz .LBB266_29
; %bb.25:                               ;   in Loop: Header=BB266_7 Depth=1
	v_mul_f64_e32 v[2:3], s[42:43], v[26:27]
	v_mul_f64_e32 v[4:5], s[40:41], v[26:27]
	s_and_not1_b32 vcc_lo, exec_lo, s11
	s_mov_b32 s19, -1
	s_delay_alu instid0(VALU_DEP_2) | instskip(NEXT) | instid1(VALU_DEP_2)
	v_fma_f64 v[2:3], s[40:41], v[24:25], -v[2:3]
	v_fma_f64 v[4:5], s[42:43], v[24:25], v[4:5]
	s_wait_alu 0xfffe
	s_cbranch_vccnz .LBB266_27
; %bb.26:                               ;   in Loop: Header=BB266_7 Depth=1
	v_lshlrev_b64_e32 v[24:25], 4, v[8:9]
	s_mov_b32 s19, 0
	s_delay_alu instid0(VALU_DEP_1) | instskip(SKIP_1) | instid1(VALU_DEP_2)
	v_add_co_u32 v28, vcc_lo, v0, v24
	s_wait_alu 0xfffd
	v_add_co_ci_u32_e64 v29, null, v42, v25, vcc_lo
	global_load_b128 v[24:27], v[28:29], off
	s_wait_loadcnt 0x0
	v_mul_f64_e32 v[30:31], s[38:39], v[26:27]
	v_mul_f64_e32 v[26:27], s[36:37], v[26:27]
	s_delay_alu instid0(VALU_DEP_2) | instskip(NEXT) | instid1(VALU_DEP_2)
	v_fma_f64 v[30:31], s[36:37], v[24:25], -v[30:31]
	v_fma_f64 v[26:27], s[38:39], v[24:25], v[26:27]
	s_delay_alu instid0(VALU_DEP_2) | instskip(NEXT) | instid1(VALU_DEP_2)
	v_add_f64_e32 v[24:25], v[2:3], v[30:31]
	v_add_f64_e32 v[26:27], v[4:5], v[26:27]
	global_store_b128 v[28:29], v[24:27], off
.LBB266_27:                             ;   in Loop: Header=BB266_7 Depth=1
	s_wait_alu 0xfffe
	s_and_not1_b32 vcc_lo, exec_lo, s19
	s_wait_alu 0xfffe
	s_cbranch_vccnz .LBB266_29
; %bb.28:                               ;   in Loop: Header=BB266_7 Depth=1
	v_lshlrev_b64_e32 v[24:25], 4, v[8:9]
	s_delay_alu instid0(VALU_DEP_1) | instskip(SKIP_1) | instid1(VALU_DEP_2)
	v_add_co_u32 v24, vcc_lo, v0, v24
	s_wait_alu 0xfffd
	v_add_co_ci_u32_e64 v25, null, v42, v25, vcc_lo
	global_store_b128 v[24:25], v[2:5], off
.LBB266_29:                             ;   in Loop: Header=BB266_7 Depth=1
	s_wait_alu 0xfffe
	s_or_b32 exec_lo, exec_lo, s18
	v_add_co_u32 v0, vcc_lo, s2, v12
	s_wait_alu 0xfffd
	v_add_co_ci_u32_e64 v24, null, s3, v13, vcc_lo
	s_and_saveexec_b32 s2, s15
	s_cbranch_execz .LBB266_34
; %bb.30:                               ;   in Loop: Header=BB266_7 Depth=1
	v_mul_f64_e32 v[2:3], s[42:43], v[22:23]
	v_mul_f64_e32 v[4:5], s[40:41], v[22:23]
	s_and_not1_b32 vcc_lo, exec_lo, s11
	s_mov_b32 s3, -1
	s_delay_alu instid0(VALU_DEP_2) | instskip(NEXT) | instid1(VALU_DEP_2)
	v_fma_f64 v[2:3], s[40:41], v[20:21], -v[2:3]
	v_fma_f64 v[4:5], s[42:43], v[20:21], v[4:5]
	v_lshlrev_b64_e32 v[20:21], 4, v[6:7]
	s_wait_alu 0xfffe
	s_cbranch_vccnz .LBB266_32
; %bb.31:                               ;   in Loop: Header=BB266_7 Depth=1
	s_delay_alu instid0(VALU_DEP_1) | instskip(SKIP_1) | instid1(VALU_DEP_2)
	v_add_co_u32 v22, vcc_lo, v0, v20
	s_wait_alu 0xfffd
	v_add_co_ci_u32_e64 v23, null, v24, v21, vcc_lo
	s_mov_b32 s3, 0
	global_load_b128 v[25:28], v[22:23], off
	s_wait_loadcnt 0x0
	v_mul_f64_e32 v[29:30], s[38:39], v[27:28]
	v_mul_f64_e32 v[27:28], s[36:37], v[27:28]
	s_delay_alu instid0(VALU_DEP_2) | instskip(NEXT) | instid1(VALU_DEP_2)
	v_fma_f64 v[29:30], s[36:37], v[25:26], -v[29:30]
	v_fma_f64 v[27:28], s[38:39], v[25:26], v[27:28]
	s_delay_alu instid0(VALU_DEP_2) | instskip(NEXT) | instid1(VALU_DEP_2)
	v_add_f64_e32 v[25:26], v[2:3], v[29:30]
	v_add_f64_e32 v[27:28], v[4:5], v[27:28]
	global_store_b128 v[22:23], v[25:28], off
.LBB266_32:                             ;   in Loop: Header=BB266_7 Depth=1
	s_wait_alu 0xfffe
	s_and_not1_b32 vcc_lo, exec_lo, s3
	s_wait_alu 0xfffe
	s_cbranch_vccnz .LBB266_34
; %bb.33:                               ;   in Loop: Header=BB266_7 Depth=1
	v_add_co_u32 v20, vcc_lo, v0, v20
	s_wait_alu 0xfffd
	v_add_co_ci_u32_e64 v21, null, v24, v21, vcc_lo
	global_store_b128 v[20:21], v[2:5], off
.LBB266_34:                             ;   in Loop: Header=BB266_7 Depth=1
	s_wait_alu 0xfffe
	s_or_b32 exec_lo, exec_lo, s2
	s_and_saveexec_b32 s2, s4
	s_cbranch_execz .LBB266_6
; %bb.35:                               ;   in Loop: Header=BB266_7 Depth=1
	v_mul_f64_e32 v[2:3], s[42:43], v[16:17]
	v_mul_f64_e32 v[4:5], s[40:41], v[16:17]
	v_lshlrev_b64_e32 v[16:17], 4, v[8:9]
	s_and_not1_b32 vcc_lo, exec_lo, s11
	s_mov_b32 s3, -1
	s_delay_alu instid0(VALU_DEP_3) | instskip(NEXT) | instid1(VALU_DEP_3)
	v_fma_f64 v[2:3], s[40:41], v[18:19], -v[2:3]
	v_fma_f64 v[4:5], s[42:43], v[18:19], v[4:5]
	s_wait_alu 0xfffe
	s_cbranch_vccnz .LBB266_37
; %bb.36:                               ;   in Loop: Header=BB266_7 Depth=1
	v_add_co_u32 v22, vcc_lo, v0, v16
	s_wait_alu 0xfffd
	v_add_co_ci_u32_e64 v23, null, v24, v17, vcc_lo
	s_mov_b32 s3, 0
	global_load_b128 v[18:21], v[22:23], off
	s_wait_loadcnt 0x0
	v_mul_f64_e32 v[25:26], s[38:39], v[20:21]
	v_mul_f64_e32 v[20:21], s[36:37], v[20:21]
	s_delay_alu instid0(VALU_DEP_2) | instskip(NEXT) | instid1(VALU_DEP_2)
	v_fma_f64 v[25:26], s[36:37], v[18:19], -v[25:26]
	v_fma_f64 v[20:21], s[38:39], v[18:19], v[20:21]
	s_delay_alu instid0(VALU_DEP_2) | instskip(NEXT) | instid1(VALU_DEP_2)
	v_add_f64_e32 v[18:19], v[2:3], v[25:26]
	v_add_f64_e32 v[20:21], v[4:5], v[20:21]
	global_store_b128 v[22:23], v[18:21], off
.LBB266_37:                             ;   in Loop: Header=BB266_7 Depth=1
	s_wait_alu 0xfffe
	s_and_not1_b32 vcc_lo, exec_lo, s3
	s_wait_alu 0xfffe
	s_cbranch_vccnz .LBB266_6
; %bb.38:                               ;   in Loop: Header=BB266_7 Depth=1
	v_add_co_u32 v16, vcc_lo, v0, v16
	s_wait_alu 0xfffd
	v_add_co_ci_u32_e64 v17, null, v24, v17, vcc_lo
	global_store_b128 v[16:17], v[2:5], off
	s_branch .LBB266_6
.LBB266_39:
.LBB266_40:
	s_nop 0
	s_sendmsg sendmsg(MSG_DEALLOC_VGPRS)
	s_endpgm
	.section	.rodata,"a",@progbits
	.p2align	6, 0x0
	.amdhsa_kernel _ZL29rocblas_internal_gemmt_kernelIlLi16ELi32ELi8ELc84ELc67ELc76ELb0ELb1E19rocblas_complex_numIdEPKS1_S3_PS1_EviT_T9_T10_S5_lS7_S5_lS6_T11_S5_li
		.amdhsa_group_segment_fixed_size 8192
		.amdhsa_private_segment_fixed_size 0
		.amdhsa_kernarg_size 108
		.amdhsa_user_sgpr_count 2
		.amdhsa_user_sgpr_dispatch_ptr 0
		.amdhsa_user_sgpr_queue_ptr 0
		.amdhsa_user_sgpr_kernarg_segment_ptr 1
		.amdhsa_user_sgpr_dispatch_id 0
		.amdhsa_user_sgpr_private_segment_size 0
		.amdhsa_wavefront_size32 1
		.amdhsa_uses_dynamic_stack 0
		.amdhsa_enable_private_segment 0
		.amdhsa_system_sgpr_workgroup_id_x 1
		.amdhsa_system_sgpr_workgroup_id_y 1
		.amdhsa_system_sgpr_workgroup_id_z 1
		.amdhsa_system_sgpr_workgroup_info 0
		.amdhsa_system_vgpr_workitem_id 1
		.amdhsa_next_free_vgpr 134
		.amdhsa_next_free_sgpr 44
		.amdhsa_reserve_vcc 1
		.amdhsa_float_round_mode_32 0
		.amdhsa_float_round_mode_16_64 0
		.amdhsa_float_denorm_mode_32 3
		.amdhsa_float_denorm_mode_16_64 3
		.amdhsa_fp16_overflow 0
		.amdhsa_workgroup_processor_mode 1
		.amdhsa_memory_ordered 1
		.amdhsa_forward_progress 1
		.amdhsa_inst_pref_size 28
		.amdhsa_round_robin_scheduling 0
		.amdhsa_exception_fp_ieee_invalid_op 0
		.amdhsa_exception_fp_denorm_src 0
		.amdhsa_exception_fp_ieee_div_zero 0
		.amdhsa_exception_fp_ieee_overflow 0
		.amdhsa_exception_fp_ieee_underflow 0
		.amdhsa_exception_fp_ieee_inexact 0
		.amdhsa_exception_int_div_zero 0
	.end_amdhsa_kernel
	.section	.text._ZL29rocblas_internal_gemmt_kernelIlLi16ELi32ELi8ELc84ELc67ELc76ELb0ELb1E19rocblas_complex_numIdEPKS1_S3_PS1_EviT_T9_T10_S5_lS7_S5_lS6_T11_S5_li,"axG",@progbits,_ZL29rocblas_internal_gemmt_kernelIlLi16ELi32ELi8ELc84ELc67ELc76ELb0ELb1E19rocblas_complex_numIdEPKS1_S3_PS1_EviT_T9_T10_S5_lS7_S5_lS6_T11_S5_li,comdat
.Lfunc_end266:
	.size	_ZL29rocblas_internal_gemmt_kernelIlLi16ELi32ELi8ELc84ELc67ELc76ELb0ELb1E19rocblas_complex_numIdEPKS1_S3_PS1_EviT_T9_T10_S5_lS7_S5_lS6_T11_S5_li, .Lfunc_end266-_ZL29rocblas_internal_gemmt_kernelIlLi16ELi32ELi8ELc84ELc67ELc76ELb0ELb1E19rocblas_complex_numIdEPKS1_S3_PS1_EviT_T9_T10_S5_lS7_S5_lS6_T11_S5_li
                                        ; -- End function
	.set _ZL29rocblas_internal_gemmt_kernelIlLi16ELi32ELi8ELc84ELc67ELc76ELb0ELb1E19rocblas_complex_numIdEPKS1_S3_PS1_EviT_T9_T10_S5_lS7_S5_lS6_T11_S5_li.num_vgpr, 134
	.set _ZL29rocblas_internal_gemmt_kernelIlLi16ELi32ELi8ELc84ELc67ELc76ELb0ELb1E19rocblas_complex_numIdEPKS1_S3_PS1_EviT_T9_T10_S5_lS7_S5_lS6_T11_S5_li.num_agpr, 0
	.set _ZL29rocblas_internal_gemmt_kernelIlLi16ELi32ELi8ELc84ELc67ELc76ELb0ELb1E19rocblas_complex_numIdEPKS1_S3_PS1_EviT_T9_T10_S5_lS7_S5_lS6_T11_S5_li.numbered_sgpr, 44
	.set _ZL29rocblas_internal_gemmt_kernelIlLi16ELi32ELi8ELc84ELc67ELc76ELb0ELb1E19rocblas_complex_numIdEPKS1_S3_PS1_EviT_T9_T10_S5_lS7_S5_lS6_T11_S5_li.num_named_barrier, 0
	.set _ZL29rocblas_internal_gemmt_kernelIlLi16ELi32ELi8ELc84ELc67ELc76ELb0ELb1E19rocblas_complex_numIdEPKS1_S3_PS1_EviT_T9_T10_S5_lS7_S5_lS6_T11_S5_li.private_seg_size, 0
	.set _ZL29rocblas_internal_gemmt_kernelIlLi16ELi32ELi8ELc84ELc67ELc76ELb0ELb1E19rocblas_complex_numIdEPKS1_S3_PS1_EviT_T9_T10_S5_lS7_S5_lS6_T11_S5_li.uses_vcc, 1
	.set _ZL29rocblas_internal_gemmt_kernelIlLi16ELi32ELi8ELc84ELc67ELc76ELb0ELb1E19rocblas_complex_numIdEPKS1_S3_PS1_EviT_T9_T10_S5_lS7_S5_lS6_T11_S5_li.uses_flat_scratch, 0
	.set _ZL29rocblas_internal_gemmt_kernelIlLi16ELi32ELi8ELc84ELc67ELc76ELb0ELb1E19rocblas_complex_numIdEPKS1_S3_PS1_EviT_T9_T10_S5_lS7_S5_lS6_T11_S5_li.has_dyn_sized_stack, 0
	.set _ZL29rocblas_internal_gemmt_kernelIlLi16ELi32ELi8ELc84ELc67ELc76ELb0ELb1E19rocblas_complex_numIdEPKS1_S3_PS1_EviT_T9_T10_S5_lS7_S5_lS6_T11_S5_li.has_recursion, 0
	.set _ZL29rocblas_internal_gemmt_kernelIlLi16ELi32ELi8ELc84ELc67ELc76ELb0ELb1E19rocblas_complex_numIdEPKS1_S3_PS1_EviT_T9_T10_S5_lS7_S5_lS6_T11_S5_li.has_indirect_call, 0
	.section	.AMDGPU.csdata,"",@progbits
; Kernel info:
; codeLenInByte = 3528
; TotalNumSgprs: 46
; NumVgprs: 134
; ScratchSize: 0
; MemoryBound: 1
; FloatMode: 240
; IeeeMode: 1
; LDSByteSize: 8192 bytes/workgroup (compile time only)
; SGPRBlocks: 0
; VGPRBlocks: 16
; NumSGPRsForWavesPerEU: 46
; NumVGPRsForWavesPerEU: 134
; Occupancy: 10
; WaveLimiterHint : 0
; COMPUTE_PGM_RSRC2:SCRATCH_EN: 0
; COMPUTE_PGM_RSRC2:USER_SGPR: 2
; COMPUTE_PGM_RSRC2:TRAP_HANDLER: 0
; COMPUTE_PGM_RSRC2:TGID_X_EN: 1
; COMPUTE_PGM_RSRC2:TGID_Y_EN: 1
; COMPUTE_PGM_RSRC2:TGID_Z_EN: 1
; COMPUTE_PGM_RSRC2:TIDIG_COMP_CNT: 1
	.section	.text._ZL29rocblas_internal_gemmt_kernelIlLi16ELi32ELi8ELc67ELc78ELc76ELb1ELb0E19rocblas_complex_numIdEPKS1_S3_PS1_EviT_T9_T10_S5_lS7_S5_lS6_T11_S5_li,"axG",@progbits,_ZL29rocblas_internal_gemmt_kernelIlLi16ELi32ELi8ELc67ELc78ELc76ELb1ELb0E19rocblas_complex_numIdEPKS1_S3_PS1_EviT_T9_T10_S5_lS7_S5_lS6_T11_S5_li,comdat
	.globl	_ZL29rocblas_internal_gemmt_kernelIlLi16ELi32ELi8ELc67ELc78ELc76ELb1ELb0E19rocblas_complex_numIdEPKS1_S3_PS1_EviT_T9_T10_S5_lS7_S5_lS6_T11_S5_li ; -- Begin function _ZL29rocblas_internal_gemmt_kernelIlLi16ELi32ELi8ELc67ELc78ELc76ELb1ELb0E19rocblas_complex_numIdEPKS1_S3_PS1_EviT_T9_T10_S5_lS7_S5_lS6_T11_S5_li
	.p2align	8
	.type	_ZL29rocblas_internal_gemmt_kernelIlLi16ELi32ELi8ELc67ELc78ELc76ELb1ELb0E19rocblas_complex_numIdEPKS1_S3_PS1_EviT_T9_T10_S5_lS7_S5_lS6_T11_S5_li,@function
_ZL29rocblas_internal_gemmt_kernelIlLi16ELi32ELi8ELc67ELc78ELc76ELb1ELb0E19rocblas_complex_numIdEPKS1_S3_PS1_EviT_T9_T10_S5_lS7_S5_lS6_T11_S5_li: ; @_ZL29rocblas_internal_gemmt_kernelIlLi16ELi32ELi8ELc67ELc78ELc76ELb1ELb0E19rocblas_complex_numIdEPKS1_S3_PS1_EviT_T9_T10_S5_lS7_S5_lS6_T11_S5_li
; %bb.0:
	s_clause 0x1
	s_load_b256 s[24:31], s[0:1], 0x48
	s_load_b512 s[8:23], s[0:1], 0x8
	s_wait_kmcnt 0x0
	s_load_b128 s[36:39], s[24:25], 0x0
	s_load_b128 s[40:43], s[10:11], 0x0
	s_wait_kmcnt 0x0
	v_cmp_eq_f64_e64 s3, s[36:37], 1.0
	v_cmp_eq_f64_e64 s2, s[38:39], 0
	s_and_b32 s3, s3, s2
	s_delay_alu instid0(SALU_CYCLE_1)
	s_and_not1_b32 vcc_lo, exec_lo, s3
	s_mov_b32 s3, -1
	s_cbranch_vccnz .LBB267_3
; %bb.1:
	s_cmp_lg_u64 s[8:9], 0
	s_cbranch_scc0 .LBB267_38
; %bb.2:
	v_cmp_neq_f64_e64 s3, s[40:41], 0
	v_cmp_neq_f64_e64 s4, s[42:43], 0
	s_or_b32 s3, s3, s4
.LBB267_3:
	s_delay_alu instid0(SALU_CYCLE_1)
	s_and_b32 vcc_lo, exec_lo, s3
	s_cbranch_vccz .LBB267_39
; %bb.4:
	s_load_b32 s5, s[0:1], 0x68
	s_lshr_b32 s6, ttmp7, 16
	s_wait_kmcnt 0x0
	s_cmp_ge_u32 s6, s5
	s_cbranch_scc1 .LBB267_39
; %bb.5:
	v_and_b32_e32 v2, 0x3ff, v0
	v_bfe_u32 v7, v0, 10, 10
	s_load_b32 s7, s[0:1], 0x0
	s_lshl_b32 s0, ttmp7, 5
	s_lshl_b32 s1, ttmp9, 5
	s_and_b32 s0, s0, 0x1fffe0
	v_lshl_add_u32 v4, v7, 4, v2
	v_add_nc_u32_e32 v15, s0, v7
	v_and_b32_e32 v30, 7, v0
	v_cmp_neq_f64_e64 s10, s[36:37], 0
	v_lshlrev_b32_e32 v31, 4, v2
	v_lshrrev_b32_e32 v8, 3, v4
	v_and_b32_e32 v12, 31, v4
	v_mad_co_u64_u32 v[10:11], null, s28, v15, 0
	v_add_nc_u32_e32 v6, s1, v2
	s_delay_alu instid0(VALU_DEP_4) | instskip(NEXT) | instid1(VALU_DEP_4)
	v_add_nc_u32_e32 v9, s0, v8
	v_or_b32_e32 v13, s1, v12
	s_ashr_i32 s11, s1, 31
	v_lshrrev_b32_e32 v32, 5, v4
	v_cmp_neq_f64_e64 s3, s[40:41], 0
	v_mad_co_u64_u32 v[0:1], null, s20, v9, 0
	v_mad_co_u64_u32 v[2:3], null, s14, v13, 0
	v_mul_lo_u32 v16, s15, v13
	v_cmp_neq_f64_e64 s4, s[42:43], 0
	s_mul_i32 s11, s14, s11
	v_cmp_gt_i64_e64 s24, s[8:9], 0
	s_wait_kmcnt 0x0
	v_cmp_gt_i32_e64 s0, s7, v13
	v_lshl_add_u32 v39, v7, 7, 0x1000
	v_mad_co_u64_u32 v[4:5], null, s21, v9, v[1:2]
	v_lshlrev_b32_e32 v1, 4, v12
	v_add3_u32 v3, v3, s11, v16
	v_add_nc_u32_e32 v5, 16, v15
	v_ashrrev_i32_e32 v7, 31, v6
	s_delay_alu instid0(VALU_DEP_4) | instskip(SKIP_2) | instid1(VALU_DEP_2)
	v_lshl_or_b32 v33, v32, 9, v1
	v_mov_b32_e32 v1, v4
	v_lshlrev_b64_e32 v[2:3], 4, v[2:3]
	v_lshlrev_b64_e32 v[0:1], 4, v[0:1]
	s_delay_alu instid0(VALU_DEP_2) | instskip(SKIP_1) | instid1(VALU_DEP_3)
	v_add_co_u32 v35, s1, s12, v2
	s_wait_alu 0xf1ff
	v_add_co_ci_u32_e64 v36, null, s13, v3, s1
	v_mad_co_u64_u32 v[2:3], null, s28, v5, 0
	s_delay_alu instid0(VALU_DEP_4)
	v_add_co_u32 v37, s1, s18, v0
	v_mov_b32_e32 v0, v11
	s_wait_alu 0xf1ff
	v_add_co_ci_u32_e64 v38, null, s19, v1, s1
	s_xor_b32 s1, s2, -1
	v_cmp_gt_i32_e64 s2, s7, v6
	v_mad_co_u64_u32 v[0:1], null, s29, v15, v[0:1]
	v_dual_mov_b32 v1, v3 :: v_dual_lshlrev_b32 v14, 4, v30
	s_wait_alu 0xfffe
	s_or_b32 s10, s10, s1
	v_cmp_le_i32_e64 s1, v15, v6
	v_cmp_gt_i32_e32 vcc_lo, s7, v9
	v_mad_co_u64_u32 v[3:4], null, s29, v5, v[1:2]
	v_mov_b32_e32 v1, 0
	v_lshl_or_b32 v8, v8, 7, v14
	s_and_b32 s11, s1, s2
	v_cmp_le_i32_e64 s1, v5, v6
	v_mov_b32_e32 v11, v0
	s_or_b32 s14, s3, s4
	v_add_nc_u32_e32 v34, 0x1000, v8
	v_add_nc_u32_e32 v8, 16, v6
	s_and_b32 s13, s1, s2
	v_lshlrev_b64_e32 v[10:11], 4, v[10:11]
	v_lshlrev_b64_e32 v[12:13], 4, v[2:3]
	s_wait_alu 0xfffe
	s_and_b32 s14, s14, s24
	v_cmp_le_i32_e64 s3, v15, v8
	v_cmp_gt_i32_e64 s4, s7, v8
	v_cmp_le_i32_e64 s1, v5, v8
	v_ashrrev_i32_e32 v9, 31, v8
	s_mov_b32 s7, 0
	s_and_b32 s12, s3, s4
	s_and_b32 s1, s1, s4
	s_xor_b32 s4, vcc_lo, -1
	s_branch .LBB267_7
.LBB267_6:                              ;   in Loop: Header=BB267_7 Depth=1
	s_wait_alu 0xfffe
	s_or_b32 exec_lo, exec_lo, s2
	s_add_co_i32 s6, s6, 0x10000
	s_wait_alu 0xfffe
	s_cmp_lt_u32 s6, s5
	s_cbranch_scc0 .LBB267_39
.LBB267_7:                              ; =>This Loop Header: Depth=1
                                        ;     Child Loop BB267_10 Depth 2
	v_mov_b32_e32 v26, 0
	v_mov_b32_e32 v22, 0
	v_mov_b32_e32 v18, 0
	v_dual_mov_b32 v16, 0 :: v_dual_mov_b32 v27, 0
	v_dual_mov_b32 v28, 0 :: v_dual_mov_b32 v23, 0
	;; [unrolled: 1-line block ×5, first 2 shown]
	v_mov_b32_e32 v25, 0
	v_mov_b32_e32 v21, 0
	;; [unrolled: 1-line block ×3, first 2 shown]
	s_wait_alu 0xfffe
	s_and_not1_b32 vcc_lo, exec_lo, s14
	s_wait_alu 0xfffe
	s_cbranch_vccnz .LBB267_18
; %bb.8:                                ;   in Loop: Header=BB267_7 Depth=1
	s_mul_u64 s[2:3], s[16:17], s[6:7]
	s_mul_u64 s[18:19], s[22:23], s[6:7]
	s_wait_alu 0xfffe
	s_lshl_b64 s[2:3], s[2:3], 4
	v_mov_b32_e32 v14, 0
	s_wait_alu 0xfffe
	v_add_co_u32 v40, vcc_lo, v35, s2
	s_wait_alu 0xfffd
	v_add_co_ci_u32_e64 v41, null, s3, v36, vcc_lo
	s_lshl_b64 s[2:3], s[18:19], 4
	v_mov_b32_e32 v20, 0
	v_mov_b32_e32 v24, 0
	;; [unrolled: 1-line block ×3, first 2 shown]
	s_wait_alu 0xfffe
	v_add_co_u32 v42, vcc_lo, v37, s2
	v_dual_mov_b32 v15, 0 :: v_dual_mov_b32 v16, 0
	v_dual_mov_b32 v21, 0 :: v_dual_mov_b32 v18, 0
	;; [unrolled: 1-line block ×4, first 2 shown]
	v_mov_b32_e32 v17, 0
	v_mov_b32_e32 v19, 0
	;; [unrolled: 1-line block ×4, first 2 shown]
	s_wait_alu 0xfffd
	v_add_co_ci_u32_e64 v43, null, s3, v38, vcc_lo
	s_mov_b64 s[2:3], 0
	s_branch .LBB267_10
.LBB267_9:                              ;   in Loop: Header=BB267_10 Depth=2
	s_wait_alu 0xfffe
	s_or_b32 exec_lo, exec_lo, s15
	s_wait_dscnt 0x0
	s_barrier_signal -1
	s_barrier_wait -1
	global_inv scope:SCOPE_SE
	ds_load_b128 v[2:5], v39
	ds_load_b128 v[44:47], v31
	ds_load_b128 v[48:51], v31 offset:256
	ds_load_b128 v[52:55], v39 offset:2048
	;; [unrolled: 1-line block ×10, first 2 shown]
	s_add_nc_u64 s[2:3], s[2:3], 8
	s_wait_alu 0xfffe
	v_cmp_gt_i64_e64 s15, s[8:9], s[2:3]
	s_and_b32 vcc_lo, exec_lo, s15
	s_wait_dscnt 0xa
	v_mul_f64_e32 v[88:89], v[4:5], v[46:47]
	v_mul_f64_e32 v[90:91], v[2:3], v[46:47]
	s_wait_dscnt 0x9
	v_mul_f64_e32 v[92:93], v[4:5], v[50:51]
	v_mul_f64_e32 v[94:95], v[2:3], v[50:51]
	;; [unrolled: 3-line block ×3, first 2 shown]
	v_mul_f64_e32 v[98:99], v[54:55], v[50:51]
	v_mul_f64_e32 v[50:51], v[52:53], v[50:51]
	s_wait_dscnt 0x5
	v_mul_f64_e32 v[100:101], v[58:59], v[66:67]
	v_mul_f64_e32 v[102:103], v[56:57], v[66:67]
	s_wait_dscnt 0x4
	v_mul_f64_e32 v[104:105], v[58:59], v[70:71]
	v_mul_f64_e32 v[106:107], v[56:57], v[70:71]
	;; [unrolled: 1-line block ×6, first 2 shown]
	s_wait_dscnt 0x2
	v_mul_f64_e32 v[116:117], v[74:75], v[78:79]
	v_mul_f64_e32 v[118:119], v[72:73], v[78:79]
	s_wait_dscnt 0x1
	v_mul_f64_e32 v[120:121], v[74:75], v[82:83]
	v_mul_f64_e32 v[122:123], v[72:73], v[82:83]
	;; [unrolled: 3-line block ×3, first 2 shown]
	v_mul_f64_e32 v[126:127], v[86:87], v[82:83]
	v_mul_f64_e32 v[82:83], v[84:85], v[82:83]
	v_fma_f64 v[88:89], v[2:3], v[44:45], -v[88:89]
	v_fma_f64 v[90:91], v[4:5], v[44:45], v[90:91]
	v_fma_f64 v[92:93], v[2:3], v[48:49], -v[92:93]
	v_fma_f64 v[94:95], v[4:5], v[48:49], v[94:95]
	;; [unrolled: 2-line block ×8, first 2 shown]
	ds_load_b128 v[2:5], v39 offset:48
	ds_load_b128 v[44:47], v31 offset:1536
	;; [unrolled: 1-line block ×4, first 2 shown]
	v_fma_f64 v[116:117], v[72:73], v[76:77], -v[116:117]
	v_fma_f64 v[118:119], v[74:75], v[76:77], v[118:119]
	v_fma_f64 v[72:73], v[72:73], v[80:81], -v[120:121]
	v_fma_f64 v[74:75], v[74:75], v[80:81], v[122:123]
	;; [unrolled: 2-line block ×4, first 2 shown]
	s_wait_dscnt 0x2
	v_mul_f64_e32 v[106:107], v[2:3], v[46:47]
	s_wait_dscnt 0x1
	v_mul_f64_e32 v[108:109], v[4:5], v[50:51]
	v_mul_f64_e32 v[110:111], v[2:3], v[50:51]
	v_add_f64_e32 v[66:67], v[26:27], v[88:89]
	v_add_f64_e32 v[68:69], v[90:91], v[28:29]
	;; [unrolled: 1-line block ×8, first 2 shown]
	v_mul_f64_e32 v[98:99], v[4:5], v[46:47]
	s_wait_dscnt 0x0
	v_mul_f64_e32 v[112:113], v[54:55], v[46:47]
	v_mul_f64_e32 v[46:47], v[52:53], v[46:47]
	;; [unrolled: 1-line block ×4, first 2 shown]
	ds_load_b128 v[14:17], v39 offset:64
	ds_load_b128 v[18:21], v31 offset:2048
	;; [unrolled: 1-line block ×4, first 2 shown]
	s_wait_dscnt 0x1
	v_mul_f64_e32 v[122:123], v[14:15], v[24:25]
	s_wait_dscnt 0x0
	v_mul_f64_e32 v[124:125], v[28:29], v[20:21]
	v_mul_f64_e32 v[126:127], v[28:29], v[24:25]
	v_fma_f64 v[106:107], v[4:5], v[44:45], v[106:107]
	v_fma_f64 v[108:109], v[2:3], v[48:49], -v[108:109]
	v_fma_f64 v[110:111], v[4:5], v[48:49], v[110:111]
	v_add_f64_e32 v[82:83], v[66:67], v[100:101]
	v_add_f64_e32 v[84:85], v[102:103], v[68:69]
	;; [unrolled: 1-line block ×8, first 2 shown]
	v_mul_f64_e32 v[100:101], v[16:17], v[20:21]
	v_mul_f64_e32 v[102:103], v[14:15], v[20:21]
	;; [unrolled: 1-line block ×5, first 2 shown]
	v_fma_f64 v[98:99], v[2:3], v[44:45], -v[98:99]
	v_fma_f64 v[112:113], v[52:53], v[44:45], -v[112:113]
	v_fma_f64 v[128:129], v[54:55], v[44:45], v[46:47]
	v_fma_f64 v[114:115], v[52:53], v[48:49], -v[114:115]
	v_fma_f64 v[130:131], v[54:55], v[48:49], v[50:51]
	ds_load_b128 v[56:59], v39 offset:80
	ds_load_b128 v[60:63], v31 offset:2560
	;; [unrolled: 1-line block ×8, first 2 shown]
	v_add_f64_e32 v[82:83], v[82:83], v[116:117]
	v_add_f64_e32 v[84:85], v[118:119], v[84:85]
	;; [unrolled: 1-line block ×8, first 2 shown]
	s_wait_dscnt 0x6
	v_mul_f64_e32 v[88:89], v[58:59], v[62:63]
	v_mul_f64_e32 v[90:91], v[56:57], v[62:63]
	s_wait_dscnt 0x5
	v_mul_f64_e32 v[92:93], v[58:59], v[66:67]
	v_mul_f64_e32 v[94:95], v[56:57], v[66:67]
	;; [unrolled: 3-line block ×3, first 2 shown]
	v_mul_f64_e32 v[116:117], v[70:71], v[66:67]
	v_mul_f64_e32 v[66:67], v[68:69], v[66:67]
	v_fma_f64 v[100:101], v[14:15], v[18:19], -v[100:101]
	v_fma_f64 v[102:103], v[16:17], v[18:19], v[102:103]
	v_fma_f64 v[104:105], v[14:15], v[22:23], -v[104:105]
	v_fma_f64 v[118:119], v[16:17], v[22:23], v[122:123]
	;; [unrolled: 2-line block ×4, first 2 shown]
	ds_load_b128 v[14:17], v39 offset:112
	ds_load_b128 v[18:21], v31 offset:3584
	;; [unrolled: 1-line block ×4, first 2 shown]
	s_wait_loadcnt_dscnt 0x0
	s_barrier_signal -1
	s_barrier_wait -1
	global_inv scope:SCOPE_SE
	v_add_f64_e32 v[82:83], v[82:83], v[98:99]
	v_add_f64_e32 v[84:85], v[106:107], v[84:85]
	v_add_f64_e32 v[72:73], v[72:73], v[108:109]
	v_add_f64_e32 v[74:75], v[110:111], v[74:75]
	v_add_f64_e32 v[86:87], v[86:87], v[112:113]
	v_add_f64_e32 v[76:77], v[128:129], v[76:77]
	v_add_f64_e32 v[78:79], v[78:79], v[114:115]
	v_add_f64_e32 v[80:81], v[130:131], v[80:81]
	v_mul_f64_e32 v[98:99], v[4:5], v[46:47]
	v_mul_f64_e32 v[106:107], v[2:3], v[46:47]
	;; [unrolled: 1-line block ×8, first 2 shown]
	v_fma_f64 v[88:89], v[56:57], v[60:61], -v[88:89]
	v_fma_f64 v[90:91], v[58:59], v[60:61], v[90:91]
	v_fma_f64 v[56:57], v[56:57], v[64:65], -v[92:93]
	v_fma_f64 v[58:59], v[58:59], v[64:65], v[94:95]
	;; [unrolled: 2-line block ×4, first 2 shown]
	v_mul_f64_e32 v[94:95], v[14:15], v[24:25]
	v_mul_f64_e32 v[96:97], v[28:29], v[20:21]
	v_add_f64_e32 v[66:67], v[82:83], v[100:101]
	v_add_f64_e32 v[68:69], v[102:103], v[84:85]
	;; [unrolled: 1-line block ×8, first 2 shown]
	v_mul_f64_e32 v[82:83], v[16:17], v[20:21]
	v_mul_f64_e32 v[84:85], v[14:15], v[20:21]
	;; [unrolled: 1-line block ×6, first 2 shown]
	v_fma_f64 v[98:99], v[2:3], v[44:45], -v[98:99]
	v_fma_f64 v[102:103], v[4:5], v[44:45], v[106:107]
	v_fma_f64 v[2:3], v[2:3], v[48:49], -v[108:109]
	v_fma_f64 v[4:5], v[4:5], v[48:49], v[110:111]
	;; [unrolled: 2-line block ×4, first 2 shown]
	v_add_f64_e32 v[50:51], v[66:67], v[88:89]
	v_add_f64_e32 v[52:53], v[90:91], v[68:69]
	;; [unrolled: 1-line block ×8, first 2 shown]
	v_fma_f64 v[66:67], v[14:15], v[18:19], -v[82:83]
	v_fma_f64 v[68:69], v[16:17], v[18:19], v[84:85]
	v_fma_f64 v[14:15], v[14:15], v[22:23], -v[86:87]
	v_fma_f64 v[16:17], v[16:17], v[22:23], v[94:95]
	;; [unrolled: 2-line block ×4, first 2 shown]
	v_add_f64_e32 v[18:19], v[50:51], v[98:99]
	v_add_f64_e32 v[22:23], v[102:103], v[52:53]
	;; [unrolled: 1-line block ×16, first 2 shown]
	s_wait_alu 0xfffe
	s_cbranch_vccz .LBB267_18
.LBB267_10:                             ;   Parent Loop BB267_7 Depth=1
                                        ; =>  This Inner Loop Header: Depth=2
	v_mov_b32_e32 v2, 0
	v_dual_mov_b32 v3, 0 :: v_dual_mov_b32 v4, 0
	v_mov_b32_e32 v5, 0
	s_and_saveexec_b32 s15, s0
	s_cbranch_execz .LBB267_14
; %bb.11:                               ;   in Loop: Header=BB267_10 Depth=2
	v_mov_b32_e32 v4, 0
	v_mov_b32_e32 v2, 0
	s_wait_alu 0xfffe
	v_dual_mov_b32 v5, 0 :: v_dual_add_nc_u32 v0, s2, v32
	v_mov_b32_e32 v3, 0
	s_mov_b32 s18, exec_lo
	s_delay_alu instid0(VALU_DEP_2)
	v_cmpx_gt_u64_e64 s[8:9], v[0:1]
	s_cbranch_execz .LBB267_13
; %bb.12:                               ;   in Loop: Header=BB267_10 Depth=2
	v_lshlrev_b64_e32 v[2:3], 4, v[0:1]
	s_delay_alu instid0(VALU_DEP_1) | instskip(SKIP_1) | instid1(VALU_DEP_2)
	v_add_co_u32 v2, vcc_lo, v40, v2
	s_wait_alu 0xfffd
	v_add_co_ci_u32_e64 v3, null, v41, v3, vcc_lo
	global_load_b128 v[2:5], v[2:3], off
	s_wait_loadcnt 0x0
	v_xor_b32_e32 v5, 0x80000000, v5
.LBB267_13:                             ;   in Loop: Header=BB267_10 Depth=2
	s_wait_alu 0xfffe
	s_or_b32 exec_lo, exec_lo, s18
.LBB267_14:                             ;   in Loop: Header=BB267_10 Depth=2
	s_wait_alu 0xfffe
	s_or_b32 exec_lo, exec_lo, s15
	v_add_nc_u32_e32 v0, s2, v30
	ds_store_b128 v33, v[2:5]
	v_cmp_le_u64_e32 vcc_lo, s[8:9], v[0:1]
	s_or_b32 s15, vcc_lo, s4
	s_wait_alu 0xfffe
	s_and_saveexec_b32 s18, s15
	s_wait_alu 0xfffe
	s_xor_b32 s15, exec_lo, s18
; %bb.15:                               ;   in Loop: Header=BB267_10 Depth=2
	v_dual_mov_b32 v0, v1 :: v_dual_mov_b32 v3, v1
	v_mov_b32_e32 v2, v1
	ds_store_b128 v34, v[0:3]
; %bb.16:                               ;   in Loop: Header=BB267_10 Depth=2
	s_wait_alu 0xfffe
	s_and_not1_saveexec_b32 s15, s15
	s_cbranch_execz .LBB267_9
; %bb.17:                               ;   in Loop: Header=BB267_10 Depth=2
	v_lshlrev_b64_e32 v[2:3], 4, v[0:1]
	s_delay_alu instid0(VALU_DEP_1) | instskip(SKIP_1) | instid1(VALU_DEP_2)
	v_add_co_u32 v2, vcc_lo, v42, v2
	s_wait_alu 0xfffd
	v_add_co_ci_u32_e64 v3, null, v43, v3, vcc_lo
	global_load_b128 v[2:5], v[2:3], off
	s_wait_loadcnt 0x0
	ds_store_2addr_b64 v34, v[2:3], v[4:5] offset1:1
	s_branch .LBB267_9
.LBB267_18:                             ;   in Loop: Header=BB267_7 Depth=1
	s_mul_u64 s[2:3], s[30:31], s[6:7]
	s_wait_alu 0xfffe
	s_lshl_b64 s[2:3], s[2:3], 4
	s_wait_alu 0xfffe
	s_add_nc_u64 s[2:3], s[26:27], s[2:3]
	s_wait_alu 0xfffe
	v_add_co_u32 v0, vcc_lo, s2, v10
	s_wait_alu 0xfffd
	v_add_co_ci_u32_e64 v40, null, s3, v11, vcc_lo
	s_and_saveexec_b32 s15, s11
	s_cbranch_execz .LBB267_23
; %bb.19:                               ;   in Loop: Header=BB267_7 Depth=1
	v_mul_f64_e32 v[2:3], s[42:43], v[28:29]
	v_mul_f64_e32 v[4:5], s[40:41], v[28:29]
	s_and_b32 vcc_lo, exec_lo, s10
	s_mov_b32 s18, -1
	s_delay_alu instid0(VALU_DEP_2) | instskip(NEXT) | instid1(VALU_DEP_2)
	v_fma_f64 v[2:3], s[40:41], v[26:27], -v[2:3]
	v_fma_f64 v[4:5], s[42:43], v[26:27], v[4:5]
	s_wait_alu 0xfffe
	s_cbranch_vccz .LBB267_21
; %bb.20:                               ;   in Loop: Header=BB267_7 Depth=1
	v_lshlrev_b64_e32 v[26:27], 4, v[6:7]
	s_mov_b32 s18, 0
	s_delay_alu instid0(VALU_DEP_1) | instskip(SKIP_1) | instid1(VALU_DEP_2)
	v_add_co_u32 v41, vcc_lo, v0, v26
	s_wait_alu 0xfffd
	v_add_co_ci_u32_e64 v42, null, v40, v27, vcc_lo
	global_load_b128 v[26:29], v[41:42], off
	s_wait_loadcnt 0x0
	v_mul_f64_e32 v[43:44], s[38:39], v[28:29]
	v_mul_f64_e32 v[28:29], s[36:37], v[28:29]
	s_delay_alu instid0(VALU_DEP_2) | instskip(NEXT) | instid1(VALU_DEP_2)
	v_fma_f64 v[43:44], s[36:37], v[26:27], -v[43:44]
	v_fma_f64 v[28:29], s[38:39], v[26:27], v[28:29]
	s_delay_alu instid0(VALU_DEP_2) | instskip(NEXT) | instid1(VALU_DEP_2)
	v_add_f64_e32 v[26:27], v[2:3], v[43:44]
	v_add_f64_e32 v[28:29], v[4:5], v[28:29]
	global_store_b128 v[41:42], v[26:29], off
.LBB267_21:                             ;   in Loop: Header=BB267_7 Depth=1
	s_wait_alu 0xfffe
	s_and_not1_b32 vcc_lo, exec_lo, s18
	s_wait_alu 0xfffe
	s_cbranch_vccnz .LBB267_23
; %bb.22:                               ;   in Loop: Header=BB267_7 Depth=1
	v_lshlrev_b64_e32 v[26:27], 4, v[6:7]
	s_delay_alu instid0(VALU_DEP_1) | instskip(SKIP_1) | instid1(VALU_DEP_2)
	v_add_co_u32 v26, vcc_lo, v0, v26
	s_wait_alu 0xfffd
	v_add_co_ci_u32_e64 v27, null, v40, v27, vcc_lo
	global_store_b128 v[26:27], v[2:5], off
.LBB267_23:                             ;   in Loop: Header=BB267_7 Depth=1
	s_wait_alu 0xfffe
	s_or_b32 exec_lo, exec_lo, s15
	s_and_saveexec_b32 s15, s12
	s_cbranch_execz .LBB267_28
; %bb.24:                               ;   in Loop: Header=BB267_7 Depth=1
	v_mul_f64_e32 v[2:3], s[42:43], v[24:25]
	v_mul_f64_e32 v[4:5], s[40:41], v[24:25]
	s_and_not1_b32 vcc_lo, exec_lo, s10
	s_mov_b32 s18, -1
	s_delay_alu instid0(VALU_DEP_2) | instskip(NEXT) | instid1(VALU_DEP_2)
	v_fma_f64 v[2:3], s[40:41], v[22:23], -v[2:3]
	v_fma_f64 v[4:5], s[42:43], v[22:23], v[4:5]
	s_wait_alu 0xfffe
	s_cbranch_vccnz .LBB267_26
; %bb.25:                               ;   in Loop: Header=BB267_7 Depth=1
	v_lshlrev_b64_e32 v[22:23], 4, v[8:9]
	s_mov_b32 s18, 0
	s_delay_alu instid0(VALU_DEP_1) | instskip(SKIP_1) | instid1(VALU_DEP_2)
	v_add_co_u32 v26, vcc_lo, v0, v22
	s_wait_alu 0xfffd
	v_add_co_ci_u32_e64 v27, null, v40, v23, vcc_lo
	global_load_b128 v[22:25], v[26:27], off
	s_wait_loadcnt 0x0
	v_mul_f64_e32 v[28:29], s[38:39], v[24:25]
	v_mul_f64_e32 v[24:25], s[36:37], v[24:25]
	s_delay_alu instid0(VALU_DEP_2) | instskip(NEXT) | instid1(VALU_DEP_2)
	v_fma_f64 v[28:29], s[36:37], v[22:23], -v[28:29]
	v_fma_f64 v[24:25], s[38:39], v[22:23], v[24:25]
	s_delay_alu instid0(VALU_DEP_2) | instskip(NEXT) | instid1(VALU_DEP_2)
	v_add_f64_e32 v[22:23], v[2:3], v[28:29]
	v_add_f64_e32 v[24:25], v[4:5], v[24:25]
	global_store_b128 v[26:27], v[22:25], off
.LBB267_26:                             ;   in Loop: Header=BB267_7 Depth=1
	s_wait_alu 0xfffe
	s_and_not1_b32 vcc_lo, exec_lo, s18
	s_wait_alu 0xfffe
	s_cbranch_vccnz .LBB267_28
; %bb.27:                               ;   in Loop: Header=BB267_7 Depth=1
	v_lshlrev_b64_e32 v[22:23], 4, v[8:9]
	s_delay_alu instid0(VALU_DEP_1) | instskip(SKIP_1) | instid1(VALU_DEP_2)
	v_add_co_u32 v22, vcc_lo, v0, v22
	s_wait_alu 0xfffd
	v_add_co_ci_u32_e64 v23, null, v40, v23, vcc_lo
	global_store_b128 v[22:23], v[2:5], off
.LBB267_28:                             ;   in Loop: Header=BB267_7 Depth=1
	s_wait_alu 0xfffe
	s_or_b32 exec_lo, exec_lo, s15
	v_add_co_u32 v0, vcc_lo, s2, v12
	s_wait_alu 0xfffd
	v_add_co_ci_u32_e64 v22, null, s3, v13, vcc_lo
	s_and_saveexec_b32 s2, s13
	s_cbranch_execz .LBB267_33
; %bb.29:                               ;   in Loop: Header=BB267_7 Depth=1
	v_mul_f64_e32 v[2:3], s[42:43], v[20:21]
	v_mul_f64_e32 v[4:5], s[40:41], v[20:21]
	s_and_not1_b32 vcc_lo, exec_lo, s10
	s_mov_b32 s3, -1
	s_delay_alu instid0(VALU_DEP_2) | instskip(NEXT) | instid1(VALU_DEP_2)
	v_fma_f64 v[2:3], s[40:41], v[18:19], -v[2:3]
	v_fma_f64 v[4:5], s[42:43], v[18:19], v[4:5]
	v_lshlrev_b64_e32 v[18:19], 4, v[6:7]
	s_wait_alu 0xfffe
	s_cbranch_vccnz .LBB267_31
; %bb.30:                               ;   in Loop: Header=BB267_7 Depth=1
	s_delay_alu instid0(VALU_DEP_1) | instskip(SKIP_1) | instid1(VALU_DEP_2)
	v_add_co_u32 v20, vcc_lo, v0, v18
	s_wait_alu 0xfffd
	v_add_co_ci_u32_e64 v21, null, v22, v19, vcc_lo
	s_mov_b32 s3, 0
	global_load_b128 v[23:26], v[20:21], off
	s_wait_loadcnt 0x0
	v_mul_f64_e32 v[27:28], s[38:39], v[25:26]
	v_mul_f64_e32 v[25:26], s[36:37], v[25:26]
	s_delay_alu instid0(VALU_DEP_2) | instskip(NEXT) | instid1(VALU_DEP_2)
	v_fma_f64 v[27:28], s[36:37], v[23:24], -v[27:28]
	v_fma_f64 v[25:26], s[38:39], v[23:24], v[25:26]
	s_delay_alu instid0(VALU_DEP_2) | instskip(NEXT) | instid1(VALU_DEP_2)
	v_add_f64_e32 v[23:24], v[2:3], v[27:28]
	v_add_f64_e32 v[25:26], v[4:5], v[25:26]
	global_store_b128 v[20:21], v[23:26], off
.LBB267_31:                             ;   in Loop: Header=BB267_7 Depth=1
	s_wait_alu 0xfffe
	s_and_not1_b32 vcc_lo, exec_lo, s3
	s_wait_alu 0xfffe
	s_cbranch_vccnz .LBB267_33
; %bb.32:                               ;   in Loop: Header=BB267_7 Depth=1
	v_add_co_u32 v18, vcc_lo, v0, v18
	s_wait_alu 0xfffd
	v_add_co_ci_u32_e64 v19, null, v22, v19, vcc_lo
	global_store_b128 v[18:19], v[2:5], off
.LBB267_33:                             ;   in Loop: Header=BB267_7 Depth=1
	s_wait_alu 0xfffe
	s_or_b32 exec_lo, exec_lo, s2
	s_and_saveexec_b32 s2, s1
	s_cbranch_execz .LBB267_6
; %bb.34:                               ;   in Loop: Header=BB267_7 Depth=1
	v_mul_f64_e32 v[2:3], s[42:43], v[14:15]
	v_mul_f64_e32 v[4:5], s[40:41], v[14:15]
	v_lshlrev_b64_e32 v[14:15], 4, v[8:9]
	s_and_not1_b32 vcc_lo, exec_lo, s10
	s_mov_b32 s3, -1
	s_delay_alu instid0(VALU_DEP_3) | instskip(NEXT) | instid1(VALU_DEP_3)
	v_fma_f64 v[2:3], s[40:41], v[16:17], -v[2:3]
	v_fma_f64 v[4:5], s[42:43], v[16:17], v[4:5]
	s_wait_alu 0xfffe
	s_cbranch_vccnz .LBB267_36
; %bb.35:                               ;   in Loop: Header=BB267_7 Depth=1
	v_add_co_u32 v20, vcc_lo, v0, v14
	s_wait_alu 0xfffd
	v_add_co_ci_u32_e64 v21, null, v22, v15, vcc_lo
	s_mov_b32 s3, 0
	global_load_b128 v[16:19], v[20:21], off
	s_wait_loadcnt 0x0
	v_mul_f64_e32 v[23:24], s[38:39], v[18:19]
	v_mul_f64_e32 v[18:19], s[36:37], v[18:19]
	s_delay_alu instid0(VALU_DEP_2) | instskip(NEXT) | instid1(VALU_DEP_2)
	v_fma_f64 v[23:24], s[36:37], v[16:17], -v[23:24]
	v_fma_f64 v[18:19], s[38:39], v[16:17], v[18:19]
	s_delay_alu instid0(VALU_DEP_2) | instskip(NEXT) | instid1(VALU_DEP_2)
	v_add_f64_e32 v[16:17], v[2:3], v[23:24]
	v_add_f64_e32 v[18:19], v[4:5], v[18:19]
	global_store_b128 v[20:21], v[16:19], off
.LBB267_36:                             ;   in Loop: Header=BB267_7 Depth=1
	s_wait_alu 0xfffe
	s_and_not1_b32 vcc_lo, exec_lo, s3
	s_wait_alu 0xfffe
	s_cbranch_vccnz .LBB267_6
; %bb.37:                               ;   in Loop: Header=BB267_7 Depth=1
	v_add_co_u32 v14, vcc_lo, v0, v14
	s_wait_alu 0xfffd
	v_add_co_ci_u32_e64 v15, null, v22, v15, vcc_lo
	global_store_b128 v[14:15], v[2:5], off
	s_branch .LBB267_6
.LBB267_38:
.LBB267_39:
	s_nop 0
	s_sendmsg sendmsg(MSG_DEALLOC_VGPRS)
	s_endpgm
	.section	.rodata,"a",@progbits
	.p2align	6, 0x0
	.amdhsa_kernel _ZL29rocblas_internal_gemmt_kernelIlLi16ELi32ELi8ELc67ELc78ELc76ELb1ELb0E19rocblas_complex_numIdEPKS1_S3_PS1_EviT_T9_T10_S5_lS7_S5_lS6_T11_S5_li
		.amdhsa_group_segment_fixed_size 8192
		.amdhsa_private_segment_fixed_size 0
		.amdhsa_kernarg_size 108
		.amdhsa_user_sgpr_count 2
		.amdhsa_user_sgpr_dispatch_ptr 0
		.amdhsa_user_sgpr_queue_ptr 0
		.amdhsa_user_sgpr_kernarg_segment_ptr 1
		.amdhsa_user_sgpr_dispatch_id 0
		.amdhsa_user_sgpr_private_segment_size 0
		.amdhsa_wavefront_size32 1
		.amdhsa_uses_dynamic_stack 0
		.amdhsa_enable_private_segment 0
		.amdhsa_system_sgpr_workgroup_id_x 1
		.amdhsa_system_sgpr_workgroup_id_y 1
		.amdhsa_system_sgpr_workgroup_id_z 1
		.amdhsa_system_sgpr_workgroup_info 0
		.amdhsa_system_vgpr_workitem_id 1
		.amdhsa_next_free_vgpr 132
		.amdhsa_next_free_sgpr 44
		.amdhsa_reserve_vcc 1
		.amdhsa_float_round_mode_32 0
		.amdhsa_float_round_mode_16_64 0
		.amdhsa_float_denorm_mode_32 3
		.amdhsa_float_denorm_mode_16_64 3
		.amdhsa_fp16_overflow 0
		.amdhsa_workgroup_processor_mode 1
		.amdhsa_memory_ordered 1
		.amdhsa_forward_progress 1
		.amdhsa_inst_pref_size 28
		.amdhsa_round_robin_scheduling 0
		.amdhsa_exception_fp_ieee_invalid_op 0
		.amdhsa_exception_fp_denorm_src 0
		.amdhsa_exception_fp_ieee_div_zero 0
		.amdhsa_exception_fp_ieee_overflow 0
		.amdhsa_exception_fp_ieee_underflow 0
		.amdhsa_exception_fp_ieee_inexact 0
		.amdhsa_exception_int_div_zero 0
	.end_amdhsa_kernel
	.section	.text._ZL29rocblas_internal_gemmt_kernelIlLi16ELi32ELi8ELc67ELc78ELc76ELb1ELb0E19rocblas_complex_numIdEPKS1_S3_PS1_EviT_T9_T10_S5_lS7_S5_lS6_T11_S5_li,"axG",@progbits,_ZL29rocblas_internal_gemmt_kernelIlLi16ELi32ELi8ELc67ELc78ELc76ELb1ELb0E19rocblas_complex_numIdEPKS1_S3_PS1_EviT_T9_T10_S5_lS7_S5_lS6_T11_S5_li,comdat
.Lfunc_end267:
	.size	_ZL29rocblas_internal_gemmt_kernelIlLi16ELi32ELi8ELc67ELc78ELc76ELb1ELb0E19rocblas_complex_numIdEPKS1_S3_PS1_EviT_T9_T10_S5_lS7_S5_lS6_T11_S5_li, .Lfunc_end267-_ZL29rocblas_internal_gemmt_kernelIlLi16ELi32ELi8ELc67ELc78ELc76ELb1ELb0E19rocblas_complex_numIdEPKS1_S3_PS1_EviT_T9_T10_S5_lS7_S5_lS6_T11_S5_li
                                        ; -- End function
	.set _ZL29rocblas_internal_gemmt_kernelIlLi16ELi32ELi8ELc67ELc78ELc76ELb1ELb0E19rocblas_complex_numIdEPKS1_S3_PS1_EviT_T9_T10_S5_lS7_S5_lS6_T11_S5_li.num_vgpr, 132
	.set _ZL29rocblas_internal_gemmt_kernelIlLi16ELi32ELi8ELc67ELc78ELc76ELb1ELb0E19rocblas_complex_numIdEPKS1_S3_PS1_EviT_T9_T10_S5_lS7_S5_lS6_T11_S5_li.num_agpr, 0
	.set _ZL29rocblas_internal_gemmt_kernelIlLi16ELi32ELi8ELc67ELc78ELc76ELb1ELb0E19rocblas_complex_numIdEPKS1_S3_PS1_EviT_T9_T10_S5_lS7_S5_lS6_T11_S5_li.numbered_sgpr, 44
	.set _ZL29rocblas_internal_gemmt_kernelIlLi16ELi32ELi8ELc67ELc78ELc76ELb1ELb0E19rocblas_complex_numIdEPKS1_S3_PS1_EviT_T9_T10_S5_lS7_S5_lS6_T11_S5_li.num_named_barrier, 0
	.set _ZL29rocblas_internal_gemmt_kernelIlLi16ELi32ELi8ELc67ELc78ELc76ELb1ELb0E19rocblas_complex_numIdEPKS1_S3_PS1_EviT_T9_T10_S5_lS7_S5_lS6_T11_S5_li.private_seg_size, 0
	.set _ZL29rocblas_internal_gemmt_kernelIlLi16ELi32ELi8ELc67ELc78ELc76ELb1ELb0E19rocblas_complex_numIdEPKS1_S3_PS1_EviT_T9_T10_S5_lS7_S5_lS6_T11_S5_li.uses_vcc, 1
	.set _ZL29rocblas_internal_gemmt_kernelIlLi16ELi32ELi8ELc67ELc78ELc76ELb1ELb0E19rocblas_complex_numIdEPKS1_S3_PS1_EviT_T9_T10_S5_lS7_S5_lS6_T11_S5_li.uses_flat_scratch, 0
	.set _ZL29rocblas_internal_gemmt_kernelIlLi16ELi32ELi8ELc67ELc78ELc76ELb1ELb0E19rocblas_complex_numIdEPKS1_S3_PS1_EviT_T9_T10_S5_lS7_S5_lS6_T11_S5_li.has_dyn_sized_stack, 0
	.set _ZL29rocblas_internal_gemmt_kernelIlLi16ELi32ELi8ELc67ELc78ELc76ELb1ELb0E19rocblas_complex_numIdEPKS1_S3_PS1_EviT_T9_T10_S5_lS7_S5_lS6_T11_S5_li.has_recursion, 0
	.set _ZL29rocblas_internal_gemmt_kernelIlLi16ELi32ELi8ELc67ELc78ELc76ELb1ELb0E19rocblas_complex_numIdEPKS1_S3_PS1_EviT_T9_T10_S5_lS7_S5_lS6_T11_S5_li.has_indirect_call, 0
	.section	.AMDGPU.csdata,"",@progbits
; Kernel info:
; codeLenInByte = 3460
; TotalNumSgprs: 46
; NumVgprs: 132
; ScratchSize: 0
; MemoryBound: 1
; FloatMode: 240
; IeeeMode: 1
; LDSByteSize: 8192 bytes/workgroup (compile time only)
; SGPRBlocks: 0
; VGPRBlocks: 16
; NumSGPRsForWavesPerEU: 46
; NumVGPRsForWavesPerEU: 132
; Occupancy: 10
; WaveLimiterHint : 0
; COMPUTE_PGM_RSRC2:SCRATCH_EN: 0
; COMPUTE_PGM_RSRC2:USER_SGPR: 2
; COMPUTE_PGM_RSRC2:TRAP_HANDLER: 0
; COMPUTE_PGM_RSRC2:TGID_X_EN: 1
; COMPUTE_PGM_RSRC2:TGID_Y_EN: 1
; COMPUTE_PGM_RSRC2:TGID_Z_EN: 1
; COMPUTE_PGM_RSRC2:TIDIG_COMP_CNT: 1
	.section	.text._ZL29rocblas_internal_gemmt_kernelIlLi16ELi32ELi8ELc67ELc84ELc76ELb1ELb0E19rocblas_complex_numIdEPKS1_S3_PS1_EviT_T9_T10_S5_lS7_S5_lS6_T11_S5_li,"axG",@progbits,_ZL29rocblas_internal_gemmt_kernelIlLi16ELi32ELi8ELc67ELc84ELc76ELb1ELb0E19rocblas_complex_numIdEPKS1_S3_PS1_EviT_T9_T10_S5_lS7_S5_lS6_T11_S5_li,comdat
	.globl	_ZL29rocblas_internal_gemmt_kernelIlLi16ELi32ELi8ELc67ELc84ELc76ELb1ELb0E19rocblas_complex_numIdEPKS1_S3_PS1_EviT_T9_T10_S5_lS7_S5_lS6_T11_S5_li ; -- Begin function _ZL29rocblas_internal_gemmt_kernelIlLi16ELi32ELi8ELc67ELc84ELc76ELb1ELb0E19rocblas_complex_numIdEPKS1_S3_PS1_EviT_T9_T10_S5_lS7_S5_lS6_T11_S5_li
	.p2align	8
	.type	_ZL29rocblas_internal_gemmt_kernelIlLi16ELi32ELi8ELc67ELc84ELc76ELb1ELb0E19rocblas_complex_numIdEPKS1_S3_PS1_EviT_T9_T10_S5_lS7_S5_lS6_T11_S5_li,@function
_ZL29rocblas_internal_gemmt_kernelIlLi16ELi32ELi8ELc67ELc84ELc76ELb1ELb0E19rocblas_complex_numIdEPKS1_S3_PS1_EviT_T9_T10_S5_lS7_S5_lS6_T11_S5_li: ; @_ZL29rocblas_internal_gemmt_kernelIlLi16ELi32ELi8ELc67ELc84ELc76ELb1ELb0E19rocblas_complex_numIdEPKS1_S3_PS1_EviT_T9_T10_S5_lS7_S5_lS6_T11_S5_li
; %bb.0:
	s_clause 0x1
	s_load_b256 s[24:31], s[0:1], 0x48
	s_load_b512 s[8:23], s[0:1], 0x8
	s_wait_kmcnt 0x0
	s_load_b128 s[36:39], s[24:25], 0x0
	s_load_b128 s[40:43], s[10:11], 0x0
	s_wait_kmcnt 0x0
	v_cmp_eq_f64_e64 s3, s[36:37], 1.0
	v_cmp_eq_f64_e64 s2, s[38:39], 0
	s_and_b32 s3, s3, s2
	s_delay_alu instid0(SALU_CYCLE_1)
	s_and_not1_b32 vcc_lo, exec_lo, s3
	s_mov_b32 s3, -1
	s_cbranch_vccnz .LBB268_3
; %bb.1:
	s_cmp_lg_u64 s[8:9], 0
	s_cbranch_scc0 .LBB268_38
; %bb.2:
	v_cmp_neq_f64_e64 s3, s[40:41], 0
	v_cmp_neq_f64_e64 s4, s[42:43], 0
	s_or_b32 s3, s3, s4
.LBB268_3:
	s_delay_alu instid0(SALU_CYCLE_1)
	s_and_b32 vcc_lo, exec_lo, s3
	s_cbranch_vccz .LBB268_39
; %bb.4:
	s_load_b32 s5, s[0:1], 0x68
	s_lshr_b32 s6, ttmp7, 16
	s_wait_kmcnt 0x0
	s_cmp_ge_u32 s6, s5
	s_cbranch_scc1 .LBB268_39
; %bb.5:
	v_dual_mov_b32 v1, 0 :: v_dual_and_b32 v6, 0x3ff, v0
	v_bfe_u32 v7, v0, 10, 10
	s_lshl_b32 s10, ttmp9, 5
	v_and_b32_e32 v30, 7, v0
	v_cmp_neq_f64_e64 s11, s[36:37], 0
	s_load_b32 s7, s[0:1], 0x0
	v_lshl_add_u32 v4, v7, 4, v6
	s_ashr_i32 s1, s10, 31
	s_lshl_b32 s0, ttmp7, 5
	s_mul_i32 s1, s14, s1
	s_and_b32 s0, s0, 0x1fffe0
	v_and_b32_e32 v5, 31, v4
	v_cmp_neq_f64_e64 s3, s[40:41], 0
	v_cmp_neq_f64_e64 s4, s[42:43], 0
	v_lshrrev_b32_e32 v10, 3, v4
	v_add_nc_u32_e32 v11, s0, v7
	v_or_b32_e32 v0, s10, v5
	v_lshrrev_b32_e32 v31, 5, v4
	v_lshlrev_b32_e32 v4, 4, v5
	v_add_nc_u32_e32 v5, s0, v10
	v_add_nc_u32_e32 v12, 16, v11
	v_mul_lo_u32 v8, s15, v0
	v_mad_co_u64_u32 v[2:3], null, s14, v0, 0
	v_lshl_or_b32 v32, v31, 9, v4
	s_wait_kmcnt 0x0
	v_cmp_gt_i32_e64 s0, s7, v0
	v_cmp_gt_i32_e32 vcc_lo, s7, v5
	v_lshlrev_b32_e32 v0, 4, v5
	v_mad_co_u64_u32 v[4:5], null, s28, v12, 0
	v_add3_u32 v3, v3, s1, v8
	v_lshlrev_b32_e32 v9, 4, v30
	v_lshl_add_u32 v39, v7, 7, 0x1000
	v_lshlrev_b32_e32 v38, 4, v6
	v_add_nc_u32_e32 v6, s10, v6
	v_lshlrev_b64_e32 v[2:3], 4, v[2:3]
	v_lshl_or_b32 v8, v10, 7, v9
	v_cmp_gt_i64_e64 s24, s[8:9], 0
	s_delay_alu instid0(VALU_DEP_3) | instskip(SKIP_1) | instid1(VALU_DEP_4)
	v_add_co_u32 v34, s1, s12, v2
	s_wait_alu 0xf1ff
	v_add_co_ci_u32_e64 v35, null, s13, v3, s1
	v_mad_co_u64_u32 v[2:3], null, s28, v11, 0
	v_add_co_u32 v36, s1, s18, v0
	v_add_nc_u32_e32 v33, 0x1000, v8
	s_wait_alu 0xf1ff
	v_add_co_ci_u32_e64 v37, null, s19, 0, s1
	s_xor_b32 s1, s2, -1
	v_mov_b32_e32 v0, v3
	s_wait_alu 0xfffe
	s_or_b32 s10, s11, s1
	v_cmp_le_i32_e64 s1, v11, v6
	v_cmp_gt_i32_e64 s2, s7, v6
	s_or_b32 s14, s3, s4
	v_mad_co_u64_u32 v[7:8], null, s29, v11, v[0:1]
	v_mov_b32_e32 v0, v5
	v_add_nc_u32_e32 v8, 16, v6
	s_and_b32 s11, s1, s2
	v_cmp_le_i32_e64 s1, v12, v6
	s_wait_alu 0xfffe
	s_and_b32 s14, s14, s24
	v_mad_co_u64_u32 v[9:10], null, s29, v12, v[0:1]
	v_mov_b32_e32 v3, v7
	v_cmp_le_i32_e64 s3, v11, v8
	v_cmp_gt_i32_e64 s4, s7, v8
	s_and_b32 s13, s1, s2
	v_cmp_le_i32_e64 s1, v12, v8
	v_lshlrev_b64_e32 v[10:11], 4, v[2:3]
	v_mov_b32_e32 v5, v9
	v_ashrrev_i32_e32 v7, 31, v6
	v_ashrrev_i32_e32 v9, 31, v8
	s_and_b32 s12, s3, s4
	s_and_b32 s1, s1, s4
	v_lshlrev_b64_e32 v[12:13], 4, v[4:5]
	s_mov_b32 s7, 0
	s_xor_b32 s4, vcc_lo, -1
	s_branch .LBB268_7
.LBB268_6:                              ;   in Loop: Header=BB268_7 Depth=1
	s_wait_alu 0xfffe
	s_or_b32 exec_lo, exec_lo, s2
	s_add_co_i32 s6, s6, 0x10000
	s_wait_alu 0xfffe
	s_cmp_lt_u32 s6, s5
	s_cbranch_scc0 .LBB268_39
.LBB268_7:                              ; =>This Loop Header: Depth=1
                                        ;     Child Loop BB268_10 Depth 2
	v_mov_b32_e32 v26, 0
	v_mov_b32_e32 v22, 0
	;; [unrolled: 1-line block ×3, first 2 shown]
	v_dual_mov_b32 v16, 0 :: v_dual_mov_b32 v27, 0
	v_dual_mov_b32 v28, 0 :: v_dual_mov_b32 v23, 0
	;; [unrolled: 1-line block ×5, first 2 shown]
	v_mov_b32_e32 v25, 0
	v_mov_b32_e32 v21, 0
	;; [unrolled: 1-line block ×3, first 2 shown]
	s_wait_alu 0xfffe
	s_and_not1_b32 vcc_lo, exec_lo, s14
	s_wait_alu 0xfffe
	s_cbranch_vccnz .LBB268_18
; %bb.8:                                ;   in Loop: Header=BB268_7 Depth=1
	s_mul_u64 s[2:3], s[16:17], s[6:7]
	s_mul_u64 s[18:19], s[22:23], s[6:7]
	s_wait_alu 0xfffe
	s_lshl_b64 s[2:3], s[2:3], 4
	v_mov_b32_e32 v14, 0
	s_wait_alu 0xfffe
	v_add_co_u32 v40, vcc_lo, v34, s2
	s_wait_alu 0xfffd
	v_add_co_ci_u32_e64 v41, null, s3, v35, vcc_lo
	s_lshl_b64 s[2:3], s[18:19], 4
	v_mov_b32_e32 v20, 0
	v_mov_b32_e32 v24, 0
	;; [unrolled: 1-line block ×3, first 2 shown]
	s_wait_alu 0xfffe
	v_add_co_u32 v42, vcc_lo, v36, s2
	v_dual_mov_b32 v15, 0 :: v_dual_mov_b32 v16, 0
	v_dual_mov_b32 v21, 0 :: v_dual_mov_b32 v18, 0
	;; [unrolled: 1-line block ×4, first 2 shown]
	v_mov_b32_e32 v17, 0
	v_mov_b32_e32 v19, 0
	v_mov_b32_e32 v23, 0
	v_mov_b32_e32 v27, 0
	s_wait_alu 0xfffd
	v_add_co_ci_u32_e64 v43, null, s3, v37, vcc_lo
	s_mov_b64 s[2:3], 0
	s_branch .LBB268_10
.LBB268_9:                              ;   in Loop: Header=BB268_10 Depth=2
	s_wait_alu 0xfffe
	s_or_b32 exec_lo, exec_lo, s15
	s_wait_dscnt 0x0
	s_barrier_signal -1
	s_barrier_wait -1
	global_inv scope:SCOPE_SE
	ds_load_b128 v[2:5], v39
	ds_load_b128 v[44:47], v38
	ds_load_b128 v[48:51], v38 offset:256
	ds_load_b128 v[52:55], v39 offset:2048
	;; [unrolled: 1-line block ×10, first 2 shown]
	s_add_nc_u64 s[2:3], s[2:3], 8
	s_wait_alu 0xfffe
	v_cmp_gt_i64_e64 s15, s[8:9], s[2:3]
	s_and_b32 vcc_lo, exec_lo, s15
	s_wait_dscnt 0xa
	v_mul_f64_e32 v[88:89], v[4:5], v[46:47]
	v_mul_f64_e32 v[90:91], v[2:3], v[46:47]
	s_wait_dscnt 0x9
	v_mul_f64_e32 v[92:93], v[4:5], v[50:51]
	v_mul_f64_e32 v[94:95], v[2:3], v[50:51]
	;; [unrolled: 3-line block ×3, first 2 shown]
	v_mul_f64_e32 v[98:99], v[54:55], v[50:51]
	v_mul_f64_e32 v[50:51], v[52:53], v[50:51]
	s_wait_dscnt 0x5
	v_mul_f64_e32 v[100:101], v[58:59], v[66:67]
	v_mul_f64_e32 v[102:103], v[56:57], v[66:67]
	s_wait_dscnt 0x4
	v_mul_f64_e32 v[104:105], v[58:59], v[70:71]
	v_mul_f64_e32 v[106:107], v[56:57], v[70:71]
	;; [unrolled: 1-line block ×6, first 2 shown]
	s_wait_dscnt 0x2
	v_mul_f64_e32 v[116:117], v[74:75], v[78:79]
	v_mul_f64_e32 v[118:119], v[72:73], v[78:79]
	s_wait_dscnt 0x1
	v_mul_f64_e32 v[120:121], v[74:75], v[82:83]
	v_mul_f64_e32 v[122:123], v[72:73], v[82:83]
	;; [unrolled: 3-line block ×3, first 2 shown]
	v_mul_f64_e32 v[126:127], v[86:87], v[82:83]
	v_mul_f64_e32 v[82:83], v[84:85], v[82:83]
	v_fma_f64 v[88:89], v[2:3], v[44:45], -v[88:89]
	v_fma_f64 v[90:91], v[4:5], v[44:45], v[90:91]
	v_fma_f64 v[92:93], v[2:3], v[48:49], -v[92:93]
	v_fma_f64 v[94:95], v[4:5], v[48:49], v[94:95]
	;; [unrolled: 2-line block ×8, first 2 shown]
	ds_load_b128 v[2:5], v39 offset:48
	ds_load_b128 v[44:47], v38 offset:1536
	ds_load_b128 v[48:51], v38 offset:1792
	ds_load_b128 v[52:55], v39 offset:2096
	v_fma_f64 v[116:117], v[72:73], v[76:77], -v[116:117]
	v_fma_f64 v[118:119], v[74:75], v[76:77], v[118:119]
	v_fma_f64 v[72:73], v[72:73], v[80:81], -v[120:121]
	v_fma_f64 v[74:75], v[74:75], v[80:81], v[122:123]
	;; [unrolled: 2-line block ×4, first 2 shown]
	s_wait_dscnt 0x2
	v_mul_f64_e32 v[106:107], v[2:3], v[46:47]
	s_wait_dscnt 0x1
	v_mul_f64_e32 v[108:109], v[4:5], v[50:51]
	v_mul_f64_e32 v[110:111], v[2:3], v[50:51]
	v_add_f64_e32 v[66:67], v[26:27], v[88:89]
	v_add_f64_e32 v[68:69], v[90:91], v[28:29]
	;; [unrolled: 1-line block ×8, first 2 shown]
	v_mul_f64_e32 v[98:99], v[4:5], v[46:47]
	s_wait_dscnt 0x0
	v_mul_f64_e32 v[112:113], v[54:55], v[46:47]
	v_mul_f64_e32 v[46:47], v[52:53], v[46:47]
	;; [unrolled: 1-line block ×4, first 2 shown]
	ds_load_b128 v[14:17], v39 offset:64
	ds_load_b128 v[18:21], v38 offset:2048
	;; [unrolled: 1-line block ×4, first 2 shown]
	s_wait_dscnt 0x1
	v_mul_f64_e32 v[122:123], v[14:15], v[24:25]
	s_wait_dscnt 0x0
	v_mul_f64_e32 v[124:125], v[28:29], v[20:21]
	v_mul_f64_e32 v[126:127], v[28:29], v[24:25]
	v_fma_f64 v[106:107], v[4:5], v[44:45], v[106:107]
	v_fma_f64 v[108:109], v[2:3], v[48:49], -v[108:109]
	v_fma_f64 v[110:111], v[4:5], v[48:49], v[110:111]
	v_add_f64_e32 v[82:83], v[66:67], v[100:101]
	v_add_f64_e32 v[84:85], v[102:103], v[68:69]
	;; [unrolled: 1-line block ×8, first 2 shown]
	v_mul_f64_e32 v[100:101], v[16:17], v[20:21]
	v_mul_f64_e32 v[102:103], v[14:15], v[20:21]
	;; [unrolled: 1-line block ×5, first 2 shown]
	v_fma_f64 v[98:99], v[2:3], v[44:45], -v[98:99]
	v_fma_f64 v[112:113], v[52:53], v[44:45], -v[112:113]
	v_fma_f64 v[128:129], v[54:55], v[44:45], v[46:47]
	v_fma_f64 v[114:115], v[52:53], v[48:49], -v[114:115]
	v_fma_f64 v[130:131], v[54:55], v[48:49], v[50:51]
	ds_load_b128 v[56:59], v39 offset:80
	ds_load_b128 v[60:63], v38 offset:2560
	;; [unrolled: 1-line block ×8, first 2 shown]
	v_add_f64_e32 v[82:83], v[82:83], v[116:117]
	v_add_f64_e32 v[84:85], v[118:119], v[84:85]
	;; [unrolled: 1-line block ×8, first 2 shown]
	s_wait_dscnt 0x6
	v_mul_f64_e32 v[88:89], v[58:59], v[62:63]
	v_mul_f64_e32 v[90:91], v[56:57], v[62:63]
	s_wait_dscnt 0x5
	v_mul_f64_e32 v[92:93], v[58:59], v[66:67]
	v_mul_f64_e32 v[94:95], v[56:57], v[66:67]
	;; [unrolled: 3-line block ×3, first 2 shown]
	v_mul_f64_e32 v[116:117], v[70:71], v[66:67]
	v_mul_f64_e32 v[66:67], v[68:69], v[66:67]
	v_fma_f64 v[100:101], v[14:15], v[18:19], -v[100:101]
	v_fma_f64 v[102:103], v[16:17], v[18:19], v[102:103]
	v_fma_f64 v[104:105], v[14:15], v[22:23], -v[104:105]
	v_fma_f64 v[118:119], v[16:17], v[22:23], v[122:123]
	v_fma_f64 v[120:121], v[26:27], v[18:19], -v[124:125]
	v_fma_f64 v[122:123], v[28:29], v[18:19], v[20:21]
	v_fma_f64 v[124:125], v[26:27], v[22:23], -v[126:127]
	v_fma_f64 v[126:127], v[28:29], v[22:23], v[24:25]
	ds_load_b128 v[14:17], v39 offset:112
	ds_load_b128 v[18:21], v38 offset:3584
	;; [unrolled: 1-line block ×4, first 2 shown]
	s_wait_loadcnt_dscnt 0x0
	s_barrier_signal -1
	s_barrier_wait -1
	global_inv scope:SCOPE_SE
	v_add_f64_e32 v[82:83], v[82:83], v[98:99]
	v_add_f64_e32 v[84:85], v[106:107], v[84:85]
	;; [unrolled: 1-line block ×8, first 2 shown]
	v_mul_f64_e32 v[98:99], v[4:5], v[46:47]
	v_mul_f64_e32 v[106:107], v[2:3], v[46:47]
	;; [unrolled: 1-line block ×8, first 2 shown]
	v_fma_f64 v[88:89], v[56:57], v[60:61], -v[88:89]
	v_fma_f64 v[90:91], v[58:59], v[60:61], v[90:91]
	v_fma_f64 v[56:57], v[56:57], v[64:65], -v[92:93]
	v_fma_f64 v[58:59], v[58:59], v[64:65], v[94:95]
	;; [unrolled: 2-line block ×4, first 2 shown]
	v_mul_f64_e32 v[94:95], v[14:15], v[24:25]
	v_mul_f64_e32 v[96:97], v[28:29], v[20:21]
	v_add_f64_e32 v[66:67], v[82:83], v[100:101]
	v_add_f64_e32 v[68:69], v[102:103], v[84:85]
	;; [unrolled: 1-line block ×8, first 2 shown]
	v_mul_f64_e32 v[82:83], v[16:17], v[20:21]
	v_mul_f64_e32 v[84:85], v[14:15], v[20:21]
	v_mul_f64_e32 v[86:87], v[16:17], v[24:25]
	v_mul_f64_e32 v[20:21], v[26:27], v[20:21]
	v_mul_f64_e32 v[100:101], v[28:29], v[24:25]
	v_mul_f64_e32 v[24:25], v[26:27], v[24:25]
	v_fma_f64 v[98:99], v[2:3], v[44:45], -v[98:99]
	v_fma_f64 v[102:103], v[4:5], v[44:45], v[106:107]
	v_fma_f64 v[2:3], v[2:3], v[48:49], -v[108:109]
	v_fma_f64 v[4:5], v[4:5], v[48:49], v[110:111]
	;; [unrolled: 2-line block ×4, first 2 shown]
	v_add_f64_e32 v[50:51], v[66:67], v[88:89]
	v_add_f64_e32 v[52:53], v[90:91], v[68:69]
	;; [unrolled: 1-line block ×8, first 2 shown]
	v_fma_f64 v[66:67], v[14:15], v[18:19], -v[82:83]
	v_fma_f64 v[68:69], v[16:17], v[18:19], v[84:85]
	v_fma_f64 v[14:15], v[14:15], v[22:23], -v[86:87]
	v_fma_f64 v[16:17], v[16:17], v[22:23], v[94:95]
	;; [unrolled: 2-line block ×4, first 2 shown]
	v_add_f64_e32 v[18:19], v[50:51], v[98:99]
	v_add_f64_e32 v[22:23], v[102:103], v[52:53]
	;; [unrolled: 1-line block ×16, first 2 shown]
	s_wait_alu 0xfffe
	s_cbranch_vccz .LBB268_18
.LBB268_10:                             ;   Parent Loop BB268_7 Depth=1
                                        ; =>  This Inner Loop Header: Depth=2
	v_mov_b32_e32 v2, 0
	v_dual_mov_b32 v3, 0 :: v_dual_mov_b32 v4, 0
	v_mov_b32_e32 v5, 0
	s_and_saveexec_b32 s15, s0
	s_cbranch_execz .LBB268_14
; %bb.11:                               ;   in Loop: Header=BB268_10 Depth=2
	v_mov_b32_e32 v4, 0
	v_mov_b32_e32 v2, 0
	s_wait_alu 0xfffe
	v_dual_mov_b32 v5, 0 :: v_dual_add_nc_u32 v0, s2, v31
	v_mov_b32_e32 v3, 0
	s_mov_b32 s18, exec_lo
	s_delay_alu instid0(VALU_DEP_2)
	v_cmpx_gt_u64_e64 s[8:9], v[0:1]
	s_cbranch_execz .LBB268_13
; %bb.12:                               ;   in Loop: Header=BB268_10 Depth=2
	v_lshlrev_b64_e32 v[2:3], 4, v[0:1]
	s_delay_alu instid0(VALU_DEP_1) | instskip(SKIP_1) | instid1(VALU_DEP_2)
	v_add_co_u32 v2, vcc_lo, v40, v2
	s_wait_alu 0xfffd
	v_add_co_ci_u32_e64 v3, null, v41, v3, vcc_lo
	global_load_b128 v[2:5], v[2:3], off
	s_wait_loadcnt 0x0
	v_xor_b32_e32 v5, 0x80000000, v5
.LBB268_13:                             ;   in Loop: Header=BB268_10 Depth=2
	s_wait_alu 0xfffe
	s_or_b32 exec_lo, exec_lo, s18
.LBB268_14:                             ;   in Loop: Header=BB268_10 Depth=2
	s_wait_alu 0xfffe
	s_or_b32 exec_lo, exec_lo, s15
	v_add_nc_u32_e32 v0, s2, v30
	ds_store_b128 v32, v[2:5]
	v_cmp_le_u64_e32 vcc_lo, s[8:9], v[0:1]
	s_or_b32 s15, vcc_lo, s4
	s_wait_alu 0xfffe
	s_and_saveexec_b32 s18, s15
	s_wait_alu 0xfffe
	s_xor_b32 s15, exec_lo, s18
; %bb.15:                               ;   in Loop: Header=BB268_10 Depth=2
	v_dual_mov_b32 v0, v1 :: v_dual_mov_b32 v3, v1
	v_mov_b32_e32 v2, v1
	ds_store_b128 v33, v[0:3]
; %bb.16:                               ;   in Loop: Header=BB268_10 Depth=2
	s_wait_alu 0xfffe
	s_and_not1_saveexec_b32 s15, s15
	s_cbranch_execz .LBB268_9
; %bb.17:                               ;   in Loop: Header=BB268_10 Depth=2
	v_mad_co_u64_u32 v[2:3], null, s20, v0, 0
	s_delay_alu instid0(VALU_DEP_1) | instskip(NEXT) | instid1(VALU_DEP_1)
	v_mad_co_u64_u32 v[3:4], null, s21, v0, v[3:4]
	v_lshlrev_b64_e32 v[2:3], 4, v[2:3]
	s_delay_alu instid0(VALU_DEP_1) | instskip(SKIP_1) | instid1(VALU_DEP_2)
	v_add_co_u32 v2, vcc_lo, v42, v2
	s_wait_alu 0xfffd
	v_add_co_ci_u32_e64 v3, null, v43, v3, vcc_lo
	global_load_b128 v[2:5], v[2:3], off
	s_wait_loadcnt 0x0
	ds_store_2addr_b64 v33, v[2:3], v[4:5] offset1:1
	s_branch .LBB268_9
.LBB268_18:                             ;   in Loop: Header=BB268_7 Depth=1
	s_mul_u64 s[2:3], s[30:31], s[6:7]
	s_wait_alu 0xfffe
	s_lshl_b64 s[2:3], s[2:3], 4
	s_wait_alu 0xfffe
	s_add_nc_u64 s[2:3], s[26:27], s[2:3]
	s_wait_alu 0xfffe
	v_add_co_u32 v0, vcc_lo, s2, v10
	s_wait_alu 0xfffd
	v_add_co_ci_u32_e64 v40, null, s3, v11, vcc_lo
	s_and_saveexec_b32 s15, s11
	s_cbranch_execz .LBB268_23
; %bb.19:                               ;   in Loop: Header=BB268_7 Depth=1
	v_mul_f64_e32 v[2:3], s[42:43], v[28:29]
	v_mul_f64_e32 v[4:5], s[40:41], v[28:29]
	s_and_b32 vcc_lo, exec_lo, s10
	s_mov_b32 s18, -1
	s_delay_alu instid0(VALU_DEP_2) | instskip(NEXT) | instid1(VALU_DEP_2)
	v_fma_f64 v[2:3], s[40:41], v[26:27], -v[2:3]
	v_fma_f64 v[4:5], s[42:43], v[26:27], v[4:5]
	s_wait_alu 0xfffe
	s_cbranch_vccz .LBB268_21
; %bb.20:                               ;   in Loop: Header=BB268_7 Depth=1
	v_lshlrev_b64_e32 v[26:27], 4, v[6:7]
	s_mov_b32 s18, 0
	s_delay_alu instid0(VALU_DEP_1) | instskip(SKIP_1) | instid1(VALU_DEP_2)
	v_add_co_u32 v41, vcc_lo, v0, v26
	s_wait_alu 0xfffd
	v_add_co_ci_u32_e64 v42, null, v40, v27, vcc_lo
	global_load_b128 v[26:29], v[41:42], off
	s_wait_loadcnt 0x0
	v_mul_f64_e32 v[43:44], s[38:39], v[28:29]
	v_mul_f64_e32 v[28:29], s[36:37], v[28:29]
	s_delay_alu instid0(VALU_DEP_2) | instskip(NEXT) | instid1(VALU_DEP_2)
	v_fma_f64 v[43:44], s[36:37], v[26:27], -v[43:44]
	v_fma_f64 v[28:29], s[38:39], v[26:27], v[28:29]
	s_delay_alu instid0(VALU_DEP_2) | instskip(NEXT) | instid1(VALU_DEP_2)
	v_add_f64_e32 v[26:27], v[2:3], v[43:44]
	v_add_f64_e32 v[28:29], v[4:5], v[28:29]
	global_store_b128 v[41:42], v[26:29], off
.LBB268_21:                             ;   in Loop: Header=BB268_7 Depth=1
	s_wait_alu 0xfffe
	s_and_not1_b32 vcc_lo, exec_lo, s18
	s_wait_alu 0xfffe
	s_cbranch_vccnz .LBB268_23
; %bb.22:                               ;   in Loop: Header=BB268_7 Depth=1
	v_lshlrev_b64_e32 v[26:27], 4, v[6:7]
	s_delay_alu instid0(VALU_DEP_1) | instskip(SKIP_1) | instid1(VALU_DEP_2)
	v_add_co_u32 v26, vcc_lo, v0, v26
	s_wait_alu 0xfffd
	v_add_co_ci_u32_e64 v27, null, v40, v27, vcc_lo
	global_store_b128 v[26:27], v[2:5], off
.LBB268_23:                             ;   in Loop: Header=BB268_7 Depth=1
	s_wait_alu 0xfffe
	s_or_b32 exec_lo, exec_lo, s15
	s_and_saveexec_b32 s15, s12
	s_cbranch_execz .LBB268_28
; %bb.24:                               ;   in Loop: Header=BB268_7 Depth=1
	v_mul_f64_e32 v[2:3], s[42:43], v[24:25]
	v_mul_f64_e32 v[4:5], s[40:41], v[24:25]
	s_and_not1_b32 vcc_lo, exec_lo, s10
	s_mov_b32 s18, -1
	s_delay_alu instid0(VALU_DEP_2) | instskip(NEXT) | instid1(VALU_DEP_2)
	v_fma_f64 v[2:3], s[40:41], v[22:23], -v[2:3]
	v_fma_f64 v[4:5], s[42:43], v[22:23], v[4:5]
	s_wait_alu 0xfffe
	s_cbranch_vccnz .LBB268_26
; %bb.25:                               ;   in Loop: Header=BB268_7 Depth=1
	v_lshlrev_b64_e32 v[22:23], 4, v[8:9]
	s_mov_b32 s18, 0
	s_delay_alu instid0(VALU_DEP_1) | instskip(SKIP_1) | instid1(VALU_DEP_2)
	v_add_co_u32 v26, vcc_lo, v0, v22
	s_wait_alu 0xfffd
	v_add_co_ci_u32_e64 v27, null, v40, v23, vcc_lo
	global_load_b128 v[22:25], v[26:27], off
	s_wait_loadcnt 0x0
	v_mul_f64_e32 v[28:29], s[38:39], v[24:25]
	v_mul_f64_e32 v[24:25], s[36:37], v[24:25]
	s_delay_alu instid0(VALU_DEP_2) | instskip(NEXT) | instid1(VALU_DEP_2)
	v_fma_f64 v[28:29], s[36:37], v[22:23], -v[28:29]
	v_fma_f64 v[24:25], s[38:39], v[22:23], v[24:25]
	s_delay_alu instid0(VALU_DEP_2) | instskip(NEXT) | instid1(VALU_DEP_2)
	v_add_f64_e32 v[22:23], v[2:3], v[28:29]
	v_add_f64_e32 v[24:25], v[4:5], v[24:25]
	global_store_b128 v[26:27], v[22:25], off
.LBB268_26:                             ;   in Loop: Header=BB268_7 Depth=1
	s_wait_alu 0xfffe
	s_and_not1_b32 vcc_lo, exec_lo, s18
	s_wait_alu 0xfffe
	s_cbranch_vccnz .LBB268_28
; %bb.27:                               ;   in Loop: Header=BB268_7 Depth=1
	v_lshlrev_b64_e32 v[22:23], 4, v[8:9]
	s_delay_alu instid0(VALU_DEP_1) | instskip(SKIP_1) | instid1(VALU_DEP_2)
	v_add_co_u32 v22, vcc_lo, v0, v22
	s_wait_alu 0xfffd
	v_add_co_ci_u32_e64 v23, null, v40, v23, vcc_lo
	global_store_b128 v[22:23], v[2:5], off
.LBB268_28:                             ;   in Loop: Header=BB268_7 Depth=1
	s_wait_alu 0xfffe
	s_or_b32 exec_lo, exec_lo, s15
	v_add_co_u32 v0, vcc_lo, s2, v12
	s_wait_alu 0xfffd
	v_add_co_ci_u32_e64 v22, null, s3, v13, vcc_lo
	s_and_saveexec_b32 s2, s13
	s_cbranch_execz .LBB268_33
; %bb.29:                               ;   in Loop: Header=BB268_7 Depth=1
	v_mul_f64_e32 v[2:3], s[42:43], v[20:21]
	v_mul_f64_e32 v[4:5], s[40:41], v[20:21]
	s_and_not1_b32 vcc_lo, exec_lo, s10
	s_mov_b32 s3, -1
	s_delay_alu instid0(VALU_DEP_2) | instskip(NEXT) | instid1(VALU_DEP_2)
	v_fma_f64 v[2:3], s[40:41], v[18:19], -v[2:3]
	v_fma_f64 v[4:5], s[42:43], v[18:19], v[4:5]
	v_lshlrev_b64_e32 v[18:19], 4, v[6:7]
	s_wait_alu 0xfffe
	s_cbranch_vccnz .LBB268_31
; %bb.30:                               ;   in Loop: Header=BB268_7 Depth=1
	s_delay_alu instid0(VALU_DEP_1) | instskip(SKIP_1) | instid1(VALU_DEP_2)
	v_add_co_u32 v20, vcc_lo, v0, v18
	s_wait_alu 0xfffd
	v_add_co_ci_u32_e64 v21, null, v22, v19, vcc_lo
	s_mov_b32 s3, 0
	global_load_b128 v[23:26], v[20:21], off
	s_wait_loadcnt 0x0
	v_mul_f64_e32 v[27:28], s[38:39], v[25:26]
	v_mul_f64_e32 v[25:26], s[36:37], v[25:26]
	s_delay_alu instid0(VALU_DEP_2) | instskip(NEXT) | instid1(VALU_DEP_2)
	v_fma_f64 v[27:28], s[36:37], v[23:24], -v[27:28]
	v_fma_f64 v[25:26], s[38:39], v[23:24], v[25:26]
	s_delay_alu instid0(VALU_DEP_2) | instskip(NEXT) | instid1(VALU_DEP_2)
	v_add_f64_e32 v[23:24], v[2:3], v[27:28]
	v_add_f64_e32 v[25:26], v[4:5], v[25:26]
	global_store_b128 v[20:21], v[23:26], off
.LBB268_31:                             ;   in Loop: Header=BB268_7 Depth=1
	s_wait_alu 0xfffe
	s_and_not1_b32 vcc_lo, exec_lo, s3
	s_wait_alu 0xfffe
	s_cbranch_vccnz .LBB268_33
; %bb.32:                               ;   in Loop: Header=BB268_7 Depth=1
	v_add_co_u32 v18, vcc_lo, v0, v18
	s_wait_alu 0xfffd
	v_add_co_ci_u32_e64 v19, null, v22, v19, vcc_lo
	global_store_b128 v[18:19], v[2:5], off
.LBB268_33:                             ;   in Loop: Header=BB268_7 Depth=1
	s_wait_alu 0xfffe
	s_or_b32 exec_lo, exec_lo, s2
	s_and_saveexec_b32 s2, s1
	s_cbranch_execz .LBB268_6
; %bb.34:                               ;   in Loop: Header=BB268_7 Depth=1
	v_mul_f64_e32 v[2:3], s[42:43], v[14:15]
	v_mul_f64_e32 v[4:5], s[40:41], v[14:15]
	v_lshlrev_b64_e32 v[14:15], 4, v[8:9]
	s_and_not1_b32 vcc_lo, exec_lo, s10
	s_mov_b32 s3, -1
	s_delay_alu instid0(VALU_DEP_3) | instskip(NEXT) | instid1(VALU_DEP_3)
	v_fma_f64 v[2:3], s[40:41], v[16:17], -v[2:3]
	v_fma_f64 v[4:5], s[42:43], v[16:17], v[4:5]
	s_wait_alu 0xfffe
	s_cbranch_vccnz .LBB268_36
; %bb.35:                               ;   in Loop: Header=BB268_7 Depth=1
	v_add_co_u32 v20, vcc_lo, v0, v14
	s_wait_alu 0xfffd
	v_add_co_ci_u32_e64 v21, null, v22, v15, vcc_lo
	s_mov_b32 s3, 0
	global_load_b128 v[16:19], v[20:21], off
	s_wait_loadcnt 0x0
	v_mul_f64_e32 v[23:24], s[38:39], v[18:19]
	v_mul_f64_e32 v[18:19], s[36:37], v[18:19]
	s_delay_alu instid0(VALU_DEP_2) | instskip(NEXT) | instid1(VALU_DEP_2)
	v_fma_f64 v[23:24], s[36:37], v[16:17], -v[23:24]
	v_fma_f64 v[18:19], s[38:39], v[16:17], v[18:19]
	s_delay_alu instid0(VALU_DEP_2) | instskip(NEXT) | instid1(VALU_DEP_2)
	v_add_f64_e32 v[16:17], v[2:3], v[23:24]
	v_add_f64_e32 v[18:19], v[4:5], v[18:19]
	global_store_b128 v[20:21], v[16:19], off
.LBB268_36:                             ;   in Loop: Header=BB268_7 Depth=1
	s_wait_alu 0xfffe
	s_and_not1_b32 vcc_lo, exec_lo, s3
	s_wait_alu 0xfffe
	s_cbranch_vccnz .LBB268_6
; %bb.37:                               ;   in Loop: Header=BB268_7 Depth=1
	v_add_co_u32 v14, vcc_lo, v0, v14
	s_wait_alu 0xfffd
	v_add_co_ci_u32_e64 v15, null, v22, v15, vcc_lo
	global_store_b128 v[14:15], v[2:5], off
	s_branch .LBB268_6
.LBB268_38:
.LBB268_39:
	s_nop 0
	s_sendmsg sendmsg(MSG_DEALLOC_VGPRS)
	s_endpgm
	.section	.rodata,"a",@progbits
	.p2align	6, 0x0
	.amdhsa_kernel _ZL29rocblas_internal_gemmt_kernelIlLi16ELi32ELi8ELc67ELc84ELc76ELb1ELb0E19rocblas_complex_numIdEPKS1_S3_PS1_EviT_T9_T10_S5_lS7_S5_lS6_T11_S5_li
		.amdhsa_group_segment_fixed_size 8192
		.amdhsa_private_segment_fixed_size 0
		.amdhsa_kernarg_size 108
		.amdhsa_user_sgpr_count 2
		.amdhsa_user_sgpr_dispatch_ptr 0
		.amdhsa_user_sgpr_queue_ptr 0
		.amdhsa_user_sgpr_kernarg_segment_ptr 1
		.amdhsa_user_sgpr_dispatch_id 0
		.amdhsa_user_sgpr_private_segment_size 0
		.amdhsa_wavefront_size32 1
		.amdhsa_uses_dynamic_stack 0
		.amdhsa_enable_private_segment 0
		.amdhsa_system_sgpr_workgroup_id_x 1
		.amdhsa_system_sgpr_workgroup_id_y 1
		.amdhsa_system_sgpr_workgroup_id_z 1
		.amdhsa_system_sgpr_workgroup_info 0
		.amdhsa_system_vgpr_workitem_id 1
		.amdhsa_next_free_vgpr 132
		.amdhsa_next_free_sgpr 44
		.amdhsa_reserve_vcc 1
		.amdhsa_float_round_mode_32 0
		.amdhsa_float_round_mode_16_64 0
		.amdhsa_float_denorm_mode_32 3
		.amdhsa_float_denorm_mode_16_64 3
		.amdhsa_fp16_overflow 0
		.amdhsa_workgroup_processor_mode 1
		.amdhsa_memory_ordered 1
		.amdhsa_forward_progress 1
		.amdhsa_inst_pref_size 27
		.amdhsa_round_robin_scheduling 0
		.amdhsa_exception_fp_ieee_invalid_op 0
		.amdhsa_exception_fp_denorm_src 0
		.amdhsa_exception_fp_ieee_div_zero 0
		.amdhsa_exception_fp_ieee_overflow 0
		.amdhsa_exception_fp_ieee_underflow 0
		.amdhsa_exception_fp_ieee_inexact 0
		.amdhsa_exception_int_div_zero 0
	.end_amdhsa_kernel
	.section	.text._ZL29rocblas_internal_gemmt_kernelIlLi16ELi32ELi8ELc67ELc84ELc76ELb1ELb0E19rocblas_complex_numIdEPKS1_S3_PS1_EviT_T9_T10_S5_lS7_S5_lS6_T11_S5_li,"axG",@progbits,_ZL29rocblas_internal_gemmt_kernelIlLi16ELi32ELi8ELc67ELc84ELc76ELb1ELb0E19rocblas_complex_numIdEPKS1_S3_PS1_EviT_T9_T10_S5_lS7_S5_lS6_T11_S5_li,comdat
.Lfunc_end268:
	.size	_ZL29rocblas_internal_gemmt_kernelIlLi16ELi32ELi8ELc67ELc84ELc76ELb1ELb0E19rocblas_complex_numIdEPKS1_S3_PS1_EviT_T9_T10_S5_lS7_S5_lS6_T11_S5_li, .Lfunc_end268-_ZL29rocblas_internal_gemmt_kernelIlLi16ELi32ELi8ELc67ELc84ELc76ELb1ELb0E19rocblas_complex_numIdEPKS1_S3_PS1_EviT_T9_T10_S5_lS7_S5_lS6_T11_S5_li
                                        ; -- End function
	.set _ZL29rocblas_internal_gemmt_kernelIlLi16ELi32ELi8ELc67ELc84ELc76ELb1ELb0E19rocblas_complex_numIdEPKS1_S3_PS1_EviT_T9_T10_S5_lS7_S5_lS6_T11_S5_li.num_vgpr, 132
	.set _ZL29rocblas_internal_gemmt_kernelIlLi16ELi32ELi8ELc67ELc84ELc76ELb1ELb0E19rocblas_complex_numIdEPKS1_S3_PS1_EviT_T9_T10_S5_lS7_S5_lS6_T11_S5_li.num_agpr, 0
	.set _ZL29rocblas_internal_gemmt_kernelIlLi16ELi32ELi8ELc67ELc84ELc76ELb1ELb0E19rocblas_complex_numIdEPKS1_S3_PS1_EviT_T9_T10_S5_lS7_S5_lS6_T11_S5_li.numbered_sgpr, 44
	.set _ZL29rocblas_internal_gemmt_kernelIlLi16ELi32ELi8ELc67ELc84ELc76ELb1ELb0E19rocblas_complex_numIdEPKS1_S3_PS1_EviT_T9_T10_S5_lS7_S5_lS6_T11_S5_li.num_named_barrier, 0
	.set _ZL29rocblas_internal_gemmt_kernelIlLi16ELi32ELi8ELc67ELc84ELc76ELb1ELb0E19rocblas_complex_numIdEPKS1_S3_PS1_EviT_T9_T10_S5_lS7_S5_lS6_T11_S5_li.private_seg_size, 0
	.set _ZL29rocblas_internal_gemmt_kernelIlLi16ELi32ELi8ELc67ELc84ELc76ELb1ELb0E19rocblas_complex_numIdEPKS1_S3_PS1_EviT_T9_T10_S5_lS7_S5_lS6_T11_S5_li.uses_vcc, 1
	.set _ZL29rocblas_internal_gemmt_kernelIlLi16ELi32ELi8ELc67ELc84ELc76ELb1ELb0E19rocblas_complex_numIdEPKS1_S3_PS1_EviT_T9_T10_S5_lS7_S5_lS6_T11_S5_li.uses_flat_scratch, 0
	.set _ZL29rocblas_internal_gemmt_kernelIlLi16ELi32ELi8ELc67ELc84ELc76ELb1ELb0E19rocblas_complex_numIdEPKS1_S3_PS1_EviT_T9_T10_S5_lS7_S5_lS6_T11_S5_li.has_dyn_sized_stack, 0
	.set _ZL29rocblas_internal_gemmt_kernelIlLi16ELi32ELi8ELc67ELc84ELc76ELb1ELb0E19rocblas_complex_numIdEPKS1_S3_PS1_EviT_T9_T10_S5_lS7_S5_lS6_T11_S5_li.has_recursion, 0
	.set _ZL29rocblas_internal_gemmt_kernelIlLi16ELi32ELi8ELc67ELc84ELc76ELb1ELb0E19rocblas_complex_numIdEPKS1_S3_PS1_EviT_T9_T10_S5_lS7_S5_lS6_T11_S5_li.has_indirect_call, 0
	.section	.AMDGPU.csdata,"",@progbits
; Kernel info:
; codeLenInByte = 3452
; TotalNumSgprs: 46
; NumVgprs: 132
; ScratchSize: 0
; MemoryBound: 1
; FloatMode: 240
; IeeeMode: 1
; LDSByteSize: 8192 bytes/workgroup (compile time only)
; SGPRBlocks: 0
; VGPRBlocks: 16
; NumSGPRsForWavesPerEU: 46
; NumVGPRsForWavesPerEU: 132
; Occupancy: 10
; WaveLimiterHint : 0
; COMPUTE_PGM_RSRC2:SCRATCH_EN: 0
; COMPUTE_PGM_RSRC2:USER_SGPR: 2
; COMPUTE_PGM_RSRC2:TRAP_HANDLER: 0
; COMPUTE_PGM_RSRC2:TGID_X_EN: 1
; COMPUTE_PGM_RSRC2:TGID_Y_EN: 1
; COMPUTE_PGM_RSRC2:TGID_Z_EN: 1
; COMPUTE_PGM_RSRC2:TIDIG_COMP_CNT: 1
	.section	.text._ZL29rocblas_internal_gemmt_kernelIlLi16ELi32ELi8ELc67ELc67ELc76ELb1ELb1E19rocblas_complex_numIdEPKS1_S3_PS1_EviT_T9_T10_S5_lS7_S5_lS6_T11_S5_li,"axG",@progbits,_ZL29rocblas_internal_gemmt_kernelIlLi16ELi32ELi8ELc67ELc67ELc76ELb1ELb1E19rocblas_complex_numIdEPKS1_S3_PS1_EviT_T9_T10_S5_lS7_S5_lS6_T11_S5_li,comdat
	.globl	_ZL29rocblas_internal_gemmt_kernelIlLi16ELi32ELi8ELc67ELc67ELc76ELb1ELb1E19rocblas_complex_numIdEPKS1_S3_PS1_EviT_T9_T10_S5_lS7_S5_lS6_T11_S5_li ; -- Begin function _ZL29rocblas_internal_gemmt_kernelIlLi16ELi32ELi8ELc67ELc67ELc76ELb1ELb1E19rocblas_complex_numIdEPKS1_S3_PS1_EviT_T9_T10_S5_lS7_S5_lS6_T11_S5_li
	.p2align	8
	.type	_ZL29rocblas_internal_gemmt_kernelIlLi16ELi32ELi8ELc67ELc67ELc76ELb1ELb1E19rocblas_complex_numIdEPKS1_S3_PS1_EviT_T9_T10_S5_lS7_S5_lS6_T11_S5_li,@function
_ZL29rocblas_internal_gemmt_kernelIlLi16ELi32ELi8ELc67ELc67ELc76ELb1ELb1E19rocblas_complex_numIdEPKS1_S3_PS1_EviT_T9_T10_S5_lS7_S5_lS6_T11_S5_li: ; @_ZL29rocblas_internal_gemmt_kernelIlLi16ELi32ELi8ELc67ELc67ELc76ELb1ELb1E19rocblas_complex_numIdEPKS1_S3_PS1_EviT_T9_T10_S5_lS7_S5_lS6_T11_S5_li
; %bb.0:
	s_clause 0x1
	s_load_b256 s[24:31], s[0:1], 0x48
	s_load_b512 s[8:23], s[0:1], 0x8
	s_wait_kmcnt 0x0
	s_load_b128 s[36:39], s[24:25], 0x0
	s_load_b128 s[40:43], s[10:11], 0x0
	s_wait_kmcnt 0x0
	v_cmp_eq_f64_e64 s3, s[36:37], 1.0
	v_cmp_eq_f64_e64 s2, s[38:39], 0
	s_and_b32 s3, s3, s2
	s_delay_alu instid0(SALU_CYCLE_1)
	s_and_not1_b32 vcc_lo, exec_lo, s3
	s_mov_b32 s3, -1
	s_cbranch_vccnz .LBB269_3
; %bb.1:
	s_cmp_lg_u64 s[8:9], 0
	s_cbranch_scc0 .LBB269_36
; %bb.2:
	v_cmp_neq_f64_e64 s3, s[40:41], 0
	v_cmp_neq_f64_e64 s4, s[42:43], 0
	s_or_b32 s3, s3, s4
.LBB269_3:
	s_delay_alu instid0(SALU_CYCLE_1)
	s_and_b32 vcc_lo, exec_lo, s3
	s_cbranch_vccz .LBB269_37
; %bb.4:
	s_load_b32 s5, s[0:1], 0x68
	s_lshr_b32 s6, ttmp7, 16
	s_wait_kmcnt 0x0
	s_cmp_ge_u32 s6, s5
	s_cbranch_scc1 .LBB269_37
; %bb.5:
	v_dual_mov_b32 v9, 0 :: v_dual_and_b32 v4, 0x3ff, v0
	v_bfe_u32 v5, v0, 10, 10
	v_cmp_neq_f64_e64 s3, s[40:41], 0
	v_cmp_neq_f64_e64 s4, s[42:43], 0
	s_lshl_b32 s10, ttmp9, 5
	v_and_b32_e32 v34, 7, v0
	v_lshl_add_u32 v2, v5, 4, v4
	s_load_b32 s7, s[0:1], 0x0
	s_ashr_i32 s1, s10, 31
	s_lshl_b32 s0, ttmp7, 5
	s_mul_i32 s1, s14, s1
	v_and_b32_e32 v3, 31, v2
	v_lshlrev_b32_e32 v8, 4, v34
	v_lshrrev_b32_e32 v10, 3, v2
	v_cmp_neq_f64_e64 s11, s[36:37], 0
	s_and_b32 s0, s0, 0x1fffe0
	v_or_b32_e32 v6, s10, v3
	v_add_nc_u32_e32 v11, s0, v5
	v_lshrrev_b32_e32 v35, 5, v2
	v_lshlrev_b32_e32 v2, 4, v3
	v_add_nc_u32_e32 v3, s0, v10
	v_mul_lo_u32 v7, s15, v6
	v_mad_co_u64_u32 v[0:1], null, s14, v6, 0
	s_delay_alu instid0(VALU_DEP_4) | instskip(NEXT) | instid1(VALU_DEP_4)
	v_lshl_or_b32 v36, v35, 9, v2
	v_lshlrev_b32_e32 v2, 4, v3
	v_lshlrev_b32_e32 v42, 4, v4
	v_lshl_add_u32 v43, v5, 7, 0x1000
	s_wait_kmcnt 0x0
	v_cmp_gt_i32_e64 s0, s7, v6
	v_cmp_gt_i64_e64 s24, s[8:9], 0
	v_add3_u32 v1, v1, s1, v7
	v_lshl_or_b32 v7, v10, 7, v8
	v_cmp_gt_i32_e64 s1, s7, v3
	v_add_nc_u32_e32 v10, s10, v4
	s_xor_b32 s10, s2, -1
	v_lshlrev_b64_e32 v[0:1], 4, v[0:1]
	v_add_nc_u32_e32 v37, 0x1000, v7
	v_add_nc_u32_e32 v7, 16, v11
	;; [unrolled: 1-line block ×3, first 2 shown]
	v_cmp_gt_i32_e64 s2, s7, v10
	v_add_co_u32 v38, vcc_lo, s12, v0
	s_or_b32 s14, s3, s4
	v_add_co_ci_u32_e64 v39, null, s13, v1, vcc_lo
	v_mad_co_u64_u32 v[0:1], null, s28, v11, 0
	v_add_co_u32 v40, s3, s18, v2
	v_mad_co_u64_u32 v[2:3], null, s28, v7, 0
	v_add_co_ci_u32_e64 v41, null, s19, 0, s3
	v_cmp_le_i32_e32 vcc_lo, v11, v10
	v_cmp_le_i32_e64 s3, v11, v12
	v_cmp_gt_i32_e64 s4, s7, v12
	s_wait_alu 0xfffe
	s_or_b32 s10, s11, s10
	v_mad_co_u64_u32 v[4:5], null, s29, v11, v[1:2]
	v_mov_b32_e32 v1, v3
	s_and_b32 s11, vcc_lo, s2
	s_and_b32 s12, s3, s4
	v_cmp_le_i32_e32 vcc_lo, v7, v10
	v_cmp_le_i32_e64 s3, v7, v12
	v_mad_co_u64_u32 v[5:6], null, s29, v7, v[1:2]
	v_mov_b32_e32 v1, v4
	v_ashrrev_i32_e32 v11, 31, v10
	v_ashrrev_i32_e32 v13, 31, v12
	s_and_b32 s13, s14, s24
	s_and_b32 s14, vcc_lo, s2
	v_lshlrev_b64_e32 v[14:15], 4, v[0:1]
	v_mov_b32_e32 v3, v5
	s_and_b32 s4, s3, s4
	s_mov_b32 s7, 0
	s_delay_alu instid0(VALU_DEP_1)
	v_lshlrev_b64_e32 v[16:17], 4, v[2:3]
	s_branch .LBB269_7
.LBB269_6:                              ;   in Loop: Header=BB269_7 Depth=1
	s_wait_alu 0xfffe
	s_or_b32 exec_lo, exec_lo, s2
	s_add_co_i32 s6, s6, 0x10000
	s_wait_alu 0xfffe
	s_cmp_lt_u32 s6, s5
	s_cbranch_scc0 .LBB269_37
.LBB269_7:                              ; =>This Loop Header: Depth=1
                                        ;     Child Loop BB269_10 Depth 2
	v_mov_b32_e32 v30, 0
	v_mov_b32_e32 v26, 0
	v_mov_b32_e32 v22, 0
	v_dual_mov_b32 v20, 0 :: v_dual_mov_b32 v31, 0
	v_dual_mov_b32 v32, 0 :: v_dual_mov_b32 v27, 0
	;; [unrolled: 1-line block ×5, first 2 shown]
	v_mov_b32_e32 v29, 0
	v_mov_b32_e32 v25, 0
	;; [unrolled: 1-line block ×3, first 2 shown]
	s_wait_alu 0xfffe
	s_and_not1_b32 vcc_lo, exec_lo, s13
	s_wait_alu 0xfffe
	s_cbranch_vccnz .LBB269_16
; %bb.8:                                ;   in Loop: Header=BB269_7 Depth=1
	s_mul_u64 s[2:3], s[16:17], s[6:7]
	s_mul_u64 s[18:19], s[22:23], s[6:7]
	s_wait_alu 0xfffe
	s_lshl_b64 s[2:3], s[2:3], 4
	v_mov_b32_e32 v18, 0
	s_wait_alu 0xfffe
	v_add_co_u32 v44, vcc_lo, v38, s2
	s_wait_alu 0xfffd
	v_add_co_ci_u32_e64 v45, null, s3, v39, vcc_lo
	s_lshl_b64 s[2:3], s[18:19], 4
	v_mov_b32_e32 v24, 0
	v_mov_b32_e32 v28, 0
	;; [unrolled: 1-line block ×3, first 2 shown]
	s_wait_alu 0xfffe
	v_add_co_u32 v46, vcc_lo, v40, s2
	v_dual_mov_b32 v19, 0 :: v_dual_mov_b32 v20, 0
	v_dual_mov_b32 v25, 0 :: v_dual_mov_b32 v22, 0
	;; [unrolled: 1-line block ×4, first 2 shown]
	v_mov_b32_e32 v21, 0
	v_mov_b32_e32 v23, 0
	;; [unrolled: 1-line block ×4, first 2 shown]
	s_wait_alu 0xfffd
	v_add_co_ci_u32_e64 v47, null, s3, v41, vcc_lo
	s_mov_b64 s[2:3], 0
	s_branch .LBB269_10
.LBB269_9:                              ;   in Loop: Header=BB269_10 Depth=2
	s_wait_alu 0xfffe
	s_or_b32 exec_lo, exec_lo, s15
	ds_store_b128 v37, v[4:7]
	s_wait_dscnt 0x0
	s_barrier_signal -1
	s_barrier_wait -1
	global_inv scope:SCOPE_SE
	ds_load_b128 v[0:3], v43
	ds_load_b128 v[4:7], v42
	ds_load_b128 v[48:51], v42 offset:256
	ds_load_b128 v[52:55], v43 offset:2048
	;; [unrolled: 1-line block ×10, first 2 shown]
	s_add_nc_u64 s[2:3], s[2:3], 8
	s_wait_alu 0xfffe
	v_cmp_gt_i64_e64 s15, s[8:9], s[2:3]
	s_and_b32 vcc_lo, exec_lo, s15
	s_wait_dscnt 0xa
	v_mul_f64_e32 v[88:89], v[2:3], v[6:7]
	v_mul_f64_e32 v[90:91], v[0:1], v[6:7]
	s_wait_dscnt 0x9
	v_mul_f64_e32 v[92:93], v[2:3], v[50:51]
	v_mul_f64_e32 v[94:95], v[0:1], v[50:51]
	;; [unrolled: 3-line block ×3, first 2 shown]
	v_mul_f64_e32 v[98:99], v[54:55], v[50:51]
	v_mul_f64_e32 v[50:51], v[52:53], v[50:51]
	s_wait_dscnt 0x5
	v_mul_f64_e32 v[100:101], v[58:59], v[66:67]
	v_mul_f64_e32 v[102:103], v[56:57], v[66:67]
	s_wait_dscnt 0x4
	v_mul_f64_e32 v[104:105], v[58:59], v[70:71]
	v_mul_f64_e32 v[106:107], v[56:57], v[70:71]
	;; [unrolled: 1-line block ×6, first 2 shown]
	s_wait_dscnt 0x2
	v_mul_f64_e32 v[116:117], v[74:75], v[78:79]
	v_mul_f64_e32 v[118:119], v[72:73], v[78:79]
	s_wait_dscnt 0x1
	v_mul_f64_e32 v[120:121], v[74:75], v[82:83]
	v_mul_f64_e32 v[122:123], v[72:73], v[82:83]
	;; [unrolled: 3-line block ×3, first 2 shown]
	v_mul_f64_e32 v[126:127], v[86:87], v[82:83]
	v_mul_f64_e32 v[82:83], v[84:85], v[82:83]
	v_fma_f64 v[88:89], v[0:1], v[4:5], -v[88:89]
	v_fma_f64 v[90:91], v[2:3], v[4:5], v[90:91]
	v_fma_f64 v[92:93], v[0:1], v[48:49], -v[92:93]
	v_fma_f64 v[94:95], v[2:3], v[48:49], v[94:95]
	;; [unrolled: 2-line block ×8, first 2 shown]
	ds_load_b128 v[0:3], v43 offset:48
	ds_load_b128 v[4:7], v42 offset:1536
	;; [unrolled: 1-line block ×4, first 2 shown]
	v_fma_f64 v[116:117], v[72:73], v[76:77], -v[116:117]
	v_fma_f64 v[118:119], v[74:75], v[76:77], v[118:119]
	v_fma_f64 v[72:73], v[72:73], v[80:81], -v[120:121]
	v_fma_f64 v[74:75], v[74:75], v[80:81], v[122:123]
	;; [unrolled: 2-line block ×4, first 2 shown]
	s_wait_dscnt 0x2
	v_mul_f64_e32 v[106:107], v[0:1], v[6:7]
	s_wait_dscnt 0x1
	v_mul_f64_e32 v[108:109], v[2:3], v[50:51]
	v_mul_f64_e32 v[110:111], v[0:1], v[50:51]
	v_add_f64_e32 v[66:67], v[30:31], v[88:89]
	v_add_f64_e32 v[68:69], v[90:91], v[32:33]
	;; [unrolled: 1-line block ×8, first 2 shown]
	v_mul_f64_e32 v[98:99], v[2:3], v[6:7]
	s_wait_dscnt 0x0
	v_mul_f64_e32 v[112:113], v[54:55], v[6:7]
	v_mul_f64_e32 v[6:7], v[52:53], v[6:7]
	;; [unrolled: 1-line block ×4, first 2 shown]
	ds_load_b128 v[18:21], v43 offset:64
	ds_load_b128 v[22:25], v42 offset:2048
	;; [unrolled: 1-line block ×4, first 2 shown]
	s_wait_dscnt 0x1
	v_mul_f64_e32 v[122:123], v[18:19], v[28:29]
	s_wait_dscnt 0x0
	v_mul_f64_e32 v[124:125], v[32:33], v[24:25]
	v_mul_f64_e32 v[126:127], v[32:33], v[28:29]
	v_fma_f64 v[106:107], v[2:3], v[4:5], v[106:107]
	v_fma_f64 v[108:109], v[0:1], v[48:49], -v[108:109]
	v_fma_f64 v[110:111], v[2:3], v[48:49], v[110:111]
	v_add_f64_e32 v[82:83], v[66:67], v[100:101]
	v_add_f64_e32 v[84:85], v[102:103], v[68:69]
	;; [unrolled: 1-line block ×8, first 2 shown]
	v_mul_f64_e32 v[100:101], v[20:21], v[24:25]
	v_mul_f64_e32 v[102:103], v[18:19], v[24:25]
	;; [unrolled: 1-line block ×5, first 2 shown]
	v_fma_f64 v[98:99], v[0:1], v[4:5], -v[98:99]
	v_fma_f64 v[112:113], v[52:53], v[4:5], -v[112:113]
	v_fma_f64 v[128:129], v[54:55], v[4:5], v[6:7]
	v_fma_f64 v[114:115], v[52:53], v[48:49], -v[114:115]
	v_fma_f64 v[130:131], v[54:55], v[48:49], v[50:51]
	ds_load_b128 v[56:59], v43 offset:80
	ds_load_b128 v[60:63], v42 offset:2560
	;; [unrolled: 1-line block ×8, first 2 shown]
	v_add_f64_e32 v[82:83], v[82:83], v[116:117]
	v_add_f64_e32 v[84:85], v[118:119], v[84:85]
	;; [unrolled: 1-line block ×8, first 2 shown]
	s_wait_dscnt 0x6
	v_mul_f64_e32 v[88:89], v[58:59], v[62:63]
	v_mul_f64_e32 v[90:91], v[56:57], v[62:63]
	s_wait_dscnt 0x5
	v_mul_f64_e32 v[92:93], v[58:59], v[66:67]
	v_mul_f64_e32 v[94:95], v[56:57], v[66:67]
	;; [unrolled: 3-line block ×3, first 2 shown]
	v_mul_f64_e32 v[116:117], v[70:71], v[66:67]
	v_mul_f64_e32 v[66:67], v[68:69], v[66:67]
	v_fma_f64 v[100:101], v[18:19], v[22:23], -v[100:101]
	v_fma_f64 v[102:103], v[20:21], v[22:23], v[102:103]
	v_fma_f64 v[104:105], v[18:19], v[26:27], -v[104:105]
	v_fma_f64 v[118:119], v[20:21], v[26:27], v[122:123]
	;; [unrolled: 2-line block ×4, first 2 shown]
	ds_load_b128 v[18:21], v43 offset:112
	ds_load_b128 v[22:25], v42 offset:3584
	;; [unrolled: 1-line block ×4, first 2 shown]
	s_wait_loadcnt_dscnt 0x0
	s_barrier_signal -1
	s_barrier_wait -1
	global_inv scope:SCOPE_SE
	v_add_f64_e32 v[82:83], v[82:83], v[98:99]
	v_add_f64_e32 v[84:85], v[106:107], v[84:85]
	;; [unrolled: 1-line block ×8, first 2 shown]
	v_mul_f64_e32 v[98:99], v[2:3], v[6:7]
	v_mul_f64_e32 v[106:107], v[0:1], v[6:7]
	;; [unrolled: 1-line block ×8, first 2 shown]
	v_fma_f64 v[88:89], v[56:57], v[60:61], -v[88:89]
	v_fma_f64 v[90:91], v[58:59], v[60:61], v[90:91]
	v_fma_f64 v[56:57], v[56:57], v[64:65], -v[92:93]
	v_fma_f64 v[58:59], v[58:59], v[64:65], v[94:95]
	;; [unrolled: 2-line block ×4, first 2 shown]
	v_mul_f64_e32 v[94:95], v[18:19], v[28:29]
	v_mul_f64_e32 v[96:97], v[32:33], v[24:25]
	v_add_f64_e32 v[66:67], v[82:83], v[100:101]
	v_add_f64_e32 v[68:69], v[102:103], v[84:85]
	;; [unrolled: 1-line block ×8, first 2 shown]
	v_mul_f64_e32 v[82:83], v[20:21], v[24:25]
	v_mul_f64_e32 v[84:85], v[18:19], v[24:25]
	;; [unrolled: 1-line block ×6, first 2 shown]
	v_fma_f64 v[98:99], v[0:1], v[4:5], -v[98:99]
	v_fma_f64 v[102:103], v[2:3], v[4:5], v[106:107]
	v_fma_f64 v[0:1], v[0:1], v[48:49], -v[108:109]
	v_fma_f64 v[2:3], v[2:3], v[48:49], v[110:111]
	;; [unrolled: 2-line block ×4, first 2 shown]
	v_add_f64_e32 v[50:51], v[66:67], v[88:89]
	v_add_f64_e32 v[52:53], v[90:91], v[68:69]
	;; [unrolled: 1-line block ×8, first 2 shown]
	v_fma_f64 v[66:67], v[18:19], v[22:23], -v[82:83]
	v_fma_f64 v[68:69], v[20:21], v[22:23], v[84:85]
	v_fma_f64 v[18:19], v[18:19], v[26:27], -v[86:87]
	v_fma_f64 v[20:21], v[20:21], v[26:27], v[94:95]
	;; [unrolled: 2-line block ×4, first 2 shown]
	v_add_f64_e32 v[22:23], v[50:51], v[98:99]
	v_add_f64_e32 v[26:27], v[102:103], v[52:53]
	;; [unrolled: 1-line block ×16, first 2 shown]
	s_wait_alu 0xfffe
	s_cbranch_vccz .LBB269_16
.LBB269_10:                             ;   Parent Loop BB269_7 Depth=1
                                        ; =>  This Inner Loop Header: Depth=2
	v_mov_b32_e32 v0, 0
	v_dual_mov_b32 v1, 0 :: v_dual_mov_b32 v2, 0
	v_mov_b32_e32 v3, 0
	s_and_saveexec_b32 s15, s0
	s_cbranch_execz .LBB269_14
; %bb.11:                               ;   in Loop: Header=BB269_10 Depth=2
	v_mov_b32_e32 v2, 0
	v_mov_b32_e32 v0, 0
	s_wait_alu 0xfffe
	v_dual_mov_b32 v3, 0 :: v_dual_add_nc_u32 v8, s2, v35
	v_mov_b32_e32 v1, 0
	s_mov_b32 s18, exec_lo
	s_delay_alu instid0(VALU_DEP_2)
	v_cmpx_gt_u64_e64 s[8:9], v[8:9]
	s_cbranch_execz .LBB269_13
; %bb.12:                               ;   in Loop: Header=BB269_10 Depth=2
	v_lshlrev_b64_e32 v[0:1], 4, v[8:9]
	s_delay_alu instid0(VALU_DEP_1) | instskip(SKIP_1) | instid1(VALU_DEP_2)
	v_add_co_u32 v0, vcc_lo, v44, v0
	s_wait_alu 0xfffd
	v_add_co_ci_u32_e64 v1, null, v45, v1, vcc_lo
	global_load_b128 v[0:3], v[0:1], off
	s_wait_loadcnt 0x0
	v_xor_b32_e32 v3, 0x80000000, v3
.LBB269_13:                             ;   in Loop: Header=BB269_10 Depth=2
	s_wait_alu 0xfffe
	s_or_b32 exec_lo, exec_lo, s18
.LBB269_14:                             ;   in Loop: Header=BB269_10 Depth=2
	s_wait_alu 0xfffe
	s_or_b32 exec_lo, exec_lo, s15
	v_add_nc_u32_e32 v8, s2, v34
	v_mov_b32_e32 v4, 0
	v_dual_mov_b32 v5, 0 :: v_dual_mov_b32 v6, 0
	v_mov_b32_e32 v7, 0
	s_delay_alu instid0(VALU_DEP_4)
	v_cmp_gt_u64_e32 vcc_lo, s[8:9], v[8:9]
	ds_store_b128 v36, v[0:3]
	s_and_b32 s18, vcc_lo, s1
	s_wait_alu 0xfffe
	s_and_saveexec_b32 s15, s18
	s_cbranch_execz .LBB269_9
; %bb.15:                               ;   in Loop: Header=BB269_10 Depth=2
	v_mad_co_u64_u32 v[0:1], null, s20, v8, 0
	s_delay_alu instid0(VALU_DEP_1) | instskip(NEXT) | instid1(VALU_DEP_1)
	v_mad_co_u64_u32 v[1:2], null, s21, v8, v[1:2]
	v_lshlrev_b64_e32 v[0:1], 4, v[0:1]
	s_delay_alu instid0(VALU_DEP_1) | instskip(SKIP_1) | instid1(VALU_DEP_2)
	v_add_co_u32 v0, vcc_lo, v46, v0
	s_wait_alu 0xfffd
	v_add_co_ci_u32_e64 v1, null, v47, v1, vcc_lo
	global_load_b128 v[4:7], v[0:1], off
	s_wait_loadcnt 0x0
	v_xor_b32_e32 v7, 0x80000000, v7
	s_branch .LBB269_9
.LBB269_16:                             ;   in Loop: Header=BB269_7 Depth=1
	s_mul_u64 s[2:3], s[30:31], s[6:7]
	s_wait_alu 0xfffe
	s_lshl_b64 s[2:3], s[2:3], 4
	s_wait_alu 0xfffe
	s_add_nc_u64 s[2:3], s[26:27], s[2:3]
	s_wait_alu 0xfffe
	v_add_co_u32 v4, vcc_lo, s2, v14
	s_wait_alu 0xfffd
	v_add_co_ci_u32_e64 v5, null, s3, v15, vcc_lo
	s_and_saveexec_b32 s15, s11
	s_cbranch_execz .LBB269_21
; %bb.17:                               ;   in Loop: Header=BB269_7 Depth=1
	v_mul_f64_e32 v[0:1], s[42:43], v[32:33]
	v_mul_f64_e32 v[2:3], s[40:41], v[32:33]
	s_and_b32 vcc_lo, exec_lo, s10
	s_mov_b32 s18, -1
	s_delay_alu instid0(VALU_DEP_2) | instskip(NEXT) | instid1(VALU_DEP_2)
	v_fma_f64 v[0:1], s[40:41], v[30:31], -v[0:1]
	v_fma_f64 v[2:3], s[42:43], v[30:31], v[2:3]
	s_wait_alu 0xfffe
	s_cbranch_vccz .LBB269_19
; %bb.18:                               ;   in Loop: Header=BB269_7 Depth=1
	v_lshlrev_b64_e32 v[6:7], 4, v[10:11]
	s_mov_b32 s18, 0
	s_delay_alu instid0(VALU_DEP_1) | instskip(SKIP_1) | instid1(VALU_DEP_2)
	v_add_co_u32 v6, vcc_lo, v4, v6
	s_wait_alu 0xfffd
	v_add_co_ci_u32_e64 v7, null, v5, v7, vcc_lo
	global_load_b128 v[30:33], v[6:7], off
	s_wait_loadcnt 0x0
	v_mul_f64_e32 v[44:45], s[38:39], v[32:33]
	v_mul_f64_e32 v[32:33], s[36:37], v[32:33]
	s_delay_alu instid0(VALU_DEP_2) | instskip(NEXT) | instid1(VALU_DEP_2)
	v_fma_f64 v[44:45], s[36:37], v[30:31], -v[44:45]
	v_fma_f64 v[32:33], s[38:39], v[30:31], v[32:33]
	s_delay_alu instid0(VALU_DEP_2) | instskip(NEXT) | instid1(VALU_DEP_2)
	v_add_f64_e32 v[30:31], v[0:1], v[44:45]
	v_add_f64_e32 v[32:33], v[2:3], v[32:33]
	global_store_b128 v[6:7], v[30:33], off
.LBB269_19:                             ;   in Loop: Header=BB269_7 Depth=1
	s_wait_alu 0xfffe
	s_and_not1_b32 vcc_lo, exec_lo, s18
	s_wait_alu 0xfffe
	s_cbranch_vccnz .LBB269_21
; %bb.20:                               ;   in Loop: Header=BB269_7 Depth=1
	v_lshlrev_b64_e32 v[6:7], 4, v[10:11]
	s_delay_alu instid0(VALU_DEP_1) | instskip(SKIP_1) | instid1(VALU_DEP_2)
	v_add_co_u32 v6, vcc_lo, v4, v6
	s_wait_alu 0xfffd
	v_add_co_ci_u32_e64 v7, null, v5, v7, vcc_lo
	global_store_b128 v[6:7], v[0:3], off
.LBB269_21:                             ;   in Loop: Header=BB269_7 Depth=1
	s_wait_alu 0xfffe
	s_or_b32 exec_lo, exec_lo, s15
	s_and_saveexec_b32 s15, s12
	s_cbranch_execz .LBB269_26
; %bb.22:                               ;   in Loop: Header=BB269_7 Depth=1
	v_mul_f64_e32 v[0:1], s[42:43], v[28:29]
	v_mul_f64_e32 v[2:3], s[40:41], v[28:29]
	s_and_not1_b32 vcc_lo, exec_lo, s10
	s_mov_b32 s18, -1
	s_delay_alu instid0(VALU_DEP_2) | instskip(NEXT) | instid1(VALU_DEP_2)
	v_fma_f64 v[0:1], s[40:41], v[26:27], -v[0:1]
	v_fma_f64 v[2:3], s[42:43], v[26:27], v[2:3]
	s_wait_alu 0xfffe
	s_cbranch_vccnz .LBB269_24
; %bb.23:                               ;   in Loop: Header=BB269_7 Depth=1
	v_lshlrev_b64_e32 v[6:7], 4, v[12:13]
	s_mov_b32 s18, 0
	s_delay_alu instid0(VALU_DEP_1) | instskip(SKIP_1) | instid1(VALU_DEP_2)
	v_add_co_u32 v6, vcc_lo, v4, v6
	s_wait_alu 0xfffd
	v_add_co_ci_u32_e64 v7, null, v5, v7, vcc_lo
	global_load_b128 v[26:29], v[6:7], off
	s_wait_loadcnt 0x0
	v_mul_f64_e32 v[30:31], s[38:39], v[28:29]
	v_mul_f64_e32 v[28:29], s[36:37], v[28:29]
	s_delay_alu instid0(VALU_DEP_2) | instskip(NEXT) | instid1(VALU_DEP_2)
	v_fma_f64 v[30:31], s[36:37], v[26:27], -v[30:31]
	v_fma_f64 v[28:29], s[38:39], v[26:27], v[28:29]
	s_delay_alu instid0(VALU_DEP_2) | instskip(NEXT) | instid1(VALU_DEP_2)
	v_add_f64_e32 v[26:27], v[0:1], v[30:31]
	v_add_f64_e32 v[28:29], v[2:3], v[28:29]
	global_store_b128 v[6:7], v[26:29], off
.LBB269_24:                             ;   in Loop: Header=BB269_7 Depth=1
	s_wait_alu 0xfffe
	s_and_not1_b32 vcc_lo, exec_lo, s18
	s_wait_alu 0xfffe
	s_cbranch_vccnz .LBB269_26
; %bb.25:                               ;   in Loop: Header=BB269_7 Depth=1
	v_lshlrev_b64_e32 v[6:7], 4, v[12:13]
	s_delay_alu instid0(VALU_DEP_1) | instskip(SKIP_1) | instid1(VALU_DEP_2)
	v_add_co_u32 v4, vcc_lo, v4, v6
	s_wait_alu 0xfffd
	v_add_co_ci_u32_e64 v5, null, v5, v7, vcc_lo
	global_store_b128 v[4:5], v[0:3], off
.LBB269_26:                             ;   in Loop: Header=BB269_7 Depth=1
	s_wait_alu 0xfffe
	s_or_b32 exec_lo, exec_lo, s15
	v_add_co_u32 v6, vcc_lo, s2, v16
	s_wait_alu 0xfffd
	v_add_co_ci_u32_e64 v7, null, s3, v17, vcc_lo
	s_and_saveexec_b32 s2, s14
	s_cbranch_execz .LBB269_31
; %bb.27:                               ;   in Loop: Header=BB269_7 Depth=1
	v_mul_f64_e32 v[0:1], s[42:43], v[24:25]
	v_mul_f64_e32 v[2:3], s[40:41], v[24:25]
	v_lshlrev_b64_e32 v[4:5], 4, v[10:11]
	s_and_not1_b32 vcc_lo, exec_lo, s10
	s_mov_b32 s3, -1
	s_delay_alu instid0(VALU_DEP_3) | instskip(NEXT) | instid1(VALU_DEP_3)
	v_fma_f64 v[0:1], s[40:41], v[22:23], -v[0:1]
	v_fma_f64 v[2:3], s[42:43], v[22:23], v[2:3]
	s_wait_alu 0xfffe
	s_cbranch_vccnz .LBB269_29
; %bb.28:                               ;   in Loop: Header=BB269_7 Depth=1
	v_add_co_u32 v26, vcc_lo, v6, v4
	s_wait_alu 0xfffd
	v_add_co_ci_u32_e64 v27, null, v7, v5, vcc_lo
	s_mov_b32 s3, 0
	global_load_b128 v[22:25], v[26:27], off
	s_wait_loadcnt 0x0
	v_mul_f64_e32 v[28:29], s[38:39], v[24:25]
	v_mul_f64_e32 v[24:25], s[36:37], v[24:25]
	s_delay_alu instid0(VALU_DEP_2) | instskip(NEXT) | instid1(VALU_DEP_2)
	v_fma_f64 v[28:29], s[36:37], v[22:23], -v[28:29]
	v_fma_f64 v[24:25], s[38:39], v[22:23], v[24:25]
	s_delay_alu instid0(VALU_DEP_2) | instskip(NEXT) | instid1(VALU_DEP_2)
	v_add_f64_e32 v[22:23], v[0:1], v[28:29]
	v_add_f64_e32 v[24:25], v[2:3], v[24:25]
	global_store_b128 v[26:27], v[22:25], off
.LBB269_29:                             ;   in Loop: Header=BB269_7 Depth=1
	s_wait_alu 0xfffe
	s_and_not1_b32 vcc_lo, exec_lo, s3
	s_wait_alu 0xfffe
	s_cbranch_vccnz .LBB269_31
; %bb.30:                               ;   in Loop: Header=BB269_7 Depth=1
	v_add_co_u32 v4, vcc_lo, v6, v4
	s_wait_alu 0xfffd
	v_add_co_ci_u32_e64 v5, null, v7, v5, vcc_lo
	global_store_b128 v[4:5], v[0:3], off
.LBB269_31:                             ;   in Loop: Header=BB269_7 Depth=1
	s_wait_alu 0xfffe
	s_or_b32 exec_lo, exec_lo, s2
	s_and_saveexec_b32 s2, s4
	s_cbranch_execz .LBB269_6
; %bb.32:                               ;   in Loop: Header=BB269_7 Depth=1
	v_mul_f64_e32 v[0:1], s[42:43], v[18:19]
	v_mul_f64_e32 v[2:3], s[40:41], v[18:19]
	v_lshlrev_b64_e32 v[4:5], 4, v[12:13]
	s_and_not1_b32 vcc_lo, exec_lo, s10
	s_mov_b32 s3, -1
	s_delay_alu instid0(VALU_DEP_3) | instskip(NEXT) | instid1(VALU_DEP_3)
	v_fma_f64 v[0:1], s[40:41], v[20:21], -v[0:1]
	v_fma_f64 v[2:3], s[42:43], v[20:21], v[2:3]
	s_wait_alu 0xfffe
	s_cbranch_vccnz .LBB269_34
; %bb.33:                               ;   in Loop: Header=BB269_7 Depth=1
	v_add_co_u32 v22, vcc_lo, v6, v4
	s_wait_alu 0xfffd
	v_add_co_ci_u32_e64 v23, null, v7, v5, vcc_lo
	s_mov_b32 s3, 0
	global_load_b128 v[18:21], v[22:23], off
	s_wait_loadcnt 0x0
	v_mul_f64_e32 v[24:25], s[38:39], v[20:21]
	v_mul_f64_e32 v[20:21], s[36:37], v[20:21]
	s_delay_alu instid0(VALU_DEP_2) | instskip(NEXT) | instid1(VALU_DEP_2)
	v_fma_f64 v[24:25], s[36:37], v[18:19], -v[24:25]
	v_fma_f64 v[20:21], s[38:39], v[18:19], v[20:21]
	s_delay_alu instid0(VALU_DEP_2) | instskip(NEXT) | instid1(VALU_DEP_2)
	v_add_f64_e32 v[18:19], v[0:1], v[24:25]
	v_add_f64_e32 v[20:21], v[2:3], v[20:21]
	global_store_b128 v[22:23], v[18:21], off
.LBB269_34:                             ;   in Loop: Header=BB269_7 Depth=1
	s_wait_alu 0xfffe
	s_and_not1_b32 vcc_lo, exec_lo, s3
	s_wait_alu 0xfffe
	s_cbranch_vccnz .LBB269_6
; %bb.35:                               ;   in Loop: Header=BB269_7 Depth=1
	v_add_co_u32 v4, vcc_lo, v6, v4
	s_wait_alu 0xfffd
	v_add_co_ci_u32_e64 v5, null, v7, v5, vcc_lo
	global_store_b128 v[4:5], v[0:3], off
	s_branch .LBB269_6
.LBB269_36:
.LBB269_37:
	s_nop 0
	s_sendmsg sendmsg(MSG_DEALLOC_VGPRS)
	s_endpgm
	.section	.rodata,"a",@progbits
	.p2align	6, 0x0
	.amdhsa_kernel _ZL29rocblas_internal_gemmt_kernelIlLi16ELi32ELi8ELc67ELc67ELc76ELb1ELb1E19rocblas_complex_numIdEPKS1_S3_PS1_EviT_T9_T10_S5_lS7_S5_lS6_T11_S5_li
		.amdhsa_group_segment_fixed_size 8192
		.amdhsa_private_segment_fixed_size 0
		.amdhsa_kernarg_size 108
		.amdhsa_user_sgpr_count 2
		.amdhsa_user_sgpr_dispatch_ptr 0
		.amdhsa_user_sgpr_queue_ptr 0
		.amdhsa_user_sgpr_kernarg_segment_ptr 1
		.amdhsa_user_sgpr_dispatch_id 0
		.amdhsa_user_sgpr_private_segment_size 0
		.amdhsa_wavefront_size32 1
		.amdhsa_uses_dynamic_stack 0
		.amdhsa_enable_private_segment 0
		.amdhsa_system_sgpr_workgroup_id_x 1
		.amdhsa_system_sgpr_workgroup_id_y 1
		.amdhsa_system_sgpr_workgroup_id_z 1
		.amdhsa_system_sgpr_workgroup_info 0
		.amdhsa_system_vgpr_workitem_id 1
		.amdhsa_next_free_vgpr 132
		.amdhsa_next_free_sgpr 44
		.amdhsa_reserve_vcc 1
		.amdhsa_float_round_mode_32 0
		.amdhsa_float_round_mode_16_64 0
		.amdhsa_float_denorm_mode_32 3
		.amdhsa_float_denorm_mode_16_64 3
		.amdhsa_fp16_overflow 0
		.amdhsa_workgroup_processor_mode 1
		.amdhsa_memory_ordered 1
		.amdhsa_forward_progress 1
		.amdhsa_inst_pref_size 27
		.amdhsa_round_robin_scheduling 0
		.amdhsa_exception_fp_ieee_invalid_op 0
		.amdhsa_exception_fp_denorm_src 0
		.amdhsa_exception_fp_ieee_div_zero 0
		.amdhsa_exception_fp_ieee_overflow 0
		.amdhsa_exception_fp_ieee_underflow 0
		.amdhsa_exception_fp_ieee_inexact 0
		.amdhsa_exception_int_div_zero 0
	.end_amdhsa_kernel
	.section	.text._ZL29rocblas_internal_gemmt_kernelIlLi16ELi32ELi8ELc67ELc67ELc76ELb1ELb1E19rocblas_complex_numIdEPKS1_S3_PS1_EviT_T9_T10_S5_lS7_S5_lS6_T11_S5_li,"axG",@progbits,_ZL29rocblas_internal_gemmt_kernelIlLi16ELi32ELi8ELc67ELc67ELc76ELb1ELb1E19rocblas_complex_numIdEPKS1_S3_PS1_EviT_T9_T10_S5_lS7_S5_lS6_T11_S5_li,comdat
.Lfunc_end269:
	.size	_ZL29rocblas_internal_gemmt_kernelIlLi16ELi32ELi8ELc67ELc67ELc76ELb1ELb1E19rocblas_complex_numIdEPKS1_S3_PS1_EviT_T9_T10_S5_lS7_S5_lS6_T11_S5_li, .Lfunc_end269-_ZL29rocblas_internal_gemmt_kernelIlLi16ELi32ELi8ELc67ELc67ELc76ELb1ELb1E19rocblas_complex_numIdEPKS1_S3_PS1_EviT_T9_T10_S5_lS7_S5_lS6_T11_S5_li
                                        ; -- End function
	.set _ZL29rocblas_internal_gemmt_kernelIlLi16ELi32ELi8ELc67ELc67ELc76ELb1ELb1E19rocblas_complex_numIdEPKS1_S3_PS1_EviT_T9_T10_S5_lS7_S5_lS6_T11_S5_li.num_vgpr, 132
	.set _ZL29rocblas_internal_gemmt_kernelIlLi16ELi32ELi8ELc67ELc67ELc76ELb1ELb1E19rocblas_complex_numIdEPKS1_S3_PS1_EviT_T9_T10_S5_lS7_S5_lS6_T11_S5_li.num_agpr, 0
	.set _ZL29rocblas_internal_gemmt_kernelIlLi16ELi32ELi8ELc67ELc67ELc76ELb1ELb1E19rocblas_complex_numIdEPKS1_S3_PS1_EviT_T9_T10_S5_lS7_S5_lS6_T11_S5_li.numbered_sgpr, 44
	.set _ZL29rocblas_internal_gemmt_kernelIlLi16ELi32ELi8ELc67ELc67ELc76ELb1ELb1E19rocblas_complex_numIdEPKS1_S3_PS1_EviT_T9_T10_S5_lS7_S5_lS6_T11_S5_li.num_named_barrier, 0
	.set _ZL29rocblas_internal_gemmt_kernelIlLi16ELi32ELi8ELc67ELc67ELc76ELb1ELb1E19rocblas_complex_numIdEPKS1_S3_PS1_EviT_T9_T10_S5_lS7_S5_lS6_T11_S5_li.private_seg_size, 0
	.set _ZL29rocblas_internal_gemmt_kernelIlLi16ELi32ELi8ELc67ELc67ELc76ELb1ELb1E19rocblas_complex_numIdEPKS1_S3_PS1_EviT_T9_T10_S5_lS7_S5_lS6_T11_S5_li.uses_vcc, 1
	.set _ZL29rocblas_internal_gemmt_kernelIlLi16ELi32ELi8ELc67ELc67ELc76ELb1ELb1E19rocblas_complex_numIdEPKS1_S3_PS1_EviT_T9_T10_S5_lS7_S5_lS6_T11_S5_li.uses_flat_scratch, 0
	.set _ZL29rocblas_internal_gemmt_kernelIlLi16ELi32ELi8ELc67ELc67ELc76ELb1ELb1E19rocblas_complex_numIdEPKS1_S3_PS1_EviT_T9_T10_S5_lS7_S5_lS6_T11_S5_li.has_dyn_sized_stack, 0
	.set _ZL29rocblas_internal_gemmt_kernelIlLi16ELi32ELi8ELc67ELc67ELc76ELb1ELb1E19rocblas_complex_numIdEPKS1_S3_PS1_EviT_T9_T10_S5_lS7_S5_lS6_T11_S5_li.has_recursion, 0
	.set _ZL29rocblas_internal_gemmt_kernelIlLi16ELi32ELi8ELc67ELc67ELc76ELb1ELb1E19rocblas_complex_numIdEPKS1_S3_PS1_EviT_T9_T10_S5_lS7_S5_lS6_T11_S5_li.has_indirect_call, 0
	.section	.AMDGPU.csdata,"",@progbits
; Kernel info:
; codeLenInByte = 3420
; TotalNumSgprs: 46
; NumVgprs: 132
; ScratchSize: 0
; MemoryBound: 1
; FloatMode: 240
; IeeeMode: 1
; LDSByteSize: 8192 bytes/workgroup (compile time only)
; SGPRBlocks: 0
; VGPRBlocks: 16
; NumSGPRsForWavesPerEU: 46
; NumVGPRsForWavesPerEU: 132
; Occupancy: 10
; WaveLimiterHint : 0
; COMPUTE_PGM_RSRC2:SCRATCH_EN: 0
; COMPUTE_PGM_RSRC2:USER_SGPR: 2
; COMPUTE_PGM_RSRC2:TRAP_HANDLER: 0
; COMPUTE_PGM_RSRC2:TGID_X_EN: 1
; COMPUTE_PGM_RSRC2:TGID_Y_EN: 1
; COMPUTE_PGM_RSRC2:TGID_Z_EN: 1
; COMPUTE_PGM_RSRC2:TIDIG_COMP_CNT: 1
	.section	.text._ZL29rocblas_internal_gemmt_kernelIlLi16ELi32ELi8ELc78ELc78ELc85ELb0ELb0E19rocblas_complex_numIdES1_PKS1_PS1_EviT_T9_T10_S5_lS7_S5_lS6_T11_S5_li,"axG",@progbits,_ZL29rocblas_internal_gemmt_kernelIlLi16ELi32ELi8ELc78ELc78ELc85ELb0ELb0E19rocblas_complex_numIdES1_PKS1_PS1_EviT_T9_T10_S5_lS7_S5_lS6_T11_S5_li,comdat
	.globl	_ZL29rocblas_internal_gemmt_kernelIlLi16ELi32ELi8ELc78ELc78ELc85ELb0ELb0E19rocblas_complex_numIdES1_PKS1_PS1_EviT_T9_T10_S5_lS7_S5_lS6_T11_S5_li ; -- Begin function _ZL29rocblas_internal_gemmt_kernelIlLi16ELi32ELi8ELc78ELc78ELc85ELb0ELb0E19rocblas_complex_numIdES1_PKS1_PS1_EviT_T9_T10_S5_lS7_S5_lS6_T11_S5_li
	.p2align	8
	.type	_ZL29rocblas_internal_gemmt_kernelIlLi16ELi32ELi8ELc78ELc78ELc85ELb0ELb0E19rocblas_complex_numIdES1_PKS1_PS1_EviT_T9_T10_S5_lS7_S5_lS6_T11_S5_li,@function
_ZL29rocblas_internal_gemmt_kernelIlLi16ELi32ELi8ELc78ELc78ELc85ELb0ELb0E19rocblas_complex_numIdES1_PKS1_PS1_EviT_T9_T10_S5_lS7_S5_lS6_T11_S5_li: ; @_ZL29rocblas_internal_gemmt_kernelIlLi16ELi32ELi8ELc78ELc78ELc85ELb0ELb0E19rocblas_complex_numIdES1_PKS1_PS1_EviT_T9_T10_S5_lS7_S5_lS6_T11_S5_li
; %bb.0:
	s_clause 0x1
	s_load_b256 s[24:31], s[0:1], 0x48
	s_load_b512 s[8:23], s[0:1], 0x8
	s_wait_kmcnt 0x0
	v_cmp_eq_f64_e64 s3, s[26:27], 1.0
	v_cmp_eq_f64_e64 s2, s[28:29], 0
	s_and_b32 s3, s3, s2
	s_delay_alu instid0(SALU_CYCLE_1)
	s_and_not1_b32 vcc_lo, exec_lo, s3
	s_mov_b32 s3, -1
	s_cbranch_vccnz .LBB270_3
; %bb.1:
	s_cmp_lg_u64 s[8:9], 0
	s_cbranch_scc0 .LBB270_41
; %bb.2:
	v_cmp_neq_f64_e64 s3, s[10:11], 0
	v_cmp_neq_f64_e64 s4, s[12:13], 0
	s_or_b32 s3, s3, s4
.LBB270_3:
	s_delay_alu instid0(SALU_CYCLE_1)
	s_and_b32 vcc_lo, exec_lo, s3
	s_cbranch_vccz .LBB270_42
; %bb.4:
	s_load_b32 s33, s[0:1], 0x78
	s_lshr_b32 s34, ttmp7, 16
	s_wait_kmcnt 0x0
	s_cmp_ge_u32 s34, s33
	s_cbranch_scc1 .LBB270_42
; %bb.5:
	s_clause 0x1
	s_load_b128 s[4:7], s[0:1], 0x68
	s_load_b32 s35, s[0:1], 0x0
	v_and_b32_e32 v2, 0x3ff, v0
	v_bfe_u32 v8, v0, 10, 10
	s_lshl_b32 s0, ttmp7, 5
	s_lshl_b32 s1, ttmp9, 5
	s_and_b32 s0, s0, 0x1fffe0
	v_lshlrev_b32_e32 v31, 4, v2
	v_lshl_add_u32 v3, v8, 4, v2
	v_add_nc_u32_e32 v12, s0, v8
	v_add_nc_u32_e32 v6, s1, v2
	v_cmp_neq_f64_e64 s3, s[10:11], 0
	v_cmp_neq_f64_e64 s36, s[12:13], 0
	v_lshrrev_b32_e32 v4, 3, v3
	v_and_b32_e32 v9, 31, v3
	v_cmp_neq_f64_e64 s38, s[26:27], 0
	v_lshrrev_b32_e32 v32, 5, v3
	v_add_nc_u32_e32 v13, 16, v12
	v_add_nc_u32_e32 v7, s0, v4
	v_or_b32_e32 v2, s1, v9
	s_wait_kmcnt 0x0
	v_mad_co_u64_u32 v[10:11], null, s4, v12, 0
	v_and_b32_e32 v30, 7, v0
	v_mad_co_u64_u32 v[0:1], null, s22, v7, 0
	v_ashrrev_i32_e32 v3, 31, v2
	v_cmp_gt_i32_e64 s0, s35, v2
	s_delay_alu instid0(VALU_DEP_4)
	v_lshlrev_b32_e32 v5, 4, v30
	v_cmp_le_i32_e64 s22, s35, v2
	v_cmp_gt_i32_e32 vcc_lo, s35, v7
	v_lshl_add_u32 v39, v8, 7, 0x1000
	v_lshlrev_b32_e32 v9, 4, v9
	v_lshl_or_b32 v14, v4, 7, v5
	v_mad_co_u64_u32 v[4:5], null, s23, v7, v[1:2]
	v_lshlrev_b64_e32 v[2:3], 4, v[2:3]
	v_mov_b32_e32 v7, v11
	v_cmp_gt_i64_e64 s37, s[8:9], 0
	v_lshl_or_b32 v33, v32, 9, v9
	v_mov_b32_e32 v1, v4
	v_mad_co_u64_u32 v[4:5], null, s4, v13, 0
	v_add_co_u32 v35, s1, s14, v2
	s_delay_alu instid0(VALU_DEP_3)
	v_lshlrev_b64_e32 v[0:1], 4, v[0:1]
	s_wait_alu 0xf1ff
	v_add_co_ci_u32_e64 v36, null, s15, v3, s1
	s_or_b32 s23, s3, s36
	v_add_co_u32 v37, s1, s20, v0
	s_wait_alu 0xf1ff
	v_add_co_ci_u32_e64 v38, null, s21, v1, s1
	v_mad_co_u64_u32 v[0:1], null, s5, v12, v[7:8]
	v_mov_b32_e32 v1, v5
	s_xor_b32 s1, s2, -1
	s_wait_alu 0xfffe
	s_and_b32 s20, s23, s37
	s_or_b32 s14, s38, s1
	v_cmp_gt_i32_e64 s1, s35, v12
	s_xor_b32 s21, vcc_lo, -1
	v_mov_b32_e32 v11, v0
	v_mad_co_u64_u32 v[0:1], null, s5, v13, v[1:2]
	v_dual_mov_b32 v1, 0 :: v_dual_add_nc_u32 v8, 16, v6
	v_cmp_le_i32_e64 s2, v6, v12
	v_add_nc_u32_e32 v34, 0x1000, v14
	v_cmp_le_i32_e64 s4, v6, v13
	s_delay_alu instid0(VALU_DEP_4)
	v_cmp_le_i32_e64 s3, v8, v12
	v_mov_b32_e32 v5, v0
	s_and_b32 s5, s1, s2
	v_cmp_gt_i32_e64 s2, s35, v13
	v_lshlrev_b64_e32 v[10:11], 4, v[10:11]
	s_and_b32 s15, s1, s3
	v_cmp_le_i32_e64 s1, v8, v13
	v_lshlrev_b64_e32 v[12:13], 4, v[4:5]
	v_ashrrev_i32_e32 v7, 31, v6
	v_ashrrev_i32_e32 v9, 31, v8
	s_and_b32 s4, s2, s4
	s_and_b32 s1, s2, s1
	s_mov_b32 s35, 0
                                        ; implicit-def: $vgpr14_vgpr15
	s_branch .LBB270_7
.LBB270_6:                              ;   in Loop: Header=BB270_7 Depth=1
	s_wait_alu 0xfffe
	s_or_b32 exec_lo, exec_lo, s2
	s_add_co_i32 s34, s34, 0x10000
	s_wait_alu 0xfffe
	s_cmp_lt_u32 s34, s33
	s_cbranch_scc0 .LBB270_42
.LBB270_7:                              ; =>This Loop Header: Depth=1
                                        ;     Child Loop BB270_10 Depth 2
	v_mov_b32_e32 v4, 0
	v_mov_b32_e32 v5, 0
	s_wait_alu 0xfffe
	s_and_not1_b32 vcc_lo, exec_lo, s20
	s_wait_alu 0xfffe
	s_cbranch_vccnz .LBB270_20
; %bb.8:                                ;   in Loop: Header=BB270_7 Depth=1
	s_mul_u64 s[2:3], s[18:19], s[34:35]
	s_mul_u64 s[36:37], s[24:25], s[34:35]
	s_wait_alu 0xfffe
	s_lshl_b64 s[2:3], s[2:3], 4
	v_mov_b32_e32 v16, 0
	s_wait_alu 0xfffe
	v_add_co_u32 v40, vcc_lo, v35, s2
	s_wait_alu 0xfffd
	v_add_co_ci_u32_e64 v41, null, s3, v36, vcc_lo
	s_lshl_b64 s[2:3], s[36:37], 4
	v_mov_b32_e32 v22, 0
	v_mov_b32_e32 v26, 0
	;; [unrolled: 1-line block ×3, first 2 shown]
	s_wait_alu 0xfffe
	v_add_co_u32 v42, vcc_lo, v37, s2
	v_dual_mov_b32 v17, 0 :: v_dual_mov_b32 v18, 0
	v_dual_mov_b32 v23, 0 :: v_dual_mov_b32 v20, 0
	;; [unrolled: 1-line block ×4, first 2 shown]
	v_mov_b32_e32 v19, 0
	v_mov_b32_e32 v21, 0
	v_mov_b32_e32 v25, 0
	v_mov_b32_e32 v5, 0
	s_wait_alu 0xfffd
	v_add_co_ci_u32_e64 v43, null, s3, v38, vcc_lo
	s_mov_b64 s[2:3], 0
	s_branch .LBB270_10
.LBB270_9:                              ;   in Loop: Header=BB270_10 Depth=2
	s_wait_alu 0xfffe
	s_or_b32 exec_lo, exec_lo, s23
	s_wait_dscnt 0x0
	s_barrier_signal -1
	s_barrier_wait -1
	global_inv scope:SCOPE_SE
	ds_load_b128 v[44:47], v39
	ds_load_b128 v[48:51], v39 offset:16
	ds_load_b128 v[52:55], v39 offset:32
	;; [unrolled: 1-line block ×3, first 2 shown]
	ds_load_b128 v[60:63], v31
	s_add_nc_u64 s[2:3], s[2:3], 8
	s_wait_alu 0xfffe
	v_cmp_gt_i64_e64 s23, s[8:9], s[2:3]
	s_and_b32 vcc_lo, exec_lo, s23
	s_wait_dscnt 0x0
	v_mul_f64_e32 v[2:3], v[46:47], v[62:63]
	v_mul_f64_e32 v[64:65], v[44:45], v[62:63]
	s_delay_alu instid0(VALU_DEP_2) | instskip(NEXT) | instid1(VALU_DEP_2)
	v_fma_f64 v[2:3], v[44:45], v[60:61], -v[2:3]
	v_fma_f64 v[64:65], v[46:47], v[60:61], v[64:65]
	s_delay_alu instid0(VALU_DEP_2) | instskip(SKIP_4) | instid1(VALU_DEP_1)
	v_add_f64_e32 v[66:67], v[4:5], v[2:3]
	ds_load_b128 v[2:5], v31 offset:256
	v_add_f64_e32 v[28:29], v[64:65], v[28:29]
	s_wait_dscnt 0x0
	v_mul_f64_e32 v[64:65], v[46:47], v[4:5]
	v_fma_f64 v[64:65], v[44:45], v[2:3], -v[64:65]
	v_mul_f64_e32 v[44:45], v[44:45], v[4:5]
	s_delay_alu instid0(VALU_DEP_1) | instskip(NEXT) | instid1(VALU_DEP_3)
	v_fma_f64 v[44:45], v[46:47], v[2:3], v[44:45]
	v_add_f64_e32 v[46:47], v[24:25], v[64:65]
	s_delay_alu instid0(VALU_DEP_2) | instskip(SKIP_4) | instid1(VALU_DEP_2)
	v_add_f64_e32 v[44:45], v[44:45], v[26:27]
	ds_load_b128 v[24:27], v39 offset:2048
	s_wait_dscnt 0x0
	v_mul_f64_e32 v[64:65], v[26:27], v[62:63]
	v_mul_f64_e32 v[62:63], v[24:25], v[62:63]
	v_fma_f64 v[64:65], v[24:25], v[60:61], -v[64:65]
	s_delay_alu instid0(VALU_DEP_2) | instskip(NEXT) | instid1(VALU_DEP_2)
	v_fma_f64 v[60:61], v[26:27], v[60:61], v[62:63]
	v_add_f64_e32 v[62:63], v[20:21], v[64:65]
	v_mul_f64_e32 v[20:21], v[26:27], v[4:5]
	v_mul_f64_e32 v[4:5], v[24:25], v[4:5]
	s_delay_alu instid0(VALU_DEP_4) | instskip(NEXT) | instid1(VALU_DEP_3)
	v_add_f64_e32 v[60:61], v[60:61], v[22:23]
	v_fma_f64 v[20:21], v[24:25], v[2:3], -v[20:21]
	s_delay_alu instid0(VALU_DEP_3) | instskip(NEXT) | instid1(VALU_DEP_2)
	v_fma_f64 v[2:3], v[26:27], v[2:3], v[4:5]
	v_add_f64_e32 v[24:25], v[18:19], v[20:21]
	s_delay_alu instid0(VALU_DEP_2) | instskip(SKIP_4) | instid1(VALU_DEP_2)
	v_add_f64_e32 v[26:27], v[2:3], v[16:17]
	ds_load_b128 v[2:5], v31 offset:512
	s_wait_dscnt 0x0
	v_mul_f64_e32 v[16:17], v[50:51], v[4:5]
	v_mul_f64_e32 v[18:19], v[48:49], v[4:5]
	v_fma_f64 v[16:17], v[48:49], v[2:3], -v[16:17]
	s_delay_alu instid0(VALU_DEP_2) | instskip(NEXT) | instid1(VALU_DEP_2)
	v_fma_f64 v[18:19], v[50:51], v[2:3], v[18:19]
	v_add_f64_e32 v[64:65], v[66:67], v[16:17]
	s_delay_alu instid0(VALU_DEP_2) | instskip(SKIP_4) | instid1(VALU_DEP_2)
	v_add_f64_e32 v[28:29], v[18:19], v[28:29]
	ds_load_b128 v[16:19], v31 offset:768
	s_wait_dscnt 0x0
	v_mul_f64_e32 v[20:21], v[50:51], v[18:19]
	v_mul_f64_e32 v[22:23], v[48:49], v[18:19]
	v_fma_f64 v[20:21], v[48:49], v[16:17], -v[20:21]
	s_delay_alu instid0(VALU_DEP_2) | instskip(NEXT) | instid1(VALU_DEP_2)
	v_fma_f64 v[22:23], v[50:51], v[16:17], v[22:23]
	v_add_f64_e32 v[46:47], v[46:47], v[20:21]
	s_delay_alu instid0(VALU_DEP_2) | instskip(SKIP_4) | instid1(VALU_DEP_2)
	v_add_f64_e32 v[44:45], v[22:23], v[44:45]
	ds_load_b128 v[20:23], v39 offset:2064
	s_wait_dscnt 0x0
	v_mul_f64_e32 v[48:49], v[22:23], v[4:5]
	v_mul_f64_e32 v[4:5], v[20:21], v[4:5]
	v_fma_f64 v[48:49], v[20:21], v[2:3], -v[48:49]
	s_delay_alu instid0(VALU_DEP_2) | instskip(SKIP_1) | instid1(VALU_DEP_3)
	v_fma_f64 v[2:3], v[22:23], v[2:3], v[4:5]
	v_mul_f64_e32 v[4:5], v[20:21], v[18:19]
	v_add_f64_e32 v[48:49], v[62:63], v[48:49]
	s_delay_alu instid0(VALU_DEP_3) | instskip(SKIP_1) | instid1(VALU_DEP_4)
	v_add_f64_e32 v[50:51], v[2:3], v[60:61]
	v_mul_f64_e32 v[2:3], v[22:23], v[18:19]
	v_fma_f64 v[4:5], v[22:23], v[16:17], v[4:5]
	s_delay_alu instid0(VALU_DEP_2) | instskip(NEXT) | instid1(VALU_DEP_2)
	v_fma_f64 v[2:3], v[20:21], v[16:17], -v[2:3]
	v_add_f64_e32 v[26:27], v[4:5], v[26:27]
	s_delay_alu instid0(VALU_DEP_2) | instskip(SKIP_4) | instid1(VALU_DEP_2)
	v_add_f64_e32 v[24:25], v[24:25], v[2:3]
	ds_load_b128 v[2:5], v31 offset:1024
	s_wait_dscnt 0x0
	v_mul_f64_e32 v[16:17], v[54:55], v[4:5]
	v_mul_f64_e32 v[18:19], v[52:53], v[4:5]
	v_fma_f64 v[16:17], v[52:53], v[2:3], -v[16:17]
	s_delay_alu instid0(VALU_DEP_2) | instskip(NEXT) | instid1(VALU_DEP_2)
	v_fma_f64 v[18:19], v[54:55], v[2:3], v[18:19]
	v_add_f64_e32 v[60:61], v[64:65], v[16:17]
	s_delay_alu instid0(VALU_DEP_2) | instskip(SKIP_4) | instid1(VALU_DEP_2)
	v_add_f64_e32 v[28:29], v[18:19], v[28:29]
	ds_load_b128 v[16:19], v31 offset:1280
	s_wait_dscnt 0x0
	v_mul_f64_e32 v[20:21], v[54:55], v[18:19]
	v_mul_f64_e32 v[22:23], v[52:53], v[18:19]
	v_fma_f64 v[20:21], v[52:53], v[16:17], -v[20:21]
	s_delay_alu instid0(VALU_DEP_2) | instskip(NEXT) | instid1(VALU_DEP_2)
	v_fma_f64 v[22:23], v[54:55], v[16:17], v[22:23]
	v_add_f64_e32 v[46:47], v[46:47], v[20:21]
	s_delay_alu instid0(VALU_DEP_2) | instskip(SKIP_4) | instid1(VALU_DEP_2)
	v_add_f64_e32 v[44:45], v[22:23], v[44:45]
	ds_load_b128 v[20:23], v39 offset:2080
	s_wait_dscnt 0x0
	v_mul_f64_e32 v[52:53], v[22:23], v[4:5]
	v_mul_f64_e32 v[4:5], v[20:21], v[4:5]
	v_fma_f64 v[52:53], v[20:21], v[2:3], -v[52:53]
	s_delay_alu instid0(VALU_DEP_2) | instskip(SKIP_1) | instid1(VALU_DEP_3)
	v_fma_f64 v[2:3], v[22:23], v[2:3], v[4:5]
	v_mul_f64_e32 v[4:5], v[20:21], v[18:19]
	v_add_f64_e32 v[48:49], v[48:49], v[52:53]
	s_delay_alu instid0(VALU_DEP_3) | instskip(SKIP_1) | instid1(VALU_DEP_4)
	v_add_f64_e32 v[50:51], v[2:3], v[50:51]
	v_mul_f64_e32 v[2:3], v[22:23], v[18:19]
	v_fma_f64 v[4:5], v[22:23], v[16:17], v[4:5]
	s_delay_alu instid0(VALU_DEP_2) | instskip(NEXT) | instid1(VALU_DEP_2)
	v_fma_f64 v[2:3], v[20:21], v[16:17], -v[2:3]
	;; [unrolled: 38-line block ×3, first 2 shown]
	v_add_f64_e32 v[26:27], v[4:5], v[26:27]
	s_delay_alu instid0(VALU_DEP_2)
	v_add_f64_e32 v[24:25], v[24:25], v[2:3]
	ds_load_b128 v[2:5], v39 offset:64
	ds_load_b128 v[16:19], v31 offset:2048
	s_wait_dscnt 0x0
	v_mul_f64_e32 v[20:21], v[4:5], v[18:19]
	v_mul_f64_e32 v[22:23], v[2:3], v[18:19]
	s_delay_alu instid0(VALU_DEP_2) | instskip(NEXT) | instid1(VALU_DEP_2)
	v_fma_f64 v[20:21], v[2:3], v[16:17], -v[20:21]
	v_fma_f64 v[22:23], v[4:5], v[16:17], v[22:23]
	s_delay_alu instid0(VALU_DEP_2) | instskip(NEXT) | instid1(VALU_DEP_2)
	v_add_f64_e32 v[52:53], v[52:53], v[20:21]
	v_add_f64_e32 v[28:29], v[22:23], v[28:29]
	ds_load_b128 v[20:23], v31 offset:2304
	s_wait_dscnt 0x0
	v_mul_f64_e32 v[54:55], v[4:5], v[22:23]
	s_delay_alu instid0(VALU_DEP_1) | instskip(SKIP_1) | instid1(VALU_DEP_2)
	v_fma_f64 v[54:55], v[2:3], v[20:21], -v[54:55]
	v_mul_f64_e32 v[2:3], v[2:3], v[22:23]
	v_add_f64_e32 v[46:47], v[46:47], v[54:55]
	s_delay_alu instid0(VALU_DEP_2) | instskip(NEXT) | instid1(VALU_DEP_1)
	v_fma_f64 v[2:3], v[4:5], v[20:21], v[2:3]
	v_add_f64_e32 v[44:45], v[2:3], v[44:45]
	ds_load_b128 v[2:5], v39 offset:2112
	s_wait_dscnt 0x0
	v_mul_f64_e32 v[54:55], v[4:5], v[18:19]
	v_mul_f64_e32 v[18:19], v[2:3], v[18:19]
	s_delay_alu instid0(VALU_DEP_2) | instskip(NEXT) | instid1(VALU_DEP_2)
	v_fma_f64 v[54:55], v[2:3], v[16:17], -v[54:55]
	v_fma_f64 v[16:17], v[4:5], v[16:17], v[18:19]
	s_delay_alu instid0(VALU_DEP_2) | instskip(NEXT) | instid1(VALU_DEP_2)
	v_add_f64_e32 v[48:49], v[48:49], v[54:55]
	v_add_f64_e32 v[50:51], v[16:17], v[50:51]
	v_mul_f64_e32 v[16:17], v[4:5], v[22:23]
	s_delay_alu instid0(VALU_DEP_1) | instskip(SKIP_1) | instid1(VALU_DEP_2)
	v_fma_f64 v[16:17], v[2:3], v[20:21], -v[16:17]
	v_mul_f64_e32 v[2:3], v[2:3], v[22:23]
	v_add_f64_e32 v[24:25], v[24:25], v[16:17]
	s_delay_alu instid0(VALU_DEP_2) | instskip(NEXT) | instid1(VALU_DEP_1)
	v_fma_f64 v[2:3], v[4:5], v[20:21], v[2:3]
	v_add_f64_e32 v[26:27], v[2:3], v[26:27]
	ds_load_b128 v[2:5], v39 offset:80
	ds_load_b128 v[16:19], v31 offset:2560
	s_wait_dscnt 0x0
	v_mul_f64_e32 v[20:21], v[4:5], v[18:19]
	v_mul_f64_e32 v[22:23], v[2:3], v[18:19]
	s_delay_alu instid0(VALU_DEP_2) | instskip(NEXT) | instid1(VALU_DEP_2)
	v_fma_f64 v[20:21], v[2:3], v[16:17], -v[20:21]
	v_fma_f64 v[22:23], v[4:5], v[16:17], v[22:23]
	s_delay_alu instid0(VALU_DEP_2) | instskip(NEXT) | instid1(VALU_DEP_2)
	v_add_f64_e32 v[52:53], v[52:53], v[20:21]
	v_add_f64_e32 v[28:29], v[22:23], v[28:29]
	ds_load_b128 v[20:23], v31 offset:2816
	s_wait_dscnt 0x0
	v_mul_f64_e32 v[54:55], v[4:5], v[22:23]
	s_delay_alu instid0(VALU_DEP_1) | instskip(SKIP_1) | instid1(VALU_DEP_2)
	v_fma_f64 v[54:55], v[2:3], v[20:21], -v[54:55]
	v_mul_f64_e32 v[2:3], v[2:3], v[22:23]
	v_add_f64_e32 v[46:47], v[46:47], v[54:55]
	s_delay_alu instid0(VALU_DEP_2) | instskip(NEXT) | instid1(VALU_DEP_1)
	v_fma_f64 v[2:3], v[4:5], v[20:21], v[2:3]
	v_add_f64_e32 v[44:45], v[2:3], v[44:45]
	ds_load_b128 v[2:5], v39 offset:2128
	s_wait_dscnt 0x0
	v_mul_f64_e32 v[54:55], v[4:5], v[18:19]
	v_mul_f64_e32 v[18:19], v[2:3], v[18:19]
	s_delay_alu instid0(VALU_DEP_2) | instskip(NEXT) | instid1(VALU_DEP_2)
	v_fma_f64 v[54:55], v[2:3], v[16:17], -v[54:55]
	v_fma_f64 v[16:17], v[4:5], v[16:17], v[18:19]
	s_delay_alu instid0(VALU_DEP_2) | instskip(NEXT) | instid1(VALU_DEP_2)
	v_add_f64_e32 v[48:49], v[48:49], v[54:55]
	v_add_f64_e32 v[50:51], v[16:17], v[50:51]
	v_mul_f64_e32 v[16:17], v[4:5], v[22:23]
	s_delay_alu instid0(VALU_DEP_1) | instskip(SKIP_1) | instid1(VALU_DEP_2)
	v_fma_f64 v[16:17], v[2:3], v[20:21], -v[16:17]
	v_mul_f64_e32 v[2:3], v[2:3], v[22:23]
	v_add_f64_e32 v[24:25], v[24:25], v[16:17]
	s_delay_alu instid0(VALU_DEP_2) | instskip(NEXT) | instid1(VALU_DEP_1)
	v_fma_f64 v[2:3], v[4:5], v[20:21], v[2:3]
	v_add_f64_e32 v[26:27], v[2:3], v[26:27]
	ds_load_b128 v[2:5], v39 offset:96
	ds_load_b128 v[16:19], v31 offset:3072
	s_wait_dscnt 0x0
	v_mul_f64_e32 v[20:21], v[4:5], v[18:19]
	v_mul_f64_e32 v[22:23], v[2:3], v[18:19]
	s_delay_alu instid0(VALU_DEP_2) | instskip(NEXT) | instid1(VALU_DEP_2)
	v_fma_f64 v[20:21], v[2:3], v[16:17], -v[20:21]
	v_fma_f64 v[22:23], v[4:5], v[16:17], v[22:23]
	s_delay_alu instid0(VALU_DEP_2) | instskip(NEXT) | instid1(VALU_DEP_2)
	v_add_f64_e32 v[52:53], v[52:53], v[20:21]
	v_add_f64_e32 v[28:29], v[22:23], v[28:29]
	ds_load_b128 v[20:23], v31 offset:3328
	s_wait_dscnt 0x0
	v_mul_f64_e32 v[54:55], v[4:5], v[22:23]
	s_delay_alu instid0(VALU_DEP_1) | instskip(SKIP_1) | instid1(VALU_DEP_2)
	v_fma_f64 v[54:55], v[2:3], v[20:21], -v[54:55]
	v_mul_f64_e32 v[2:3], v[2:3], v[22:23]
	v_add_f64_e32 v[54:55], v[46:47], v[54:55]
	s_delay_alu instid0(VALU_DEP_2) | instskip(NEXT) | instid1(VALU_DEP_1)
	v_fma_f64 v[2:3], v[4:5], v[20:21], v[2:3]
	v_add_f64_e32 v[56:57], v[2:3], v[44:45]
	ds_load_b128 v[2:5], v39 offset:2144
	s_wait_dscnt 0x0
	v_mul_f64_e32 v[44:45], v[4:5], v[18:19]
	v_mul_f64_e32 v[18:19], v[2:3], v[18:19]
	s_delay_alu instid0(VALU_DEP_2) | instskip(NEXT) | instid1(VALU_DEP_2)
	v_fma_f64 v[44:45], v[2:3], v[16:17], -v[44:45]
	v_fma_f64 v[16:17], v[4:5], v[16:17], v[18:19]
	s_delay_alu instid0(VALU_DEP_2) | instskip(NEXT) | instid1(VALU_DEP_2)
	v_add_f64_e32 v[48:49], v[48:49], v[44:45]
	v_add_f64_e32 v[50:51], v[16:17], v[50:51]
	v_mul_f64_e32 v[16:17], v[4:5], v[22:23]
	s_delay_alu instid0(VALU_DEP_1) | instskip(SKIP_1) | instid1(VALU_DEP_2)
	v_fma_f64 v[16:17], v[2:3], v[20:21], -v[16:17]
	v_mul_f64_e32 v[2:3], v[2:3], v[22:23]
	v_add_f64_e32 v[58:59], v[24:25], v[16:17]
	s_delay_alu instid0(VALU_DEP_2)
	v_fma_f64 v[2:3], v[4:5], v[20:21], v[2:3]
	ds_load_b128 v[16:19], v39 offset:112
	ds_load_b128 v[20:23], v31 offset:3584
	;; [unrolled: 1-line block ×3, first 2 shown]
	s_wait_dscnt 0x1
	v_mul_f64_e32 v[24:25], v[16:17], v[22:23]
	v_mul_f64_e32 v[4:5], v[18:19], v[22:23]
	v_add_f64_e32 v[2:3], v[2:3], v[26:27]
	s_delay_alu instid0(VALU_DEP_3) | instskip(NEXT) | instid1(VALU_DEP_3)
	v_fma_f64 v[24:25], v[18:19], v[20:21], v[24:25]
	v_fma_f64 v[4:5], v[16:17], v[20:21], -v[4:5]
	s_delay_alu instid0(VALU_DEP_2) | instskip(SKIP_2) | instid1(VALU_DEP_3)
	v_add_f64_e32 v[28:29], v[24:25], v[28:29]
	s_wait_dscnt 0x0
	v_mul_f64_e32 v[24:25], v[18:19], v[46:47]
	v_add_f64_e32 v[4:5], v[52:53], v[4:5]
	s_delay_alu instid0(VALU_DEP_2) | instskip(SKIP_1) | instid1(VALU_DEP_2)
	v_fma_f64 v[24:25], v[16:17], v[44:45], -v[24:25]
	v_mul_f64_e32 v[16:17], v[16:17], v[46:47]
	v_add_f64_e32 v[24:25], v[54:55], v[24:25]
	s_delay_alu instid0(VALU_DEP_2) | instskip(NEXT) | instid1(VALU_DEP_1)
	v_fma_f64 v[16:17], v[18:19], v[44:45], v[16:17]
	v_add_f64_e32 v[26:27], v[16:17], v[56:57]
	ds_load_b128 v[16:19], v39 offset:2160
	s_wait_loadcnt_dscnt 0x0
	s_barrier_signal -1
	s_barrier_wait -1
	global_inv scope:SCOPE_SE
	v_mul_f64_e32 v[52:53], v[18:19], v[22:23]
	v_mul_f64_e32 v[22:23], v[16:17], v[22:23]
	s_delay_alu instid0(VALU_DEP_2) | instskip(NEXT) | instid1(VALU_DEP_2)
	v_fma_f64 v[52:53], v[16:17], v[20:21], -v[52:53]
	v_fma_f64 v[22:23], v[18:19], v[20:21], v[22:23]
	s_delay_alu instid0(VALU_DEP_2) | instskip(SKIP_1) | instid1(VALU_DEP_3)
	v_add_f64_e32 v[20:21], v[48:49], v[52:53]
	v_mul_f64_e32 v[48:49], v[18:19], v[46:47]
	v_add_f64_e32 v[22:23], v[22:23], v[50:51]
	s_delay_alu instid0(VALU_DEP_2) | instskip(SKIP_1) | instid1(VALU_DEP_1)
	v_fma_f64 v[48:49], v[16:17], v[44:45], -v[48:49]
	v_mul_f64_e32 v[16:17], v[16:17], v[46:47]
	v_fma_f64 v[16:17], v[18:19], v[44:45], v[16:17]
	s_delay_alu instid0(VALU_DEP_3) | instskip(NEXT) | instid1(VALU_DEP_2)
	v_add_f64_e32 v[18:19], v[58:59], v[48:49]
	v_add_f64_e32 v[16:17], v[16:17], v[2:3]
	s_wait_alu 0xfffe
	s_cbranch_vccz .LBB270_21
.LBB270_10:                             ;   Parent Loop BB270_7 Depth=1
                                        ; =>  This Inner Loop Header: Depth=2
	s_mov_b32 s23, 0
	s_mov_b32 s37, s22
	s_and_saveexec_b32 s36, s0
	s_cbranch_execnz .LBB270_18
; %bb.11:                               ;   in Loop: Header=BB270_10 Depth=2
	s_or_b32 exec_lo, exec_lo, s36
	s_and_saveexec_b32 s36, s37
	s_delay_alu instid0(SALU_CYCLE_1)
	s_xor_b32 s36, exec_lo, s36
	s_cbranch_execnz .LBB270_19
.LBB270_12:                             ;   in Loop: Header=BB270_10 Depth=2
	s_or_b32 exec_lo, exec_lo, s36
	s_wait_alu 0xfffe
	s_and_saveexec_b32 s36, s23
	s_cbranch_execz .LBB270_14
.LBB270_13:                             ;   in Loop: Header=BB270_10 Depth=2
	v_mul_lo_u32 v0, s17, v14
	v_mul_lo_u32 v44, s16, v15
	v_mad_co_u64_u32 v[2:3], null, s16, v14, 0
	s_delay_alu instid0(VALU_DEP_1) | instskip(NEXT) | instid1(VALU_DEP_1)
	v_add3_u32 v3, v3, v44, v0
	v_lshlrev_b64_e32 v[2:3], 4, v[2:3]
	s_delay_alu instid0(VALU_DEP_1) | instskip(SKIP_1) | instid1(VALU_DEP_2)
	v_add_co_u32 v2, vcc_lo, v40, v2
	s_wait_alu 0xfffd
	v_add_co_ci_u32_e64 v3, null, v41, v3, vcc_lo
	global_load_b128 v[44:47], v[2:3], off
	s_wait_loadcnt 0x0
	ds_store_2addr_b64 v33, v[44:45], v[46:47] offset1:1
.LBB270_14:                             ;   in Loop: Header=BB270_10 Depth=2
	s_or_b32 exec_lo, exec_lo, s36
	v_add_nc_u32_e32 v0, s2, v30
	s_delay_alu instid0(VALU_DEP_1) | instskip(SKIP_3) | instid1(SALU_CYCLE_1)
	v_cmp_le_u64_e32 vcc_lo, s[8:9], v[0:1]
	s_or_b32 s23, vcc_lo, s21
	s_wait_alu 0xfffe
	s_and_saveexec_b32 s36, s23
	s_xor_b32 s23, exec_lo, s36
; %bb.15:                               ;   in Loop: Header=BB270_10 Depth=2
	v_dual_mov_b32 v0, v1 :: v_dual_mov_b32 v3, v1
	v_mov_b32_e32 v2, v1
	ds_store_b128 v34, v[0:3]
; %bb.16:                               ;   in Loop: Header=BB270_10 Depth=2
	s_wait_alu 0xfffe
	s_and_not1_saveexec_b32 s23, s23
	s_cbranch_execz .LBB270_9
; %bb.17:                               ;   in Loop: Header=BB270_10 Depth=2
	v_lshlrev_b64_e32 v[2:3], 4, v[0:1]
	s_delay_alu instid0(VALU_DEP_1) | instskip(SKIP_1) | instid1(VALU_DEP_2)
	v_add_co_u32 v2, vcc_lo, v42, v2
	s_wait_alu 0xfffd
	v_add_co_ci_u32_e64 v3, null, v43, v3, vcc_lo
	global_load_b128 v[44:47], v[2:3], off
	s_wait_loadcnt 0x0
	ds_store_2addr_b64 v34, v[44:45], v[46:47] offset1:1
	s_branch .LBB270_9
.LBB270_18:                             ;   in Loop: Header=BB270_10 Depth=2
	s_wait_alu 0xfffe
	v_add_nc_u32_e32 v0, s2, v32
	v_mov_b32_e32 v15, v1
	s_and_not1_b32 s37, s22, exec_lo
	s_mov_b32 s23, exec_lo
	s_delay_alu instid0(VALU_DEP_2) | instskip(SKIP_2) | instid1(SALU_CYCLE_1)
	v_cmp_le_u64_e32 vcc_lo, s[8:9], v[0:1]
	v_mov_b32_e32 v14, v0
	s_and_b32 s38, vcc_lo, exec_lo
	s_or_b32 s37, s37, s38
	s_or_b32 exec_lo, exec_lo, s36
	s_and_saveexec_b32 s36, s37
	s_delay_alu instid0(SALU_CYCLE_1)
	s_xor_b32 s36, exec_lo, s36
	s_cbranch_execz .LBB270_12
.LBB270_19:                             ;   in Loop: Header=BB270_10 Depth=2
	v_dual_mov_b32 v0, v1 :: v_dual_mov_b32 v3, v1
	v_mov_b32_e32 v2, v1
	s_wait_alu 0xfffe
	s_and_not1_b32 s23, s23, exec_lo
	ds_store_b128 v33, v[0:3]
	s_or_b32 exec_lo, exec_lo, s36
	s_wait_alu 0xfffe
	s_and_saveexec_b32 s36, s23
	s_cbranch_execnz .LBB270_13
	s_branch .LBB270_14
.LBB270_20:                             ;   in Loop: Header=BB270_7 Depth=1
	v_mov_b32_e32 v28, 0
	v_mov_b32_e32 v26, 0
	v_dual_mov_b32 v22, 0 :: v_dual_mov_b32 v29, 0
	v_dual_mov_b32 v24, 0 :: v_dual_mov_b32 v27, 0
	;; [unrolled: 1-line block ×3, first 2 shown]
	v_mov_b32_e32 v18, 0
	v_dual_mov_b32 v16, 0 :: v_dual_mov_b32 v25, 0
	v_mov_b32_e32 v21, 0
	v_mov_b32_e32 v19, 0
	v_mov_b32_e32 v17, 0
.LBB270_21:                             ;   in Loop: Header=BB270_7 Depth=1
	s_mul_u64 s[2:3], s[6:7], s[34:35]
	s_wait_alu 0xfffe
	s_lshl_b64 s[2:3], s[2:3], 4
	s_wait_alu 0xfffe
	s_add_nc_u64 s[2:3], s[30:31], s[2:3]
	s_wait_alu 0xfffe
	v_add_co_u32 v0, vcc_lo, s2, v10
	s_wait_alu 0xfffd
	v_add_co_ci_u32_e64 v40, null, s3, v11, vcc_lo
	s_and_saveexec_b32 s23, s5
	s_cbranch_execz .LBB270_26
; %bb.22:                               ;   in Loop: Header=BB270_7 Depth=1
	v_mul_f64_e32 v[2:3], s[12:13], v[28:29]
	v_mul_f64_e32 v[28:29], s[10:11], v[28:29]
	s_and_b32 vcc_lo, exec_lo, s14
	s_mov_b32 s36, -1
	s_delay_alu instid0(VALU_DEP_2) | instskip(NEXT) | instid1(VALU_DEP_2)
	v_fma_f64 v[2:3], s[10:11], v[4:5], -v[2:3]
	v_fma_f64 v[4:5], s[12:13], v[4:5], v[28:29]
	s_wait_alu 0xfffe
	s_cbranch_vccz .LBB270_24
; %bb.23:                               ;   in Loop: Header=BB270_7 Depth=1
	v_lshlrev_b64_e32 v[28:29], 4, v[6:7]
	s_mov_b32 s36, 0
	s_delay_alu instid0(VALU_DEP_1) | instskip(SKIP_1) | instid1(VALU_DEP_2)
	v_add_co_u32 v28, vcc_lo, v0, v28
	s_wait_alu 0xfffd
	v_add_co_ci_u32_e64 v29, null, v40, v29, vcc_lo
	global_load_b128 v[41:44], v[28:29], off
	s_wait_loadcnt 0x0
	v_mul_f64_e32 v[45:46], s[28:29], v[43:44]
	v_mul_f64_e32 v[43:44], s[26:27], v[43:44]
	s_delay_alu instid0(VALU_DEP_2) | instskip(NEXT) | instid1(VALU_DEP_2)
	v_fma_f64 v[45:46], s[26:27], v[41:42], -v[45:46]
	v_fma_f64 v[43:44], s[28:29], v[41:42], v[43:44]
	s_delay_alu instid0(VALU_DEP_2) | instskip(NEXT) | instid1(VALU_DEP_2)
	v_add_f64_e32 v[41:42], v[2:3], v[45:46]
	v_add_f64_e32 v[43:44], v[4:5], v[43:44]
	global_store_b128 v[28:29], v[41:44], off
.LBB270_24:                             ;   in Loop: Header=BB270_7 Depth=1
	s_and_not1_b32 vcc_lo, exec_lo, s36
	s_wait_alu 0xfffe
	s_cbranch_vccnz .LBB270_26
; %bb.25:                               ;   in Loop: Header=BB270_7 Depth=1
	v_lshlrev_b64_e32 v[28:29], 4, v[6:7]
	s_delay_alu instid0(VALU_DEP_1) | instskip(SKIP_1) | instid1(VALU_DEP_2)
	v_add_co_u32 v28, vcc_lo, v0, v28
	s_wait_alu 0xfffd
	v_add_co_ci_u32_e64 v29, null, v40, v29, vcc_lo
	global_store_b128 v[28:29], v[2:5], off
.LBB270_26:                             ;   in Loop: Header=BB270_7 Depth=1
	s_wait_alu 0xfffe
	s_or_b32 exec_lo, exec_lo, s23
	s_and_saveexec_b32 s23, s15
	s_cbranch_execz .LBB270_31
; %bb.27:                               ;   in Loop: Header=BB270_7 Depth=1
	v_mul_f64_e32 v[2:3], s[12:13], v[26:27]
	v_mul_f64_e32 v[4:5], s[10:11], v[26:27]
	s_and_not1_b32 vcc_lo, exec_lo, s14
	s_mov_b32 s36, -1
	s_delay_alu instid0(VALU_DEP_2) | instskip(NEXT) | instid1(VALU_DEP_2)
	v_fma_f64 v[2:3], s[10:11], v[24:25], -v[2:3]
	v_fma_f64 v[4:5], s[12:13], v[24:25], v[4:5]
	s_wait_alu 0xfffe
	s_cbranch_vccnz .LBB270_29
; %bb.28:                               ;   in Loop: Header=BB270_7 Depth=1
	v_lshlrev_b64_e32 v[24:25], 4, v[8:9]
	s_mov_b32 s36, 0
	s_delay_alu instid0(VALU_DEP_1) | instskip(SKIP_1) | instid1(VALU_DEP_2)
	v_add_co_u32 v28, vcc_lo, v0, v24
	s_wait_alu 0xfffd
	v_add_co_ci_u32_e64 v29, null, v40, v25, vcc_lo
	global_load_b128 v[24:27], v[28:29], off
	s_wait_loadcnt 0x0
	v_mul_f64_e32 v[41:42], s[28:29], v[26:27]
	v_mul_f64_e32 v[26:27], s[26:27], v[26:27]
	s_delay_alu instid0(VALU_DEP_2) | instskip(NEXT) | instid1(VALU_DEP_2)
	v_fma_f64 v[41:42], s[26:27], v[24:25], -v[41:42]
	v_fma_f64 v[26:27], s[28:29], v[24:25], v[26:27]
	s_delay_alu instid0(VALU_DEP_2) | instskip(NEXT) | instid1(VALU_DEP_2)
	v_add_f64_e32 v[24:25], v[2:3], v[41:42]
	v_add_f64_e32 v[26:27], v[4:5], v[26:27]
	global_store_b128 v[28:29], v[24:27], off
.LBB270_29:                             ;   in Loop: Header=BB270_7 Depth=1
	s_and_not1_b32 vcc_lo, exec_lo, s36
	s_wait_alu 0xfffe
	s_cbranch_vccnz .LBB270_31
; %bb.30:                               ;   in Loop: Header=BB270_7 Depth=1
	v_lshlrev_b64_e32 v[24:25], 4, v[8:9]
	s_delay_alu instid0(VALU_DEP_1) | instskip(SKIP_1) | instid1(VALU_DEP_2)
	v_add_co_u32 v24, vcc_lo, v0, v24
	s_wait_alu 0xfffd
	v_add_co_ci_u32_e64 v25, null, v40, v25, vcc_lo
	global_store_b128 v[24:25], v[2:5], off
.LBB270_31:                             ;   in Loop: Header=BB270_7 Depth=1
	s_wait_alu 0xfffe
	s_or_b32 exec_lo, exec_lo, s23
	v_add_co_u32 v0, vcc_lo, s2, v12
	s_wait_alu 0xfffd
	v_add_co_ci_u32_e64 v24, null, s3, v13, vcc_lo
	s_and_saveexec_b32 s2, s4
	s_cbranch_execz .LBB270_36
; %bb.32:                               ;   in Loop: Header=BB270_7 Depth=1
	v_mul_f64_e32 v[2:3], s[12:13], v[22:23]
	v_mul_f64_e32 v[4:5], s[10:11], v[22:23]
	s_and_not1_b32 vcc_lo, exec_lo, s14
	s_mov_b32 s3, -1
	s_delay_alu instid0(VALU_DEP_2) | instskip(NEXT) | instid1(VALU_DEP_2)
	v_fma_f64 v[2:3], s[10:11], v[20:21], -v[2:3]
	v_fma_f64 v[4:5], s[12:13], v[20:21], v[4:5]
	v_lshlrev_b64_e32 v[20:21], 4, v[6:7]
	s_wait_alu 0xfffe
	s_cbranch_vccnz .LBB270_34
; %bb.33:                               ;   in Loop: Header=BB270_7 Depth=1
	s_delay_alu instid0(VALU_DEP_1) | instskip(SKIP_1) | instid1(VALU_DEP_2)
	v_add_co_u32 v22, vcc_lo, v0, v20
	s_wait_alu 0xfffd
	v_add_co_ci_u32_e64 v23, null, v24, v21, vcc_lo
	s_mov_b32 s3, 0
	global_load_b128 v[25:28], v[22:23], off
	s_wait_loadcnt 0x0
	v_mul_f64_e32 v[40:41], s[28:29], v[27:28]
	v_mul_f64_e32 v[27:28], s[26:27], v[27:28]
	s_delay_alu instid0(VALU_DEP_2) | instskip(NEXT) | instid1(VALU_DEP_2)
	v_fma_f64 v[40:41], s[26:27], v[25:26], -v[40:41]
	v_fma_f64 v[27:28], s[28:29], v[25:26], v[27:28]
	s_delay_alu instid0(VALU_DEP_2) | instskip(NEXT) | instid1(VALU_DEP_2)
	v_add_f64_e32 v[25:26], v[2:3], v[40:41]
	v_add_f64_e32 v[27:28], v[4:5], v[27:28]
	global_store_b128 v[22:23], v[25:28], off
.LBB270_34:                             ;   in Loop: Header=BB270_7 Depth=1
	s_wait_alu 0xfffe
	s_and_not1_b32 vcc_lo, exec_lo, s3
	s_wait_alu 0xfffe
	s_cbranch_vccnz .LBB270_36
; %bb.35:                               ;   in Loop: Header=BB270_7 Depth=1
	v_add_co_u32 v20, vcc_lo, v0, v20
	s_wait_alu 0xfffd
	v_add_co_ci_u32_e64 v21, null, v24, v21, vcc_lo
	global_store_b128 v[20:21], v[2:5], off
.LBB270_36:                             ;   in Loop: Header=BB270_7 Depth=1
	s_wait_alu 0xfffe
	s_or_b32 exec_lo, exec_lo, s2
	s_and_saveexec_b32 s2, s1
	s_cbranch_execz .LBB270_6
; %bb.37:                               ;   in Loop: Header=BB270_7 Depth=1
	v_mul_f64_e32 v[2:3], s[12:13], v[16:17]
	v_mul_f64_e32 v[4:5], s[10:11], v[16:17]
	v_lshlrev_b64_e32 v[16:17], 4, v[8:9]
	s_and_not1_b32 vcc_lo, exec_lo, s14
	s_mov_b32 s3, -1
	s_delay_alu instid0(VALU_DEP_3) | instskip(NEXT) | instid1(VALU_DEP_3)
	v_fma_f64 v[2:3], s[10:11], v[18:19], -v[2:3]
	v_fma_f64 v[4:5], s[12:13], v[18:19], v[4:5]
	s_wait_alu 0xfffe
	s_cbranch_vccnz .LBB270_39
; %bb.38:                               ;   in Loop: Header=BB270_7 Depth=1
	v_add_co_u32 v22, vcc_lo, v0, v16
	s_wait_alu 0xfffd
	v_add_co_ci_u32_e64 v23, null, v24, v17, vcc_lo
	s_mov_b32 s3, 0
	global_load_b128 v[18:21], v[22:23], off
	s_wait_loadcnt 0x0
	v_mul_f64_e32 v[25:26], s[28:29], v[20:21]
	v_mul_f64_e32 v[20:21], s[26:27], v[20:21]
	s_delay_alu instid0(VALU_DEP_2) | instskip(NEXT) | instid1(VALU_DEP_2)
	v_fma_f64 v[25:26], s[26:27], v[18:19], -v[25:26]
	v_fma_f64 v[20:21], s[28:29], v[18:19], v[20:21]
	s_delay_alu instid0(VALU_DEP_2) | instskip(NEXT) | instid1(VALU_DEP_2)
	v_add_f64_e32 v[18:19], v[2:3], v[25:26]
	v_add_f64_e32 v[20:21], v[4:5], v[20:21]
	global_store_b128 v[22:23], v[18:21], off
.LBB270_39:                             ;   in Loop: Header=BB270_7 Depth=1
	s_wait_alu 0xfffe
	s_and_not1_b32 vcc_lo, exec_lo, s3
	s_wait_alu 0xfffe
	s_cbranch_vccnz .LBB270_6
; %bb.40:                               ;   in Loop: Header=BB270_7 Depth=1
	v_add_co_u32 v16, vcc_lo, v0, v16
	s_wait_alu 0xfffd
	v_add_co_ci_u32_e64 v17, null, v24, v17, vcc_lo
	global_store_b128 v[16:17], v[2:5], off
	s_branch .LBB270_6
.LBB270_41:
.LBB270_42:
	s_endpgm
	.section	.rodata,"a",@progbits
	.p2align	6, 0x0
	.amdhsa_kernel _ZL29rocblas_internal_gemmt_kernelIlLi16ELi32ELi8ELc78ELc78ELc85ELb0ELb0E19rocblas_complex_numIdES1_PKS1_PS1_EviT_T9_T10_S5_lS7_S5_lS6_T11_S5_li
		.amdhsa_group_segment_fixed_size 8192
		.amdhsa_private_segment_fixed_size 0
		.amdhsa_kernarg_size 124
		.amdhsa_user_sgpr_count 2
		.amdhsa_user_sgpr_dispatch_ptr 0
		.amdhsa_user_sgpr_queue_ptr 0
		.amdhsa_user_sgpr_kernarg_segment_ptr 1
		.amdhsa_user_sgpr_dispatch_id 0
		.amdhsa_user_sgpr_private_segment_size 0
		.amdhsa_wavefront_size32 1
		.amdhsa_uses_dynamic_stack 0
		.amdhsa_enable_private_segment 0
		.amdhsa_system_sgpr_workgroup_id_x 1
		.amdhsa_system_sgpr_workgroup_id_y 1
		.amdhsa_system_sgpr_workgroup_id_z 1
		.amdhsa_system_sgpr_workgroup_info 0
		.amdhsa_system_vgpr_workitem_id 1
		.amdhsa_next_free_vgpr 68
		.amdhsa_next_free_sgpr 39
		.amdhsa_reserve_vcc 1
		.amdhsa_float_round_mode_32 0
		.amdhsa_float_round_mode_16_64 0
		.amdhsa_float_denorm_mode_32 3
		.amdhsa_float_denorm_mode_16_64 3
		.amdhsa_fp16_overflow 0
		.amdhsa_workgroup_processor_mode 1
		.amdhsa_memory_ordered 1
		.amdhsa_forward_progress 1
		.amdhsa_inst_pref_size 30
		.amdhsa_round_robin_scheduling 0
		.amdhsa_exception_fp_ieee_invalid_op 0
		.amdhsa_exception_fp_denorm_src 0
		.amdhsa_exception_fp_ieee_div_zero 0
		.amdhsa_exception_fp_ieee_overflow 0
		.amdhsa_exception_fp_ieee_underflow 0
		.amdhsa_exception_fp_ieee_inexact 0
		.amdhsa_exception_int_div_zero 0
	.end_amdhsa_kernel
	.section	.text._ZL29rocblas_internal_gemmt_kernelIlLi16ELi32ELi8ELc78ELc78ELc85ELb0ELb0E19rocblas_complex_numIdES1_PKS1_PS1_EviT_T9_T10_S5_lS7_S5_lS6_T11_S5_li,"axG",@progbits,_ZL29rocblas_internal_gemmt_kernelIlLi16ELi32ELi8ELc78ELc78ELc85ELb0ELb0E19rocblas_complex_numIdES1_PKS1_PS1_EviT_T9_T10_S5_lS7_S5_lS6_T11_S5_li,comdat
.Lfunc_end270:
	.size	_ZL29rocblas_internal_gemmt_kernelIlLi16ELi32ELi8ELc78ELc78ELc85ELb0ELb0E19rocblas_complex_numIdES1_PKS1_PS1_EviT_T9_T10_S5_lS7_S5_lS6_T11_S5_li, .Lfunc_end270-_ZL29rocblas_internal_gemmt_kernelIlLi16ELi32ELi8ELc78ELc78ELc85ELb0ELb0E19rocblas_complex_numIdES1_PKS1_PS1_EviT_T9_T10_S5_lS7_S5_lS6_T11_S5_li
                                        ; -- End function
	.set _ZL29rocblas_internal_gemmt_kernelIlLi16ELi32ELi8ELc78ELc78ELc85ELb0ELb0E19rocblas_complex_numIdES1_PKS1_PS1_EviT_T9_T10_S5_lS7_S5_lS6_T11_S5_li.num_vgpr, 68
	.set _ZL29rocblas_internal_gemmt_kernelIlLi16ELi32ELi8ELc78ELc78ELc85ELb0ELb0E19rocblas_complex_numIdES1_PKS1_PS1_EviT_T9_T10_S5_lS7_S5_lS6_T11_S5_li.num_agpr, 0
	.set _ZL29rocblas_internal_gemmt_kernelIlLi16ELi32ELi8ELc78ELc78ELc85ELb0ELb0E19rocblas_complex_numIdES1_PKS1_PS1_EviT_T9_T10_S5_lS7_S5_lS6_T11_S5_li.numbered_sgpr, 39
	.set _ZL29rocblas_internal_gemmt_kernelIlLi16ELi32ELi8ELc78ELc78ELc85ELb0ELb0E19rocblas_complex_numIdES1_PKS1_PS1_EviT_T9_T10_S5_lS7_S5_lS6_T11_S5_li.num_named_barrier, 0
	.set _ZL29rocblas_internal_gemmt_kernelIlLi16ELi32ELi8ELc78ELc78ELc85ELb0ELb0E19rocblas_complex_numIdES1_PKS1_PS1_EviT_T9_T10_S5_lS7_S5_lS6_T11_S5_li.private_seg_size, 0
	.set _ZL29rocblas_internal_gemmt_kernelIlLi16ELi32ELi8ELc78ELc78ELc85ELb0ELb0E19rocblas_complex_numIdES1_PKS1_PS1_EviT_T9_T10_S5_lS7_S5_lS6_T11_S5_li.uses_vcc, 1
	.set _ZL29rocblas_internal_gemmt_kernelIlLi16ELi32ELi8ELc78ELc78ELc85ELb0ELb0E19rocblas_complex_numIdES1_PKS1_PS1_EviT_T9_T10_S5_lS7_S5_lS6_T11_S5_li.uses_flat_scratch, 0
	.set _ZL29rocblas_internal_gemmt_kernelIlLi16ELi32ELi8ELc78ELc78ELc85ELb0ELb0E19rocblas_complex_numIdES1_PKS1_PS1_EviT_T9_T10_S5_lS7_S5_lS6_T11_S5_li.has_dyn_sized_stack, 0
	.set _ZL29rocblas_internal_gemmt_kernelIlLi16ELi32ELi8ELc78ELc78ELc85ELb0ELb0E19rocblas_complex_numIdES1_PKS1_PS1_EviT_T9_T10_S5_lS7_S5_lS6_T11_S5_li.has_recursion, 0
	.set _ZL29rocblas_internal_gemmt_kernelIlLi16ELi32ELi8ELc78ELc78ELc85ELb0ELb0E19rocblas_complex_numIdES1_PKS1_PS1_EviT_T9_T10_S5_lS7_S5_lS6_T11_S5_li.has_indirect_call, 0
	.section	.AMDGPU.csdata,"",@progbits
; Kernel info:
; codeLenInByte = 3804
; TotalNumSgprs: 41
; NumVgprs: 68
; ScratchSize: 0
; MemoryBound: 0
; FloatMode: 240
; IeeeMode: 1
; LDSByteSize: 8192 bytes/workgroup (compile time only)
; SGPRBlocks: 0
; VGPRBlocks: 8
; NumSGPRsForWavesPerEU: 41
; NumVGPRsForWavesPerEU: 68
; Occupancy: 16
; WaveLimiterHint : 0
; COMPUTE_PGM_RSRC2:SCRATCH_EN: 0
; COMPUTE_PGM_RSRC2:USER_SGPR: 2
; COMPUTE_PGM_RSRC2:TRAP_HANDLER: 0
; COMPUTE_PGM_RSRC2:TGID_X_EN: 1
; COMPUTE_PGM_RSRC2:TGID_Y_EN: 1
; COMPUTE_PGM_RSRC2:TGID_Z_EN: 1
; COMPUTE_PGM_RSRC2:TIDIG_COMP_CNT: 1
	.section	.text._ZL29rocblas_internal_gemmt_kernelIlLi16ELi32ELi8ELc78ELc84ELc85ELb0ELb0E19rocblas_complex_numIdES1_PKS1_PS1_EviT_T9_T10_S5_lS7_S5_lS6_T11_S5_li,"axG",@progbits,_ZL29rocblas_internal_gemmt_kernelIlLi16ELi32ELi8ELc78ELc84ELc85ELb0ELb0E19rocblas_complex_numIdES1_PKS1_PS1_EviT_T9_T10_S5_lS7_S5_lS6_T11_S5_li,comdat
	.globl	_ZL29rocblas_internal_gemmt_kernelIlLi16ELi32ELi8ELc78ELc84ELc85ELb0ELb0E19rocblas_complex_numIdES1_PKS1_PS1_EviT_T9_T10_S5_lS7_S5_lS6_T11_S5_li ; -- Begin function _ZL29rocblas_internal_gemmt_kernelIlLi16ELi32ELi8ELc78ELc84ELc85ELb0ELb0E19rocblas_complex_numIdES1_PKS1_PS1_EviT_T9_T10_S5_lS7_S5_lS6_T11_S5_li
	.p2align	8
	.type	_ZL29rocblas_internal_gemmt_kernelIlLi16ELi32ELi8ELc78ELc84ELc85ELb0ELb0E19rocblas_complex_numIdES1_PKS1_PS1_EviT_T9_T10_S5_lS7_S5_lS6_T11_S5_li,@function
_ZL29rocblas_internal_gemmt_kernelIlLi16ELi32ELi8ELc78ELc84ELc85ELb0ELb0E19rocblas_complex_numIdES1_PKS1_PS1_EviT_T9_T10_S5_lS7_S5_lS6_T11_S5_li: ; @_ZL29rocblas_internal_gemmt_kernelIlLi16ELi32ELi8ELc78ELc84ELc85ELb0ELb0E19rocblas_complex_numIdES1_PKS1_PS1_EviT_T9_T10_S5_lS7_S5_lS6_T11_S5_li
; %bb.0:
	s_clause 0x1
	s_load_b256 s[24:31], s[0:1], 0x48
	s_load_b512 s[8:23], s[0:1], 0x8
	s_wait_kmcnt 0x0
	v_cmp_eq_f64_e64 s3, s[26:27], 1.0
	v_cmp_eq_f64_e64 s2, s[28:29], 0
	s_and_b32 s3, s3, s2
	s_delay_alu instid0(SALU_CYCLE_1)
	s_and_not1_b32 vcc_lo, exec_lo, s3
	s_mov_b32 s3, -1
	s_cbranch_vccnz .LBB271_3
; %bb.1:
	s_cmp_lg_u64 s[8:9], 0
	s_cbranch_scc0 .LBB271_41
; %bb.2:
	v_cmp_neq_f64_e64 s3, s[10:11], 0
	v_cmp_neq_f64_e64 s4, s[12:13], 0
	s_or_b32 s3, s3, s4
.LBB271_3:
	s_delay_alu instid0(SALU_CYCLE_1)
	s_and_b32 vcc_lo, exec_lo, s3
	s_cbranch_vccz .LBB271_42
; %bb.4:
	s_load_b32 s33, s[0:1], 0x78
	s_lshr_b32 s34, ttmp7, 16
	s_wait_kmcnt 0x0
	s_cmp_ge_u32 s34, s33
	s_cbranch_scc1 .LBB271_42
; %bb.5:
	v_dual_mov_b32 v1, 0 :: v_dual_and_b32 v6, 0x3ff, v0
	v_bfe_u32 v7, v0, 10, 10
	s_clause 0x1
	s_load_b128 s[4:7], s[0:1], 0x68
	s_load_b32 s37, s[0:1], 0x0
	v_and_b32_e32 v30, 7, v0
	s_lshl_b32 s38, ttmp9, 5
	v_cmp_neq_f64_e64 s3, s[10:11], 0
	v_lshl_add_u32 v0, v7, 4, v6
	v_cmp_neq_f64_e64 s35, s[12:13], 0
	v_cmp_neq_f64_e64 s40, s[26:27], 0
	v_lshlrev_b32_e32 v5, 4, v30
	s_lshl_b32 s0, ttmp7, 5
	v_and_b32_e32 v3, 31, v0
	v_lshrrev_b32_e32 v4, 3, v0
	s_and_b32 s0, s0, 0x1fffe0
	v_lshrrev_b32_e32 v31, 5, v0
	v_add_nc_u32_e32 v11, s0, v7
	v_or_b32_e32 v2, s38, v3
	v_lshlrev_b32_e32 v8, 4, v3
	v_add_nc_u32_e32 v0, s0, v4
	v_lshl_or_b32 v4, v4, 7, v5
	v_add_nc_u32_e32 v12, 16, v11
	v_ashrrev_i32_e32 v3, 31, v2
	s_wait_kmcnt 0x0
	v_cmp_gt_i32_e64 s0, s37, v2
	v_cmp_le_i32_e64 s36, s37, v2
	v_add_nc_u32_e32 v33, 0x1000, v4
	v_mad_co_u64_u32 v[4:5], null, s4, v11, 0
	v_lshlrev_b64_e32 v[2:3], 4, v[2:3]
	v_cmp_gt_i32_e32 vcc_lo, s37, v0
	v_lshlrev_b32_e32 v0, 4, v0
	v_lshl_or_b32 v32, v31, 9, v8
	v_lshl_add_u32 v39, v7, 7, 0x1000
	v_lshlrev_b32_e32 v38, 4, v6
	v_add_co_u32 v34, s1, s14, v2
	s_wait_alu 0xf1ff
	v_add_co_ci_u32_e64 v35, null, s15, v3, s1
	v_mad_co_u64_u32 v[2:3], null, s4, v12, 0
	v_add_co_u32 v36, s1, s20, v0
	v_mov_b32_e32 v0, v5
	v_add_nc_u32_e32 v6, s38, v6
	s_wait_alu 0xf1ff
	v_add_co_ci_u32_e64 v37, null, s21, 0, s1
	s_xor_b32 s1, s2, -1
	v_mad_co_u64_u32 v[7:8], null, s5, v11, v[0:1]
	v_mov_b32_e32 v0, v3
	v_add_nc_u32_e32 v8, 16, v6
	s_or_b32 s35, s3, s35
	s_wait_alu 0xfffe
	s_or_b32 s14, s40, s1
	v_cmp_gt_i32_e64 s1, s37, v11
	v_mad_co_u64_u32 v[9:10], null, s5, v12, v[0:1]
	v_cmp_le_i32_e64 s2, v6, v11
	v_cmp_le_i32_e64 s3, v8, v11
	v_mov_b32_e32 v5, v7
	v_cmp_gt_i64_e64 s39, s[8:9], 0
	v_ashrrev_i32_e32 v7, 31, v6
	s_and_b32 s5, s1, s2
	v_mov_b32_e32 v3, v9
	v_cmp_gt_i32_e64 s2, s37, v12
	v_cmp_le_i32_e64 s4, v6, v12
	s_and_b32 s15, s1, s3
	v_cmp_le_i32_e64 s1, v8, v12
	v_lshlrev_b64_e32 v[10:11], 4, v[4:5]
	v_lshlrev_b64_e32 v[12:13], 4, v[2:3]
	v_ashrrev_i32_e32 v9, 31, v8
	s_and_b32 s4, s2, s4
	s_and_b32 s20, s35, s39
	;; [unrolled: 1-line block ×3, first 2 shown]
	s_mov_b32 s35, 0
	s_xor_b32 s21, vcc_lo, -1
                                        ; implicit-def: $vgpr14_vgpr15
	s_branch .LBB271_7
.LBB271_6:                              ;   in Loop: Header=BB271_7 Depth=1
	s_wait_alu 0xfffe
	s_or_b32 exec_lo, exec_lo, s2
	s_add_co_i32 s34, s34, 0x10000
	s_delay_alu instid0(SALU_CYCLE_1)
	s_cmp_lt_u32 s34, s33
	s_cbranch_scc0 .LBB271_42
.LBB271_7:                              ; =>This Loop Header: Depth=1
                                        ;     Child Loop BB271_10 Depth 2
	v_mov_b32_e32 v4, 0
	v_mov_b32_e32 v5, 0
	s_wait_alu 0xfffe
	s_and_not1_b32 vcc_lo, exec_lo, s20
	s_wait_alu 0xfffe
	s_cbranch_vccnz .LBB271_20
; %bb.8:                                ;   in Loop: Header=BB271_7 Depth=1
	s_mul_u64 s[2:3], s[18:19], s[34:35]
	s_mul_u64 s[38:39], s[24:25], s[34:35]
	s_wait_alu 0xfffe
	s_lshl_b64 s[2:3], s[2:3], 4
	v_mov_b32_e32 v16, 0
	s_wait_alu 0xfffe
	v_add_co_u32 v40, vcc_lo, v34, s2
	s_wait_alu 0xfffd
	v_add_co_ci_u32_e64 v41, null, s3, v35, vcc_lo
	s_lshl_b64 s[2:3], s[38:39], 4
	v_mov_b32_e32 v22, 0
	v_mov_b32_e32 v26, 0
	;; [unrolled: 1-line block ×3, first 2 shown]
	s_wait_alu 0xfffe
	v_add_co_u32 v42, vcc_lo, v36, s2
	v_dual_mov_b32 v17, 0 :: v_dual_mov_b32 v18, 0
	v_dual_mov_b32 v23, 0 :: v_dual_mov_b32 v20, 0
	v_dual_mov_b32 v27, 0 :: v_dual_mov_b32 v24, 0
	v_dual_mov_b32 v29, 0 :: v_dual_mov_b32 v4, 0
	v_mov_b32_e32 v19, 0
	v_mov_b32_e32 v21, 0
	;; [unrolled: 1-line block ×4, first 2 shown]
	s_wait_alu 0xfffd
	v_add_co_ci_u32_e64 v43, null, s3, v37, vcc_lo
	s_mov_b64 s[2:3], 0
	s_branch .LBB271_10
.LBB271_9:                              ;   in Loop: Header=BB271_10 Depth=2
	s_wait_alu 0xfffe
	s_or_b32 exec_lo, exec_lo, s37
	s_wait_dscnt 0x0
	s_barrier_signal -1
	s_barrier_wait -1
	global_inv scope:SCOPE_SE
	ds_load_b128 v[44:47], v39
	ds_load_b128 v[48:51], v39 offset:16
	ds_load_b128 v[52:55], v39 offset:32
	;; [unrolled: 1-line block ×3, first 2 shown]
	ds_load_b128 v[60:63], v38
	s_add_nc_u64 s[2:3], s[2:3], 8
	s_wait_alu 0xfffe
	v_cmp_gt_i64_e64 s37, s[8:9], s[2:3]
	s_and_b32 vcc_lo, exec_lo, s37
	s_wait_dscnt 0x0
	v_mul_f64_e32 v[2:3], v[46:47], v[62:63]
	v_mul_f64_e32 v[64:65], v[44:45], v[62:63]
	s_delay_alu instid0(VALU_DEP_2) | instskip(NEXT) | instid1(VALU_DEP_2)
	v_fma_f64 v[2:3], v[44:45], v[60:61], -v[2:3]
	v_fma_f64 v[64:65], v[46:47], v[60:61], v[64:65]
	s_delay_alu instid0(VALU_DEP_2) | instskip(SKIP_4) | instid1(VALU_DEP_1)
	v_add_f64_e32 v[66:67], v[4:5], v[2:3]
	ds_load_b128 v[2:5], v38 offset:256
	v_add_f64_e32 v[28:29], v[64:65], v[28:29]
	s_wait_dscnt 0x0
	v_mul_f64_e32 v[64:65], v[46:47], v[4:5]
	v_fma_f64 v[64:65], v[44:45], v[2:3], -v[64:65]
	v_mul_f64_e32 v[44:45], v[44:45], v[4:5]
	s_delay_alu instid0(VALU_DEP_1) | instskip(NEXT) | instid1(VALU_DEP_3)
	v_fma_f64 v[44:45], v[46:47], v[2:3], v[44:45]
	v_add_f64_e32 v[46:47], v[24:25], v[64:65]
	s_delay_alu instid0(VALU_DEP_2) | instskip(SKIP_4) | instid1(VALU_DEP_2)
	v_add_f64_e32 v[44:45], v[44:45], v[26:27]
	ds_load_b128 v[24:27], v39 offset:2048
	s_wait_dscnt 0x0
	v_mul_f64_e32 v[64:65], v[26:27], v[62:63]
	v_mul_f64_e32 v[62:63], v[24:25], v[62:63]
	v_fma_f64 v[64:65], v[24:25], v[60:61], -v[64:65]
	s_delay_alu instid0(VALU_DEP_2) | instskip(NEXT) | instid1(VALU_DEP_2)
	v_fma_f64 v[60:61], v[26:27], v[60:61], v[62:63]
	v_add_f64_e32 v[62:63], v[20:21], v[64:65]
	v_mul_f64_e32 v[20:21], v[26:27], v[4:5]
	v_mul_f64_e32 v[4:5], v[24:25], v[4:5]
	s_delay_alu instid0(VALU_DEP_4) | instskip(NEXT) | instid1(VALU_DEP_3)
	v_add_f64_e32 v[60:61], v[60:61], v[22:23]
	v_fma_f64 v[20:21], v[24:25], v[2:3], -v[20:21]
	s_delay_alu instid0(VALU_DEP_3) | instskip(NEXT) | instid1(VALU_DEP_2)
	v_fma_f64 v[2:3], v[26:27], v[2:3], v[4:5]
	v_add_f64_e32 v[24:25], v[18:19], v[20:21]
	s_delay_alu instid0(VALU_DEP_2) | instskip(SKIP_4) | instid1(VALU_DEP_2)
	v_add_f64_e32 v[26:27], v[2:3], v[16:17]
	ds_load_b128 v[2:5], v38 offset:512
	s_wait_dscnt 0x0
	v_mul_f64_e32 v[16:17], v[50:51], v[4:5]
	v_mul_f64_e32 v[18:19], v[48:49], v[4:5]
	v_fma_f64 v[16:17], v[48:49], v[2:3], -v[16:17]
	s_delay_alu instid0(VALU_DEP_2) | instskip(NEXT) | instid1(VALU_DEP_2)
	v_fma_f64 v[18:19], v[50:51], v[2:3], v[18:19]
	v_add_f64_e32 v[64:65], v[66:67], v[16:17]
	s_delay_alu instid0(VALU_DEP_2) | instskip(SKIP_4) | instid1(VALU_DEP_2)
	v_add_f64_e32 v[28:29], v[18:19], v[28:29]
	ds_load_b128 v[16:19], v38 offset:768
	s_wait_dscnt 0x0
	v_mul_f64_e32 v[20:21], v[50:51], v[18:19]
	v_mul_f64_e32 v[22:23], v[48:49], v[18:19]
	v_fma_f64 v[20:21], v[48:49], v[16:17], -v[20:21]
	s_delay_alu instid0(VALU_DEP_2) | instskip(NEXT) | instid1(VALU_DEP_2)
	v_fma_f64 v[22:23], v[50:51], v[16:17], v[22:23]
	v_add_f64_e32 v[46:47], v[46:47], v[20:21]
	s_delay_alu instid0(VALU_DEP_2) | instskip(SKIP_4) | instid1(VALU_DEP_2)
	v_add_f64_e32 v[44:45], v[22:23], v[44:45]
	ds_load_b128 v[20:23], v39 offset:2064
	s_wait_dscnt 0x0
	v_mul_f64_e32 v[48:49], v[22:23], v[4:5]
	v_mul_f64_e32 v[4:5], v[20:21], v[4:5]
	v_fma_f64 v[48:49], v[20:21], v[2:3], -v[48:49]
	s_delay_alu instid0(VALU_DEP_2) | instskip(SKIP_1) | instid1(VALU_DEP_3)
	v_fma_f64 v[2:3], v[22:23], v[2:3], v[4:5]
	v_mul_f64_e32 v[4:5], v[20:21], v[18:19]
	v_add_f64_e32 v[48:49], v[62:63], v[48:49]
	s_delay_alu instid0(VALU_DEP_3) | instskip(SKIP_1) | instid1(VALU_DEP_4)
	v_add_f64_e32 v[50:51], v[2:3], v[60:61]
	v_mul_f64_e32 v[2:3], v[22:23], v[18:19]
	v_fma_f64 v[4:5], v[22:23], v[16:17], v[4:5]
	s_delay_alu instid0(VALU_DEP_2) | instskip(NEXT) | instid1(VALU_DEP_2)
	v_fma_f64 v[2:3], v[20:21], v[16:17], -v[2:3]
	v_add_f64_e32 v[26:27], v[4:5], v[26:27]
	s_delay_alu instid0(VALU_DEP_2) | instskip(SKIP_4) | instid1(VALU_DEP_2)
	v_add_f64_e32 v[24:25], v[24:25], v[2:3]
	ds_load_b128 v[2:5], v38 offset:1024
	s_wait_dscnt 0x0
	v_mul_f64_e32 v[16:17], v[54:55], v[4:5]
	v_mul_f64_e32 v[18:19], v[52:53], v[4:5]
	v_fma_f64 v[16:17], v[52:53], v[2:3], -v[16:17]
	s_delay_alu instid0(VALU_DEP_2) | instskip(NEXT) | instid1(VALU_DEP_2)
	v_fma_f64 v[18:19], v[54:55], v[2:3], v[18:19]
	v_add_f64_e32 v[60:61], v[64:65], v[16:17]
	s_delay_alu instid0(VALU_DEP_2) | instskip(SKIP_4) | instid1(VALU_DEP_2)
	v_add_f64_e32 v[28:29], v[18:19], v[28:29]
	ds_load_b128 v[16:19], v38 offset:1280
	s_wait_dscnt 0x0
	v_mul_f64_e32 v[20:21], v[54:55], v[18:19]
	v_mul_f64_e32 v[22:23], v[52:53], v[18:19]
	v_fma_f64 v[20:21], v[52:53], v[16:17], -v[20:21]
	s_delay_alu instid0(VALU_DEP_2) | instskip(NEXT) | instid1(VALU_DEP_2)
	v_fma_f64 v[22:23], v[54:55], v[16:17], v[22:23]
	v_add_f64_e32 v[46:47], v[46:47], v[20:21]
	s_delay_alu instid0(VALU_DEP_2) | instskip(SKIP_4) | instid1(VALU_DEP_2)
	v_add_f64_e32 v[44:45], v[22:23], v[44:45]
	ds_load_b128 v[20:23], v39 offset:2080
	s_wait_dscnt 0x0
	v_mul_f64_e32 v[52:53], v[22:23], v[4:5]
	v_mul_f64_e32 v[4:5], v[20:21], v[4:5]
	v_fma_f64 v[52:53], v[20:21], v[2:3], -v[52:53]
	s_delay_alu instid0(VALU_DEP_2) | instskip(SKIP_1) | instid1(VALU_DEP_3)
	v_fma_f64 v[2:3], v[22:23], v[2:3], v[4:5]
	v_mul_f64_e32 v[4:5], v[20:21], v[18:19]
	v_add_f64_e32 v[48:49], v[48:49], v[52:53]
	s_delay_alu instid0(VALU_DEP_3) | instskip(SKIP_1) | instid1(VALU_DEP_4)
	v_add_f64_e32 v[50:51], v[2:3], v[50:51]
	v_mul_f64_e32 v[2:3], v[22:23], v[18:19]
	v_fma_f64 v[4:5], v[22:23], v[16:17], v[4:5]
	s_delay_alu instid0(VALU_DEP_2) | instskip(NEXT) | instid1(VALU_DEP_2)
	v_fma_f64 v[2:3], v[20:21], v[16:17], -v[2:3]
	;; [unrolled: 38-line block ×3, first 2 shown]
	v_add_f64_e32 v[26:27], v[4:5], v[26:27]
	s_delay_alu instid0(VALU_DEP_2)
	v_add_f64_e32 v[24:25], v[24:25], v[2:3]
	ds_load_b128 v[2:5], v39 offset:64
	ds_load_b128 v[16:19], v38 offset:2048
	s_wait_dscnt 0x0
	v_mul_f64_e32 v[20:21], v[4:5], v[18:19]
	v_mul_f64_e32 v[22:23], v[2:3], v[18:19]
	s_delay_alu instid0(VALU_DEP_2) | instskip(NEXT) | instid1(VALU_DEP_2)
	v_fma_f64 v[20:21], v[2:3], v[16:17], -v[20:21]
	v_fma_f64 v[22:23], v[4:5], v[16:17], v[22:23]
	s_delay_alu instid0(VALU_DEP_2) | instskip(NEXT) | instid1(VALU_DEP_2)
	v_add_f64_e32 v[52:53], v[52:53], v[20:21]
	v_add_f64_e32 v[28:29], v[22:23], v[28:29]
	ds_load_b128 v[20:23], v38 offset:2304
	s_wait_dscnt 0x0
	v_mul_f64_e32 v[54:55], v[4:5], v[22:23]
	s_delay_alu instid0(VALU_DEP_1) | instskip(SKIP_1) | instid1(VALU_DEP_2)
	v_fma_f64 v[54:55], v[2:3], v[20:21], -v[54:55]
	v_mul_f64_e32 v[2:3], v[2:3], v[22:23]
	v_add_f64_e32 v[46:47], v[46:47], v[54:55]
	s_delay_alu instid0(VALU_DEP_2) | instskip(NEXT) | instid1(VALU_DEP_1)
	v_fma_f64 v[2:3], v[4:5], v[20:21], v[2:3]
	v_add_f64_e32 v[44:45], v[2:3], v[44:45]
	ds_load_b128 v[2:5], v39 offset:2112
	s_wait_dscnt 0x0
	v_mul_f64_e32 v[54:55], v[4:5], v[18:19]
	v_mul_f64_e32 v[18:19], v[2:3], v[18:19]
	s_delay_alu instid0(VALU_DEP_2) | instskip(NEXT) | instid1(VALU_DEP_2)
	v_fma_f64 v[54:55], v[2:3], v[16:17], -v[54:55]
	v_fma_f64 v[16:17], v[4:5], v[16:17], v[18:19]
	s_delay_alu instid0(VALU_DEP_2) | instskip(NEXT) | instid1(VALU_DEP_2)
	v_add_f64_e32 v[48:49], v[48:49], v[54:55]
	v_add_f64_e32 v[50:51], v[16:17], v[50:51]
	v_mul_f64_e32 v[16:17], v[4:5], v[22:23]
	s_delay_alu instid0(VALU_DEP_1) | instskip(SKIP_1) | instid1(VALU_DEP_2)
	v_fma_f64 v[16:17], v[2:3], v[20:21], -v[16:17]
	v_mul_f64_e32 v[2:3], v[2:3], v[22:23]
	v_add_f64_e32 v[24:25], v[24:25], v[16:17]
	s_delay_alu instid0(VALU_DEP_2) | instskip(NEXT) | instid1(VALU_DEP_1)
	v_fma_f64 v[2:3], v[4:5], v[20:21], v[2:3]
	v_add_f64_e32 v[26:27], v[2:3], v[26:27]
	ds_load_b128 v[2:5], v39 offset:80
	ds_load_b128 v[16:19], v38 offset:2560
	s_wait_dscnt 0x0
	v_mul_f64_e32 v[20:21], v[4:5], v[18:19]
	v_mul_f64_e32 v[22:23], v[2:3], v[18:19]
	s_delay_alu instid0(VALU_DEP_2) | instskip(NEXT) | instid1(VALU_DEP_2)
	v_fma_f64 v[20:21], v[2:3], v[16:17], -v[20:21]
	v_fma_f64 v[22:23], v[4:5], v[16:17], v[22:23]
	s_delay_alu instid0(VALU_DEP_2) | instskip(NEXT) | instid1(VALU_DEP_2)
	v_add_f64_e32 v[52:53], v[52:53], v[20:21]
	v_add_f64_e32 v[28:29], v[22:23], v[28:29]
	ds_load_b128 v[20:23], v38 offset:2816
	s_wait_dscnt 0x0
	v_mul_f64_e32 v[54:55], v[4:5], v[22:23]
	s_delay_alu instid0(VALU_DEP_1) | instskip(SKIP_1) | instid1(VALU_DEP_2)
	v_fma_f64 v[54:55], v[2:3], v[20:21], -v[54:55]
	v_mul_f64_e32 v[2:3], v[2:3], v[22:23]
	v_add_f64_e32 v[46:47], v[46:47], v[54:55]
	s_delay_alu instid0(VALU_DEP_2) | instskip(NEXT) | instid1(VALU_DEP_1)
	v_fma_f64 v[2:3], v[4:5], v[20:21], v[2:3]
	v_add_f64_e32 v[44:45], v[2:3], v[44:45]
	ds_load_b128 v[2:5], v39 offset:2128
	s_wait_dscnt 0x0
	v_mul_f64_e32 v[54:55], v[4:5], v[18:19]
	v_mul_f64_e32 v[18:19], v[2:3], v[18:19]
	s_delay_alu instid0(VALU_DEP_2) | instskip(NEXT) | instid1(VALU_DEP_2)
	v_fma_f64 v[54:55], v[2:3], v[16:17], -v[54:55]
	v_fma_f64 v[16:17], v[4:5], v[16:17], v[18:19]
	s_delay_alu instid0(VALU_DEP_2) | instskip(NEXT) | instid1(VALU_DEP_2)
	v_add_f64_e32 v[48:49], v[48:49], v[54:55]
	v_add_f64_e32 v[50:51], v[16:17], v[50:51]
	v_mul_f64_e32 v[16:17], v[4:5], v[22:23]
	s_delay_alu instid0(VALU_DEP_1) | instskip(SKIP_1) | instid1(VALU_DEP_2)
	v_fma_f64 v[16:17], v[2:3], v[20:21], -v[16:17]
	v_mul_f64_e32 v[2:3], v[2:3], v[22:23]
	v_add_f64_e32 v[24:25], v[24:25], v[16:17]
	s_delay_alu instid0(VALU_DEP_2) | instskip(NEXT) | instid1(VALU_DEP_1)
	v_fma_f64 v[2:3], v[4:5], v[20:21], v[2:3]
	v_add_f64_e32 v[26:27], v[2:3], v[26:27]
	ds_load_b128 v[2:5], v39 offset:96
	ds_load_b128 v[16:19], v38 offset:3072
	s_wait_dscnt 0x0
	v_mul_f64_e32 v[20:21], v[4:5], v[18:19]
	v_mul_f64_e32 v[22:23], v[2:3], v[18:19]
	s_delay_alu instid0(VALU_DEP_2) | instskip(NEXT) | instid1(VALU_DEP_2)
	v_fma_f64 v[20:21], v[2:3], v[16:17], -v[20:21]
	v_fma_f64 v[22:23], v[4:5], v[16:17], v[22:23]
	s_delay_alu instid0(VALU_DEP_2) | instskip(NEXT) | instid1(VALU_DEP_2)
	v_add_f64_e32 v[52:53], v[52:53], v[20:21]
	v_add_f64_e32 v[28:29], v[22:23], v[28:29]
	ds_load_b128 v[20:23], v38 offset:3328
	s_wait_dscnt 0x0
	v_mul_f64_e32 v[54:55], v[4:5], v[22:23]
	s_delay_alu instid0(VALU_DEP_1) | instskip(SKIP_1) | instid1(VALU_DEP_2)
	v_fma_f64 v[54:55], v[2:3], v[20:21], -v[54:55]
	v_mul_f64_e32 v[2:3], v[2:3], v[22:23]
	v_add_f64_e32 v[54:55], v[46:47], v[54:55]
	s_delay_alu instid0(VALU_DEP_2) | instskip(NEXT) | instid1(VALU_DEP_1)
	v_fma_f64 v[2:3], v[4:5], v[20:21], v[2:3]
	v_add_f64_e32 v[56:57], v[2:3], v[44:45]
	ds_load_b128 v[2:5], v39 offset:2144
	s_wait_dscnt 0x0
	v_mul_f64_e32 v[44:45], v[4:5], v[18:19]
	v_mul_f64_e32 v[18:19], v[2:3], v[18:19]
	s_delay_alu instid0(VALU_DEP_2) | instskip(NEXT) | instid1(VALU_DEP_2)
	v_fma_f64 v[44:45], v[2:3], v[16:17], -v[44:45]
	v_fma_f64 v[16:17], v[4:5], v[16:17], v[18:19]
	s_delay_alu instid0(VALU_DEP_2) | instskip(NEXT) | instid1(VALU_DEP_2)
	v_add_f64_e32 v[48:49], v[48:49], v[44:45]
	v_add_f64_e32 v[50:51], v[16:17], v[50:51]
	v_mul_f64_e32 v[16:17], v[4:5], v[22:23]
	s_delay_alu instid0(VALU_DEP_1) | instskip(SKIP_1) | instid1(VALU_DEP_2)
	v_fma_f64 v[16:17], v[2:3], v[20:21], -v[16:17]
	v_mul_f64_e32 v[2:3], v[2:3], v[22:23]
	v_add_f64_e32 v[58:59], v[24:25], v[16:17]
	s_delay_alu instid0(VALU_DEP_2)
	v_fma_f64 v[2:3], v[4:5], v[20:21], v[2:3]
	ds_load_b128 v[16:19], v39 offset:112
	ds_load_b128 v[20:23], v38 offset:3584
	;; [unrolled: 1-line block ×3, first 2 shown]
	s_wait_dscnt 0x1
	v_mul_f64_e32 v[24:25], v[16:17], v[22:23]
	v_mul_f64_e32 v[4:5], v[18:19], v[22:23]
	v_add_f64_e32 v[2:3], v[2:3], v[26:27]
	s_delay_alu instid0(VALU_DEP_3) | instskip(NEXT) | instid1(VALU_DEP_3)
	v_fma_f64 v[24:25], v[18:19], v[20:21], v[24:25]
	v_fma_f64 v[4:5], v[16:17], v[20:21], -v[4:5]
	s_delay_alu instid0(VALU_DEP_2) | instskip(SKIP_2) | instid1(VALU_DEP_3)
	v_add_f64_e32 v[28:29], v[24:25], v[28:29]
	s_wait_dscnt 0x0
	v_mul_f64_e32 v[24:25], v[18:19], v[46:47]
	v_add_f64_e32 v[4:5], v[52:53], v[4:5]
	s_delay_alu instid0(VALU_DEP_2) | instskip(SKIP_1) | instid1(VALU_DEP_2)
	v_fma_f64 v[24:25], v[16:17], v[44:45], -v[24:25]
	v_mul_f64_e32 v[16:17], v[16:17], v[46:47]
	v_add_f64_e32 v[24:25], v[54:55], v[24:25]
	s_delay_alu instid0(VALU_DEP_2) | instskip(NEXT) | instid1(VALU_DEP_1)
	v_fma_f64 v[16:17], v[18:19], v[44:45], v[16:17]
	v_add_f64_e32 v[26:27], v[16:17], v[56:57]
	ds_load_b128 v[16:19], v39 offset:2160
	s_wait_loadcnt_dscnt 0x0
	s_barrier_signal -1
	s_barrier_wait -1
	global_inv scope:SCOPE_SE
	v_mul_f64_e32 v[52:53], v[18:19], v[22:23]
	v_mul_f64_e32 v[22:23], v[16:17], v[22:23]
	s_delay_alu instid0(VALU_DEP_2) | instskip(NEXT) | instid1(VALU_DEP_2)
	v_fma_f64 v[52:53], v[16:17], v[20:21], -v[52:53]
	v_fma_f64 v[22:23], v[18:19], v[20:21], v[22:23]
	s_delay_alu instid0(VALU_DEP_2) | instskip(SKIP_1) | instid1(VALU_DEP_3)
	v_add_f64_e32 v[20:21], v[48:49], v[52:53]
	v_mul_f64_e32 v[48:49], v[18:19], v[46:47]
	v_add_f64_e32 v[22:23], v[22:23], v[50:51]
	s_delay_alu instid0(VALU_DEP_2) | instskip(SKIP_1) | instid1(VALU_DEP_1)
	v_fma_f64 v[48:49], v[16:17], v[44:45], -v[48:49]
	v_mul_f64_e32 v[16:17], v[16:17], v[46:47]
	v_fma_f64 v[16:17], v[18:19], v[44:45], v[16:17]
	s_delay_alu instid0(VALU_DEP_3) | instskip(NEXT) | instid1(VALU_DEP_2)
	v_add_f64_e32 v[18:19], v[58:59], v[48:49]
	v_add_f64_e32 v[16:17], v[16:17], v[2:3]
	s_wait_alu 0xfffe
	s_cbranch_vccz .LBB271_21
.LBB271_10:                             ;   Parent Loop BB271_7 Depth=1
                                        ; =>  This Inner Loop Header: Depth=2
	s_mov_b32 s37, 0
	s_mov_b32 s39, s36
	s_and_saveexec_b32 s38, s0
	s_cbranch_execnz .LBB271_18
; %bb.11:                               ;   in Loop: Header=BB271_10 Depth=2
	s_wait_alu 0xfffe
	s_or_b32 exec_lo, exec_lo, s38
	s_and_saveexec_b32 s38, s39
	s_wait_alu 0xfffe
	s_xor_b32 s38, exec_lo, s38
	s_cbranch_execnz .LBB271_19
.LBB271_12:                             ;   in Loop: Header=BB271_10 Depth=2
	s_wait_alu 0xfffe
	s_or_b32 exec_lo, exec_lo, s38
	s_and_saveexec_b32 s38, s37
	s_cbranch_execz .LBB271_14
.LBB271_13:                             ;   in Loop: Header=BB271_10 Depth=2
	v_mul_lo_u32 v0, s17, v14
	v_mul_lo_u32 v44, s16, v15
	v_mad_co_u64_u32 v[2:3], null, s16, v14, 0
	s_delay_alu instid0(VALU_DEP_1) | instskip(NEXT) | instid1(VALU_DEP_1)
	v_add3_u32 v3, v3, v44, v0
	v_lshlrev_b64_e32 v[2:3], 4, v[2:3]
	s_delay_alu instid0(VALU_DEP_1) | instskip(SKIP_1) | instid1(VALU_DEP_2)
	v_add_co_u32 v2, vcc_lo, v40, v2
	s_wait_alu 0xfffd
	v_add_co_ci_u32_e64 v3, null, v41, v3, vcc_lo
	global_load_b128 v[44:47], v[2:3], off
	s_wait_loadcnt 0x0
	ds_store_2addr_b64 v32, v[44:45], v[46:47] offset1:1
.LBB271_14:                             ;   in Loop: Header=BB271_10 Depth=2
	s_wait_alu 0xfffe
	s_or_b32 exec_lo, exec_lo, s38
	v_add_nc_u32_e32 v0, s2, v30
	s_delay_alu instid0(VALU_DEP_1)
	v_cmp_le_u64_e32 vcc_lo, s[8:9], v[0:1]
	s_or_b32 s37, vcc_lo, s21
	s_wait_alu 0xfffe
	s_and_saveexec_b32 s38, s37
	s_wait_alu 0xfffe
	s_xor_b32 s37, exec_lo, s38
; %bb.15:                               ;   in Loop: Header=BB271_10 Depth=2
	v_dual_mov_b32 v0, v1 :: v_dual_mov_b32 v3, v1
	v_mov_b32_e32 v2, v1
	ds_store_b128 v33, v[0:3]
; %bb.16:                               ;   in Loop: Header=BB271_10 Depth=2
	s_wait_alu 0xfffe
	s_and_not1_saveexec_b32 s37, s37
	s_cbranch_execz .LBB271_9
; %bb.17:                               ;   in Loop: Header=BB271_10 Depth=2
	v_mad_co_u64_u32 v[2:3], null, s22, v0, 0
	s_delay_alu instid0(VALU_DEP_1) | instskip(NEXT) | instid1(VALU_DEP_1)
	v_mad_co_u64_u32 v[44:45], null, s23, v0, v[3:4]
	v_mov_b32_e32 v3, v44
	s_delay_alu instid0(VALU_DEP_1) | instskip(NEXT) | instid1(VALU_DEP_1)
	v_lshlrev_b64_e32 v[2:3], 4, v[2:3]
	v_add_co_u32 v2, vcc_lo, v42, v2
	s_wait_alu 0xfffd
	s_delay_alu instid0(VALU_DEP_2)
	v_add_co_ci_u32_e64 v3, null, v43, v3, vcc_lo
	global_load_b128 v[44:47], v[2:3], off
	s_wait_loadcnt 0x0
	ds_store_2addr_b64 v33, v[44:45], v[46:47] offset1:1
	s_branch .LBB271_9
.LBB271_18:                             ;   in Loop: Header=BB271_10 Depth=2
	s_wait_alu 0xfffe
	v_add_nc_u32_e32 v0, s2, v31
	v_mov_b32_e32 v15, v1
	s_and_not1_b32 s39, s36, exec_lo
	s_mov_b32 s37, exec_lo
	s_delay_alu instid0(VALU_DEP_2)
	v_cmp_le_u64_e32 vcc_lo, s[8:9], v[0:1]
	v_mov_b32_e32 v14, v0
	s_and_b32 s40, vcc_lo, exec_lo
	s_wait_alu 0xfffe
	s_or_b32 s39, s39, s40
	s_or_b32 exec_lo, exec_lo, s38
	s_wait_alu 0xfffe
	s_and_saveexec_b32 s38, s39
	s_wait_alu 0xfffe
	s_xor_b32 s38, exec_lo, s38
	s_cbranch_execz .LBB271_12
.LBB271_19:                             ;   in Loop: Header=BB271_10 Depth=2
	v_dual_mov_b32 v0, v1 :: v_dual_mov_b32 v3, v1
	v_mov_b32_e32 v2, v1
	s_and_not1_b32 s37, s37, exec_lo
	ds_store_b128 v32, v[0:3]
	s_wait_alu 0xfffe
	s_or_b32 exec_lo, exec_lo, s38
	s_and_saveexec_b32 s38, s37
	s_cbranch_execnz .LBB271_13
	s_branch .LBB271_14
.LBB271_20:                             ;   in Loop: Header=BB271_7 Depth=1
	v_mov_b32_e32 v28, 0
	v_mov_b32_e32 v26, 0
	v_dual_mov_b32 v22, 0 :: v_dual_mov_b32 v29, 0
	v_dual_mov_b32 v24, 0 :: v_dual_mov_b32 v27, 0
	;; [unrolled: 1-line block ×3, first 2 shown]
	v_mov_b32_e32 v18, 0
	v_dual_mov_b32 v16, 0 :: v_dual_mov_b32 v25, 0
	v_mov_b32_e32 v21, 0
	v_mov_b32_e32 v19, 0
	;; [unrolled: 1-line block ×3, first 2 shown]
.LBB271_21:                             ;   in Loop: Header=BB271_7 Depth=1
	s_mul_u64 s[2:3], s[6:7], s[34:35]
	s_wait_alu 0xfffe
	s_lshl_b64 s[2:3], s[2:3], 4
	s_wait_alu 0xfffe
	s_add_nc_u64 s[2:3], s[30:31], s[2:3]
	s_wait_alu 0xfffe
	v_add_co_u32 v0, vcc_lo, s2, v10
	s_wait_alu 0xfffd
	v_add_co_ci_u32_e64 v40, null, s3, v11, vcc_lo
	s_and_saveexec_b32 s37, s5
	s_cbranch_execz .LBB271_26
; %bb.22:                               ;   in Loop: Header=BB271_7 Depth=1
	v_mul_f64_e32 v[2:3], s[12:13], v[28:29]
	v_mul_f64_e32 v[28:29], s[10:11], v[28:29]
	s_and_b32 vcc_lo, exec_lo, s14
	s_mov_b32 s38, -1
	s_delay_alu instid0(VALU_DEP_2) | instskip(NEXT) | instid1(VALU_DEP_2)
	v_fma_f64 v[2:3], s[10:11], v[4:5], -v[2:3]
	v_fma_f64 v[4:5], s[12:13], v[4:5], v[28:29]
	s_wait_alu 0xfffe
	s_cbranch_vccz .LBB271_24
; %bb.23:                               ;   in Loop: Header=BB271_7 Depth=1
	v_lshlrev_b64_e32 v[28:29], 4, v[6:7]
	s_mov_b32 s38, 0
	s_delay_alu instid0(VALU_DEP_1) | instskip(SKIP_1) | instid1(VALU_DEP_2)
	v_add_co_u32 v28, vcc_lo, v0, v28
	s_wait_alu 0xfffd
	v_add_co_ci_u32_e64 v29, null, v40, v29, vcc_lo
	global_load_b128 v[41:44], v[28:29], off
	s_wait_loadcnt 0x0
	v_mul_f64_e32 v[45:46], s[28:29], v[43:44]
	v_mul_f64_e32 v[43:44], s[26:27], v[43:44]
	s_delay_alu instid0(VALU_DEP_2) | instskip(NEXT) | instid1(VALU_DEP_2)
	v_fma_f64 v[45:46], s[26:27], v[41:42], -v[45:46]
	v_fma_f64 v[43:44], s[28:29], v[41:42], v[43:44]
	s_delay_alu instid0(VALU_DEP_2) | instskip(NEXT) | instid1(VALU_DEP_2)
	v_add_f64_e32 v[41:42], v[2:3], v[45:46]
	v_add_f64_e32 v[43:44], v[4:5], v[43:44]
	global_store_b128 v[28:29], v[41:44], off
.LBB271_24:                             ;   in Loop: Header=BB271_7 Depth=1
	s_wait_alu 0xfffe
	s_and_not1_b32 vcc_lo, exec_lo, s38
	s_wait_alu 0xfffe
	s_cbranch_vccnz .LBB271_26
; %bb.25:                               ;   in Loop: Header=BB271_7 Depth=1
	v_lshlrev_b64_e32 v[28:29], 4, v[6:7]
	s_delay_alu instid0(VALU_DEP_1) | instskip(SKIP_1) | instid1(VALU_DEP_2)
	v_add_co_u32 v28, vcc_lo, v0, v28
	s_wait_alu 0xfffd
	v_add_co_ci_u32_e64 v29, null, v40, v29, vcc_lo
	global_store_b128 v[28:29], v[2:5], off
.LBB271_26:                             ;   in Loop: Header=BB271_7 Depth=1
	s_wait_alu 0xfffe
	s_or_b32 exec_lo, exec_lo, s37
	s_and_saveexec_b32 s37, s15
	s_cbranch_execz .LBB271_31
; %bb.27:                               ;   in Loop: Header=BB271_7 Depth=1
	v_mul_f64_e32 v[2:3], s[12:13], v[26:27]
	v_mul_f64_e32 v[4:5], s[10:11], v[26:27]
	s_and_not1_b32 vcc_lo, exec_lo, s14
	s_mov_b32 s38, -1
	s_delay_alu instid0(VALU_DEP_2) | instskip(NEXT) | instid1(VALU_DEP_2)
	v_fma_f64 v[2:3], s[10:11], v[24:25], -v[2:3]
	v_fma_f64 v[4:5], s[12:13], v[24:25], v[4:5]
	s_wait_alu 0xfffe
	s_cbranch_vccnz .LBB271_29
; %bb.28:                               ;   in Loop: Header=BB271_7 Depth=1
	v_lshlrev_b64_e32 v[24:25], 4, v[8:9]
	s_mov_b32 s38, 0
	s_delay_alu instid0(VALU_DEP_1) | instskip(SKIP_1) | instid1(VALU_DEP_2)
	v_add_co_u32 v28, vcc_lo, v0, v24
	s_wait_alu 0xfffd
	v_add_co_ci_u32_e64 v29, null, v40, v25, vcc_lo
	global_load_b128 v[24:27], v[28:29], off
	s_wait_loadcnt 0x0
	v_mul_f64_e32 v[41:42], s[28:29], v[26:27]
	v_mul_f64_e32 v[26:27], s[26:27], v[26:27]
	s_delay_alu instid0(VALU_DEP_2) | instskip(NEXT) | instid1(VALU_DEP_2)
	v_fma_f64 v[41:42], s[26:27], v[24:25], -v[41:42]
	v_fma_f64 v[26:27], s[28:29], v[24:25], v[26:27]
	s_delay_alu instid0(VALU_DEP_2) | instskip(NEXT) | instid1(VALU_DEP_2)
	v_add_f64_e32 v[24:25], v[2:3], v[41:42]
	v_add_f64_e32 v[26:27], v[4:5], v[26:27]
	global_store_b128 v[28:29], v[24:27], off
.LBB271_29:                             ;   in Loop: Header=BB271_7 Depth=1
	s_wait_alu 0xfffe
	s_and_not1_b32 vcc_lo, exec_lo, s38
	s_wait_alu 0xfffe
	s_cbranch_vccnz .LBB271_31
; %bb.30:                               ;   in Loop: Header=BB271_7 Depth=1
	v_lshlrev_b64_e32 v[24:25], 4, v[8:9]
	s_delay_alu instid0(VALU_DEP_1) | instskip(SKIP_1) | instid1(VALU_DEP_2)
	v_add_co_u32 v24, vcc_lo, v0, v24
	s_wait_alu 0xfffd
	v_add_co_ci_u32_e64 v25, null, v40, v25, vcc_lo
	global_store_b128 v[24:25], v[2:5], off
.LBB271_31:                             ;   in Loop: Header=BB271_7 Depth=1
	s_wait_alu 0xfffe
	s_or_b32 exec_lo, exec_lo, s37
	v_add_co_u32 v0, vcc_lo, s2, v12
	s_wait_alu 0xfffd
	v_add_co_ci_u32_e64 v24, null, s3, v13, vcc_lo
	s_and_saveexec_b32 s2, s4
	s_cbranch_execz .LBB271_36
; %bb.32:                               ;   in Loop: Header=BB271_7 Depth=1
	v_mul_f64_e32 v[2:3], s[12:13], v[22:23]
	v_mul_f64_e32 v[4:5], s[10:11], v[22:23]
	s_and_not1_b32 vcc_lo, exec_lo, s14
	s_mov_b32 s3, -1
	s_delay_alu instid0(VALU_DEP_2) | instskip(NEXT) | instid1(VALU_DEP_2)
	v_fma_f64 v[2:3], s[10:11], v[20:21], -v[2:3]
	v_fma_f64 v[4:5], s[12:13], v[20:21], v[4:5]
	v_lshlrev_b64_e32 v[20:21], 4, v[6:7]
	s_wait_alu 0xfffe
	s_cbranch_vccnz .LBB271_34
; %bb.33:                               ;   in Loop: Header=BB271_7 Depth=1
	s_delay_alu instid0(VALU_DEP_1) | instskip(SKIP_1) | instid1(VALU_DEP_2)
	v_add_co_u32 v22, vcc_lo, v0, v20
	s_wait_alu 0xfffd
	v_add_co_ci_u32_e64 v23, null, v24, v21, vcc_lo
	s_mov_b32 s3, 0
	global_load_b128 v[25:28], v[22:23], off
	s_wait_loadcnt 0x0
	v_mul_f64_e32 v[40:41], s[28:29], v[27:28]
	v_mul_f64_e32 v[27:28], s[26:27], v[27:28]
	s_delay_alu instid0(VALU_DEP_2) | instskip(NEXT) | instid1(VALU_DEP_2)
	v_fma_f64 v[40:41], s[26:27], v[25:26], -v[40:41]
	v_fma_f64 v[27:28], s[28:29], v[25:26], v[27:28]
	s_delay_alu instid0(VALU_DEP_2) | instskip(NEXT) | instid1(VALU_DEP_2)
	v_add_f64_e32 v[25:26], v[2:3], v[40:41]
	v_add_f64_e32 v[27:28], v[4:5], v[27:28]
	global_store_b128 v[22:23], v[25:28], off
.LBB271_34:                             ;   in Loop: Header=BB271_7 Depth=1
	s_wait_alu 0xfffe
	s_and_not1_b32 vcc_lo, exec_lo, s3
	s_wait_alu 0xfffe
	s_cbranch_vccnz .LBB271_36
; %bb.35:                               ;   in Loop: Header=BB271_7 Depth=1
	v_add_co_u32 v20, vcc_lo, v0, v20
	s_wait_alu 0xfffd
	v_add_co_ci_u32_e64 v21, null, v24, v21, vcc_lo
	global_store_b128 v[20:21], v[2:5], off
.LBB271_36:                             ;   in Loop: Header=BB271_7 Depth=1
	s_wait_alu 0xfffe
	s_or_b32 exec_lo, exec_lo, s2
	s_and_saveexec_b32 s2, s1
	s_cbranch_execz .LBB271_6
; %bb.37:                               ;   in Loop: Header=BB271_7 Depth=1
	v_mul_f64_e32 v[2:3], s[12:13], v[16:17]
	v_mul_f64_e32 v[4:5], s[10:11], v[16:17]
	v_lshlrev_b64_e32 v[16:17], 4, v[8:9]
	s_and_not1_b32 vcc_lo, exec_lo, s14
	s_mov_b32 s3, -1
	s_delay_alu instid0(VALU_DEP_3) | instskip(NEXT) | instid1(VALU_DEP_3)
	v_fma_f64 v[2:3], s[10:11], v[18:19], -v[2:3]
	v_fma_f64 v[4:5], s[12:13], v[18:19], v[4:5]
	s_wait_alu 0xfffe
	s_cbranch_vccnz .LBB271_39
; %bb.38:                               ;   in Loop: Header=BB271_7 Depth=1
	v_add_co_u32 v22, vcc_lo, v0, v16
	s_wait_alu 0xfffd
	v_add_co_ci_u32_e64 v23, null, v24, v17, vcc_lo
	s_mov_b32 s3, 0
	global_load_b128 v[18:21], v[22:23], off
	s_wait_loadcnt 0x0
	v_mul_f64_e32 v[25:26], s[28:29], v[20:21]
	v_mul_f64_e32 v[20:21], s[26:27], v[20:21]
	s_delay_alu instid0(VALU_DEP_2) | instskip(NEXT) | instid1(VALU_DEP_2)
	v_fma_f64 v[25:26], s[26:27], v[18:19], -v[25:26]
	v_fma_f64 v[20:21], s[28:29], v[18:19], v[20:21]
	s_delay_alu instid0(VALU_DEP_2) | instskip(NEXT) | instid1(VALU_DEP_2)
	v_add_f64_e32 v[18:19], v[2:3], v[25:26]
	v_add_f64_e32 v[20:21], v[4:5], v[20:21]
	global_store_b128 v[22:23], v[18:21], off
.LBB271_39:                             ;   in Loop: Header=BB271_7 Depth=1
	s_wait_alu 0xfffe
	s_and_not1_b32 vcc_lo, exec_lo, s3
	s_wait_alu 0xfffe
	s_cbranch_vccnz .LBB271_6
; %bb.40:                               ;   in Loop: Header=BB271_7 Depth=1
	v_add_co_u32 v16, vcc_lo, v0, v16
	s_wait_alu 0xfffd
	v_add_co_ci_u32_e64 v17, null, v24, v17, vcc_lo
	global_store_b128 v[16:17], v[2:5], off
	s_branch .LBB271_6
.LBB271_41:
.LBB271_42:
	s_endpgm
	.section	.rodata,"a",@progbits
	.p2align	6, 0x0
	.amdhsa_kernel _ZL29rocblas_internal_gemmt_kernelIlLi16ELi32ELi8ELc78ELc84ELc85ELb0ELb0E19rocblas_complex_numIdES1_PKS1_PS1_EviT_T9_T10_S5_lS7_S5_lS6_T11_S5_li
		.amdhsa_group_segment_fixed_size 8192
		.amdhsa_private_segment_fixed_size 0
		.amdhsa_kernarg_size 124
		.amdhsa_user_sgpr_count 2
		.amdhsa_user_sgpr_dispatch_ptr 0
		.amdhsa_user_sgpr_queue_ptr 0
		.amdhsa_user_sgpr_kernarg_segment_ptr 1
		.amdhsa_user_sgpr_dispatch_id 0
		.amdhsa_user_sgpr_private_segment_size 0
		.amdhsa_wavefront_size32 1
		.amdhsa_uses_dynamic_stack 0
		.amdhsa_enable_private_segment 0
		.amdhsa_system_sgpr_workgroup_id_x 1
		.amdhsa_system_sgpr_workgroup_id_y 1
		.amdhsa_system_sgpr_workgroup_id_z 1
		.amdhsa_system_sgpr_workgroup_info 0
		.amdhsa_system_vgpr_workitem_id 1
		.amdhsa_next_free_vgpr 68
		.amdhsa_next_free_sgpr 41
		.amdhsa_reserve_vcc 1
		.amdhsa_float_round_mode_32 0
		.amdhsa_float_round_mode_16_64 0
		.amdhsa_float_denorm_mode_32 3
		.amdhsa_float_denorm_mode_16_64 3
		.amdhsa_fp16_overflow 0
		.amdhsa_workgroup_processor_mode 1
		.amdhsa_memory_ordered 1
		.amdhsa_forward_progress 1
		.amdhsa_inst_pref_size 30
		.amdhsa_round_robin_scheduling 0
		.amdhsa_exception_fp_ieee_invalid_op 0
		.amdhsa_exception_fp_denorm_src 0
		.amdhsa_exception_fp_ieee_div_zero 0
		.amdhsa_exception_fp_ieee_overflow 0
		.amdhsa_exception_fp_ieee_underflow 0
		.amdhsa_exception_fp_ieee_inexact 0
		.amdhsa_exception_int_div_zero 0
	.end_amdhsa_kernel
	.section	.text._ZL29rocblas_internal_gemmt_kernelIlLi16ELi32ELi8ELc78ELc84ELc85ELb0ELb0E19rocblas_complex_numIdES1_PKS1_PS1_EviT_T9_T10_S5_lS7_S5_lS6_T11_S5_li,"axG",@progbits,_ZL29rocblas_internal_gemmt_kernelIlLi16ELi32ELi8ELc78ELc84ELc85ELb0ELb0E19rocblas_complex_numIdES1_PKS1_PS1_EviT_T9_T10_S5_lS7_S5_lS6_T11_S5_li,comdat
.Lfunc_end271:
	.size	_ZL29rocblas_internal_gemmt_kernelIlLi16ELi32ELi8ELc78ELc84ELc85ELb0ELb0E19rocblas_complex_numIdES1_PKS1_PS1_EviT_T9_T10_S5_lS7_S5_lS6_T11_S5_li, .Lfunc_end271-_ZL29rocblas_internal_gemmt_kernelIlLi16ELi32ELi8ELc78ELc84ELc85ELb0ELb0E19rocblas_complex_numIdES1_PKS1_PS1_EviT_T9_T10_S5_lS7_S5_lS6_T11_S5_li
                                        ; -- End function
	.set _ZL29rocblas_internal_gemmt_kernelIlLi16ELi32ELi8ELc78ELc84ELc85ELb0ELb0E19rocblas_complex_numIdES1_PKS1_PS1_EviT_T9_T10_S5_lS7_S5_lS6_T11_S5_li.num_vgpr, 68
	.set _ZL29rocblas_internal_gemmt_kernelIlLi16ELi32ELi8ELc78ELc84ELc85ELb0ELb0E19rocblas_complex_numIdES1_PKS1_PS1_EviT_T9_T10_S5_lS7_S5_lS6_T11_S5_li.num_agpr, 0
	.set _ZL29rocblas_internal_gemmt_kernelIlLi16ELi32ELi8ELc78ELc84ELc85ELb0ELb0E19rocblas_complex_numIdES1_PKS1_PS1_EviT_T9_T10_S5_lS7_S5_lS6_T11_S5_li.numbered_sgpr, 41
	.set _ZL29rocblas_internal_gemmt_kernelIlLi16ELi32ELi8ELc78ELc84ELc85ELb0ELb0E19rocblas_complex_numIdES1_PKS1_PS1_EviT_T9_T10_S5_lS7_S5_lS6_T11_S5_li.num_named_barrier, 0
	.set _ZL29rocblas_internal_gemmt_kernelIlLi16ELi32ELi8ELc78ELc84ELc85ELb0ELb0E19rocblas_complex_numIdES1_PKS1_PS1_EviT_T9_T10_S5_lS7_S5_lS6_T11_S5_li.private_seg_size, 0
	.set _ZL29rocblas_internal_gemmt_kernelIlLi16ELi32ELi8ELc78ELc84ELc85ELb0ELb0E19rocblas_complex_numIdES1_PKS1_PS1_EviT_T9_T10_S5_lS7_S5_lS6_T11_S5_li.uses_vcc, 1
	.set _ZL29rocblas_internal_gemmt_kernelIlLi16ELi32ELi8ELc78ELc84ELc85ELb0ELb0E19rocblas_complex_numIdES1_PKS1_PS1_EviT_T9_T10_S5_lS7_S5_lS6_T11_S5_li.uses_flat_scratch, 0
	.set _ZL29rocblas_internal_gemmt_kernelIlLi16ELi32ELi8ELc78ELc84ELc85ELb0ELb0E19rocblas_complex_numIdES1_PKS1_PS1_EviT_T9_T10_S5_lS7_S5_lS6_T11_S5_li.has_dyn_sized_stack, 0
	.set _ZL29rocblas_internal_gemmt_kernelIlLi16ELi32ELi8ELc78ELc84ELc85ELb0ELb0E19rocblas_complex_numIdES1_PKS1_PS1_EviT_T9_T10_S5_lS7_S5_lS6_T11_S5_li.has_recursion, 0
	.set _ZL29rocblas_internal_gemmt_kernelIlLi16ELi32ELi8ELc78ELc84ELc85ELb0ELb0E19rocblas_complex_numIdES1_PKS1_PS1_EviT_T9_T10_S5_lS7_S5_lS6_T11_S5_li.has_indirect_call, 0
	.section	.AMDGPU.csdata,"",@progbits
; Kernel info:
; codeLenInByte = 3824
; TotalNumSgprs: 43
; NumVgprs: 68
; ScratchSize: 0
; MemoryBound: 0
; FloatMode: 240
; IeeeMode: 1
; LDSByteSize: 8192 bytes/workgroup (compile time only)
; SGPRBlocks: 0
; VGPRBlocks: 8
; NumSGPRsForWavesPerEU: 43
; NumVGPRsForWavesPerEU: 68
; Occupancy: 16
; WaveLimiterHint : 0
; COMPUTE_PGM_RSRC2:SCRATCH_EN: 0
; COMPUTE_PGM_RSRC2:USER_SGPR: 2
; COMPUTE_PGM_RSRC2:TRAP_HANDLER: 0
; COMPUTE_PGM_RSRC2:TGID_X_EN: 1
; COMPUTE_PGM_RSRC2:TGID_Y_EN: 1
; COMPUTE_PGM_RSRC2:TGID_Z_EN: 1
; COMPUTE_PGM_RSRC2:TIDIG_COMP_CNT: 1
	.section	.text._ZL29rocblas_internal_gemmt_kernelIlLi16ELi32ELi8ELc78ELc67ELc85ELb0ELb1E19rocblas_complex_numIdES1_PKS1_PS1_EviT_T9_T10_S5_lS7_S5_lS6_T11_S5_li,"axG",@progbits,_ZL29rocblas_internal_gemmt_kernelIlLi16ELi32ELi8ELc78ELc67ELc85ELb0ELb1E19rocblas_complex_numIdES1_PKS1_PS1_EviT_T9_T10_S5_lS7_S5_lS6_T11_S5_li,comdat
	.globl	_ZL29rocblas_internal_gemmt_kernelIlLi16ELi32ELi8ELc78ELc67ELc85ELb0ELb1E19rocblas_complex_numIdES1_PKS1_PS1_EviT_T9_T10_S5_lS7_S5_lS6_T11_S5_li ; -- Begin function _ZL29rocblas_internal_gemmt_kernelIlLi16ELi32ELi8ELc78ELc67ELc85ELb0ELb1E19rocblas_complex_numIdES1_PKS1_PS1_EviT_T9_T10_S5_lS7_S5_lS6_T11_S5_li
	.p2align	8
	.type	_ZL29rocblas_internal_gemmt_kernelIlLi16ELi32ELi8ELc78ELc67ELc85ELb0ELb1E19rocblas_complex_numIdES1_PKS1_PS1_EviT_T9_T10_S5_lS7_S5_lS6_T11_S5_li,@function
_ZL29rocblas_internal_gemmt_kernelIlLi16ELi32ELi8ELc78ELc67ELc85ELb0ELb1E19rocblas_complex_numIdES1_PKS1_PS1_EviT_T9_T10_S5_lS7_S5_lS6_T11_S5_li: ; @_ZL29rocblas_internal_gemmt_kernelIlLi16ELi32ELi8ELc78ELc67ELc85ELb0ELb1E19rocblas_complex_numIdES1_PKS1_PS1_EviT_T9_T10_S5_lS7_S5_lS6_T11_S5_li
; %bb.0:
	s_clause 0x1
	s_load_b256 s[20:27], s[0:1], 0x48
	s_load_b512 s[4:19], s[0:1], 0x8
	s_wait_kmcnt 0x0
	v_cmp_eq_f64_e64 s3, s[22:23], 1.0
	v_cmp_eq_f64_e64 s2, s[24:25], 0
	s_and_b32 s3, s3, s2
	s_delay_alu instid0(SALU_CYCLE_1)
	s_and_not1_b32 vcc_lo, exec_lo, s3
	s_mov_b32 s3, -1
	s_cbranch_vccnz .LBB272_3
; %bb.1:
	s_cmp_lg_u64 s[4:5], 0
	s_cbranch_scc0 .LBB272_39
; %bb.2:
	v_cmp_neq_f64_e64 s3, s[6:7], 0
	v_cmp_neq_f64_e64 s28, s[8:9], 0
	s_or_b32 s3, s3, s28
.LBB272_3:
	s_delay_alu instid0(SALU_CYCLE_1)
	s_and_b32 vcc_lo, exec_lo, s3
	s_cbranch_vccz .LBB272_40
; %bb.4:
	s_load_b32 s33, s[0:1], 0x78
	s_lshr_b32 s34, ttmp7, 16
	s_wait_kmcnt 0x0
	s_cmp_ge_u32 s34, s33
	s_cbranch_scc1 .LBB272_40
; %bb.5:
	v_cmp_neq_f64_e64 s3, s[6:7], 0
	v_cmp_neq_f64_e64 s35, s[8:9], 0
	v_dual_mov_b32 v1, 0 :: v_dual_and_b32 v6, 0x3ff, v0
	v_bfe_u32 v7, v0, 10, 10
	s_clause 0x1
	s_load_b128 s[28:31], s[0:1], 0x68
	s_load_b32 s37, s[0:1], 0x0
	v_and_b32_e32 v32, 7, v0
	s_lshl_b32 s0, ttmp7, 5
	s_lshl_b32 s38, ttmp9, 5
	v_lshl_add_u32 v0, v7, 4, v6
	s_and_b32 s0, s0, 0x1fffe0
	v_lshlrev_b32_e32 v5, 4, v32
	v_add_nc_u32_e32 v9, s0, v7
	v_cmp_neq_f64_e64 s40, s[22:23], 0
	v_lshrrev_b32_e32 v4, 3, v0
	v_and_b32_e32 v3, 31, v0
	v_lshrrev_b32_e32 v33, 5, v0
	v_add_nc_u32_e32 v12, 16, v9
	v_lshl_add_u32 v41, v7, 7, 0x1000
	v_add_nc_u32_e32 v0, s0, v4
	v_lshl_or_b32 v4, v4, 7, v5
	v_lshlrev_b32_e32 v40, 4, v6
	v_add_nc_u32_e32 v6, s38, v6
	v_cmp_gt_i64_e64 s39, s[4:5], 0
                                        ; implicit-def: $vgpr14_vgpr15
	s_delay_alu instid0(VALU_DEP_4)
	v_add_nc_u32_e32 v35, 0x1000, v4
	s_wait_kmcnt 0x0
	v_mad_co_u64_u32 v[4:5], null, s28, v9, 0
	v_cmp_gt_i32_e64 s1, s37, v0
	v_lshlrev_b32_e32 v0, 4, v0
	s_or_b32 s35, s3, s35
	s_delay_alu instid0(VALU_DEP_1)
	v_add_co_u32 v38, s3, s16, v0
	v_mov_b32_e32 v0, v5
	v_or_b32_e32 v2, s38, v3
	v_lshlrev_b32_e32 v8, 4, v3
	v_add_co_ci_u32_e64 v39, null, s17, 0, s3
	s_and_b32 s17, s35, s39
	v_ashrrev_i32_e32 v3, 31, v2
	v_cmp_gt_i32_e64 s0, s37, v2
	v_cmp_le_i32_e64 s36, s37, v2
	v_lshl_or_b32 v34, v33, 9, v8
	v_mad_co_u64_u32 v[7:8], null, s29, v9, v[0:1]
	v_lshlrev_b64_e32 v[2:3], 4, v[2:3]
	v_add_nc_u32_e32 v8, 16, v6
	s_mov_b32 s35, 0
	s_delay_alu instid0(VALU_DEP_2) | instskip(NEXT) | instid1(VALU_DEP_1)
	v_add_co_u32 v36, vcc_lo, s10, v2
	v_add_co_ci_u32_e64 v37, null, s11, v3, vcc_lo
	v_mad_co_u64_u32 v[2:3], null, s28, v12, 0
	s_xor_b32 s10, s2, -1
	v_mov_b32_e32 v5, v7
	v_ashrrev_i32_e32 v7, 31, v6
	s_wait_alu 0xfffe
	s_or_b32 s10, s40, s10
	v_mov_b32_e32 v0, v3
	v_cmp_gt_i32_e32 vcc_lo, s37, v9
	v_cmp_le_i32_e64 s2, v6, v9
	v_cmp_le_i32_e64 s3, v8, v9
	v_ashrrev_i32_e32 v9, 31, v8
	v_mad_co_u64_u32 v[10:11], null, s29, v12, v[0:1]
	s_and_b32 s11, vcc_lo, s2
	s_and_b32 s16, vcc_lo, s3
	v_mov_b32_e32 v3, v10
	v_cmp_gt_i32_e32 vcc_lo, s37, v12
	v_cmp_le_i32_e64 s2, v6, v12
	v_cmp_le_i32_e64 s3, v8, v12
	v_lshlrev_b64_e32 v[10:11], 4, v[4:5]
	v_lshlrev_b64_e32 v[12:13], 4, v[2:3]
	s_and_b32 s28, vcc_lo, s2
	s_and_b32 s29, vcc_lo, s3
	s_branch .LBB272_7
.LBB272_6:                              ;   in Loop: Header=BB272_7 Depth=1
	s_wait_alu 0xfffe
	s_or_b32 exec_lo, exec_lo, s2
	s_add_co_i32 s34, s34, 0x10000
	s_delay_alu instid0(SALU_CYCLE_1)
	s_cmp_lt_u32 s34, s33
	s_cbranch_scc0 .LBB272_40
.LBB272_7:                              ; =>This Loop Header: Depth=1
                                        ;     Child Loop BB272_10 Depth 2
	v_mov_b32_e32 v28, 0
	v_mov_b32_e32 v29, 0
	s_and_not1_b32 vcc_lo, exec_lo, s17
	s_wait_alu 0xfffe
	s_cbranch_vccnz .LBB272_18
; %bb.8:                                ;   in Loop: Header=BB272_7 Depth=1
	s_mul_u64 s[2:3], s[14:15], s[34:35]
	s_mul_u64 s[38:39], s[20:21], s[34:35]
	s_wait_alu 0xfffe
	s_lshl_b64 s[2:3], s[2:3], 4
	v_mov_b32_e32 v16, 0
	s_wait_alu 0xfffe
	v_add_co_u32 v42, vcc_lo, v36, s2
	s_wait_alu 0xfffd
	v_add_co_ci_u32_e64 v43, null, s3, v37, vcc_lo
	s_lshl_b64 s[2:3], s[38:39], 4
	v_mov_b32_e32 v22, 0
	v_mov_b32_e32 v26, 0
	;; [unrolled: 1-line block ×3, first 2 shown]
	s_wait_alu 0xfffe
	v_add_co_u32 v44, vcc_lo, v38, s2
	v_dual_mov_b32 v17, 0 :: v_dual_mov_b32 v18, 0
	v_dual_mov_b32 v23, 0 :: v_dual_mov_b32 v20, 0
	;; [unrolled: 1-line block ×4, first 2 shown]
	v_mov_b32_e32 v19, 0
	v_mov_b32_e32 v21, 0
	;; [unrolled: 1-line block ×4, first 2 shown]
	s_wait_alu 0xfffd
	v_add_co_ci_u32_e64 v45, null, s3, v39, vcc_lo
	s_mov_b64 s[2:3], 0
	s_branch .LBB272_10
.LBB272_9:                              ;   in Loop: Header=BB272_10 Depth=2
	s_wait_alu 0xfffe
	s_or_b32 exec_lo, exec_lo, s37
	ds_store_b128 v35, v[2:5]
	s_wait_dscnt 0x0
	s_barrier_signal -1
	s_barrier_wait -1
	global_inv scope:SCOPE_SE
	ds_load_b128 v[2:5], v41
	ds_load_b128 v[46:49], v40
	ds_load_b128 v[50:53], v40 offset:256
	ds_load_b128 v[54:57], v41 offset:2048
	;; [unrolled: 1-line block ×10, first 2 shown]
	s_add_nc_u64 s[2:3], s[2:3], 8
	s_wait_alu 0xfffe
	v_cmp_gt_i64_e64 s37, s[4:5], s[2:3]
	s_and_b32 vcc_lo, exec_lo, s37
	s_wait_dscnt 0xa
	v_mul_f64_e32 v[90:91], v[4:5], v[48:49]
	v_mul_f64_e32 v[92:93], v[2:3], v[48:49]
	s_wait_dscnt 0x9
	v_mul_f64_e32 v[94:95], v[4:5], v[52:53]
	v_mul_f64_e32 v[96:97], v[2:3], v[52:53]
	;; [unrolled: 3-line block ×3, first 2 shown]
	v_mul_f64_e32 v[100:101], v[56:57], v[52:53]
	v_mul_f64_e32 v[52:53], v[54:55], v[52:53]
	s_wait_dscnt 0x5
	v_mul_f64_e32 v[102:103], v[60:61], v[68:69]
	v_mul_f64_e32 v[104:105], v[58:59], v[68:69]
	s_wait_dscnt 0x4
	v_mul_f64_e32 v[106:107], v[60:61], v[72:73]
	v_mul_f64_e32 v[108:109], v[58:59], v[72:73]
	;; [unrolled: 1-line block ×6, first 2 shown]
	s_wait_dscnt 0x2
	v_mul_f64_e32 v[118:119], v[76:77], v[80:81]
	v_mul_f64_e32 v[120:121], v[74:75], v[80:81]
	s_wait_dscnt 0x1
	v_mul_f64_e32 v[122:123], v[76:77], v[84:85]
	v_mul_f64_e32 v[124:125], v[74:75], v[84:85]
	;; [unrolled: 3-line block ×3, first 2 shown]
	v_mul_f64_e32 v[128:129], v[88:89], v[84:85]
	v_mul_f64_e32 v[84:85], v[86:87], v[84:85]
	v_fma_f64 v[90:91], v[2:3], v[46:47], -v[90:91]
	v_fma_f64 v[92:93], v[4:5], v[46:47], v[92:93]
	v_fma_f64 v[94:95], v[2:3], v[50:51], -v[94:95]
	v_fma_f64 v[96:97], v[4:5], v[50:51], v[96:97]
	;; [unrolled: 2-line block ×8, first 2 shown]
	ds_load_b128 v[2:5], v41 offset:48
	ds_load_b128 v[46:49], v40 offset:1536
	;; [unrolled: 1-line block ×4, first 2 shown]
	v_fma_f64 v[118:119], v[74:75], v[78:79], -v[118:119]
	v_fma_f64 v[120:121], v[76:77], v[78:79], v[120:121]
	v_fma_f64 v[74:75], v[74:75], v[82:83], -v[122:123]
	v_fma_f64 v[76:77], v[76:77], v[82:83], v[124:125]
	;; [unrolled: 2-line block ×4, first 2 shown]
	s_wait_dscnt 0x2
	v_mul_f64_e32 v[108:109], v[2:3], v[48:49]
	s_wait_dscnt 0x1
	v_mul_f64_e32 v[110:111], v[4:5], v[52:53]
	v_mul_f64_e32 v[112:113], v[2:3], v[52:53]
	v_add_f64_e32 v[68:69], v[28:29], v[90:91]
	v_add_f64_e32 v[70:71], v[92:93], v[30:31]
	;; [unrolled: 1-line block ×8, first 2 shown]
	v_mul_f64_e32 v[100:101], v[4:5], v[48:49]
	s_wait_dscnt 0x0
	v_mul_f64_e32 v[114:115], v[56:57], v[48:49]
	v_mul_f64_e32 v[48:49], v[54:55], v[48:49]
	;; [unrolled: 1-line block ×4, first 2 shown]
	ds_load_b128 v[16:19], v41 offset:64
	ds_load_b128 v[20:23], v40 offset:2048
	;; [unrolled: 1-line block ×4, first 2 shown]
	s_wait_dscnt 0x1
	v_mul_f64_e32 v[124:125], v[16:17], v[26:27]
	s_wait_dscnt 0x0
	v_mul_f64_e32 v[126:127], v[30:31], v[22:23]
	v_mul_f64_e32 v[128:129], v[30:31], v[26:27]
	v_fma_f64 v[108:109], v[4:5], v[46:47], v[108:109]
	v_fma_f64 v[110:111], v[2:3], v[50:51], -v[110:111]
	v_fma_f64 v[112:113], v[4:5], v[50:51], v[112:113]
	v_add_f64_e32 v[84:85], v[68:69], v[102:103]
	v_add_f64_e32 v[86:87], v[104:105], v[70:71]
	;; [unrolled: 1-line block ×8, first 2 shown]
	v_mul_f64_e32 v[102:103], v[18:19], v[22:23]
	v_mul_f64_e32 v[104:105], v[16:17], v[22:23]
	;; [unrolled: 1-line block ×5, first 2 shown]
	v_fma_f64 v[100:101], v[2:3], v[46:47], -v[100:101]
	v_fma_f64 v[114:115], v[54:55], v[46:47], -v[114:115]
	v_fma_f64 v[130:131], v[56:57], v[46:47], v[48:49]
	v_fma_f64 v[116:117], v[54:55], v[50:51], -v[116:117]
	v_fma_f64 v[132:133], v[56:57], v[50:51], v[52:53]
	ds_load_b128 v[58:61], v41 offset:80
	ds_load_b128 v[62:65], v40 offset:2560
	;; [unrolled: 1-line block ×8, first 2 shown]
	v_add_f64_e32 v[84:85], v[84:85], v[118:119]
	v_add_f64_e32 v[86:87], v[120:121], v[86:87]
	;; [unrolled: 1-line block ×8, first 2 shown]
	s_wait_dscnt 0x6
	v_mul_f64_e32 v[90:91], v[60:61], v[64:65]
	v_mul_f64_e32 v[92:93], v[58:59], v[64:65]
	s_wait_dscnt 0x5
	v_mul_f64_e32 v[94:95], v[60:61], v[68:69]
	v_mul_f64_e32 v[96:97], v[58:59], v[68:69]
	;; [unrolled: 3-line block ×3, first 2 shown]
	v_mul_f64_e32 v[118:119], v[72:73], v[68:69]
	v_mul_f64_e32 v[68:69], v[70:71], v[68:69]
	v_fma_f64 v[102:103], v[16:17], v[20:21], -v[102:103]
	v_fma_f64 v[104:105], v[18:19], v[20:21], v[104:105]
	v_fma_f64 v[106:107], v[16:17], v[24:25], -v[106:107]
	v_fma_f64 v[120:121], v[18:19], v[24:25], v[124:125]
	;; [unrolled: 2-line block ×4, first 2 shown]
	ds_load_b128 v[16:19], v41 offset:112
	ds_load_b128 v[20:23], v40 offset:3584
	;; [unrolled: 1-line block ×4, first 2 shown]
	s_wait_loadcnt_dscnt 0x0
	s_barrier_signal -1
	s_barrier_wait -1
	global_inv scope:SCOPE_SE
	v_add_f64_e32 v[84:85], v[84:85], v[100:101]
	v_add_f64_e32 v[86:87], v[108:109], v[86:87]
	;; [unrolled: 1-line block ×8, first 2 shown]
	v_mul_f64_e32 v[100:101], v[4:5], v[48:49]
	v_mul_f64_e32 v[108:109], v[2:3], v[48:49]
	;; [unrolled: 1-line block ×8, first 2 shown]
	v_fma_f64 v[90:91], v[58:59], v[62:63], -v[90:91]
	v_fma_f64 v[92:93], v[60:61], v[62:63], v[92:93]
	v_fma_f64 v[58:59], v[58:59], v[66:67], -v[94:95]
	v_fma_f64 v[60:61], v[60:61], v[66:67], v[96:97]
	;; [unrolled: 2-line block ×4, first 2 shown]
	v_mul_f64_e32 v[96:97], v[16:17], v[26:27]
	v_mul_f64_e32 v[98:99], v[30:31], v[22:23]
	v_add_f64_e32 v[68:69], v[84:85], v[102:103]
	v_add_f64_e32 v[70:71], v[104:105], v[86:87]
	;; [unrolled: 1-line block ×8, first 2 shown]
	v_mul_f64_e32 v[84:85], v[18:19], v[22:23]
	v_mul_f64_e32 v[86:87], v[16:17], v[22:23]
	;; [unrolled: 1-line block ×6, first 2 shown]
	v_fma_f64 v[100:101], v[2:3], v[46:47], -v[100:101]
	v_fma_f64 v[104:105], v[4:5], v[46:47], v[108:109]
	v_fma_f64 v[2:3], v[2:3], v[50:51], -v[110:111]
	v_fma_f64 v[4:5], v[4:5], v[50:51], v[112:113]
	;; [unrolled: 2-line block ×4, first 2 shown]
	v_add_f64_e32 v[52:53], v[68:69], v[90:91]
	v_add_f64_e32 v[54:55], v[92:93], v[70:71]
	;; [unrolled: 1-line block ×8, first 2 shown]
	v_fma_f64 v[68:69], v[16:17], v[20:21], -v[84:85]
	v_fma_f64 v[70:71], v[18:19], v[20:21], v[86:87]
	v_fma_f64 v[16:17], v[16:17], v[24:25], -v[88:89]
	v_fma_f64 v[18:19], v[18:19], v[24:25], v[96:97]
	;; [unrolled: 2-line block ×4, first 2 shown]
	v_add_f64_e32 v[20:21], v[52:53], v[100:101]
	v_add_f64_e32 v[24:25], v[104:105], v[54:55]
	;; [unrolled: 1-line block ×16, first 2 shown]
	s_wait_alu 0xfffe
	s_cbranch_vccz .LBB272_19
.LBB272_10:                             ;   Parent Loop BB272_7 Depth=1
                                        ; =>  This Inner Loop Header: Depth=2
	s_mov_b32 s37, 0
	s_mov_b32 s39, s36
	s_and_saveexec_b32 s38, s0
	s_cbranch_execnz .LBB272_16
; %bb.11:                               ;   in Loop: Header=BB272_10 Depth=2
	s_wait_alu 0xfffe
	s_or_b32 exec_lo, exec_lo, s38
	s_and_saveexec_b32 s38, s39
	s_wait_alu 0xfffe
	s_xor_b32 s38, exec_lo, s38
	s_cbranch_execnz .LBB272_17
.LBB272_12:                             ;   in Loop: Header=BB272_10 Depth=2
	s_wait_alu 0xfffe
	s_or_b32 exec_lo, exec_lo, s38
	s_and_saveexec_b32 s38, s37
	s_cbranch_execz .LBB272_14
.LBB272_13:                             ;   in Loop: Header=BB272_10 Depth=2
	v_mul_lo_u32 v0, s13, v14
	v_mul_lo_u32 v4, s12, v15
	v_mad_co_u64_u32 v[2:3], null, s12, v14, 0
	s_delay_alu instid0(VALU_DEP_1) | instskip(NEXT) | instid1(VALU_DEP_1)
	v_add3_u32 v3, v3, v4, v0
	v_lshlrev_b64_e32 v[2:3], 4, v[2:3]
	s_delay_alu instid0(VALU_DEP_1) | instskip(SKIP_1) | instid1(VALU_DEP_2)
	v_add_co_u32 v2, vcc_lo, v42, v2
	s_wait_alu 0xfffd
	v_add_co_ci_u32_e64 v3, null, v43, v3, vcc_lo
	global_load_b128 v[2:5], v[2:3], off
	s_wait_loadcnt 0x0
	ds_store_2addr_b64 v34, v[2:3], v[4:5] offset1:1
.LBB272_14:                             ;   in Loop: Header=BB272_10 Depth=2
	s_wait_alu 0xfffe
	s_or_b32 exec_lo, exec_lo, s38
	v_add_nc_u32_e32 v0, s2, v32
	v_mov_b32_e32 v2, 0
	v_dual_mov_b32 v3, 0 :: v_dual_mov_b32 v4, 0
	v_mov_b32_e32 v5, 0
	s_delay_alu instid0(VALU_DEP_4)
	v_cmp_gt_u64_e32 vcc_lo, s[4:5], v[0:1]
	s_and_b32 s38, vcc_lo, s1
	s_wait_alu 0xfffe
	s_and_saveexec_b32 s37, s38
	s_cbranch_execz .LBB272_9
; %bb.15:                               ;   in Loop: Header=BB272_10 Depth=2
	v_mad_co_u64_u32 v[2:3], null, s18, v0, 0
	s_delay_alu instid0(VALU_DEP_1) | instskip(NEXT) | instid1(VALU_DEP_1)
	v_mad_co_u64_u32 v[3:4], null, s19, v0, v[3:4]
	v_lshlrev_b64_e32 v[2:3], 4, v[2:3]
	s_delay_alu instid0(VALU_DEP_1) | instskip(SKIP_1) | instid1(VALU_DEP_2)
	v_add_co_u32 v2, vcc_lo, v44, v2
	s_wait_alu 0xfffd
	v_add_co_ci_u32_e64 v3, null, v45, v3, vcc_lo
	global_load_b128 v[2:5], v[2:3], off
	s_wait_loadcnt 0x0
	v_xor_b32_e32 v5, 0x80000000, v5
	s_branch .LBB272_9
.LBB272_16:                             ;   in Loop: Header=BB272_10 Depth=2
	s_wait_alu 0xfffe
	v_add_nc_u32_e32 v0, s2, v33
	v_mov_b32_e32 v15, v1
	s_and_not1_b32 s39, s36, exec_lo
	s_mov_b32 s37, exec_lo
	s_delay_alu instid0(VALU_DEP_2)
	v_cmp_le_u64_e32 vcc_lo, s[4:5], v[0:1]
	v_mov_b32_e32 v14, v0
	s_and_b32 s40, vcc_lo, exec_lo
	s_wait_alu 0xfffe
	s_or_b32 s39, s39, s40
	s_or_b32 exec_lo, exec_lo, s38
	s_wait_alu 0xfffe
	s_and_saveexec_b32 s38, s39
	s_wait_alu 0xfffe
	s_xor_b32 s38, exec_lo, s38
	s_cbranch_execz .LBB272_12
.LBB272_17:                             ;   in Loop: Header=BB272_10 Depth=2
	v_dual_mov_b32 v0, v1 :: v_dual_mov_b32 v3, v1
	v_mov_b32_e32 v2, v1
	s_and_not1_b32 s37, s37, exec_lo
	ds_store_b128 v34, v[0:3]
	s_wait_alu 0xfffe
	s_or_b32 exec_lo, exec_lo, s38
	s_and_saveexec_b32 s38, s37
	s_cbranch_execnz .LBB272_13
	s_branch .LBB272_14
.LBB272_18:                             ;   in Loop: Header=BB272_7 Depth=1
	v_mov_b32_e32 v30, 0
	v_mov_b32_e32 v26, 0
	v_dual_mov_b32 v22, 0 :: v_dual_mov_b32 v31, 0
	v_dual_mov_b32 v24, 0 :: v_dual_mov_b32 v27, 0
	;; [unrolled: 1-line block ×3, first 2 shown]
	v_mov_b32_e32 v18, 0
	v_dual_mov_b32 v16, 0 :: v_dual_mov_b32 v25, 0
	v_mov_b32_e32 v21, 0
	v_mov_b32_e32 v19, 0
	;; [unrolled: 1-line block ×3, first 2 shown]
.LBB272_19:                             ;   in Loop: Header=BB272_7 Depth=1
	s_mul_u64 s[2:3], s[30:31], s[34:35]
	s_wait_alu 0xfffe
	s_lshl_b64 s[2:3], s[2:3], 4
	s_wait_alu 0xfffe
	s_add_nc_u64 s[2:3], s[26:27], s[2:3]
	s_wait_alu 0xfffe
	v_add_co_u32 v0, vcc_lo, s2, v10
	s_wait_alu 0xfffd
	v_add_co_ci_u32_e64 v42, null, s3, v11, vcc_lo
	s_and_saveexec_b32 s37, s11
	s_cbranch_execz .LBB272_24
; %bb.20:                               ;   in Loop: Header=BB272_7 Depth=1
	v_mul_f64_e32 v[2:3], s[8:9], v[30:31]
	v_mul_f64_e32 v[4:5], s[6:7], v[30:31]
	s_and_b32 vcc_lo, exec_lo, s10
	s_mov_b32 s38, -1
	s_delay_alu instid0(VALU_DEP_2) | instskip(NEXT) | instid1(VALU_DEP_2)
	v_fma_f64 v[2:3], s[6:7], v[28:29], -v[2:3]
	v_fma_f64 v[4:5], s[8:9], v[28:29], v[4:5]
	s_wait_alu 0xfffe
	s_cbranch_vccz .LBB272_22
; %bb.21:                               ;   in Loop: Header=BB272_7 Depth=1
	v_lshlrev_b64_e32 v[28:29], 4, v[6:7]
	s_mov_b32 s38, 0
	s_delay_alu instid0(VALU_DEP_1) | instskip(SKIP_1) | instid1(VALU_DEP_2)
	v_add_co_u32 v43, vcc_lo, v0, v28
	s_wait_alu 0xfffd
	v_add_co_ci_u32_e64 v44, null, v42, v29, vcc_lo
	global_load_b128 v[28:31], v[43:44], off
	s_wait_loadcnt 0x0
	v_mul_f64_e32 v[45:46], s[24:25], v[30:31]
	v_mul_f64_e32 v[30:31], s[22:23], v[30:31]
	s_delay_alu instid0(VALU_DEP_2) | instskip(NEXT) | instid1(VALU_DEP_2)
	v_fma_f64 v[45:46], s[22:23], v[28:29], -v[45:46]
	v_fma_f64 v[30:31], s[24:25], v[28:29], v[30:31]
	s_delay_alu instid0(VALU_DEP_2) | instskip(NEXT) | instid1(VALU_DEP_2)
	v_add_f64_e32 v[28:29], v[2:3], v[45:46]
	v_add_f64_e32 v[30:31], v[4:5], v[30:31]
	global_store_b128 v[43:44], v[28:31], off
.LBB272_22:                             ;   in Loop: Header=BB272_7 Depth=1
	s_wait_alu 0xfffe
	s_and_not1_b32 vcc_lo, exec_lo, s38
	s_wait_alu 0xfffe
	s_cbranch_vccnz .LBB272_24
; %bb.23:                               ;   in Loop: Header=BB272_7 Depth=1
	v_lshlrev_b64_e32 v[28:29], 4, v[6:7]
	s_delay_alu instid0(VALU_DEP_1) | instskip(SKIP_1) | instid1(VALU_DEP_2)
	v_add_co_u32 v28, vcc_lo, v0, v28
	s_wait_alu 0xfffd
	v_add_co_ci_u32_e64 v29, null, v42, v29, vcc_lo
	global_store_b128 v[28:29], v[2:5], off
.LBB272_24:                             ;   in Loop: Header=BB272_7 Depth=1
	s_wait_alu 0xfffe
	s_or_b32 exec_lo, exec_lo, s37
	s_and_saveexec_b32 s37, s16
	s_cbranch_execz .LBB272_29
; %bb.25:                               ;   in Loop: Header=BB272_7 Depth=1
	v_mul_f64_e32 v[2:3], s[8:9], v[26:27]
	v_mul_f64_e32 v[4:5], s[6:7], v[26:27]
	s_and_not1_b32 vcc_lo, exec_lo, s10
	s_mov_b32 s38, -1
	s_delay_alu instid0(VALU_DEP_2) | instskip(NEXT) | instid1(VALU_DEP_2)
	v_fma_f64 v[2:3], s[6:7], v[24:25], -v[2:3]
	v_fma_f64 v[4:5], s[8:9], v[24:25], v[4:5]
	s_wait_alu 0xfffe
	s_cbranch_vccnz .LBB272_27
; %bb.26:                               ;   in Loop: Header=BB272_7 Depth=1
	v_lshlrev_b64_e32 v[24:25], 4, v[8:9]
	s_mov_b32 s38, 0
	s_delay_alu instid0(VALU_DEP_1) | instskip(SKIP_1) | instid1(VALU_DEP_2)
	v_add_co_u32 v28, vcc_lo, v0, v24
	s_wait_alu 0xfffd
	v_add_co_ci_u32_e64 v29, null, v42, v25, vcc_lo
	global_load_b128 v[24:27], v[28:29], off
	s_wait_loadcnt 0x0
	v_mul_f64_e32 v[30:31], s[24:25], v[26:27]
	v_mul_f64_e32 v[26:27], s[22:23], v[26:27]
	s_delay_alu instid0(VALU_DEP_2) | instskip(NEXT) | instid1(VALU_DEP_2)
	v_fma_f64 v[30:31], s[22:23], v[24:25], -v[30:31]
	v_fma_f64 v[26:27], s[24:25], v[24:25], v[26:27]
	s_delay_alu instid0(VALU_DEP_2) | instskip(NEXT) | instid1(VALU_DEP_2)
	v_add_f64_e32 v[24:25], v[2:3], v[30:31]
	v_add_f64_e32 v[26:27], v[4:5], v[26:27]
	global_store_b128 v[28:29], v[24:27], off
.LBB272_27:                             ;   in Loop: Header=BB272_7 Depth=1
	s_wait_alu 0xfffe
	s_and_not1_b32 vcc_lo, exec_lo, s38
	s_wait_alu 0xfffe
	s_cbranch_vccnz .LBB272_29
; %bb.28:                               ;   in Loop: Header=BB272_7 Depth=1
	v_lshlrev_b64_e32 v[24:25], 4, v[8:9]
	s_delay_alu instid0(VALU_DEP_1) | instskip(SKIP_1) | instid1(VALU_DEP_2)
	v_add_co_u32 v24, vcc_lo, v0, v24
	s_wait_alu 0xfffd
	v_add_co_ci_u32_e64 v25, null, v42, v25, vcc_lo
	global_store_b128 v[24:25], v[2:5], off
.LBB272_29:                             ;   in Loop: Header=BB272_7 Depth=1
	s_wait_alu 0xfffe
	s_or_b32 exec_lo, exec_lo, s37
	v_add_co_u32 v0, vcc_lo, s2, v12
	s_wait_alu 0xfffd
	v_add_co_ci_u32_e64 v24, null, s3, v13, vcc_lo
	s_and_saveexec_b32 s2, s28
	s_cbranch_execz .LBB272_34
; %bb.30:                               ;   in Loop: Header=BB272_7 Depth=1
	v_mul_f64_e32 v[2:3], s[8:9], v[22:23]
	v_mul_f64_e32 v[4:5], s[6:7], v[22:23]
	s_and_not1_b32 vcc_lo, exec_lo, s10
	s_mov_b32 s3, -1
	s_delay_alu instid0(VALU_DEP_2) | instskip(NEXT) | instid1(VALU_DEP_2)
	v_fma_f64 v[2:3], s[6:7], v[20:21], -v[2:3]
	v_fma_f64 v[4:5], s[8:9], v[20:21], v[4:5]
	v_lshlrev_b64_e32 v[20:21], 4, v[6:7]
	s_wait_alu 0xfffe
	s_cbranch_vccnz .LBB272_32
; %bb.31:                               ;   in Loop: Header=BB272_7 Depth=1
	s_delay_alu instid0(VALU_DEP_1) | instskip(SKIP_1) | instid1(VALU_DEP_2)
	v_add_co_u32 v22, vcc_lo, v0, v20
	s_wait_alu 0xfffd
	v_add_co_ci_u32_e64 v23, null, v24, v21, vcc_lo
	s_mov_b32 s3, 0
	global_load_b128 v[25:28], v[22:23], off
	s_wait_loadcnt 0x0
	v_mul_f64_e32 v[29:30], s[24:25], v[27:28]
	v_mul_f64_e32 v[27:28], s[22:23], v[27:28]
	s_delay_alu instid0(VALU_DEP_2) | instskip(NEXT) | instid1(VALU_DEP_2)
	v_fma_f64 v[29:30], s[22:23], v[25:26], -v[29:30]
	v_fma_f64 v[27:28], s[24:25], v[25:26], v[27:28]
	s_delay_alu instid0(VALU_DEP_2) | instskip(NEXT) | instid1(VALU_DEP_2)
	v_add_f64_e32 v[25:26], v[2:3], v[29:30]
	v_add_f64_e32 v[27:28], v[4:5], v[27:28]
	global_store_b128 v[22:23], v[25:28], off
.LBB272_32:                             ;   in Loop: Header=BB272_7 Depth=1
	s_wait_alu 0xfffe
	s_and_not1_b32 vcc_lo, exec_lo, s3
	s_wait_alu 0xfffe
	s_cbranch_vccnz .LBB272_34
; %bb.33:                               ;   in Loop: Header=BB272_7 Depth=1
	v_add_co_u32 v20, vcc_lo, v0, v20
	s_wait_alu 0xfffd
	v_add_co_ci_u32_e64 v21, null, v24, v21, vcc_lo
	global_store_b128 v[20:21], v[2:5], off
.LBB272_34:                             ;   in Loop: Header=BB272_7 Depth=1
	s_wait_alu 0xfffe
	s_or_b32 exec_lo, exec_lo, s2
	s_and_saveexec_b32 s2, s29
	s_cbranch_execz .LBB272_6
; %bb.35:                               ;   in Loop: Header=BB272_7 Depth=1
	v_mul_f64_e32 v[2:3], s[8:9], v[16:17]
	v_mul_f64_e32 v[4:5], s[6:7], v[16:17]
	v_lshlrev_b64_e32 v[16:17], 4, v[8:9]
	s_and_not1_b32 vcc_lo, exec_lo, s10
	s_mov_b32 s3, -1
	s_delay_alu instid0(VALU_DEP_3) | instskip(NEXT) | instid1(VALU_DEP_3)
	v_fma_f64 v[2:3], s[6:7], v[18:19], -v[2:3]
	v_fma_f64 v[4:5], s[8:9], v[18:19], v[4:5]
	s_wait_alu 0xfffe
	s_cbranch_vccnz .LBB272_37
; %bb.36:                               ;   in Loop: Header=BB272_7 Depth=1
	v_add_co_u32 v22, vcc_lo, v0, v16
	s_wait_alu 0xfffd
	v_add_co_ci_u32_e64 v23, null, v24, v17, vcc_lo
	s_mov_b32 s3, 0
	global_load_b128 v[18:21], v[22:23], off
	s_wait_loadcnt 0x0
	v_mul_f64_e32 v[25:26], s[24:25], v[20:21]
	v_mul_f64_e32 v[20:21], s[22:23], v[20:21]
	s_delay_alu instid0(VALU_DEP_2) | instskip(NEXT) | instid1(VALU_DEP_2)
	v_fma_f64 v[25:26], s[22:23], v[18:19], -v[25:26]
	v_fma_f64 v[20:21], s[24:25], v[18:19], v[20:21]
	s_delay_alu instid0(VALU_DEP_2) | instskip(NEXT) | instid1(VALU_DEP_2)
	v_add_f64_e32 v[18:19], v[2:3], v[25:26]
	v_add_f64_e32 v[20:21], v[4:5], v[20:21]
	global_store_b128 v[22:23], v[18:21], off
.LBB272_37:                             ;   in Loop: Header=BB272_7 Depth=1
	s_wait_alu 0xfffe
	s_and_not1_b32 vcc_lo, exec_lo, s3
	s_wait_alu 0xfffe
	s_cbranch_vccnz .LBB272_6
; %bb.38:                               ;   in Loop: Header=BB272_7 Depth=1
	v_add_co_u32 v16, vcc_lo, v0, v16
	s_wait_alu 0xfffd
	v_add_co_ci_u32_e64 v17, null, v24, v17, vcc_lo
	global_store_b128 v[16:17], v[2:5], off
	s_branch .LBB272_6
.LBB272_39:
.LBB272_40:
	s_nop 0
	s_sendmsg sendmsg(MSG_DEALLOC_VGPRS)
	s_endpgm
	.section	.rodata,"a",@progbits
	.p2align	6, 0x0
	.amdhsa_kernel _ZL29rocblas_internal_gemmt_kernelIlLi16ELi32ELi8ELc78ELc67ELc85ELb0ELb1E19rocblas_complex_numIdES1_PKS1_PS1_EviT_T9_T10_S5_lS7_S5_lS6_T11_S5_li
		.amdhsa_group_segment_fixed_size 8192
		.amdhsa_private_segment_fixed_size 0
		.amdhsa_kernarg_size 124
		.amdhsa_user_sgpr_count 2
		.amdhsa_user_sgpr_dispatch_ptr 0
		.amdhsa_user_sgpr_queue_ptr 0
		.amdhsa_user_sgpr_kernarg_segment_ptr 1
		.amdhsa_user_sgpr_dispatch_id 0
		.amdhsa_user_sgpr_private_segment_size 0
		.amdhsa_wavefront_size32 1
		.amdhsa_uses_dynamic_stack 0
		.amdhsa_enable_private_segment 0
		.amdhsa_system_sgpr_workgroup_id_x 1
		.amdhsa_system_sgpr_workgroup_id_y 1
		.amdhsa_system_sgpr_workgroup_id_z 1
		.amdhsa_system_sgpr_workgroup_info 0
		.amdhsa_system_vgpr_workitem_id 1
		.amdhsa_next_free_vgpr 134
		.amdhsa_next_free_sgpr 41
		.amdhsa_reserve_vcc 1
		.amdhsa_float_round_mode_32 0
		.amdhsa_float_round_mode_16_64 0
		.amdhsa_float_denorm_mode_32 3
		.amdhsa_float_denorm_mode_16_64 3
		.amdhsa_fp16_overflow 0
		.amdhsa_workgroup_processor_mode 1
		.amdhsa_memory_ordered 1
		.amdhsa_forward_progress 1
		.amdhsa_inst_pref_size 28
		.amdhsa_round_robin_scheduling 0
		.amdhsa_exception_fp_ieee_invalid_op 0
		.amdhsa_exception_fp_denorm_src 0
		.amdhsa_exception_fp_ieee_div_zero 0
		.amdhsa_exception_fp_ieee_overflow 0
		.amdhsa_exception_fp_ieee_underflow 0
		.amdhsa_exception_fp_ieee_inexact 0
		.amdhsa_exception_int_div_zero 0
	.end_amdhsa_kernel
	.section	.text._ZL29rocblas_internal_gemmt_kernelIlLi16ELi32ELi8ELc78ELc67ELc85ELb0ELb1E19rocblas_complex_numIdES1_PKS1_PS1_EviT_T9_T10_S5_lS7_S5_lS6_T11_S5_li,"axG",@progbits,_ZL29rocblas_internal_gemmt_kernelIlLi16ELi32ELi8ELc78ELc67ELc85ELb0ELb1E19rocblas_complex_numIdES1_PKS1_PS1_EviT_T9_T10_S5_lS7_S5_lS6_T11_S5_li,comdat
.Lfunc_end272:
	.size	_ZL29rocblas_internal_gemmt_kernelIlLi16ELi32ELi8ELc78ELc67ELc85ELb0ELb1E19rocblas_complex_numIdES1_PKS1_PS1_EviT_T9_T10_S5_lS7_S5_lS6_T11_S5_li, .Lfunc_end272-_ZL29rocblas_internal_gemmt_kernelIlLi16ELi32ELi8ELc78ELc67ELc85ELb0ELb1E19rocblas_complex_numIdES1_PKS1_PS1_EviT_T9_T10_S5_lS7_S5_lS6_T11_S5_li
                                        ; -- End function
	.set _ZL29rocblas_internal_gemmt_kernelIlLi16ELi32ELi8ELc78ELc67ELc85ELb0ELb1E19rocblas_complex_numIdES1_PKS1_PS1_EviT_T9_T10_S5_lS7_S5_lS6_T11_S5_li.num_vgpr, 134
	.set _ZL29rocblas_internal_gemmt_kernelIlLi16ELi32ELi8ELc78ELc67ELc85ELb0ELb1E19rocblas_complex_numIdES1_PKS1_PS1_EviT_T9_T10_S5_lS7_S5_lS6_T11_S5_li.num_agpr, 0
	.set _ZL29rocblas_internal_gemmt_kernelIlLi16ELi32ELi8ELc78ELc67ELc85ELb0ELb1E19rocblas_complex_numIdES1_PKS1_PS1_EviT_T9_T10_S5_lS7_S5_lS6_T11_S5_li.numbered_sgpr, 41
	.set _ZL29rocblas_internal_gemmt_kernelIlLi16ELi32ELi8ELc78ELc67ELc85ELb0ELb1E19rocblas_complex_numIdES1_PKS1_PS1_EviT_T9_T10_S5_lS7_S5_lS6_T11_S5_li.num_named_barrier, 0
	.set _ZL29rocblas_internal_gemmt_kernelIlLi16ELi32ELi8ELc78ELc67ELc85ELb0ELb1E19rocblas_complex_numIdES1_PKS1_PS1_EviT_T9_T10_S5_lS7_S5_lS6_T11_S5_li.private_seg_size, 0
	.set _ZL29rocblas_internal_gemmt_kernelIlLi16ELi32ELi8ELc78ELc67ELc85ELb0ELb1E19rocblas_complex_numIdES1_PKS1_PS1_EviT_T9_T10_S5_lS7_S5_lS6_T11_S5_li.uses_vcc, 1
	.set _ZL29rocblas_internal_gemmt_kernelIlLi16ELi32ELi8ELc78ELc67ELc85ELb0ELb1E19rocblas_complex_numIdES1_PKS1_PS1_EviT_T9_T10_S5_lS7_S5_lS6_T11_S5_li.uses_flat_scratch, 0
	.set _ZL29rocblas_internal_gemmt_kernelIlLi16ELi32ELi8ELc78ELc67ELc85ELb0ELb1E19rocblas_complex_numIdES1_PKS1_PS1_EviT_T9_T10_S5_lS7_S5_lS6_T11_S5_li.has_dyn_sized_stack, 0
	.set _ZL29rocblas_internal_gemmt_kernelIlLi16ELi32ELi8ELc78ELc67ELc85ELb0ELb1E19rocblas_complex_numIdES1_PKS1_PS1_EviT_T9_T10_S5_lS7_S5_lS6_T11_S5_li.has_recursion, 0
	.set _ZL29rocblas_internal_gemmt_kernelIlLi16ELi32ELi8ELc78ELc67ELc85ELb0ELb1E19rocblas_complex_numIdES1_PKS1_PS1_EviT_T9_T10_S5_lS7_S5_lS6_T11_S5_li.has_indirect_call, 0
	.section	.AMDGPU.csdata,"",@progbits
; Kernel info:
; codeLenInByte = 3520
; TotalNumSgprs: 43
; NumVgprs: 134
; ScratchSize: 0
; MemoryBound: 1
; FloatMode: 240
; IeeeMode: 1
; LDSByteSize: 8192 bytes/workgroup (compile time only)
; SGPRBlocks: 0
; VGPRBlocks: 16
; NumSGPRsForWavesPerEU: 43
; NumVGPRsForWavesPerEU: 134
; Occupancy: 10
; WaveLimiterHint : 0
; COMPUTE_PGM_RSRC2:SCRATCH_EN: 0
; COMPUTE_PGM_RSRC2:USER_SGPR: 2
; COMPUTE_PGM_RSRC2:TRAP_HANDLER: 0
; COMPUTE_PGM_RSRC2:TGID_X_EN: 1
; COMPUTE_PGM_RSRC2:TGID_Y_EN: 1
; COMPUTE_PGM_RSRC2:TGID_Z_EN: 1
; COMPUTE_PGM_RSRC2:TIDIG_COMP_CNT: 1
	.section	.text._ZL29rocblas_internal_gemmt_kernelIlLi16ELi32ELi8ELc84ELc78ELc85ELb0ELb0E19rocblas_complex_numIdES1_PKS1_PS1_EviT_T9_T10_S5_lS7_S5_lS6_T11_S5_li,"axG",@progbits,_ZL29rocblas_internal_gemmt_kernelIlLi16ELi32ELi8ELc84ELc78ELc85ELb0ELb0E19rocblas_complex_numIdES1_PKS1_PS1_EviT_T9_T10_S5_lS7_S5_lS6_T11_S5_li,comdat
	.globl	_ZL29rocblas_internal_gemmt_kernelIlLi16ELi32ELi8ELc84ELc78ELc85ELb0ELb0E19rocblas_complex_numIdES1_PKS1_PS1_EviT_T9_T10_S5_lS7_S5_lS6_T11_S5_li ; -- Begin function _ZL29rocblas_internal_gemmt_kernelIlLi16ELi32ELi8ELc84ELc78ELc85ELb0ELb0E19rocblas_complex_numIdES1_PKS1_PS1_EviT_T9_T10_S5_lS7_S5_lS6_T11_S5_li
	.p2align	8
	.type	_ZL29rocblas_internal_gemmt_kernelIlLi16ELi32ELi8ELc84ELc78ELc85ELb0ELb0E19rocblas_complex_numIdES1_PKS1_PS1_EviT_T9_T10_S5_lS7_S5_lS6_T11_S5_li,@function
_ZL29rocblas_internal_gemmt_kernelIlLi16ELi32ELi8ELc84ELc78ELc85ELb0ELb0E19rocblas_complex_numIdES1_PKS1_PS1_EviT_T9_T10_S5_lS7_S5_lS6_T11_S5_li: ; @_ZL29rocblas_internal_gemmt_kernelIlLi16ELi32ELi8ELc84ELc78ELc85ELb0ELb0E19rocblas_complex_numIdES1_PKS1_PS1_EviT_T9_T10_S5_lS7_S5_lS6_T11_S5_li
; %bb.0:
	s_clause 0x1
	s_load_b256 s[24:31], s[0:1], 0x48
	s_load_b512 s[8:23], s[0:1], 0x8
	s_wait_kmcnt 0x0
	v_cmp_eq_f64_e64 s3, s[26:27], 1.0
	v_cmp_eq_f64_e64 s2, s[28:29], 0
	s_and_b32 s3, s3, s2
	s_delay_alu instid0(SALU_CYCLE_1)
	s_and_not1_b32 vcc_lo, exec_lo, s3
	s_mov_b32 s3, -1
	s_cbranch_vccnz .LBB273_3
; %bb.1:
	s_cmp_lg_u64 s[8:9], 0
	s_cbranch_scc0 .LBB273_41
; %bb.2:
	v_cmp_neq_f64_e64 s3, s[10:11], 0
	v_cmp_neq_f64_e64 s4, s[12:13], 0
	s_or_b32 s3, s3, s4
.LBB273_3:
	s_delay_alu instid0(SALU_CYCLE_1)
	s_and_b32 vcc_lo, exec_lo, s3
	s_cbranch_vccz .LBB273_42
; %bb.4:
	s_load_b32 s33, s[0:1], 0x78
	s_lshr_b32 s34, ttmp7, 16
	s_wait_kmcnt 0x0
	s_cmp_ge_u32 s34, s33
	s_cbranch_scc1 .LBB273_42
; %bb.5:
	v_and_b32_e32 v6, 0x3ff, v0
	v_bfe_u32 v7, v0, 10, 10
	s_lshl_b32 s36, ttmp7, 5
	s_clause 0x1
	s_load_b128 s[4:7], s[0:1], 0x68
	s_load_b32 s37, s[0:1], 0x0
	s_and_b32 s0, s36, 0x1fffe0
	s_lshl_b32 s36, ttmp9, 5
	v_lshl_add_u32 v2, v7, 4, v6
	v_and_b32_e32 v30, 7, v0
	v_cmp_neq_f64_e64 s3, s[10:11], 0
	v_cmp_neq_f64_e64 s35, s[12:13], 0
	;; [unrolled: 1-line block ×3, first 2 shown]
	v_lshrrev_b32_e32 v8, 3, v2
	v_and_b32_e32 v4, 31, v2
	v_lshrrev_b32_e32 v31, 5, v2
	v_lshlrev_b32_e32 v11, 4, v30
	s_ashr_i32 s1, s36, 31
	v_add_nc_u32_e32 v9, s0, v8
	v_or_b32_e32 v10, s36, v4
	v_lshlrev_b32_e32 v15, 4, v4
	s_mul_i32 s1, s16, s1
	v_add_nc_u32_e32 v12, s0, v7
	v_mad_co_u64_u32 v[0:1], null, s22, v9, 0
	v_mad_co_u64_u32 v[2:3], null, s16, v10, 0
	v_mul_lo_u32 v13, s17, v10
	s_delay_alu instid0(VALU_DEP_4)
	v_add_nc_u32_e32 v14, 16, v12
	v_cmp_gt_i64_e64 s38, s[8:9], 0
	s_wait_kmcnt 0x0
	v_cmp_gt_i32_e64 s0, s37, v10
	v_cmp_le_i32_e64 s16, s37, v10
	v_lshl_or_b32 v32, v31, 9, v15
	v_mad_co_u64_u32 v[4:5], null, s23, v9, v[1:2]
	v_lshl_or_b32 v1, v8, 7, v11
	s_wait_alu 0xfffe
	v_add3_u32 v3, v3, s1, v13
	v_lshl_add_u32 v39, v7, 7, 0x1000
	s_delay_alu instid0(VALU_DEP_3) | instskip(SKIP_1) | instid1(VALU_DEP_4)
	v_add_nc_u32_e32 v33, 0x1000, v1
	v_mov_b32_e32 v1, v4
	v_lshlrev_b64_e32 v[2:3], 4, v[2:3]
	v_mad_co_u64_u32 v[4:5], null, s4, v12, 0
	v_lshlrev_b32_e32 v38, 4, v6
	s_delay_alu instid0(VALU_DEP_4) | instskip(SKIP_4) | instid1(VALU_DEP_4)
	v_lshlrev_b64_e32 v[0:1], 4, v[0:1]
	v_add_nc_u32_e32 v6, s36, v6
	v_add_co_u32 v34, s1, s14, v2
	s_wait_alu 0xf1ff
	v_add_co_ci_u32_e64 v35, null, s15, v3, s1
	v_add_co_u32 v36, s1, s20, v0
	v_mov_b32_e32 v0, v5
	v_mad_co_u64_u32 v[2:3], null, s4, v14, 0
	s_wait_alu 0xf1ff
	v_add_co_ci_u32_e64 v37, null, s21, v1, s1
	s_delay_alu instid0(VALU_DEP_3) | instskip(SKIP_2) | instid1(VALU_DEP_4)
	v_mad_co_u64_u32 v[0:1], null, s5, v12, v[0:1]
	v_add_nc_u32_e32 v8, 16, v6
	s_xor_b32 s1, s2, -1
	v_mov_b32_e32 v1, v3
	s_or_b32 s17, s3, s35
	s_wait_alu 0xfffe
	s_or_b32 s14, s39, s1
	v_cmp_gt_i32_e32 vcc_lo, s37, v9
	v_mov_b32_e32 v5, v0
	v_mad_co_u64_u32 v[0:1], null, s5, v14, v[1:2]
	v_mov_b32_e32 v1, 0
	v_cmp_le_i32_e64 s4, v6, v14
	s_delay_alu instid0(VALU_DEP_4)
	v_lshlrev_b64_e32 v[10:11], 4, v[4:5]
	v_ashrrev_i32_e32 v7, 31, v6
	v_ashrrev_i32_e32 v9, 31, v8
	s_and_b32 s17, s17, s38
	v_mov_b32_e32 v3, v0
	v_cmp_gt_i32_e64 s1, s37, v12
	v_cmp_le_i32_e64 s2, v6, v12
	v_cmp_le_i32_e64 s3, v8, v12
	s_mov_b32 s35, 0
	v_lshlrev_b64_e32 v[12:13], 4, v[2:3]
	s_xor_b32 s20, vcc_lo, -1
	s_and_b32 s5, s1, s2
	v_cmp_gt_i32_e64 s2, s37, v14
	s_and_b32 s15, s1, s3
	v_cmp_le_i32_e64 s1, v8, v14
                                        ; implicit-def: $vgpr14_vgpr15
	s_and_b32 s4, s2, s4
	s_and_b32 s1, s2, s1
	s_branch .LBB273_7
.LBB273_6:                              ;   in Loop: Header=BB273_7 Depth=1
	s_wait_alu 0xfffe
	s_or_b32 exec_lo, exec_lo, s2
	s_add_co_i32 s34, s34, 0x10000
	s_delay_alu instid0(SALU_CYCLE_1)
	s_cmp_lt_u32 s34, s33
	s_cbranch_scc0 .LBB273_42
.LBB273_7:                              ; =>This Loop Header: Depth=1
                                        ;     Child Loop BB273_10 Depth 2
	v_mov_b32_e32 v4, 0
	v_mov_b32_e32 v5, 0
	s_wait_alu 0xfffe
	s_and_not1_b32 vcc_lo, exec_lo, s17
	s_wait_alu 0xfffe
	s_cbranch_vccnz .LBB273_20
; %bb.8:                                ;   in Loop: Header=BB273_7 Depth=1
	s_mul_u64 s[2:3], s[18:19], s[34:35]
	s_mul_u64 s[22:23], s[24:25], s[34:35]
	s_wait_alu 0xfffe
	s_lshl_b64 s[2:3], s[2:3], 4
	v_mov_b32_e32 v16, 0
	s_wait_alu 0xfffe
	v_add_co_u32 v40, vcc_lo, v34, s2
	s_wait_alu 0xfffd
	v_add_co_ci_u32_e64 v41, null, s3, v35, vcc_lo
	s_lshl_b64 s[2:3], s[22:23], 4
	v_mov_b32_e32 v22, 0
	v_mov_b32_e32 v26, 0
	;; [unrolled: 1-line block ×3, first 2 shown]
	s_wait_alu 0xfffe
	v_add_co_u32 v42, vcc_lo, v36, s2
	v_dual_mov_b32 v17, 0 :: v_dual_mov_b32 v18, 0
	v_dual_mov_b32 v23, 0 :: v_dual_mov_b32 v20, 0
	;; [unrolled: 1-line block ×4, first 2 shown]
	v_mov_b32_e32 v19, 0
	v_mov_b32_e32 v21, 0
	;; [unrolled: 1-line block ×4, first 2 shown]
	s_wait_alu 0xfffd
	v_add_co_ci_u32_e64 v43, null, s3, v37, vcc_lo
	s_mov_b64 s[2:3], 0
	s_branch .LBB273_10
.LBB273_9:                              ;   in Loop: Header=BB273_10 Depth=2
	s_wait_alu 0xfffe
	s_or_b32 exec_lo, exec_lo, s21
	s_wait_dscnt 0x0
	s_barrier_signal -1
	s_barrier_wait -1
	global_inv scope:SCOPE_SE
	ds_load_b128 v[44:47], v39
	ds_load_b128 v[48:51], v39 offset:16
	ds_load_b128 v[52:55], v39 offset:32
	;; [unrolled: 1-line block ×3, first 2 shown]
	ds_load_b128 v[60:63], v38
	s_add_nc_u64 s[2:3], s[2:3], 8
	s_wait_alu 0xfffe
	v_cmp_gt_i64_e64 s21, s[8:9], s[2:3]
	s_and_b32 vcc_lo, exec_lo, s21
	s_wait_dscnt 0x0
	v_mul_f64_e32 v[2:3], v[46:47], v[62:63]
	v_mul_f64_e32 v[64:65], v[44:45], v[62:63]
	s_delay_alu instid0(VALU_DEP_2) | instskip(NEXT) | instid1(VALU_DEP_2)
	v_fma_f64 v[2:3], v[44:45], v[60:61], -v[2:3]
	v_fma_f64 v[64:65], v[46:47], v[60:61], v[64:65]
	s_delay_alu instid0(VALU_DEP_2) | instskip(SKIP_4) | instid1(VALU_DEP_1)
	v_add_f64_e32 v[66:67], v[4:5], v[2:3]
	ds_load_b128 v[2:5], v38 offset:256
	v_add_f64_e32 v[28:29], v[64:65], v[28:29]
	s_wait_dscnt 0x0
	v_mul_f64_e32 v[64:65], v[46:47], v[4:5]
	v_fma_f64 v[64:65], v[44:45], v[2:3], -v[64:65]
	v_mul_f64_e32 v[44:45], v[44:45], v[4:5]
	s_delay_alu instid0(VALU_DEP_1) | instskip(NEXT) | instid1(VALU_DEP_3)
	v_fma_f64 v[44:45], v[46:47], v[2:3], v[44:45]
	v_add_f64_e32 v[46:47], v[24:25], v[64:65]
	s_delay_alu instid0(VALU_DEP_2) | instskip(SKIP_4) | instid1(VALU_DEP_2)
	v_add_f64_e32 v[44:45], v[44:45], v[26:27]
	ds_load_b128 v[24:27], v39 offset:2048
	s_wait_dscnt 0x0
	v_mul_f64_e32 v[64:65], v[26:27], v[62:63]
	v_mul_f64_e32 v[62:63], v[24:25], v[62:63]
	v_fma_f64 v[64:65], v[24:25], v[60:61], -v[64:65]
	s_delay_alu instid0(VALU_DEP_2) | instskip(NEXT) | instid1(VALU_DEP_2)
	v_fma_f64 v[60:61], v[26:27], v[60:61], v[62:63]
	v_add_f64_e32 v[62:63], v[20:21], v[64:65]
	v_mul_f64_e32 v[20:21], v[26:27], v[4:5]
	v_mul_f64_e32 v[4:5], v[24:25], v[4:5]
	s_delay_alu instid0(VALU_DEP_4) | instskip(NEXT) | instid1(VALU_DEP_3)
	v_add_f64_e32 v[60:61], v[60:61], v[22:23]
	v_fma_f64 v[20:21], v[24:25], v[2:3], -v[20:21]
	s_delay_alu instid0(VALU_DEP_3) | instskip(NEXT) | instid1(VALU_DEP_2)
	v_fma_f64 v[2:3], v[26:27], v[2:3], v[4:5]
	v_add_f64_e32 v[24:25], v[18:19], v[20:21]
	s_delay_alu instid0(VALU_DEP_2) | instskip(SKIP_4) | instid1(VALU_DEP_2)
	v_add_f64_e32 v[26:27], v[2:3], v[16:17]
	ds_load_b128 v[2:5], v38 offset:512
	s_wait_dscnt 0x0
	v_mul_f64_e32 v[16:17], v[50:51], v[4:5]
	v_mul_f64_e32 v[18:19], v[48:49], v[4:5]
	v_fma_f64 v[16:17], v[48:49], v[2:3], -v[16:17]
	s_delay_alu instid0(VALU_DEP_2) | instskip(NEXT) | instid1(VALU_DEP_2)
	v_fma_f64 v[18:19], v[50:51], v[2:3], v[18:19]
	v_add_f64_e32 v[64:65], v[66:67], v[16:17]
	s_delay_alu instid0(VALU_DEP_2) | instskip(SKIP_4) | instid1(VALU_DEP_2)
	v_add_f64_e32 v[28:29], v[18:19], v[28:29]
	ds_load_b128 v[16:19], v38 offset:768
	s_wait_dscnt 0x0
	v_mul_f64_e32 v[20:21], v[50:51], v[18:19]
	v_mul_f64_e32 v[22:23], v[48:49], v[18:19]
	v_fma_f64 v[20:21], v[48:49], v[16:17], -v[20:21]
	s_delay_alu instid0(VALU_DEP_2) | instskip(NEXT) | instid1(VALU_DEP_2)
	v_fma_f64 v[22:23], v[50:51], v[16:17], v[22:23]
	v_add_f64_e32 v[46:47], v[46:47], v[20:21]
	s_delay_alu instid0(VALU_DEP_2) | instskip(SKIP_4) | instid1(VALU_DEP_2)
	v_add_f64_e32 v[44:45], v[22:23], v[44:45]
	ds_load_b128 v[20:23], v39 offset:2064
	s_wait_dscnt 0x0
	v_mul_f64_e32 v[48:49], v[22:23], v[4:5]
	v_mul_f64_e32 v[4:5], v[20:21], v[4:5]
	v_fma_f64 v[48:49], v[20:21], v[2:3], -v[48:49]
	s_delay_alu instid0(VALU_DEP_2) | instskip(SKIP_1) | instid1(VALU_DEP_3)
	v_fma_f64 v[2:3], v[22:23], v[2:3], v[4:5]
	v_mul_f64_e32 v[4:5], v[20:21], v[18:19]
	v_add_f64_e32 v[48:49], v[62:63], v[48:49]
	s_delay_alu instid0(VALU_DEP_3) | instskip(SKIP_1) | instid1(VALU_DEP_4)
	v_add_f64_e32 v[50:51], v[2:3], v[60:61]
	v_mul_f64_e32 v[2:3], v[22:23], v[18:19]
	v_fma_f64 v[4:5], v[22:23], v[16:17], v[4:5]
	s_delay_alu instid0(VALU_DEP_2) | instskip(NEXT) | instid1(VALU_DEP_2)
	v_fma_f64 v[2:3], v[20:21], v[16:17], -v[2:3]
	v_add_f64_e32 v[26:27], v[4:5], v[26:27]
	s_delay_alu instid0(VALU_DEP_2) | instskip(SKIP_4) | instid1(VALU_DEP_2)
	v_add_f64_e32 v[24:25], v[24:25], v[2:3]
	ds_load_b128 v[2:5], v38 offset:1024
	s_wait_dscnt 0x0
	v_mul_f64_e32 v[16:17], v[54:55], v[4:5]
	v_mul_f64_e32 v[18:19], v[52:53], v[4:5]
	v_fma_f64 v[16:17], v[52:53], v[2:3], -v[16:17]
	s_delay_alu instid0(VALU_DEP_2) | instskip(NEXT) | instid1(VALU_DEP_2)
	v_fma_f64 v[18:19], v[54:55], v[2:3], v[18:19]
	v_add_f64_e32 v[60:61], v[64:65], v[16:17]
	s_delay_alu instid0(VALU_DEP_2) | instskip(SKIP_4) | instid1(VALU_DEP_2)
	v_add_f64_e32 v[28:29], v[18:19], v[28:29]
	ds_load_b128 v[16:19], v38 offset:1280
	s_wait_dscnt 0x0
	v_mul_f64_e32 v[20:21], v[54:55], v[18:19]
	v_mul_f64_e32 v[22:23], v[52:53], v[18:19]
	v_fma_f64 v[20:21], v[52:53], v[16:17], -v[20:21]
	s_delay_alu instid0(VALU_DEP_2) | instskip(NEXT) | instid1(VALU_DEP_2)
	v_fma_f64 v[22:23], v[54:55], v[16:17], v[22:23]
	v_add_f64_e32 v[46:47], v[46:47], v[20:21]
	s_delay_alu instid0(VALU_DEP_2) | instskip(SKIP_4) | instid1(VALU_DEP_2)
	v_add_f64_e32 v[44:45], v[22:23], v[44:45]
	ds_load_b128 v[20:23], v39 offset:2080
	s_wait_dscnt 0x0
	v_mul_f64_e32 v[52:53], v[22:23], v[4:5]
	v_mul_f64_e32 v[4:5], v[20:21], v[4:5]
	v_fma_f64 v[52:53], v[20:21], v[2:3], -v[52:53]
	s_delay_alu instid0(VALU_DEP_2) | instskip(SKIP_1) | instid1(VALU_DEP_3)
	v_fma_f64 v[2:3], v[22:23], v[2:3], v[4:5]
	v_mul_f64_e32 v[4:5], v[20:21], v[18:19]
	v_add_f64_e32 v[48:49], v[48:49], v[52:53]
	s_delay_alu instid0(VALU_DEP_3) | instskip(SKIP_1) | instid1(VALU_DEP_4)
	v_add_f64_e32 v[50:51], v[2:3], v[50:51]
	v_mul_f64_e32 v[2:3], v[22:23], v[18:19]
	v_fma_f64 v[4:5], v[22:23], v[16:17], v[4:5]
	s_delay_alu instid0(VALU_DEP_2) | instskip(NEXT) | instid1(VALU_DEP_2)
	v_fma_f64 v[2:3], v[20:21], v[16:17], -v[2:3]
	;; [unrolled: 38-line block ×3, first 2 shown]
	v_add_f64_e32 v[26:27], v[4:5], v[26:27]
	s_delay_alu instid0(VALU_DEP_2)
	v_add_f64_e32 v[24:25], v[24:25], v[2:3]
	ds_load_b128 v[2:5], v39 offset:64
	ds_load_b128 v[16:19], v38 offset:2048
	s_wait_dscnt 0x0
	v_mul_f64_e32 v[20:21], v[4:5], v[18:19]
	v_mul_f64_e32 v[22:23], v[2:3], v[18:19]
	s_delay_alu instid0(VALU_DEP_2) | instskip(NEXT) | instid1(VALU_DEP_2)
	v_fma_f64 v[20:21], v[2:3], v[16:17], -v[20:21]
	v_fma_f64 v[22:23], v[4:5], v[16:17], v[22:23]
	s_delay_alu instid0(VALU_DEP_2) | instskip(NEXT) | instid1(VALU_DEP_2)
	v_add_f64_e32 v[52:53], v[52:53], v[20:21]
	v_add_f64_e32 v[28:29], v[22:23], v[28:29]
	ds_load_b128 v[20:23], v38 offset:2304
	s_wait_dscnt 0x0
	v_mul_f64_e32 v[54:55], v[4:5], v[22:23]
	s_delay_alu instid0(VALU_DEP_1) | instskip(SKIP_1) | instid1(VALU_DEP_2)
	v_fma_f64 v[54:55], v[2:3], v[20:21], -v[54:55]
	v_mul_f64_e32 v[2:3], v[2:3], v[22:23]
	v_add_f64_e32 v[46:47], v[46:47], v[54:55]
	s_delay_alu instid0(VALU_DEP_2) | instskip(NEXT) | instid1(VALU_DEP_1)
	v_fma_f64 v[2:3], v[4:5], v[20:21], v[2:3]
	v_add_f64_e32 v[44:45], v[2:3], v[44:45]
	ds_load_b128 v[2:5], v39 offset:2112
	s_wait_dscnt 0x0
	v_mul_f64_e32 v[54:55], v[4:5], v[18:19]
	v_mul_f64_e32 v[18:19], v[2:3], v[18:19]
	s_delay_alu instid0(VALU_DEP_2) | instskip(NEXT) | instid1(VALU_DEP_2)
	v_fma_f64 v[54:55], v[2:3], v[16:17], -v[54:55]
	v_fma_f64 v[16:17], v[4:5], v[16:17], v[18:19]
	s_delay_alu instid0(VALU_DEP_2) | instskip(NEXT) | instid1(VALU_DEP_2)
	v_add_f64_e32 v[48:49], v[48:49], v[54:55]
	v_add_f64_e32 v[50:51], v[16:17], v[50:51]
	v_mul_f64_e32 v[16:17], v[4:5], v[22:23]
	s_delay_alu instid0(VALU_DEP_1) | instskip(SKIP_1) | instid1(VALU_DEP_2)
	v_fma_f64 v[16:17], v[2:3], v[20:21], -v[16:17]
	v_mul_f64_e32 v[2:3], v[2:3], v[22:23]
	v_add_f64_e32 v[24:25], v[24:25], v[16:17]
	s_delay_alu instid0(VALU_DEP_2) | instskip(NEXT) | instid1(VALU_DEP_1)
	v_fma_f64 v[2:3], v[4:5], v[20:21], v[2:3]
	v_add_f64_e32 v[26:27], v[2:3], v[26:27]
	ds_load_b128 v[2:5], v39 offset:80
	ds_load_b128 v[16:19], v38 offset:2560
	s_wait_dscnt 0x0
	v_mul_f64_e32 v[20:21], v[4:5], v[18:19]
	v_mul_f64_e32 v[22:23], v[2:3], v[18:19]
	s_delay_alu instid0(VALU_DEP_2) | instskip(NEXT) | instid1(VALU_DEP_2)
	v_fma_f64 v[20:21], v[2:3], v[16:17], -v[20:21]
	v_fma_f64 v[22:23], v[4:5], v[16:17], v[22:23]
	s_delay_alu instid0(VALU_DEP_2) | instskip(NEXT) | instid1(VALU_DEP_2)
	v_add_f64_e32 v[52:53], v[52:53], v[20:21]
	v_add_f64_e32 v[28:29], v[22:23], v[28:29]
	ds_load_b128 v[20:23], v38 offset:2816
	s_wait_dscnt 0x0
	v_mul_f64_e32 v[54:55], v[4:5], v[22:23]
	s_delay_alu instid0(VALU_DEP_1) | instskip(SKIP_1) | instid1(VALU_DEP_2)
	v_fma_f64 v[54:55], v[2:3], v[20:21], -v[54:55]
	v_mul_f64_e32 v[2:3], v[2:3], v[22:23]
	v_add_f64_e32 v[46:47], v[46:47], v[54:55]
	s_delay_alu instid0(VALU_DEP_2) | instskip(NEXT) | instid1(VALU_DEP_1)
	v_fma_f64 v[2:3], v[4:5], v[20:21], v[2:3]
	v_add_f64_e32 v[44:45], v[2:3], v[44:45]
	ds_load_b128 v[2:5], v39 offset:2128
	s_wait_dscnt 0x0
	v_mul_f64_e32 v[54:55], v[4:5], v[18:19]
	v_mul_f64_e32 v[18:19], v[2:3], v[18:19]
	s_delay_alu instid0(VALU_DEP_2) | instskip(NEXT) | instid1(VALU_DEP_2)
	v_fma_f64 v[54:55], v[2:3], v[16:17], -v[54:55]
	v_fma_f64 v[16:17], v[4:5], v[16:17], v[18:19]
	s_delay_alu instid0(VALU_DEP_2) | instskip(NEXT) | instid1(VALU_DEP_2)
	v_add_f64_e32 v[48:49], v[48:49], v[54:55]
	v_add_f64_e32 v[50:51], v[16:17], v[50:51]
	v_mul_f64_e32 v[16:17], v[4:5], v[22:23]
	s_delay_alu instid0(VALU_DEP_1) | instskip(SKIP_1) | instid1(VALU_DEP_2)
	v_fma_f64 v[16:17], v[2:3], v[20:21], -v[16:17]
	v_mul_f64_e32 v[2:3], v[2:3], v[22:23]
	v_add_f64_e32 v[24:25], v[24:25], v[16:17]
	s_delay_alu instid0(VALU_DEP_2) | instskip(NEXT) | instid1(VALU_DEP_1)
	v_fma_f64 v[2:3], v[4:5], v[20:21], v[2:3]
	v_add_f64_e32 v[26:27], v[2:3], v[26:27]
	ds_load_b128 v[2:5], v39 offset:96
	ds_load_b128 v[16:19], v38 offset:3072
	s_wait_dscnt 0x0
	v_mul_f64_e32 v[20:21], v[4:5], v[18:19]
	v_mul_f64_e32 v[22:23], v[2:3], v[18:19]
	s_delay_alu instid0(VALU_DEP_2) | instskip(NEXT) | instid1(VALU_DEP_2)
	v_fma_f64 v[20:21], v[2:3], v[16:17], -v[20:21]
	v_fma_f64 v[22:23], v[4:5], v[16:17], v[22:23]
	s_delay_alu instid0(VALU_DEP_2) | instskip(NEXT) | instid1(VALU_DEP_2)
	v_add_f64_e32 v[52:53], v[52:53], v[20:21]
	v_add_f64_e32 v[28:29], v[22:23], v[28:29]
	ds_load_b128 v[20:23], v38 offset:3328
	s_wait_dscnt 0x0
	v_mul_f64_e32 v[54:55], v[4:5], v[22:23]
	s_delay_alu instid0(VALU_DEP_1) | instskip(SKIP_1) | instid1(VALU_DEP_2)
	v_fma_f64 v[54:55], v[2:3], v[20:21], -v[54:55]
	v_mul_f64_e32 v[2:3], v[2:3], v[22:23]
	v_add_f64_e32 v[54:55], v[46:47], v[54:55]
	s_delay_alu instid0(VALU_DEP_2) | instskip(NEXT) | instid1(VALU_DEP_1)
	v_fma_f64 v[2:3], v[4:5], v[20:21], v[2:3]
	v_add_f64_e32 v[56:57], v[2:3], v[44:45]
	ds_load_b128 v[2:5], v39 offset:2144
	s_wait_dscnt 0x0
	v_mul_f64_e32 v[44:45], v[4:5], v[18:19]
	v_mul_f64_e32 v[18:19], v[2:3], v[18:19]
	s_delay_alu instid0(VALU_DEP_2) | instskip(NEXT) | instid1(VALU_DEP_2)
	v_fma_f64 v[44:45], v[2:3], v[16:17], -v[44:45]
	v_fma_f64 v[16:17], v[4:5], v[16:17], v[18:19]
	s_delay_alu instid0(VALU_DEP_2) | instskip(NEXT) | instid1(VALU_DEP_2)
	v_add_f64_e32 v[48:49], v[48:49], v[44:45]
	v_add_f64_e32 v[50:51], v[16:17], v[50:51]
	v_mul_f64_e32 v[16:17], v[4:5], v[22:23]
	s_delay_alu instid0(VALU_DEP_1) | instskip(SKIP_1) | instid1(VALU_DEP_2)
	v_fma_f64 v[16:17], v[2:3], v[20:21], -v[16:17]
	v_mul_f64_e32 v[2:3], v[2:3], v[22:23]
	v_add_f64_e32 v[58:59], v[24:25], v[16:17]
	s_delay_alu instid0(VALU_DEP_2)
	v_fma_f64 v[2:3], v[4:5], v[20:21], v[2:3]
	ds_load_b128 v[16:19], v39 offset:112
	ds_load_b128 v[20:23], v38 offset:3584
	;; [unrolled: 1-line block ×3, first 2 shown]
	s_wait_dscnt 0x1
	v_mul_f64_e32 v[24:25], v[16:17], v[22:23]
	v_mul_f64_e32 v[4:5], v[18:19], v[22:23]
	v_add_f64_e32 v[2:3], v[2:3], v[26:27]
	s_delay_alu instid0(VALU_DEP_3) | instskip(NEXT) | instid1(VALU_DEP_3)
	v_fma_f64 v[24:25], v[18:19], v[20:21], v[24:25]
	v_fma_f64 v[4:5], v[16:17], v[20:21], -v[4:5]
	s_delay_alu instid0(VALU_DEP_2) | instskip(SKIP_2) | instid1(VALU_DEP_3)
	v_add_f64_e32 v[28:29], v[24:25], v[28:29]
	s_wait_dscnt 0x0
	v_mul_f64_e32 v[24:25], v[18:19], v[46:47]
	v_add_f64_e32 v[4:5], v[52:53], v[4:5]
	s_delay_alu instid0(VALU_DEP_2) | instskip(SKIP_1) | instid1(VALU_DEP_2)
	v_fma_f64 v[24:25], v[16:17], v[44:45], -v[24:25]
	v_mul_f64_e32 v[16:17], v[16:17], v[46:47]
	v_add_f64_e32 v[24:25], v[54:55], v[24:25]
	s_delay_alu instid0(VALU_DEP_2) | instskip(NEXT) | instid1(VALU_DEP_1)
	v_fma_f64 v[16:17], v[18:19], v[44:45], v[16:17]
	v_add_f64_e32 v[26:27], v[16:17], v[56:57]
	ds_load_b128 v[16:19], v39 offset:2160
	s_wait_loadcnt_dscnt 0x0
	s_barrier_signal -1
	s_barrier_wait -1
	global_inv scope:SCOPE_SE
	v_mul_f64_e32 v[52:53], v[18:19], v[22:23]
	v_mul_f64_e32 v[22:23], v[16:17], v[22:23]
	s_delay_alu instid0(VALU_DEP_2) | instskip(NEXT) | instid1(VALU_DEP_2)
	v_fma_f64 v[52:53], v[16:17], v[20:21], -v[52:53]
	v_fma_f64 v[22:23], v[18:19], v[20:21], v[22:23]
	s_delay_alu instid0(VALU_DEP_2) | instskip(SKIP_1) | instid1(VALU_DEP_3)
	v_add_f64_e32 v[20:21], v[48:49], v[52:53]
	v_mul_f64_e32 v[48:49], v[18:19], v[46:47]
	v_add_f64_e32 v[22:23], v[22:23], v[50:51]
	s_delay_alu instid0(VALU_DEP_2) | instskip(SKIP_1) | instid1(VALU_DEP_1)
	v_fma_f64 v[48:49], v[16:17], v[44:45], -v[48:49]
	v_mul_f64_e32 v[16:17], v[16:17], v[46:47]
	v_fma_f64 v[16:17], v[18:19], v[44:45], v[16:17]
	s_delay_alu instid0(VALU_DEP_3) | instskip(NEXT) | instid1(VALU_DEP_2)
	v_add_f64_e32 v[18:19], v[58:59], v[48:49]
	v_add_f64_e32 v[16:17], v[16:17], v[2:3]
	s_wait_alu 0xfffe
	s_cbranch_vccz .LBB273_21
.LBB273_10:                             ;   Parent Loop BB273_7 Depth=1
                                        ; =>  This Inner Loop Header: Depth=2
	s_mov_b32 s21, 0
	s_mov_b32 s23, s16
	s_and_saveexec_b32 s22, s0
	s_cbranch_execnz .LBB273_18
; %bb.11:                               ;   in Loop: Header=BB273_10 Depth=2
	s_wait_alu 0xfffe
	s_or_b32 exec_lo, exec_lo, s22
	s_and_saveexec_b32 s22, s23
	s_wait_alu 0xfffe
	s_xor_b32 s22, exec_lo, s22
	s_cbranch_execnz .LBB273_19
.LBB273_12:                             ;   in Loop: Header=BB273_10 Depth=2
	s_wait_alu 0xfffe
	s_or_b32 exec_lo, exec_lo, s22
	s_and_saveexec_b32 s22, s21
	s_cbranch_execz .LBB273_14
.LBB273_13:                             ;   in Loop: Header=BB273_10 Depth=2
	v_lshlrev_b64_e32 v[2:3], 4, v[14:15]
	s_delay_alu instid0(VALU_DEP_1) | instskip(SKIP_1) | instid1(VALU_DEP_2)
	v_add_co_u32 v2, vcc_lo, v40, v2
	s_wait_alu 0xfffd
	v_add_co_ci_u32_e64 v3, null, v41, v3, vcc_lo
	global_load_b128 v[44:47], v[2:3], off
	s_wait_loadcnt 0x0
	ds_store_2addr_b64 v32, v[44:45], v[46:47] offset1:1
.LBB273_14:                             ;   in Loop: Header=BB273_10 Depth=2
	s_wait_alu 0xfffe
	s_or_b32 exec_lo, exec_lo, s22
	v_add_nc_u32_e32 v0, s2, v30
	s_delay_alu instid0(VALU_DEP_1)
	v_cmp_le_u64_e32 vcc_lo, s[8:9], v[0:1]
	s_or_b32 s21, vcc_lo, s20
	s_wait_alu 0xfffe
	s_and_saveexec_b32 s22, s21
	s_wait_alu 0xfffe
	s_xor_b32 s21, exec_lo, s22
; %bb.15:                               ;   in Loop: Header=BB273_10 Depth=2
	v_dual_mov_b32 v0, v1 :: v_dual_mov_b32 v3, v1
	v_mov_b32_e32 v2, v1
	ds_store_b128 v33, v[0:3]
; %bb.16:                               ;   in Loop: Header=BB273_10 Depth=2
	s_wait_alu 0xfffe
	s_and_not1_saveexec_b32 s21, s21
	s_cbranch_execz .LBB273_9
; %bb.17:                               ;   in Loop: Header=BB273_10 Depth=2
	v_lshlrev_b64_e32 v[2:3], 4, v[0:1]
	s_delay_alu instid0(VALU_DEP_1) | instskip(SKIP_1) | instid1(VALU_DEP_2)
	v_add_co_u32 v2, vcc_lo, v42, v2
	s_wait_alu 0xfffd
	v_add_co_ci_u32_e64 v3, null, v43, v3, vcc_lo
	global_load_b128 v[44:47], v[2:3], off
	s_wait_loadcnt 0x0
	ds_store_2addr_b64 v33, v[44:45], v[46:47] offset1:1
	s_branch .LBB273_9
.LBB273_18:                             ;   in Loop: Header=BB273_10 Depth=2
	s_wait_alu 0xfffe
	v_add_nc_u32_e32 v0, s2, v31
	v_mov_b32_e32 v15, v1
	s_and_not1_b32 s23, s16, exec_lo
	s_mov_b32 s21, exec_lo
	s_delay_alu instid0(VALU_DEP_2)
	v_cmp_le_u64_e32 vcc_lo, s[8:9], v[0:1]
	v_mov_b32_e32 v14, v0
	s_and_b32 s36, vcc_lo, exec_lo
	s_wait_alu 0xfffe
	s_or_b32 s23, s23, s36
	s_or_b32 exec_lo, exec_lo, s22
	s_wait_alu 0xfffe
	s_and_saveexec_b32 s22, s23
	s_wait_alu 0xfffe
	s_xor_b32 s22, exec_lo, s22
	s_cbranch_execz .LBB273_12
.LBB273_19:                             ;   in Loop: Header=BB273_10 Depth=2
	v_dual_mov_b32 v0, v1 :: v_dual_mov_b32 v3, v1
	v_mov_b32_e32 v2, v1
	s_and_not1_b32 s21, s21, exec_lo
	ds_store_b128 v32, v[0:3]
	s_wait_alu 0xfffe
	s_or_b32 exec_lo, exec_lo, s22
	s_and_saveexec_b32 s22, s21
	s_cbranch_execnz .LBB273_13
	s_branch .LBB273_14
.LBB273_20:                             ;   in Loop: Header=BB273_7 Depth=1
	v_mov_b32_e32 v28, 0
	v_mov_b32_e32 v26, 0
	v_dual_mov_b32 v22, 0 :: v_dual_mov_b32 v29, 0
	v_dual_mov_b32 v24, 0 :: v_dual_mov_b32 v27, 0
	v_dual_mov_b32 v20, 0 :: v_dual_mov_b32 v23, 0
	v_mov_b32_e32 v18, 0
	v_dual_mov_b32 v16, 0 :: v_dual_mov_b32 v25, 0
	v_mov_b32_e32 v21, 0
	v_mov_b32_e32 v19, 0
	;; [unrolled: 1-line block ×3, first 2 shown]
.LBB273_21:                             ;   in Loop: Header=BB273_7 Depth=1
	s_mul_u64 s[2:3], s[6:7], s[34:35]
	s_wait_alu 0xfffe
	s_lshl_b64 s[2:3], s[2:3], 4
	s_wait_alu 0xfffe
	s_add_nc_u64 s[2:3], s[30:31], s[2:3]
	s_wait_alu 0xfffe
	v_add_co_u32 v0, vcc_lo, s2, v10
	s_wait_alu 0xfffd
	v_add_co_ci_u32_e64 v40, null, s3, v11, vcc_lo
	s_and_saveexec_b32 s21, s5
	s_cbranch_execz .LBB273_26
; %bb.22:                               ;   in Loop: Header=BB273_7 Depth=1
	v_mul_f64_e32 v[2:3], s[12:13], v[28:29]
	v_mul_f64_e32 v[28:29], s[10:11], v[28:29]
	s_and_b32 vcc_lo, exec_lo, s14
	s_mov_b32 s22, -1
	s_delay_alu instid0(VALU_DEP_2) | instskip(NEXT) | instid1(VALU_DEP_2)
	v_fma_f64 v[2:3], s[10:11], v[4:5], -v[2:3]
	v_fma_f64 v[4:5], s[12:13], v[4:5], v[28:29]
	s_wait_alu 0xfffe
	s_cbranch_vccz .LBB273_24
; %bb.23:                               ;   in Loop: Header=BB273_7 Depth=1
	v_lshlrev_b64_e32 v[28:29], 4, v[6:7]
	s_mov_b32 s22, 0
	s_delay_alu instid0(VALU_DEP_1) | instskip(SKIP_1) | instid1(VALU_DEP_2)
	v_add_co_u32 v28, vcc_lo, v0, v28
	s_wait_alu 0xfffd
	v_add_co_ci_u32_e64 v29, null, v40, v29, vcc_lo
	global_load_b128 v[41:44], v[28:29], off
	s_wait_loadcnt 0x0
	v_mul_f64_e32 v[45:46], s[28:29], v[43:44]
	v_mul_f64_e32 v[43:44], s[26:27], v[43:44]
	s_delay_alu instid0(VALU_DEP_2) | instskip(NEXT) | instid1(VALU_DEP_2)
	v_fma_f64 v[45:46], s[26:27], v[41:42], -v[45:46]
	v_fma_f64 v[43:44], s[28:29], v[41:42], v[43:44]
	s_delay_alu instid0(VALU_DEP_2) | instskip(NEXT) | instid1(VALU_DEP_2)
	v_add_f64_e32 v[41:42], v[2:3], v[45:46]
	v_add_f64_e32 v[43:44], v[4:5], v[43:44]
	global_store_b128 v[28:29], v[41:44], off
.LBB273_24:                             ;   in Loop: Header=BB273_7 Depth=1
	s_wait_alu 0xfffe
	s_and_not1_b32 vcc_lo, exec_lo, s22
	s_wait_alu 0xfffe
	s_cbranch_vccnz .LBB273_26
; %bb.25:                               ;   in Loop: Header=BB273_7 Depth=1
	v_lshlrev_b64_e32 v[28:29], 4, v[6:7]
	s_delay_alu instid0(VALU_DEP_1) | instskip(SKIP_1) | instid1(VALU_DEP_2)
	v_add_co_u32 v28, vcc_lo, v0, v28
	s_wait_alu 0xfffd
	v_add_co_ci_u32_e64 v29, null, v40, v29, vcc_lo
	global_store_b128 v[28:29], v[2:5], off
.LBB273_26:                             ;   in Loop: Header=BB273_7 Depth=1
	s_wait_alu 0xfffe
	s_or_b32 exec_lo, exec_lo, s21
	s_and_saveexec_b32 s21, s15
	s_cbranch_execz .LBB273_31
; %bb.27:                               ;   in Loop: Header=BB273_7 Depth=1
	v_mul_f64_e32 v[2:3], s[12:13], v[26:27]
	v_mul_f64_e32 v[4:5], s[10:11], v[26:27]
	s_and_not1_b32 vcc_lo, exec_lo, s14
	s_mov_b32 s22, -1
	s_delay_alu instid0(VALU_DEP_2) | instskip(NEXT) | instid1(VALU_DEP_2)
	v_fma_f64 v[2:3], s[10:11], v[24:25], -v[2:3]
	v_fma_f64 v[4:5], s[12:13], v[24:25], v[4:5]
	s_wait_alu 0xfffe
	s_cbranch_vccnz .LBB273_29
; %bb.28:                               ;   in Loop: Header=BB273_7 Depth=1
	v_lshlrev_b64_e32 v[24:25], 4, v[8:9]
	s_mov_b32 s22, 0
	s_delay_alu instid0(VALU_DEP_1) | instskip(SKIP_1) | instid1(VALU_DEP_2)
	v_add_co_u32 v28, vcc_lo, v0, v24
	s_wait_alu 0xfffd
	v_add_co_ci_u32_e64 v29, null, v40, v25, vcc_lo
	global_load_b128 v[24:27], v[28:29], off
	s_wait_loadcnt 0x0
	v_mul_f64_e32 v[41:42], s[28:29], v[26:27]
	v_mul_f64_e32 v[26:27], s[26:27], v[26:27]
	s_delay_alu instid0(VALU_DEP_2) | instskip(NEXT) | instid1(VALU_DEP_2)
	v_fma_f64 v[41:42], s[26:27], v[24:25], -v[41:42]
	v_fma_f64 v[26:27], s[28:29], v[24:25], v[26:27]
	s_delay_alu instid0(VALU_DEP_2) | instskip(NEXT) | instid1(VALU_DEP_2)
	v_add_f64_e32 v[24:25], v[2:3], v[41:42]
	v_add_f64_e32 v[26:27], v[4:5], v[26:27]
	global_store_b128 v[28:29], v[24:27], off
.LBB273_29:                             ;   in Loop: Header=BB273_7 Depth=1
	s_wait_alu 0xfffe
	s_and_not1_b32 vcc_lo, exec_lo, s22
	s_wait_alu 0xfffe
	s_cbranch_vccnz .LBB273_31
; %bb.30:                               ;   in Loop: Header=BB273_7 Depth=1
	v_lshlrev_b64_e32 v[24:25], 4, v[8:9]
	s_delay_alu instid0(VALU_DEP_1) | instskip(SKIP_1) | instid1(VALU_DEP_2)
	v_add_co_u32 v24, vcc_lo, v0, v24
	s_wait_alu 0xfffd
	v_add_co_ci_u32_e64 v25, null, v40, v25, vcc_lo
	global_store_b128 v[24:25], v[2:5], off
.LBB273_31:                             ;   in Loop: Header=BB273_7 Depth=1
	s_wait_alu 0xfffe
	s_or_b32 exec_lo, exec_lo, s21
	v_add_co_u32 v0, vcc_lo, s2, v12
	s_wait_alu 0xfffd
	v_add_co_ci_u32_e64 v24, null, s3, v13, vcc_lo
	s_and_saveexec_b32 s2, s4
	s_cbranch_execz .LBB273_36
; %bb.32:                               ;   in Loop: Header=BB273_7 Depth=1
	v_mul_f64_e32 v[2:3], s[12:13], v[22:23]
	v_mul_f64_e32 v[4:5], s[10:11], v[22:23]
	s_and_not1_b32 vcc_lo, exec_lo, s14
	s_mov_b32 s3, -1
	s_delay_alu instid0(VALU_DEP_2) | instskip(NEXT) | instid1(VALU_DEP_2)
	v_fma_f64 v[2:3], s[10:11], v[20:21], -v[2:3]
	v_fma_f64 v[4:5], s[12:13], v[20:21], v[4:5]
	v_lshlrev_b64_e32 v[20:21], 4, v[6:7]
	s_wait_alu 0xfffe
	s_cbranch_vccnz .LBB273_34
; %bb.33:                               ;   in Loop: Header=BB273_7 Depth=1
	s_delay_alu instid0(VALU_DEP_1) | instskip(SKIP_1) | instid1(VALU_DEP_2)
	v_add_co_u32 v22, vcc_lo, v0, v20
	s_wait_alu 0xfffd
	v_add_co_ci_u32_e64 v23, null, v24, v21, vcc_lo
	s_mov_b32 s3, 0
	global_load_b128 v[25:28], v[22:23], off
	s_wait_loadcnt 0x0
	v_mul_f64_e32 v[40:41], s[28:29], v[27:28]
	v_mul_f64_e32 v[27:28], s[26:27], v[27:28]
	s_delay_alu instid0(VALU_DEP_2) | instskip(NEXT) | instid1(VALU_DEP_2)
	v_fma_f64 v[40:41], s[26:27], v[25:26], -v[40:41]
	v_fma_f64 v[27:28], s[28:29], v[25:26], v[27:28]
	s_delay_alu instid0(VALU_DEP_2) | instskip(NEXT) | instid1(VALU_DEP_2)
	v_add_f64_e32 v[25:26], v[2:3], v[40:41]
	v_add_f64_e32 v[27:28], v[4:5], v[27:28]
	global_store_b128 v[22:23], v[25:28], off
.LBB273_34:                             ;   in Loop: Header=BB273_7 Depth=1
	s_wait_alu 0xfffe
	s_and_not1_b32 vcc_lo, exec_lo, s3
	s_wait_alu 0xfffe
	s_cbranch_vccnz .LBB273_36
; %bb.35:                               ;   in Loop: Header=BB273_7 Depth=1
	v_add_co_u32 v20, vcc_lo, v0, v20
	s_wait_alu 0xfffd
	v_add_co_ci_u32_e64 v21, null, v24, v21, vcc_lo
	global_store_b128 v[20:21], v[2:5], off
.LBB273_36:                             ;   in Loop: Header=BB273_7 Depth=1
	s_wait_alu 0xfffe
	s_or_b32 exec_lo, exec_lo, s2
	s_and_saveexec_b32 s2, s1
	s_cbranch_execz .LBB273_6
; %bb.37:                               ;   in Loop: Header=BB273_7 Depth=1
	v_mul_f64_e32 v[2:3], s[12:13], v[16:17]
	v_mul_f64_e32 v[4:5], s[10:11], v[16:17]
	v_lshlrev_b64_e32 v[16:17], 4, v[8:9]
	s_and_not1_b32 vcc_lo, exec_lo, s14
	s_mov_b32 s3, -1
	s_delay_alu instid0(VALU_DEP_3) | instskip(NEXT) | instid1(VALU_DEP_3)
	v_fma_f64 v[2:3], s[10:11], v[18:19], -v[2:3]
	v_fma_f64 v[4:5], s[12:13], v[18:19], v[4:5]
	s_wait_alu 0xfffe
	s_cbranch_vccnz .LBB273_39
; %bb.38:                               ;   in Loop: Header=BB273_7 Depth=1
	v_add_co_u32 v22, vcc_lo, v0, v16
	s_wait_alu 0xfffd
	v_add_co_ci_u32_e64 v23, null, v24, v17, vcc_lo
	s_mov_b32 s3, 0
	global_load_b128 v[18:21], v[22:23], off
	s_wait_loadcnt 0x0
	v_mul_f64_e32 v[25:26], s[28:29], v[20:21]
	v_mul_f64_e32 v[20:21], s[26:27], v[20:21]
	s_delay_alu instid0(VALU_DEP_2) | instskip(NEXT) | instid1(VALU_DEP_2)
	v_fma_f64 v[25:26], s[26:27], v[18:19], -v[25:26]
	v_fma_f64 v[20:21], s[28:29], v[18:19], v[20:21]
	s_delay_alu instid0(VALU_DEP_2) | instskip(NEXT) | instid1(VALU_DEP_2)
	v_add_f64_e32 v[18:19], v[2:3], v[25:26]
	v_add_f64_e32 v[20:21], v[4:5], v[20:21]
	global_store_b128 v[22:23], v[18:21], off
.LBB273_39:                             ;   in Loop: Header=BB273_7 Depth=1
	s_wait_alu 0xfffe
	s_and_not1_b32 vcc_lo, exec_lo, s3
	s_wait_alu 0xfffe
	s_cbranch_vccnz .LBB273_6
; %bb.40:                               ;   in Loop: Header=BB273_7 Depth=1
	v_add_co_u32 v16, vcc_lo, v0, v16
	s_wait_alu 0xfffd
	v_add_co_ci_u32_e64 v17, null, v24, v17, vcc_lo
	global_store_b128 v[16:17], v[2:5], off
	s_branch .LBB273_6
.LBB273_41:
.LBB273_42:
	s_endpgm
	.section	.rodata,"a",@progbits
	.p2align	6, 0x0
	.amdhsa_kernel _ZL29rocblas_internal_gemmt_kernelIlLi16ELi32ELi8ELc84ELc78ELc85ELb0ELb0E19rocblas_complex_numIdES1_PKS1_PS1_EviT_T9_T10_S5_lS7_S5_lS6_T11_S5_li
		.amdhsa_group_segment_fixed_size 8192
		.amdhsa_private_segment_fixed_size 0
		.amdhsa_kernarg_size 124
		.amdhsa_user_sgpr_count 2
		.amdhsa_user_sgpr_dispatch_ptr 0
		.amdhsa_user_sgpr_queue_ptr 0
		.amdhsa_user_sgpr_kernarg_segment_ptr 1
		.amdhsa_user_sgpr_dispatch_id 0
		.amdhsa_user_sgpr_private_segment_size 0
		.amdhsa_wavefront_size32 1
		.amdhsa_uses_dynamic_stack 0
		.amdhsa_enable_private_segment 0
		.amdhsa_system_sgpr_workgroup_id_x 1
		.amdhsa_system_sgpr_workgroup_id_y 1
		.amdhsa_system_sgpr_workgroup_id_z 1
		.amdhsa_system_sgpr_workgroup_info 0
		.amdhsa_system_vgpr_workitem_id 1
		.amdhsa_next_free_vgpr 68
		.amdhsa_next_free_sgpr 40
		.amdhsa_reserve_vcc 1
		.amdhsa_float_round_mode_32 0
		.amdhsa_float_round_mode_16_64 0
		.amdhsa_float_denorm_mode_32 3
		.amdhsa_float_denorm_mode_16_64 3
		.amdhsa_fp16_overflow 0
		.amdhsa_workgroup_processor_mode 1
		.amdhsa_memory_ordered 1
		.amdhsa_forward_progress 1
		.amdhsa_inst_pref_size 30
		.amdhsa_round_robin_scheduling 0
		.amdhsa_exception_fp_ieee_invalid_op 0
		.amdhsa_exception_fp_denorm_src 0
		.amdhsa_exception_fp_ieee_div_zero 0
		.amdhsa_exception_fp_ieee_overflow 0
		.amdhsa_exception_fp_ieee_underflow 0
		.amdhsa_exception_fp_ieee_inexact 0
		.amdhsa_exception_int_div_zero 0
	.end_amdhsa_kernel
	.section	.text._ZL29rocblas_internal_gemmt_kernelIlLi16ELi32ELi8ELc84ELc78ELc85ELb0ELb0E19rocblas_complex_numIdES1_PKS1_PS1_EviT_T9_T10_S5_lS7_S5_lS6_T11_S5_li,"axG",@progbits,_ZL29rocblas_internal_gemmt_kernelIlLi16ELi32ELi8ELc84ELc78ELc85ELb0ELb0E19rocblas_complex_numIdES1_PKS1_PS1_EviT_T9_T10_S5_lS7_S5_lS6_T11_S5_li,comdat
.Lfunc_end273:
	.size	_ZL29rocblas_internal_gemmt_kernelIlLi16ELi32ELi8ELc84ELc78ELc85ELb0ELb0E19rocblas_complex_numIdES1_PKS1_PS1_EviT_T9_T10_S5_lS7_S5_lS6_T11_S5_li, .Lfunc_end273-_ZL29rocblas_internal_gemmt_kernelIlLi16ELi32ELi8ELc84ELc78ELc85ELb0ELb0E19rocblas_complex_numIdES1_PKS1_PS1_EviT_T9_T10_S5_lS7_S5_lS6_T11_S5_li
                                        ; -- End function
	.set _ZL29rocblas_internal_gemmt_kernelIlLi16ELi32ELi8ELc84ELc78ELc85ELb0ELb0E19rocblas_complex_numIdES1_PKS1_PS1_EviT_T9_T10_S5_lS7_S5_lS6_T11_S5_li.num_vgpr, 68
	.set _ZL29rocblas_internal_gemmt_kernelIlLi16ELi32ELi8ELc84ELc78ELc85ELb0ELb0E19rocblas_complex_numIdES1_PKS1_PS1_EviT_T9_T10_S5_lS7_S5_lS6_T11_S5_li.num_agpr, 0
	.set _ZL29rocblas_internal_gemmt_kernelIlLi16ELi32ELi8ELc84ELc78ELc85ELb0ELb0E19rocblas_complex_numIdES1_PKS1_PS1_EviT_T9_T10_S5_lS7_S5_lS6_T11_S5_li.numbered_sgpr, 40
	.set _ZL29rocblas_internal_gemmt_kernelIlLi16ELi32ELi8ELc84ELc78ELc85ELb0ELb0E19rocblas_complex_numIdES1_PKS1_PS1_EviT_T9_T10_S5_lS7_S5_lS6_T11_S5_li.num_named_barrier, 0
	.set _ZL29rocblas_internal_gemmt_kernelIlLi16ELi32ELi8ELc84ELc78ELc85ELb0ELb0E19rocblas_complex_numIdES1_PKS1_PS1_EviT_T9_T10_S5_lS7_S5_lS6_T11_S5_li.private_seg_size, 0
	.set _ZL29rocblas_internal_gemmt_kernelIlLi16ELi32ELi8ELc84ELc78ELc85ELb0ELb0E19rocblas_complex_numIdES1_PKS1_PS1_EviT_T9_T10_S5_lS7_S5_lS6_T11_S5_li.uses_vcc, 1
	.set _ZL29rocblas_internal_gemmt_kernelIlLi16ELi32ELi8ELc84ELc78ELc85ELb0ELb0E19rocblas_complex_numIdES1_PKS1_PS1_EviT_T9_T10_S5_lS7_S5_lS6_T11_S5_li.uses_flat_scratch, 0
	.set _ZL29rocblas_internal_gemmt_kernelIlLi16ELi32ELi8ELc84ELc78ELc85ELb0ELb0E19rocblas_complex_numIdES1_PKS1_PS1_EviT_T9_T10_S5_lS7_S5_lS6_T11_S5_li.has_dyn_sized_stack, 0
	.set _ZL29rocblas_internal_gemmt_kernelIlLi16ELi32ELi8ELc84ELc78ELc85ELb0ELb0E19rocblas_complex_numIdES1_PKS1_PS1_EviT_T9_T10_S5_lS7_S5_lS6_T11_S5_li.has_recursion, 0
	.set _ZL29rocblas_internal_gemmt_kernelIlLi16ELi32ELi8ELc84ELc78ELc85ELb0ELb0E19rocblas_complex_numIdES1_PKS1_PS1_EviT_T9_T10_S5_lS7_S5_lS6_T11_S5_li.has_indirect_call, 0
	.section	.AMDGPU.csdata,"",@progbits
; Kernel info:
; codeLenInByte = 3832
; TotalNumSgprs: 42
; NumVgprs: 68
; ScratchSize: 0
; MemoryBound: 0
; FloatMode: 240
; IeeeMode: 1
; LDSByteSize: 8192 bytes/workgroup (compile time only)
; SGPRBlocks: 0
; VGPRBlocks: 8
; NumSGPRsForWavesPerEU: 42
; NumVGPRsForWavesPerEU: 68
; Occupancy: 16
; WaveLimiterHint : 0
; COMPUTE_PGM_RSRC2:SCRATCH_EN: 0
; COMPUTE_PGM_RSRC2:USER_SGPR: 2
; COMPUTE_PGM_RSRC2:TRAP_HANDLER: 0
; COMPUTE_PGM_RSRC2:TGID_X_EN: 1
; COMPUTE_PGM_RSRC2:TGID_Y_EN: 1
; COMPUTE_PGM_RSRC2:TGID_Z_EN: 1
; COMPUTE_PGM_RSRC2:TIDIG_COMP_CNT: 1
	.section	.text._ZL29rocblas_internal_gemmt_kernelIlLi16ELi32ELi8ELc84ELc84ELc85ELb0ELb0E19rocblas_complex_numIdES1_PKS1_PS1_EviT_T9_T10_S5_lS7_S5_lS6_T11_S5_li,"axG",@progbits,_ZL29rocblas_internal_gemmt_kernelIlLi16ELi32ELi8ELc84ELc84ELc85ELb0ELb0E19rocblas_complex_numIdES1_PKS1_PS1_EviT_T9_T10_S5_lS7_S5_lS6_T11_S5_li,comdat
	.globl	_ZL29rocblas_internal_gemmt_kernelIlLi16ELi32ELi8ELc84ELc84ELc85ELb0ELb0E19rocblas_complex_numIdES1_PKS1_PS1_EviT_T9_T10_S5_lS7_S5_lS6_T11_S5_li ; -- Begin function _ZL29rocblas_internal_gemmt_kernelIlLi16ELi32ELi8ELc84ELc84ELc85ELb0ELb0E19rocblas_complex_numIdES1_PKS1_PS1_EviT_T9_T10_S5_lS7_S5_lS6_T11_S5_li
	.p2align	8
	.type	_ZL29rocblas_internal_gemmt_kernelIlLi16ELi32ELi8ELc84ELc84ELc85ELb0ELb0E19rocblas_complex_numIdES1_PKS1_PS1_EviT_T9_T10_S5_lS7_S5_lS6_T11_S5_li,@function
_ZL29rocblas_internal_gemmt_kernelIlLi16ELi32ELi8ELc84ELc84ELc85ELb0ELb0E19rocblas_complex_numIdES1_PKS1_PS1_EviT_T9_T10_S5_lS7_S5_lS6_T11_S5_li: ; @_ZL29rocblas_internal_gemmt_kernelIlLi16ELi32ELi8ELc84ELc84ELc85ELb0ELb0E19rocblas_complex_numIdES1_PKS1_PS1_EviT_T9_T10_S5_lS7_S5_lS6_T11_S5_li
; %bb.0:
	s_clause 0x1
	s_load_b256 s[24:31], s[0:1], 0x48
	s_load_b512 s[8:23], s[0:1], 0x8
	s_wait_kmcnt 0x0
	v_cmp_eq_f64_e64 s3, s[26:27], 1.0
	v_cmp_eq_f64_e64 s2, s[28:29], 0
	s_and_b32 s3, s3, s2
	s_delay_alu instid0(SALU_CYCLE_1)
	s_and_not1_b32 vcc_lo, exec_lo, s3
	s_mov_b32 s3, -1
	s_cbranch_vccnz .LBB274_3
; %bb.1:
	s_cmp_lg_u64 s[8:9], 0
	s_cbranch_scc0 .LBB274_41
; %bb.2:
	v_cmp_neq_f64_e64 s3, s[10:11], 0
	v_cmp_neq_f64_e64 s4, s[12:13], 0
	s_or_b32 s3, s3, s4
.LBB274_3:
	s_delay_alu instid0(SALU_CYCLE_1)
	s_and_b32 vcc_lo, exec_lo, s3
	s_cbranch_vccz .LBB274_42
; %bb.4:
	s_load_b32 s33, s[0:1], 0x78
	s_lshr_b32 s34, ttmp7, 16
	s_wait_kmcnt 0x0
	s_cmp_ge_u32 s34, s33
	s_cbranch_scc1 .LBB274_42
; %bb.5:
	v_and_b32_e32 v6, 0x3ff, v0
	v_bfe_u32 v7, v0, 10, 10
	s_clause 0x1
	s_load_b128 s[4:7], s[0:1], 0x68
	s_load_b32 s36, s[0:1], 0x0
	s_lshl_b32 s37, ttmp9, 5
	v_and_b32_e32 v30, 7, v0
	s_lshl_b32 s0, ttmp7, 5
	v_lshl_add_u32 v2, v7, 4, v6
	s_and_b32 s0, s0, 0x1fffe0
	s_ashr_i32 s1, s37, 31
	v_cmp_neq_f64_e64 s3, s[10:11], 0
	v_cmp_neq_f64_e64 s35, s[12:13], 0
	v_and_b32_e32 v3, 31, v2
	v_lshrrev_b32_e32 v8, 3, v2
	v_cmp_neq_f64_e64 s39, s[26:27], 0
	s_mul_i32 s1, s16, s1
	v_add_nc_u32_e32 v11, s0, v7
	v_or_b32_e32 v4, s37, v3
	v_lshrrev_b32_e32 v31, 5, v2
	v_add_nc_u32_e32 v2, s0, v8
	v_lshlrev_b32_e32 v3, 4, v3
	v_add_nc_u32_e32 v12, 16, v11
	v_mul_lo_u32 v5, s17, v4
	v_mad_co_u64_u32 v[0:1], null, s16, v4, 0
	s_wait_kmcnt 0x0
	v_cmp_gt_i32_e64 s0, s36, v4
	v_cmp_le_i32_e64 s16, s36, v4
	v_lshl_or_b32 v32, v31, 9, v3
	v_cmp_gt_i32_e32 vcc_lo, s36, v2
	v_lshlrev_b32_e32 v4, 4, v2
	v_mad_co_u64_u32 v[2:3], null, s4, v11, 0
	v_add3_u32 v1, v1, s1, v5
	v_lshlrev_b32_e32 v9, 4, v30
	v_lshl_add_u32 v39, v7, 7, 0x1000
	v_cmp_gt_i64_e64 s38, s[8:9], 0
                                        ; implicit-def: $vgpr14_vgpr15
	s_delay_alu instid0(VALU_DEP_4) | instskip(NEXT) | instid1(VALU_DEP_1)
	v_lshlrev_b64_e32 v[0:1], 4, v[0:1]
	v_add_co_u32 v34, s1, s14, v0
	v_mov_b32_e32 v0, v3
	v_lshl_or_b32 v5, v8, 7, v9
	s_wait_alu 0xf1ff
	s_delay_alu instid0(VALU_DEP_4) | instskip(SKIP_1) | instid1(VALU_DEP_3)
	v_add_co_ci_u32_e64 v35, null, s15, v1, s1
	v_add_co_u32 v36, s1, s20, v4
	v_add_nc_u32_e32 v33, 0x1000, v5
	v_mad_co_u64_u32 v[4:5], null, s4, v12, 0
	v_dual_mov_b32 v1, 0 :: v_dual_lshlrev_b32 v38, 4, v6
	v_add_nc_u32_e32 v6, s37, v6
	s_wait_alu 0xf1ff
	v_add_co_ci_u32_e64 v37, null, s21, 0, s1
	s_delay_alu instid0(VALU_DEP_3)
	v_mad_co_u64_u32 v[7:8], null, s5, v11, v[0:1]
	v_mov_b32_e32 v0, v5
	v_add_nc_u32_e32 v8, 16, v6
	s_xor_b32 s1, s2, -1
	s_or_b32 s17, s3, s35
	s_wait_alu 0xfffe
	s_or_b32 s14, s39, s1
	v_mad_co_u64_u32 v[9:10], null, s5, v12, v[0:1]
	v_cmp_gt_i32_e64 s1, s36, v11
	v_cmp_le_i32_e64 s2, v6, v11
	v_cmp_le_i32_e64 s3, v8, v11
	v_mov_b32_e32 v3, v7
	v_cmp_le_i32_e64 s4, v6, v12
	v_ashrrev_i32_e32 v7, 31, v6
	v_mov_b32_e32 v5, v9
	s_and_b32 s5, s1, s2
	v_cmp_gt_i32_e64 s2, s36, v12
	s_and_b32 s15, s1, s3
	v_cmp_le_i32_e64 s1, v8, v12
	v_lshlrev_b64_e32 v[10:11], 4, v[2:3]
	v_lshlrev_b64_e32 v[12:13], 4, v[4:5]
	v_ashrrev_i32_e32 v9, 31, v8
	s_and_b32 s4, s2, s4
	s_and_b32 s17, s17, s38
	;; [unrolled: 1-line block ×3, first 2 shown]
	s_mov_b32 s35, 0
	s_xor_b32 s20, vcc_lo, -1
	s_branch .LBB274_7
.LBB274_6:                              ;   in Loop: Header=BB274_7 Depth=1
	s_wait_alu 0xfffe
	s_or_b32 exec_lo, exec_lo, s2
	s_add_co_i32 s34, s34, 0x10000
	s_delay_alu instid0(SALU_CYCLE_1)
	s_cmp_lt_u32 s34, s33
	s_cbranch_scc0 .LBB274_42
.LBB274_7:                              ; =>This Loop Header: Depth=1
                                        ;     Child Loop BB274_10 Depth 2
	v_mov_b32_e32 v4, 0
	v_mov_b32_e32 v5, 0
	s_wait_alu 0xfffe
	s_and_not1_b32 vcc_lo, exec_lo, s17
	s_wait_alu 0xfffe
	s_cbranch_vccnz .LBB274_20
; %bb.8:                                ;   in Loop: Header=BB274_7 Depth=1
	s_mul_u64 s[2:3], s[18:19], s[34:35]
	s_mul_u64 s[36:37], s[24:25], s[34:35]
	s_wait_alu 0xfffe
	s_lshl_b64 s[2:3], s[2:3], 4
	v_mov_b32_e32 v16, 0
	s_wait_alu 0xfffe
	v_add_co_u32 v40, vcc_lo, v34, s2
	s_wait_alu 0xfffd
	v_add_co_ci_u32_e64 v41, null, s3, v35, vcc_lo
	s_lshl_b64 s[2:3], s[36:37], 4
	v_mov_b32_e32 v22, 0
	v_mov_b32_e32 v26, 0
	v_mov_b32_e32 v28, 0
	s_wait_alu 0xfffe
	v_add_co_u32 v42, vcc_lo, v36, s2
	v_dual_mov_b32 v17, 0 :: v_dual_mov_b32 v18, 0
	v_dual_mov_b32 v23, 0 :: v_dual_mov_b32 v20, 0
	;; [unrolled: 1-line block ×4, first 2 shown]
	v_mov_b32_e32 v19, 0
	v_mov_b32_e32 v21, 0
	;; [unrolled: 1-line block ×4, first 2 shown]
	s_wait_alu 0xfffd
	v_add_co_ci_u32_e64 v43, null, s3, v37, vcc_lo
	s_mov_b64 s[2:3], 0
	s_branch .LBB274_10
.LBB274_9:                              ;   in Loop: Header=BB274_10 Depth=2
	s_wait_alu 0xfffe
	s_or_b32 exec_lo, exec_lo, s21
	s_wait_dscnt 0x0
	s_barrier_signal -1
	s_barrier_wait -1
	global_inv scope:SCOPE_SE
	ds_load_b128 v[44:47], v39
	ds_load_b128 v[48:51], v39 offset:16
	ds_load_b128 v[52:55], v39 offset:32
	;; [unrolled: 1-line block ×3, first 2 shown]
	ds_load_b128 v[60:63], v38
	s_add_nc_u64 s[2:3], s[2:3], 8
	s_wait_alu 0xfffe
	v_cmp_gt_i64_e64 s21, s[8:9], s[2:3]
	s_and_b32 vcc_lo, exec_lo, s21
	s_wait_dscnt 0x0
	v_mul_f64_e32 v[2:3], v[46:47], v[62:63]
	v_mul_f64_e32 v[64:65], v[44:45], v[62:63]
	s_delay_alu instid0(VALU_DEP_2) | instskip(NEXT) | instid1(VALU_DEP_2)
	v_fma_f64 v[2:3], v[44:45], v[60:61], -v[2:3]
	v_fma_f64 v[64:65], v[46:47], v[60:61], v[64:65]
	s_delay_alu instid0(VALU_DEP_2) | instskip(SKIP_4) | instid1(VALU_DEP_1)
	v_add_f64_e32 v[66:67], v[4:5], v[2:3]
	ds_load_b128 v[2:5], v38 offset:256
	v_add_f64_e32 v[28:29], v[64:65], v[28:29]
	s_wait_dscnt 0x0
	v_mul_f64_e32 v[64:65], v[46:47], v[4:5]
	v_fma_f64 v[64:65], v[44:45], v[2:3], -v[64:65]
	v_mul_f64_e32 v[44:45], v[44:45], v[4:5]
	s_delay_alu instid0(VALU_DEP_1) | instskip(NEXT) | instid1(VALU_DEP_3)
	v_fma_f64 v[44:45], v[46:47], v[2:3], v[44:45]
	v_add_f64_e32 v[46:47], v[24:25], v[64:65]
	s_delay_alu instid0(VALU_DEP_2) | instskip(SKIP_4) | instid1(VALU_DEP_2)
	v_add_f64_e32 v[44:45], v[44:45], v[26:27]
	ds_load_b128 v[24:27], v39 offset:2048
	s_wait_dscnt 0x0
	v_mul_f64_e32 v[64:65], v[26:27], v[62:63]
	v_mul_f64_e32 v[62:63], v[24:25], v[62:63]
	v_fma_f64 v[64:65], v[24:25], v[60:61], -v[64:65]
	s_delay_alu instid0(VALU_DEP_2) | instskip(NEXT) | instid1(VALU_DEP_2)
	v_fma_f64 v[60:61], v[26:27], v[60:61], v[62:63]
	v_add_f64_e32 v[62:63], v[20:21], v[64:65]
	v_mul_f64_e32 v[20:21], v[26:27], v[4:5]
	v_mul_f64_e32 v[4:5], v[24:25], v[4:5]
	s_delay_alu instid0(VALU_DEP_4) | instskip(NEXT) | instid1(VALU_DEP_3)
	v_add_f64_e32 v[60:61], v[60:61], v[22:23]
	v_fma_f64 v[20:21], v[24:25], v[2:3], -v[20:21]
	s_delay_alu instid0(VALU_DEP_3) | instskip(NEXT) | instid1(VALU_DEP_2)
	v_fma_f64 v[2:3], v[26:27], v[2:3], v[4:5]
	v_add_f64_e32 v[24:25], v[18:19], v[20:21]
	s_delay_alu instid0(VALU_DEP_2) | instskip(SKIP_4) | instid1(VALU_DEP_2)
	v_add_f64_e32 v[26:27], v[2:3], v[16:17]
	ds_load_b128 v[2:5], v38 offset:512
	s_wait_dscnt 0x0
	v_mul_f64_e32 v[16:17], v[50:51], v[4:5]
	v_mul_f64_e32 v[18:19], v[48:49], v[4:5]
	v_fma_f64 v[16:17], v[48:49], v[2:3], -v[16:17]
	s_delay_alu instid0(VALU_DEP_2) | instskip(NEXT) | instid1(VALU_DEP_2)
	v_fma_f64 v[18:19], v[50:51], v[2:3], v[18:19]
	v_add_f64_e32 v[64:65], v[66:67], v[16:17]
	s_delay_alu instid0(VALU_DEP_2) | instskip(SKIP_4) | instid1(VALU_DEP_2)
	v_add_f64_e32 v[28:29], v[18:19], v[28:29]
	ds_load_b128 v[16:19], v38 offset:768
	s_wait_dscnt 0x0
	v_mul_f64_e32 v[20:21], v[50:51], v[18:19]
	v_mul_f64_e32 v[22:23], v[48:49], v[18:19]
	v_fma_f64 v[20:21], v[48:49], v[16:17], -v[20:21]
	s_delay_alu instid0(VALU_DEP_2) | instskip(NEXT) | instid1(VALU_DEP_2)
	v_fma_f64 v[22:23], v[50:51], v[16:17], v[22:23]
	v_add_f64_e32 v[46:47], v[46:47], v[20:21]
	s_delay_alu instid0(VALU_DEP_2) | instskip(SKIP_4) | instid1(VALU_DEP_2)
	v_add_f64_e32 v[44:45], v[22:23], v[44:45]
	ds_load_b128 v[20:23], v39 offset:2064
	s_wait_dscnt 0x0
	v_mul_f64_e32 v[48:49], v[22:23], v[4:5]
	v_mul_f64_e32 v[4:5], v[20:21], v[4:5]
	v_fma_f64 v[48:49], v[20:21], v[2:3], -v[48:49]
	s_delay_alu instid0(VALU_DEP_2) | instskip(SKIP_1) | instid1(VALU_DEP_3)
	v_fma_f64 v[2:3], v[22:23], v[2:3], v[4:5]
	v_mul_f64_e32 v[4:5], v[20:21], v[18:19]
	v_add_f64_e32 v[48:49], v[62:63], v[48:49]
	s_delay_alu instid0(VALU_DEP_3) | instskip(SKIP_1) | instid1(VALU_DEP_4)
	v_add_f64_e32 v[50:51], v[2:3], v[60:61]
	v_mul_f64_e32 v[2:3], v[22:23], v[18:19]
	v_fma_f64 v[4:5], v[22:23], v[16:17], v[4:5]
	s_delay_alu instid0(VALU_DEP_2) | instskip(NEXT) | instid1(VALU_DEP_2)
	v_fma_f64 v[2:3], v[20:21], v[16:17], -v[2:3]
	v_add_f64_e32 v[26:27], v[4:5], v[26:27]
	s_delay_alu instid0(VALU_DEP_2) | instskip(SKIP_4) | instid1(VALU_DEP_2)
	v_add_f64_e32 v[24:25], v[24:25], v[2:3]
	ds_load_b128 v[2:5], v38 offset:1024
	s_wait_dscnt 0x0
	v_mul_f64_e32 v[16:17], v[54:55], v[4:5]
	v_mul_f64_e32 v[18:19], v[52:53], v[4:5]
	v_fma_f64 v[16:17], v[52:53], v[2:3], -v[16:17]
	s_delay_alu instid0(VALU_DEP_2) | instskip(NEXT) | instid1(VALU_DEP_2)
	v_fma_f64 v[18:19], v[54:55], v[2:3], v[18:19]
	v_add_f64_e32 v[60:61], v[64:65], v[16:17]
	s_delay_alu instid0(VALU_DEP_2) | instskip(SKIP_4) | instid1(VALU_DEP_2)
	v_add_f64_e32 v[28:29], v[18:19], v[28:29]
	ds_load_b128 v[16:19], v38 offset:1280
	s_wait_dscnt 0x0
	v_mul_f64_e32 v[20:21], v[54:55], v[18:19]
	v_mul_f64_e32 v[22:23], v[52:53], v[18:19]
	v_fma_f64 v[20:21], v[52:53], v[16:17], -v[20:21]
	s_delay_alu instid0(VALU_DEP_2) | instskip(NEXT) | instid1(VALU_DEP_2)
	v_fma_f64 v[22:23], v[54:55], v[16:17], v[22:23]
	v_add_f64_e32 v[46:47], v[46:47], v[20:21]
	s_delay_alu instid0(VALU_DEP_2) | instskip(SKIP_4) | instid1(VALU_DEP_2)
	v_add_f64_e32 v[44:45], v[22:23], v[44:45]
	ds_load_b128 v[20:23], v39 offset:2080
	s_wait_dscnt 0x0
	v_mul_f64_e32 v[52:53], v[22:23], v[4:5]
	v_mul_f64_e32 v[4:5], v[20:21], v[4:5]
	v_fma_f64 v[52:53], v[20:21], v[2:3], -v[52:53]
	s_delay_alu instid0(VALU_DEP_2) | instskip(SKIP_1) | instid1(VALU_DEP_3)
	v_fma_f64 v[2:3], v[22:23], v[2:3], v[4:5]
	v_mul_f64_e32 v[4:5], v[20:21], v[18:19]
	v_add_f64_e32 v[48:49], v[48:49], v[52:53]
	s_delay_alu instid0(VALU_DEP_3) | instskip(SKIP_1) | instid1(VALU_DEP_4)
	v_add_f64_e32 v[50:51], v[2:3], v[50:51]
	v_mul_f64_e32 v[2:3], v[22:23], v[18:19]
	v_fma_f64 v[4:5], v[22:23], v[16:17], v[4:5]
	s_delay_alu instid0(VALU_DEP_2) | instskip(NEXT) | instid1(VALU_DEP_2)
	v_fma_f64 v[2:3], v[20:21], v[16:17], -v[2:3]
	;; [unrolled: 38-line block ×3, first 2 shown]
	v_add_f64_e32 v[26:27], v[4:5], v[26:27]
	s_delay_alu instid0(VALU_DEP_2)
	v_add_f64_e32 v[24:25], v[24:25], v[2:3]
	ds_load_b128 v[2:5], v39 offset:64
	ds_load_b128 v[16:19], v38 offset:2048
	s_wait_dscnt 0x0
	v_mul_f64_e32 v[20:21], v[4:5], v[18:19]
	v_mul_f64_e32 v[22:23], v[2:3], v[18:19]
	s_delay_alu instid0(VALU_DEP_2) | instskip(NEXT) | instid1(VALU_DEP_2)
	v_fma_f64 v[20:21], v[2:3], v[16:17], -v[20:21]
	v_fma_f64 v[22:23], v[4:5], v[16:17], v[22:23]
	s_delay_alu instid0(VALU_DEP_2) | instskip(NEXT) | instid1(VALU_DEP_2)
	v_add_f64_e32 v[52:53], v[52:53], v[20:21]
	v_add_f64_e32 v[28:29], v[22:23], v[28:29]
	ds_load_b128 v[20:23], v38 offset:2304
	s_wait_dscnt 0x0
	v_mul_f64_e32 v[54:55], v[4:5], v[22:23]
	s_delay_alu instid0(VALU_DEP_1) | instskip(SKIP_1) | instid1(VALU_DEP_2)
	v_fma_f64 v[54:55], v[2:3], v[20:21], -v[54:55]
	v_mul_f64_e32 v[2:3], v[2:3], v[22:23]
	v_add_f64_e32 v[46:47], v[46:47], v[54:55]
	s_delay_alu instid0(VALU_DEP_2) | instskip(NEXT) | instid1(VALU_DEP_1)
	v_fma_f64 v[2:3], v[4:5], v[20:21], v[2:3]
	v_add_f64_e32 v[44:45], v[2:3], v[44:45]
	ds_load_b128 v[2:5], v39 offset:2112
	s_wait_dscnt 0x0
	v_mul_f64_e32 v[54:55], v[4:5], v[18:19]
	v_mul_f64_e32 v[18:19], v[2:3], v[18:19]
	s_delay_alu instid0(VALU_DEP_2) | instskip(NEXT) | instid1(VALU_DEP_2)
	v_fma_f64 v[54:55], v[2:3], v[16:17], -v[54:55]
	v_fma_f64 v[16:17], v[4:5], v[16:17], v[18:19]
	s_delay_alu instid0(VALU_DEP_2) | instskip(NEXT) | instid1(VALU_DEP_2)
	v_add_f64_e32 v[48:49], v[48:49], v[54:55]
	v_add_f64_e32 v[50:51], v[16:17], v[50:51]
	v_mul_f64_e32 v[16:17], v[4:5], v[22:23]
	s_delay_alu instid0(VALU_DEP_1) | instskip(SKIP_1) | instid1(VALU_DEP_2)
	v_fma_f64 v[16:17], v[2:3], v[20:21], -v[16:17]
	v_mul_f64_e32 v[2:3], v[2:3], v[22:23]
	v_add_f64_e32 v[24:25], v[24:25], v[16:17]
	s_delay_alu instid0(VALU_DEP_2) | instskip(NEXT) | instid1(VALU_DEP_1)
	v_fma_f64 v[2:3], v[4:5], v[20:21], v[2:3]
	v_add_f64_e32 v[26:27], v[2:3], v[26:27]
	ds_load_b128 v[2:5], v39 offset:80
	ds_load_b128 v[16:19], v38 offset:2560
	s_wait_dscnt 0x0
	v_mul_f64_e32 v[20:21], v[4:5], v[18:19]
	v_mul_f64_e32 v[22:23], v[2:3], v[18:19]
	s_delay_alu instid0(VALU_DEP_2) | instskip(NEXT) | instid1(VALU_DEP_2)
	v_fma_f64 v[20:21], v[2:3], v[16:17], -v[20:21]
	v_fma_f64 v[22:23], v[4:5], v[16:17], v[22:23]
	s_delay_alu instid0(VALU_DEP_2) | instskip(NEXT) | instid1(VALU_DEP_2)
	v_add_f64_e32 v[52:53], v[52:53], v[20:21]
	v_add_f64_e32 v[28:29], v[22:23], v[28:29]
	ds_load_b128 v[20:23], v38 offset:2816
	s_wait_dscnt 0x0
	v_mul_f64_e32 v[54:55], v[4:5], v[22:23]
	s_delay_alu instid0(VALU_DEP_1) | instskip(SKIP_1) | instid1(VALU_DEP_2)
	v_fma_f64 v[54:55], v[2:3], v[20:21], -v[54:55]
	v_mul_f64_e32 v[2:3], v[2:3], v[22:23]
	v_add_f64_e32 v[46:47], v[46:47], v[54:55]
	s_delay_alu instid0(VALU_DEP_2) | instskip(NEXT) | instid1(VALU_DEP_1)
	v_fma_f64 v[2:3], v[4:5], v[20:21], v[2:3]
	v_add_f64_e32 v[44:45], v[2:3], v[44:45]
	ds_load_b128 v[2:5], v39 offset:2128
	s_wait_dscnt 0x0
	v_mul_f64_e32 v[54:55], v[4:5], v[18:19]
	v_mul_f64_e32 v[18:19], v[2:3], v[18:19]
	s_delay_alu instid0(VALU_DEP_2) | instskip(NEXT) | instid1(VALU_DEP_2)
	v_fma_f64 v[54:55], v[2:3], v[16:17], -v[54:55]
	v_fma_f64 v[16:17], v[4:5], v[16:17], v[18:19]
	s_delay_alu instid0(VALU_DEP_2) | instskip(NEXT) | instid1(VALU_DEP_2)
	v_add_f64_e32 v[48:49], v[48:49], v[54:55]
	v_add_f64_e32 v[50:51], v[16:17], v[50:51]
	v_mul_f64_e32 v[16:17], v[4:5], v[22:23]
	s_delay_alu instid0(VALU_DEP_1) | instskip(SKIP_1) | instid1(VALU_DEP_2)
	v_fma_f64 v[16:17], v[2:3], v[20:21], -v[16:17]
	v_mul_f64_e32 v[2:3], v[2:3], v[22:23]
	v_add_f64_e32 v[24:25], v[24:25], v[16:17]
	s_delay_alu instid0(VALU_DEP_2) | instskip(NEXT) | instid1(VALU_DEP_1)
	v_fma_f64 v[2:3], v[4:5], v[20:21], v[2:3]
	v_add_f64_e32 v[26:27], v[2:3], v[26:27]
	ds_load_b128 v[2:5], v39 offset:96
	ds_load_b128 v[16:19], v38 offset:3072
	s_wait_dscnt 0x0
	v_mul_f64_e32 v[20:21], v[4:5], v[18:19]
	v_mul_f64_e32 v[22:23], v[2:3], v[18:19]
	s_delay_alu instid0(VALU_DEP_2) | instskip(NEXT) | instid1(VALU_DEP_2)
	v_fma_f64 v[20:21], v[2:3], v[16:17], -v[20:21]
	v_fma_f64 v[22:23], v[4:5], v[16:17], v[22:23]
	s_delay_alu instid0(VALU_DEP_2) | instskip(NEXT) | instid1(VALU_DEP_2)
	v_add_f64_e32 v[52:53], v[52:53], v[20:21]
	v_add_f64_e32 v[28:29], v[22:23], v[28:29]
	ds_load_b128 v[20:23], v38 offset:3328
	s_wait_dscnt 0x0
	v_mul_f64_e32 v[54:55], v[4:5], v[22:23]
	s_delay_alu instid0(VALU_DEP_1) | instskip(SKIP_1) | instid1(VALU_DEP_2)
	v_fma_f64 v[54:55], v[2:3], v[20:21], -v[54:55]
	v_mul_f64_e32 v[2:3], v[2:3], v[22:23]
	v_add_f64_e32 v[54:55], v[46:47], v[54:55]
	s_delay_alu instid0(VALU_DEP_2) | instskip(NEXT) | instid1(VALU_DEP_1)
	v_fma_f64 v[2:3], v[4:5], v[20:21], v[2:3]
	v_add_f64_e32 v[56:57], v[2:3], v[44:45]
	ds_load_b128 v[2:5], v39 offset:2144
	s_wait_dscnt 0x0
	v_mul_f64_e32 v[44:45], v[4:5], v[18:19]
	v_mul_f64_e32 v[18:19], v[2:3], v[18:19]
	s_delay_alu instid0(VALU_DEP_2) | instskip(NEXT) | instid1(VALU_DEP_2)
	v_fma_f64 v[44:45], v[2:3], v[16:17], -v[44:45]
	v_fma_f64 v[16:17], v[4:5], v[16:17], v[18:19]
	s_delay_alu instid0(VALU_DEP_2) | instskip(NEXT) | instid1(VALU_DEP_2)
	v_add_f64_e32 v[48:49], v[48:49], v[44:45]
	v_add_f64_e32 v[50:51], v[16:17], v[50:51]
	v_mul_f64_e32 v[16:17], v[4:5], v[22:23]
	s_delay_alu instid0(VALU_DEP_1) | instskip(SKIP_1) | instid1(VALU_DEP_2)
	v_fma_f64 v[16:17], v[2:3], v[20:21], -v[16:17]
	v_mul_f64_e32 v[2:3], v[2:3], v[22:23]
	v_add_f64_e32 v[58:59], v[24:25], v[16:17]
	s_delay_alu instid0(VALU_DEP_2)
	v_fma_f64 v[2:3], v[4:5], v[20:21], v[2:3]
	ds_load_b128 v[16:19], v39 offset:112
	ds_load_b128 v[20:23], v38 offset:3584
	ds_load_b128 v[44:47], v38 offset:3840
	s_wait_dscnt 0x1
	v_mul_f64_e32 v[24:25], v[16:17], v[22:23]
	v_mul_f64_e32 v[4:5], v[18:19], v[22:23]
	v_add_f64_e32 v[2:3], v[2:3], v[26:27]
	s_delay_alu instid0(VALU_DEP_3) | instskip(NEXT) | instid1(VALU_DEP_3)
	v_fma_f64 v[24:25], v[18:19], v[20:21], v[24:25]
	v_fma_f64 v[4:5], v[16:17], v[20:21], -v[4:5]
	s_delay_alu instid0(VALU_DEP_2) | instskip(SKIP_2) | instid1(VALU_DEP_3)
	v_add_f64_e32 v[28:29], v[24:25], v[28:29]
	s_wait_dscnt 0x0
	v_mul_f64_e32 v[24:25], v[18:19], v[46:47]
	v_add_f64_e32 v[4:5], v[52:53], v[4:5]
	s_delay_alu instid0(VALU_DEP_2) | instskip(SKIP_1) | instid1(VALU_DEP_2)
	v_fma_f64 v[24:25], v[16:17], v[44:45], -v[24:25]
	v_mul_f64_e32 v[16:17], v[16:17], v[46:47]
	v_add_f64_e32 v[24:25], v[54:55], v[24:25]
	s_delay_alu instid0(VALU_DEP_2) | instskip(NEXT) | instid1(VALU_DEP_1)
	v_fma_f64 v[16:17], v[18:19], v[44:45], v[16:17]
	v_add_f64_e32 v[26:27], v[16:17], v[56:57]
	ds_load_b128 v[16:19], v39 offset:2160
	s_wait_loadcnt_dscnt 0x0
	s_barrier_signal -1
	s_barrier_wait -1
	global_inv scope:SCOPE_SE
	v_mul_f64_e32 v[52:53], v[18:19], v[22:23]
	v_mul_f64_e32 v[22:23], v[16:17], v[22:23]
	s_delay_alu instid0(VALU_DEP_2) | instskip(NEXT) | instid1(VALU_DEP_2)
	v_fma_f64 v[52:53], v[16:17], v[20:21], -v[52:53]
	v_fma_f64 v[22:23], v[18:19], v[20:21], v[22:23]
	s_delay_alu instid0(VALU_DEP_2) | instskip(SKIP_1) | instid1(VALU_DEP_3)
	v_add_f64_e32 v[20:21], v[48:49], v[52:53]
	v_mul_f64_e32 v[48:49], v[18:19], v[46:47]
	v_add_f64_e32 v[22:23], v[22:23], v[50:51]
	s_delay_alu instid0(VALU_DEP_2) | instskip(SKIP_1) | instid1(VALU_DEP_1)
	v_fma_f64 v[48:49], v[16:17], v[44:45], -v[48:49]
	v_mul_f64_e32 v[16:17], v[16:17], v[46:47]
	v_fma_f64 v[16:17], v[18:19], v[44:45], v[16:17]
	s_delay_alu instid0(VALU_DEP_3) | instskip(NEXT) | instid1(VALU_DEP_2)
	v_add_f64_e32 v[18:19], v[58:59], v[48:49]
	v_add_f64_e32 v[16:17], v[16:17], v[2:3]
	s_wait_alu 0xfffe
	s_cbranch_vccz .LBB274_21
.LBB274_10:                             ;   Parent Loop BB274_7 Depth=1
                                        ; =>  This Inner Loop Header: Depth=2
	s_mov_b32 s21, 0
	s_mov_b32 s37, s16
	s_and_saveexec_b32 s36, s0
	s_cbranch_execnz .LBB274_18
; %bb.11:                               ;   in Loop: Header=BB274_10 Depth=2
	s_wait_alu 0xfffe
	s_or_b32 exec_lo, exec_lo, s36
	s_and_saveexec_b32 s36, s37
	s_wait_alu 0xfffe
	s_xor_b32 s36, exec_lo, s36
	s_cbranch_execnz .LBB274_19
.LBB274_12:                             ;   in Loop: Header=BB274_10 Depth=2
	s_wait_alu 0xfffe
	s_or_b32 exec_lo, exec_lo, s36
	s_and_saveexec_b32 s36, s21
	s_cbranch_execz .LBB274_14
.LBB274_13:                             ;   in Loop: Header=BB274_10 Depth=2
	v_lshlrev_b64_e32 v[2:3], 4, v[14:15]
	s_delay_alu instid0(VALU_DEP_1) | instskip(SKIP_1) | instid1(VALU_DEP_2)
	v_add_co_u32 v2, vcc_lo, v40, v2
	s_wait_alu 0xfffd
	v_add_co_ci_u32_e64 v3, null, v41, v3, vcc_lo
	global_load_b128 v[44:47], v[2:3], off
	s_wait_loadcnt 0x0
	ds_store_2addr_b64 v32, v[44:45], v[46:47] offset1:1
.LBB274_14:                             ;   in Loop: Header=BB274_10 Depth=2
	s_wait_alu 0xfffe
	s_or_b32 exec_lo, exec_lo, s36
	v_add_nc_u32_e32 v0, s2, v30
	s_delay_alu instid0(VALU_DEP_1)
	v_cmp_le_u64_e32 vcc_lo, s[8:9], v[0:1]
	s_or_b32 s21, vcc_lo, s20
	s_wait_alu 0xfffe
	s_and_saveexec_b32 s36, s21
	s_wait_alu 0xfffe
	s_xor_b32 s21, exec_lo, s36
; %bb.15:                               ;   in Loop: Header=BB274_10 Depth=2
	v_dual_mov_b32 v0, v1 :: v_dual_mov_b32 v3, v1
	v_mov_b32_e32 v2, v1
	ds_store_b128 v33, v[0:3]
; %bb.16:                               ;   in Loop: Header=BB274_10 Depth=2
	s_wait_alu 0xfffe
	s_and_not1_saveexec_b32 s21, s21
	s_cbranch_execz .LBB274_9
; %bb.17:                               ;   in Loop: Header=BB274_10 Depth=2
	v_mad_co_u64_u32 v[2:3], null, s22, v0, 0
	s_delay_alu instid0(VALU_DEP_1) | instskip(NEXT) | instid1(VALU_DEP_1)
	v_mad_co_u64_u32 v[44:45], null, s23, v0, v[3:4]
	v_mov_b32_e32 v3, v44
	s_delay_alu instid0(VALU_DEP_1) | instskip(NEXT) | instid1(VALU_DEP_1)
	v_lshlrev_b64_e32 v[2:3], 4, v[2:3]
	v_add_co_u32 v2, vcc_lo, v42, v2
	s_wait_alu 0xfffd
	s_delay_alu instid0(VALU_DEP_2)
	v_add_co_ci_u32_e64 v3, null, v43, v3, vcc_lo
	global_load_b128 v[44:47], v[2:3], off
	s_wait_loadcnt 0x0
	ds_store_2addr_b64 v33, v[44:45], v[46:47] offset1:1
	s_branch .LBB274_9
.LBB274_18:                             ;   in Loop: Header=BB274_10 Depth=2
	s_wait_alu 0xfffe
	v_add_nc_u32_e32 v0, s2, v31
	v_mov_b32_e32 v15, v1
	s_and_not1_b32 s37, s16, exec_lo
	s_mov_b32 s21, exec_lo
	s_delay_alu instid0(VALU_DEP_2)
	v_cmp_le_u64_e32 vcc_lo, s[8:9], v[0:1]
	v_mov_b32_e32 v14, v0
	s_and_b32 s38, vcc_lo, exec_lo
	s_wait_alu 0xfffe
	s_or_b32 s37, s37, s38
	s_or_b32 exec_lo, exec_lo, s36
	s_wait_alu 0xfffe
	s_and_saveexec_b32 s36, s37
	s_wait_alu 0xfffe
	s_xor_b32 s36, exec_lo, s36
	s_cbranch_execz .LBB274_12
.LBB274_19:                             ;   in Loop: Header=BB274_10 Depth=2
	v_dual_mov_b32 v0, v1 :: v_dual_mov_b32 v3, v1
	v_mov_b32_e32 v2, v1
	s_and_not1_b32 s21, s21, exec_lo
	ds_store_b128 v32, v[0:3]
	s_wait_alu 0xfffe
	s_or_b32 exec_lo, exec_lo, s36
	s_and_saveexec_b32 s36, s21
	s_cbranch_execnz .LBB274_13
	s_branch .LBB274_14
.LBB274_20:                             ;   in Loop: Header=BB274_7 Depth=1
	v_mov_b32_e32 v28, 0
	v_mov_b32_e32 v26, 0
	v_dual_mov_b32 v22, 0 :: v_dual_mov_b32 v29, 0
	v_dual_mov_b32 v24, 0 :: v_dual_mov_b32 v27, 0
	;; [unrolled: 1-line block ×3, first 2 shown]
	v_mov_b32_e32 v18, 0
	v_dual_mov_b32 v16, 0 :: v_dual_mov_b32 v25, 0
	v_mov_b32_e32 v21, 0
	v_mov_b32_e32 v19, 0
	;; [unrolled: 1-line block ×3, first 2 shown]
.LBB274_21:                             ;   in Loop: Header=BB274_7 Depth=1
	s_mul_u64 s[2:3], s[6:7], s[34:35]
	s_wait_alu 0xfffe
	s_lshl_b64 s[2:3], s[2:3], 4
	s_wait_alu 0xfffe
	s_add_nc_u64 s[2:3], s[30:31], s[2:3]
	s_wait_alu 0xfffe
	v_add_co_u32 v0, vcc_lo, s2, v10
	s_wait_alu 0xfffd
	v_add_co_ci_u32_e64 v40, null, s3, v11, vcc_lo
	s_and_saveexec_b32 s21, s5
	s_cbranch_execz .LBB274_26
; %bb.22:                               ;   in Loop: Header=BB274_7 Depth=1
	v_mul_f64_e32 v[2:3], s[12:13], v[28:29]
	v_mul_f64_e32 v[28:29], s[10:11], v[28:29]
	s_and_b32 vcc_lo, exec_lo, s14
	s_mov_b32 s36, -1
	s_delay_alu instid0(VALU_DEP_2) | instskip(NEXT) | instid1(VALU_DEP_2)
	v_fma_f64 v[2:3], s[10:11], v[4:5], -v[2:3]
	v_fma_f64 v[4:5], s[12:13], v[4:5], v[28:29]
	s_wait_alu 0xfffe
	s_cbranch_vccz .LBB274_24
; %bb.23:                               ;   in Loop: Header=BB274_7 Depth=1
	v_lshlrev_b64_e32 v[28:29], 4, v[6:7]
	s_mov_b32 s36, 0
	s_delay_alu instid0(VALU_DEP_1) | instskip(SKIP_1) | instid1(VALU_DEP_2)
	v_add_co_u32 v28, vcc_lo, v0, v28
	s_wait_alu 0xfffd
	v_add_co_ci_u32_e64 v29, null, v40, v29, vcc_lo
	global_load_b128 v[41:44], v[28:29], off
	s_wait_loadcnt 0x0
	v_mul_f64_e32 v[45:46], s[28:29], v[43:44]
	v_mul_f64_e32 v[43:44], s[26:27], v[43:44]
	s_delay_alu instid0(VALU_DEP_2) | instskip(NEXT) | instid1(VALU_DEP_2)
	v_fma_f64 v[45:46], s[26:27], v[41:42], -v[45:46]
	v_fma_f64 v[43:44], s[28:29], v[41:42], v[43:44]
	s_delay_alu instid0(VALU_DEP_2) | instskip(NEXT) | instid1(VALU_DEP_2)
	v_add_f64_e32 v[41:42], v[2:3], v[45:46]
	v_add_f64_e32 v[43:44], v[4:5], v[43:44]
	global_store_b128 v[28:29], v[41:44], off
.LBB274_24:                             ;   in Loop: Header=BB274_7 Depth=1
	s_wait_alu 0xfffe
	s_and_not1_b32 vcc_lo, exec_lo, s36
	s_wait_alu 0xfffe
	s_cbranch_vccnz .LBB274_26
; %bb.25:                               ;   in Loop: Header=BB274_7 Depth=1
	v_lshlrev_b64_e32 v[28:29], 4, v[6:7]
	s_delay_alu instid0(VALU_DEP_1) | instskip(SKIP_1) | instid1(VALU_DEP_2)
	v_add_co_u32 v28, vcc_lo, v0, v28
	s_wait_alu 0xfffd
	v_add_co_ci_u32_e64 v29, null, v40, v29, vcc_lo
	global_store_b128 v[28:29], v[2:5], off
.LBB274_26:                             ;   in Loop: Header=BB274_7 Depth=1
	s_wait_alu 0xfffe
	s_or_b32 exec_lo, exec_lo, s21
	s_and_saveexec_b32 s21, s15
	s_cbranch_execz .LBB274_31
; %bb.27:                               ;   in Loop: Header=BB274_7 Depth=1
	v_mul_f64_e32 v[2:3], s[12:13], v[26:27]
	v_mul_f64_e32 v[4:5], s[10:11], v[26:27]
	s_and_not1_b32 vcc_lo, exec_lo, s14
	s_mov_b32 s36, -1
	s_delay_alu instid0(VALU_DEP_2) | instskip(NEXT) | instid1(VALU_DEP_2)
	v_fma_f64 v[2:3], s[10:11], v[24:25], -v[2:3]
	v_fma_f64 v[4:5], s[12:13], v[24:25], v[4:5]
	s_wait_alu 0xfffe
	s_cbranch_vccnz .LBB274_29
; %bb.28:                               ;   in Loop: Header=BB274_7 Depth=1
	v_lshlrev_b64_e32 v[24:25], 4, v[8:9]
	s_mov_b32 s36, 0
	s_delay_alu instid0(VALU_DEP_1) | instskip(SKIP_1) | instid1(VALU_DEP_2)
	v_add_co_u32 v28, vcc_lo, v0, v24
	s_wait_alu 0xfffd
	v_add_co_ci_u32_e64 v29, null, v40, v25, vcc_lo
	global_load_b128 v[24:27], v[28:29], off
	s_wait_loadcnt 0x0
	v_mul_f64_e32 v[41:42], s[28:29], v[26:27]
	v_mul_f64_e32 v[26:27], s[26:27], v[26:27]
	s_delay_alu instid0(VALU_DEP_2) | instskip(NEXT) | instid1(VALU_DEP_2)
	v_fma_f64 v[41:42], s[26:27], v[24:25], -v[41:42]
	v_fma_f64 v[26:27], s[28:29], v[24:25], v[26:27]
	s_delay_alu instid0(VALU_DEP_2) | instskip(NEXT) | instid1(VALU_DEP_2)
	v_add_f64_e32 v[24:25], v[2:3], v[41:42]
	v_add_f64_e32 v[26:27], v[4:5], v[26:27]
	global_store_b128 v[28:29], v[24:27], off
.LBB274_29:                             ;   in Loop: Header=BB274_7 Depth=1
	s_wait_alu 0xfffe
	s_and_not1_b32 vcc_lo, exec_lo, s36
	s_wait_alu 0xfffe
	s_cbranch_vccnz .LBB274_31
; %bb.30:                               ;   in Loop: Header=BB274_7 Depth=1
	v_lshlrev_b64_e32 v[24:25], 4, v[8:9]
	s_delay_alu instid0(VALU_DEP_1) | instskip(SKIP_1) | instid1(VALU_DEP_2)
	v_add_co_u32 v24, vcc_lo, v0, v24
	s_wait_alu 0xfffd
	v_add_co_ci_u32_e64 v25, null, v40, v25, vcc_lo
	global_store_b128 v[24:25], v[2:5], off
.LBB274_31:                             ;   in Loop: Header=BB274_7 Depth=1
	s_wait_alu 0xfffe
	s_or_b32 exec_lo, exec_lo, s21
	v_add_co_u32 v0, vcc_lo, s2, v12
	s_wait_alu 0xfffd
	v_add_co_ci_u32_e64 v24, null, s3, v13, vcc_lo
	s_and_saveexec_b32 s2, s4
	s_cbranch_execz .LBB274_36
; %bb.32:                               ;   in Loop: Header=BB274_7 Depth=1
	v_mul_f64_e32 v[2:3], s[12:13], v[22:23]
	v_mul_f64_e32 v[4:5], s[10:11], v[22:23]
	s_and_not1_b32 vcc_lo, exec_lo, s14
	s_mov_b32 s3, -1
	s_delay_alu instid0(VALU_DEP_2) | instskip(NEXT) | instid1(VALU_DEP_2)
	v_fma_f64 v[2:3], s[10:11], v[20:21], -v[2:3]
	v_fma_f64 v[4:5], s[12:13], v[20:21], v[4:5]
	v_lshlrev_b64_e32 v[20:21], 4, v[6:7]
	s_wait_alu 0xfffe
	s_cbranch_vccnz .LBB274_34
; %bb.33:                               ;   in Loop: Header=BB274_7 Depth=1
	s_delay_alu instid0(VALU_DEP_1) | instskip(SKIP_1) | instid1(VALU_DEP_2)
	v_add_co_u32 v22, vcc_lo, v0, v20
	s_wait_alu 0xfffd
	v_add_co_ci_u32_e64 v23, null, v24, v21, vcc_lo
	s_mov_b32 s3, 0
	global_load_b128 v[25:28], v[22:23], off
	s_wait_loadcnt 0x0
	v_mul_f64_e32 v[40:41], s[28:29], v[27:28]
	v_mul_f64_e32 v[27:28], s[26:27], v[27:28]
	s_delay_alu instid0(VALU_DEP_2) | instskip(NEXT) | instid1(VALU_DEP_2)
	v_fma_f64 v[40:41], s[26:27], v[25:26], -v[40:41]
	v_fma_f64 v[27:28], s[28:29], v[25:26], v[27:28]
	s_delay_alu instid0(VALU_DEP_2) | instskip(NEXT) | instid1(VALU_DEP_2)
	v_add_f64_e32 v[25:26], v[2:3], v[40:41]
	v_add_f64_e32 v[27:28], v[4:5], v[27:28]
	global_store_b128 v[22:23], v[25:28], off
.LBB274_34:                             ;   in Loop: Header=BB274_7 Depth=1
	s_wait_alu 0xfffe
	s_and_not1_b32 vcc_lo, exec_lo, s3
	s_wait_alu 0xfffe
	s_cbranch_vccnz .LBB274_36
; %bb.35:                               ;   in Loop: Header=BB274_7 Depth=1
	v_add_co_u32 v20, vcc_lo, v0, v20
	s_wait_alu 0xfffd
	v_add_co_ci_u32_e64 v21, null, v24, v21, vcc_lo
	global_store_b128 v[20:21], v[2:5], off
.LBB274_36:                             ;   in Loop: Header=BB274_7 Depth=1
	s_wait_alu 0xfffe
	s_or_b32 exec_lo, exec_lo, s2
	s_and_saveexec_b32 s2, s1
	s_cbranch_execz .LBB274_6
; %bb.37:                               ;   in Loop: Header=BB274_7 Depth=1
	v_mul_f64_e32 v[2:3], s[12:13], v[16:17]
	v_mul_f64_e32 v[4:5], s[10:11], v[16:17]
	v_lshlrev_b64_e32 v[16:17], 4, v[8:9]
	s_and_not1_b32 vcc_lo, exec_lo, s14
	s_mov_b32 s3, -1
	s_delay_alu instid0(VALU_DEP_3) | instskip(NEXT) | instid1(VALU_DEP_3)
	v_fma_f64 v[2:3], s[10:11], v[18:19], -v[2:3]
	v_fma_f64 v[4:5], s[12:13], v[18:19], v[4:5]
	s_wait_alu 0xfffe
	s_cbranch_vccnz .LBB274_39
; %bb.38:                               ;   in Loop: Header=BB274_7 Depth=1
	v_add_co_u32 v22, vcc_lo, v0, v16
	s_wait_alu 0xfffd
	v_add_co_ci_u32_e64 v23, null, v24, v17, vcc_lo
	s_mov_b32 s3, 0
	global_load_b128 v[18:21], v[22:23], off
	s_wait_loadcnt 0x0
	v_mul_f64_e32 v[25:26], s[28:29], v[20:21]
	v_mul_f64_e32 v[20:21], s[26:27], v[20:21]
	s_delay_alu instid0(VALU_DEP_2) | instskip(NEXT) | instid1(VALU_DEP_2)
	v_fma_f64 v[25:26], s[26:27], v[18:19], -v[25:26]
	v_fma_f64 v[20:21], s[28:29], v[18:19], v[20:21]
	s_delay_alu instid0(VALU_DEP_2) | instskip(NEXT) | instid1(VALU_DEP_2)
	v_add_f64_e32 v[18:19], v[2:3], v[25:26]
	v_add_f64_e32 v[20:21], v[4:5], v[20:21]
	global_store_b128 v[22:23], v[18:21], off
.LBB274_39:                             ;   in Loop: Header=BB274_7 Depth=1
	s_wait_alu 0xfffe
	s_and_not1_b32 vcc_lo, exec_lo, s3
	s_wait_alu 0xfffe
	s_cbranch_vccnz .LBB274_6
; %bb.40:                               ;   in Loop: Header=BB274_7 Depth=1
	v_add_co_u32 v16, vcc_lo, v0, v16
	s_wait_alu 0xfffd
	v_add_co_ci_u32_e64 v17, null, v24, v17, vcc_lo
	global_store_b128 v[16:17], v[2:5], off
	s_branch .LBB274_6
.LBB274_41:
.LBB274_42:
	s_endpgm
	.section	.rodata,"a",@progbits
	.p2align	6, 0x0
	.amdhsa_kernel _ZL29rocblas_internal_gemmt_kernelIlLi16ELi32ELi8ELc84ELc84ELc85ELb0ELb0E19rocblas_complex_numIdES1_PKS1_PS1_EviT_T9_T10_S5_lS7_S5_lS6_T11_S5_li
		.amdhsa_group_segment_fixed_size 8192
		.amdhsa_private_segment_fixed_size 0
		.amdhsa_kernarg_size 124
		.amdhsa_user_sgpr_count 2
		.amdhsa_user_sgpr_dispatch_ptr 0
		.amdhsa_user_sgpr_queue_ptr 0
		.amdhsa_user_sgpr_kernarg_segment_ptr 1
		.amdhsa_user_sgpr_dispatch_id 0
		.amdhsa_user_sgpr_private_segment_size 0
		.amdhsa_wavefront_size32 1
		.amdhsa_uses_dynamic_stack 0
		.amdhsa_enable_private_segment 0
		.amdhsa_system_sgpr_workgroup_id_x 1
		.amdhsa_system_sgpr_workgroup_id_y 1
		.amdhsa_system_sgpr_workgroup_id_z 1
		.amdhsa_system_sgpr_workgroup_info 0
		.amdhsa_system_vgpr_workitem_id 1
		.amdhsa_next_free_vgpr 68
		.amdhsa_next_free_sgpr 40
		.amdhsa_reserve_vcc 1
		.amdhsa_float_round_mode_32 0
		.amdhsa_float_round_mode_16_64 0
		.amdhsa_float_denorm_mode_32 3
		.amdhsa_float_denorm_mode_16_64 3
		.amdhsa_fp16_overflow 0
		.amdhsa_workgroup_processor_mode 1
		.amdhsa_memory_ordered 1
		.amdhsa_forward_progress 1
		.amdhsa_inst_pref_size 30
		.amdhsa_round_robin_scheduling 0
		.amdhsa_exception_fp_ieee_invalid_op 0
		.amdhsa_exception_fp_denorm_src 0
		.amdhsa_exception_fp_ieee_div_zero 0
		.amdhsa_exception_fp_ieee_overflow 0
		.amdhsa_exception_fp_ieee_underflow 0
		.amdhsa_exception_fp_ieee_inexact 0
		.amdhsa_exception_int_div_zero 0
	.end_amdhsa_kernel
	.section	.text._ZL29rocblas_internal_gemmt_kernelIlLi16ELi32ELi8ELc84ELc84ELc85ELb0ELb0E19rocblas_complex_numIdES1_PKS1_PS1_EviT_T9_T10_S5_lS7_S5_lS6_T11_S5_li,"axG",@progbits,_ZL29rocblas_internal_gemmt_kernelIlLi16ELi32ELi8ELc84ELc84ELc85ELb0ELb0E19rocblas_complex_numIdES1_PKS1_PS1_EviT_T9_T10_S5_lS7_S5_lS6_T11_S5_li,comdat
.Lfunc_end274:
	.size	_ZL29rocblas_internal_gemmt_kernelIlLi16ELi32ELi8ELc84ELc84ELc85ELb0ELb0E19rocblas_complex_numIdES1_PKS1_PS1_EviT_T9_T10_S5_lS7_S5_lS6_T11_S5_li, .Lfunc_end274-_ZL29rocblas_internal_gemmt_kernelIlLi16ELi32ELi8ELc84ELc84ELc85ELb0ELb0E19rocblas_complex_numIdES1_PKS1_PS1_EviT_T9_T10_S5_lS7_S5_lS6_T11_S5_li
                                        ; -- End function
	.set _ZL29rocblas_internal_gemmt_kernelIlLi16ELi32ELi8ELc84ELc84ELc85ELb0ELb0E19rocblas_complex_numIdES1_PKS1_PS1_EviT_T9_T10_S5_lS7_S5_lS6_T11_S5_li.num_vgpr, 68
	.set _ZL29rocblas_internal_gemmt_kernelIlLi16ELi32ELi8ELc84ELc84ELc85ELb0ELb0E19rocblas_complex_numIdES1_PKS1_PS1_EviT_T9_T10_S5_lS7_S5_lS6_T11_S5_li.num_agpr, 0
	.set _ZL29rocblas_internal_gemmt_kernelIlLi16ELi32ELi8ELc84ELc84ELc85ELb0ELb0E19rocblas_complex_numIdES1_PKS1_PS1_EviT_T9_T10_S5_lS7_S5_lS6_T11_S5_li.numbered_sgpr, 40
	.set _ZL29rocblas_internal_gemmt_kernelIlLi16ELi32ELi8ELc84ELc84ELc85ELb0ELb0E19rocblas_complex_numIdES1_PKS1_PS1_EviT_T9_T10_S5_lS7_S5_lS6_T11_S5_li.num_named_barrier, 0
	.set _ZL29rocblas_internal_gemmt_kernelIlLi16ELi32ELi8ELc84ELc84ELc85ELb0ELb0E19rocblas_complex_numIdES1_PKS1_PS1_EviT_T9_T10_S5_lS7_S5_lS6_T11_S5_li.private_seg_size, 0
	.set _ZL29rocblas_internal_gemmt_kernelIlLi16ELi32ELi8ELc84ELc84ELc85ELb0ELb0E19rocblas_complex_numIdES1_PKS1_PS1_EviT_T9_T10_S5_lS7_S5_lS6_T11_S5_li.uses_vcc, 1
	.set _ZL29rocblas_internal_gemmt_kernelIlLi16ELi32ELi8ELc84ELc84ELc85ELb0ELb0E19rocblas_complex_numIdES1_PKS1_PS1_EviT_T9_T10_S5_lS7_S5_lS6_T11_S5_li.uses_flat_scratch, 0
	.set _ZL29rocblas_internal_gemmt_kernelIlLi16ELi32ELi8ELc84ELc84ELc85ELb0ELb0E19rocblas_complex_numIdES1_PKS1_PS1_EviT_T9_T10_S5_lS7_S5_lS6_T11_S5_li.has_dyn_sized_stack, 0
	.set _ZL29rocblas_internal_gemmt_kernelIlLi16ELi32ELi8ELc84ELc84ELc85ELb0ELb0E19rocblas_complex_numIdES1_PKS1_PS1_EviT_T9_T10_S5_lS7_S5_lS6_T11_S5_li.has_recursion, 0
	.set _ZL29rocblas_internal_gemmt_kernelIlLi16ELi32ELi8ELc84ELc84ELc85ELb0ELb0E19rocblas_complex_numIdES1_PKS1_PS1_EviT_T9_T10_S5_lS7_S5_lS6_T11_S5_li.has_indirect_call, 0
	.section	.AMDGPU.csdata,"",@progbits
; Kernel info:
; codeLenInByte = 3828
; TotalNumSgprs: 42
; NumVgprs: 68
; ScratchSize: 0
; MemoryBound: 0
; FloatMode: 240
; IeeeMode: 1
; LDSByteSize: 8192 bytes/workgroup (compile time only)
; SGPRBlocks: 0
; VGPRBlocks: 8
; NumSGPRsForWavesPerEU: 42
; NumVGPRsForWavesPerEU: 68
; Occupancy: 16
; WaveLimiterHint : 0
; COMPUTE_PGM_RSRC2:SCRATCH_EN: 0
; COMPUTE_PGM_RSRC2:USER_SGPR: 2
; COMPUTE_PGM_RSRC2:TRAP_HANDLER: 0
; COMPUTE_PGM_RSRC2:TGID_X_EN: 1
; COMPUTE_PGM_RSRC2:TGID_Y_EN: 1
; COMPUTE_PGM_RSRC2:TGID_Z_EN: 1
; COMPUTE_PGM_RSRC2:TIDIG_COMP_CNT: 1
	.section	.text._ZL29rocblas_internal_gemmt_kernelIlLi16ELi32ELi8ELc84ELc67ELc85ELb0ELb1E19rocblas_complex_numIdES1_PKS1_PS1_EviT_T9_T10_S5_lS7_S5_lS6_T11_S5_li,"axG",@progbits,_ZL29rocblas_internal_gemmt_kernelIlLi16ELi32ELi8ELc84ELc67ELc85ELb0ELb1E19rocblas_complex_numIdES1_PKS1_PS1_EviT_T9_T10_S5_lS7_S5_lS6_T11_S5_li,comdat
	.globl	_ZL29rocblas_internal_gemmt_kernelIlLi16ELi32ELi8ELc84ELc67ELc85ELb0ELb1E19rocblas_complex_numIdES1_PKS1_PS1_EviT_T9_T10_S5_lS7_S5_lS6_T11_S5_li ; -- Begin function _ZL29rocblas_internal_gemmt_kernelIlLi16ELi32ELi8ELc84ELc67ELc85ELb0ELb1E19rocblas_complex_numIdES1_PKS1_PS1_EviT_T9_T10_S5_lS7_S5_lS6_T11_S5_li
	.p2align	8
	.type	_ZL29rocblas_internal_gemmt_kernelIlLi16ELi32ELi8ELc84ELc67ELc85ELb0ELb1E19rocblas_complex_numIdES1_PKS1_PS1_EviT_T9_T10_S5_lS7_S5_lS6_T11_S5_li,@function
_ZL29rocblas_internal_gemmt_kernelIlLi16ELi32ELi8ELc84ELc67ELc85ELb0ELb1E19rocblas_complex_numIdES1_PKS1_PS1_EviT_T9_T10_S5_lS7_S5_lS6_T11_S5_li: ; @_ZL29rocblas_internal_gemmt_kernelIlLi16ELi32ELi8ELc84ELc67ELc85ELb0ELb1E19rocblas_complex_numIdES1_PKS1_PS1_EviT_T9_T10_S5_lS7_S5_lS6_T11_S5_li
; %bb.0:
	s_clause 0x1
	s_load_b256 s[20:27], s[0:1], 0x48
	s_load_b512 s[4:19], s[0:1], 0x8
	s_wait_kmcnt 0x0
	v_cmp_eq_f64_e64 s3, s[22:23], 1.0
	v_cmp_eq_f64_e64 s2, s[24:25], 0
	s_and_b32 s3, s3, s2
	s_delay_alu instid0(SALU_CYCLE_1)
	s_and_not1_b32 vcc_lo, exec_lo, s3
	s_mov_b32 s3, -1
	s_cbranch_vccnz .LBB275_3
; %bb.1:
	s_cmp_lg_u64 s[4:5], 0
	s_cbranch_scc0 .LBB275_39
; %bb.2:
	v_cmp_neq_f64_e64 s3, s[6:7], 0
	v_cmp_neq_f64_e64 s28, s[8:9], 0
	s_or_b32 s3, s3, s28
.LBB275_3:
	s_delay_alu instid0(SALU_CYCLE_1)
	s_and_b32 vcc_lo, exec_lo, s3
	s_cbranch_vccz .LBB275_40
; %bb.4:
	s_load_b32 s33, s[0:1], 0x78
	s_lshr_b32 s34, ttmp7, 16
	s_wait_kmcnt 0x0
	s_cmp_ge_u32 s34, s33
	s_cbranch_scc1 .LBB275_40
; %bb.5:
	v_and_b32_e32 v6, 0x3ff, v0
	v_bfe_u32 v7, v0, 10, 10
	v_cmp_neq_f64_e64 s3, s[6:7], 0
	v_cmp_neq_f64_e64 s35, s[8:9], 0
	s_clause 0x1
	s_load_b128 s[28:31], s[0:1], 0x68
	s_load_b32 s36, s[0:1], 0x0
	s_lshl_b32 s37, ttmp9, 5
	v_lshl_add_u32 v2, v7, 4, v6
	v_and_b32_e32 v32, 7, v0
	s_lshl_b32 s0, ttmp7, 5
	s_ashr_i32 s1, s37, 31
	s_and_b32 s0, s0, 0x1fffe0
	v_and_b32_e32 v3, 31, v2
	v_lshrrev_b32_e32 v8, 3, v2
	s_mul_i32 s1, s12, s1
	v_add_nc_u32_e32 v12, s0, v7
	v_lshrrev_b32_e32 v33, 5, v2
	v_or_b32_e32 v4, s37, v3
	v_add_nc_u32_e32 v2, s0, v8
	v_lshlrev_b32_e32 v3, 4, v3
	v_cmp_neq_f64_e64 s39, s[22:23], 0
	v_add_nc_u32_e32 v13, 16, v12
	v_mul_lo_u32 v5, s13, v4
	v_mad_co_u64_u32 v[0:1], null, s12, v4, 0
	s_wait_kmcnt 0x0
	v_cmp_gt_i32_e64 s0, s36, v4
	v_cmp_le_i32_e64 s12, s36, v4
	v_lshl_or_b32 v34, v33, 9, v3
	v_lshlrev_b32_e32 v4, 4, v2
	v_lshl_add_u32 v41, v7, 7, 0x1000
	v_cmp_gt_i64_e64 s38, s[4:5], 0
	v_add3_u32 v1, v1, s1, v5
	v_cmp_gt_i32_e64 s1, s36, v2
	v_mad_co_u64_u32 v[2:3], null, s28, v12, 0
	v_lshlrev_b32_e32 v9, 4, v32
	s_delay_alu instid0(VALU_DEP_4) | instskip(SKIP_1) | instid1(VALU_DEP_1)
	v_lshlrev_b64_e32 v[0:1], 4, v[0:1]
                                        ; implicit-def: $vgpr14_vgpr15
	s_or_b32 s35, s3, s35
	v_add_co_u32 v36, vcc_lo, s10, v0
	s_delay_alu instid0(VALU_DEP_4) | instskip(SKIP_3) | instid1(VALU_DEP_3)
	v_mov_b32_e32 v0, v3
	v_lshl_or_b32 v5, v8, 7, v9
	v_add_co_u32 v38, s3, s16, v4
	v_add_co_ci_u32_e64 v37, null, s11, v1, vcc_lo
	v_add_nc_u32_e32 v35, 0x1000, v5
	v_mad_co_u64_u32 v[4:5], null, s28, v13, 0
	v_dual_mov_b32 v1, 0 :: v_dual_lshlrev_b32 v40, 4, v6
	v_add_nc_u32_e32 v6, s37, v6
	v_add_co_ci_u32_e64 v39, null, s17, 0, s3
	s_delay_alu instid0(VALU_DEP_3) | instskip(SKIP_1) | instid1(VALU_DEP_4)
	v_mad_co_u64_u32 v[7:8], null, s29, v12, v[0:1]
	v_mov_b32_e32 v0, v5
	v_add_nc_u32_e32 v8, 16, v6
	s_xor_b32 s10, s2, -1
	s_and_b32 s16, s35, s38
	s_wait_alu 0xfffe
	s_or_b32 s10, s39, s10
	v_mad_co_u64_u32 v[10:11], null, s29, v13, v[0:1]
	v_mov_b32_e32 v3, v7
	v_ashrrev_i32_e32 v7, 31, v6
	v_ashrrev_i32_e32 v9, 31, v8
	s_mov_b32 s35, 0
	s_delay_alu instid0(VALU_DEP_4)
	v_mov_b32_e32 v5, v10
	v_cmp_gt_i32_e32 vcc_lo, s36, v12
	v_cmp_le_i32_e64 s2, v6, v12
	v_cmp_le_i32_e64 s3, v8, v12
	v_lshlrev_b64_e32 v[10:11], 4, v[2:3]
	s_and_b32 s11, vcc_lo, s2
	s_and_b32 s13, vcc_lo, s3
	v_cmp_gt_i32_e32 vcc_lo, s36, v13
	v_cmp_le_i32_e64 s2, v6, v13
	v_cmp_le_i32_e64 s3, v8, v13
	v_lshlrev_b64_e32 v[12:13], 4, v[4:5]
	s_and_b32 s17, vcc_lo, s2
	s_and_b32 s28, vcc_lo, s3
	s_branch .LBB275_7
.LBB275_6:                              ;   in Loop: Header=BB275_7 Depth=1
	s_wait_alu 0xfffe
	s_or_b32 exec_lo, exec_lo, s2
	s_add_co_i32 s34, s34, 0x10000
	s_delay_alu instid0(SALU_CYCLE_1)
	s_cmp_lt_u32 s34, s33
	s_cbranch_scc0 .LBB275_40
.LBB275_7:                              ; =>This Loop Header: Depth=1
                                        ;     Child Loop BB275_10 Depth 2
	v_mov_b32_e32 v28, 0
	v_mov_b32_e32 v29, 0
	s_and_not1_b32 vcc_lo, exec_lo, s16
	s_wait_alu 0xfffe
	s_cbranch_vccnz .LBB275_18
; %bb.8:                                ;   in Loop: Header=BB275_7 Depth=1
	s_mul_u64 s[2:3], s[14:15], s[34:35]
	s_mul_u64 s[36:37], s[20:21], s[34:35]
	s_wait_alu 0xfffe
	s_lshl_b64 s[2:3], s[2:3], 4
	v_mov_b32_e32 v16, 0
	s_wait_alu 0xfffe
	v_add_co_u32 v42, vcc_lo, v36, s2
	s_wait_alu 0xfffd
	v_add_co_ci_u32_e64 v43, null, s3, v37, vcc_lo
	s_lshl_b64 s[2:3], s[36:37], 4
	v_mov_b32_e32 v22, 0
	v_mov_b32_e32 v26, 0
	;; [unrolled: 1-line block ×3, first 2 shown]
	s_wait_alu 0xfffe
	v_add_co_u32 v44, vcc_lo, v38, s2
	v_dual_mov_b32 v17, 0 :: v_dual_mov_b32 v18, 0
	v_dual_mov_b32 v23, 0 :: v_dual_mov_b32 v20, 0
	;; [unrolled: 1-line block ×4, first 2 shown]
	v_mov_b32_e32 v19, 0
	v_mov_b32_e32 v21, 0
	;; [unrolled: 1-line block ×4, first 2 shown]
	s_wait_alu 0xfffd
	v_add_co_ci_u32_e64 v45, null, s3, v39, vcc_lo
	s_mov_b64 s[2:3], 0
	s_branch .LBB275_10
.LBB275_9:                              ;   in Loop: Header=BB275_10 Depth=2
	s_wait_alu 0xfffe
	s_or_b32 exec_lo, exec_lo, s29
	ds_store_b128 v35, v[2:5]
	s_wait_dscnt 0x0
	s_barrier_signal -1
	s_barrier_wait -1
	global_inv scope:SCOPE_SE
	ds_load_b128 v[2:5], v41
	ds_load_b128 v[46:49], v40
	ds_load_b128 v[50:53], v40 offset:256
	ds_load_b128 v[54:57], v41 offset:2048
	;; [unrolled: 1-line block ×10, first 2 shown]
	s_add_nc_u64 s[2:3], s[2:3], 8
	s_wait_alu 0xfffe
	v_cmp_gt_i64_e64 s29, s[4:5], s[2:3]
	s_and_b32 vcc_lo, exec_lo, s29
	s_wait_dscnt 0xa
	v_mul_f64_e32 v[90:91], v[4:5], v[48:49]
	v_mul_f64_e32 v[92:93], v[2:3], v[48:49]
	s_wait_dscnt 0x9
	v_mul_f64_e32 v[94:95], v[4:5], v[52:53]
	v_mul_f64_e32 v[96:97], v[2:3], v[52:53]
	;; [unrolled: 3-line block ×3, first 2 shown]
	v_mul_f64_e32 v[100:101], v[56:57], v[52:53]
	v_mul_f64_e32 v[52:53], v[54:55], v[52:53]
	s_wait_dscnt 0x5
	v_mul_f64_e32 v[102:103], v[60:61], v[68:69]
	v_mul_f64_e32 v[104:105], v[58:59], v[68:69]
	s_wait_dscnt 0x4
	v_mul_f64_e32 v[106:107], v[60:61], v[72:73]
	v_mul_f64_e32 v[108:109], v[58:59], v[72:73]
	;; [unrolled: 1-line block ×6, first 2 shown]
	s_wait_dscnt 0x2
	v_mul_f64_e32 v[118:119], v[76:77], v[80:81]
	v_mul_f64_e32 v[120:121], v[74:75], v[80:81]
	s_wait_dscnt 0x1
	v_mul_f64_e32 v[122:123], v[76:77], v[84:85]
	v_mul_f64_e32 v[124:125], v[74:75], v[84:85]
	;; [unrolled: 3-line block ×3, first 2 shown]
	v_mul_f64_e32 v[128:129], v[88:89], v[84:85]
	v_mul_f64_e32 v[84:85], v[86:87], v[84:85]
	v_fma_f64 v[90:91], v[2:3], v[46:47], -v[90:91]
	v_fma_f64 v[92:93], v[4:5], v[46:47], v[92:93]
	v_fma_f64 v[94:95], v[2:3], v[50:51], -v[94:95]
	v_fma_f64 v[96:97], v[4:5], v[50:51], v[96:97]
	;; [unrolled: 2-line block ×8, first 2 shown]
	ds_load_b128 v[2:5], v41 offset:48
	ds_load_b128 v[46:49], v40 offset:1536
	;; [unrolled: 1-line block ×4, first 2 shown]
	v_fma_f64 v[118:119], v[74:75], v[78:79], -v[118:119]
	v_fma_f64 v[120:121], v[76:77], v[78:79], v[120:121]
	v_fma_f64 v[74:75], v[74:75], v[82:83], -v[122:123]
	v_fma_f64 v[76:77], v[76:77], v[82:83], v[124:125]
	;; [unrolled: 2-line block ×4, first 2 shown]
	s_wait_dscnt 0x2
	v_mul_f64_e32 v[108:109], v[2:3], v[48:49]
	s_wait_dscnt 0x1
	v_mul_f64_e32 v[110:111], v[4:5], v[52:53]
	v_mul_f64_e32 v[112:113], v[2:3], v[52:53]
	v_add_f64_e32 v[68:69], v[28:29], v[90:91]
	v_add_f64_e32 v[70:71], v[92:93], v[30:31]
	v_add_f64_e32 v[72:73], v[24:25], v[94:95]
	v_add_f64_e32 v[90:91], v[96:97], v[26:27]
	v_add_f64_e32 v[92:93], v[20:21], v[98:99]
	v_add_f64_e32 v[94:95], v[114:115], v[22:23]
	v_add_f64_e32 v[96:97], v[18:19], v[100:101]
	v_add_f64_e32 v[98:99], v[116:117], v[16:17]
	v_mul_f64_e32 v[100:101], v[4:5], v[48:49]
	s_wait_dscnt 0x0
	v_mul_f64_e32 v[114:115], v[56:57], v[48:49]
	v_mul_f64_e32 v[48:49], v[54:55], v[48:49]
	;; [unrolled: 1-line block ×4, first 2 shown]
	ds_load_b128 v[16:19], v41 offset:64
	ds_load_b128 v[20:23], v40 offset:2048
	;; [unrolled: 1-line block ×4, first 2 shown]
	s_wait_dscnt 0x1
	v_mul_f64_e32 v[124:125], v[16:17], v[26:27]
	s_wait_dscnt 0x0
	v_mul_f64_e32 v[126:127], v[30:31], v[22:23]
	v_mul_f64_e32 v[128:129], v[30:31], v[26:27]
	v_fma_f64 v[108:109], v[4:5], v[46:47], v[108:109]
	v_fma_f64 v[110:111], v[2:3], v[50:51], -v[110:111]
	v_fma_f64 v[112:113], v[4:5], v[50:51], v[112:113]
	v_add_f64_e32 v[84:85], v[68:69], v[102:103]
	v_add_f64_e32 v[86:87], v[104:105], v[70:71]
	;; [unrolled: 1-line block ×8, first 2 shown]
	v_mul_f64_e32 v[102:103], v[18:19], v[22:23]
	v_mul_f64_e32 v[104:105], v[16:17], v[22:23]
	;; [unrolled: 1-line block ×5, first 2 shown]
	v_fma_f64 v[100:101], v[2:3], v[46:47], -v[100:101]
	v_fma_f64 v[114:115], v[54:55], v[46:47], -v[114:115]
	v_fma_f64 v[130:131], v[56:57], v[46:47], v[48:49]
	v_fma_f64 v[116:117], v[54:55], v[50:51], -v[116:117]
	v_fma_f64 v[132:133], v[56:57], v[50:51], v[52:53]
	ds_load_b128 v[58:61], v41 offset:80
	ds_load_b128 v[62:65], v40 offset:2560
	;; [unrolled: 1-line block ×8, first 2 shown]
	v_add_f64_e32 v[84:85], v[84:85], v[118:119]
	v_add_f64_e32 v[86:87], v[120:121], v[86:87]
	;; [unrolled: 1-line block ×8, first 2 shown]
	s_wait_dscnt 0x6
	v_mul_f64_e32 v[90:91], v[60:61], v[64:65]
	v_mul_f64_e32 v[92:93], v[58:59], v[64:65]
	s_wait_dscnt 0x5
	v_mul_f64_e32 v[94:95], v[60:61], v[68:69]
	v_mul_f64_e32 v[96:97], v[58:59], v[68:69]
	;; [unrolled: 3-line block ×3, first 2 shown]
	v_mul_f64_e32 v[118:119], v[72:73], v[68:69]
	v_mul_f64_e32 v[68:69], v[70:71], v[68:69]
	v_fma_f64 v[102:103], v[16:17], v[20:21], -v[102:103]
	v_fma_f64 v[104:105], v[18:19], v[20:21], v[104:105]
	v_fma_f64 v[106:107], v[16:17], v[24:25], -v[106:107]
	v_fma_f64 v[120:121], v[18:19], v[24:25], v[124:125]
	v_fma_f64 v[122:123], v[28:29], v[20:21], -v[126:127]
	v_fma_f64 v[124:125], v[30:31], v[20:21], v[22:23]
	v_fma_f64 v[126:127], v[28:29], v[24:25], -v[128:129]
	v_fma_f64 v[128:129], v[30:31], v[24:25], v[26:27]
	ds_load_b128 v[16:19], v41 offset:112
	ds_load_b128 v[20:23], v40 offset:3584
	;; [unrolled: 1-line block ×4, first 2 shown]
	s_wait_loadcnt_dscnt 0x0
	s_barrier_signal -1
	s_barrier_wait -1
	global_inv scope:SCOPE_SE
	v_add_f64_e32 v[84:85], v[84:85], v[100:101]
	v_add_f64_e32 v[86:87], v[108:109], v[86:87]
	;; [unrolled: 1-line block ×8, first 2 shown]
	v_mul_f64_e32 v[100:101], v[4:5], v[48:49]
	v_mul_f64_e32 v[108:109], v[2:3], v[48:49]
	;; [unrolled: 1-line block ×8, first 2 shown]
	v_fma_f64 v[90:91], v[58:59], v[62:63], -v[90:91]
	v_fma_f64 v[92:93], v[60:61], v[62:63], v[92:93]
	v_fma_f64 v[58:59], v[58:59], v[66:67], -v[94:95]
	v_fma_f64 v[60:61], v[60:61], v[66:67], v[96:97]
	v_fma_f64 v[94:95], v[70:71], v[62:63], -v[98:99]
	v_fma_f64 v[62:63], v[72:73], v[62:63], v[64:65]
	v_fma_f64 v[64:65], v[70:71], v[66:67], -v[118:119]
	v_fma_f64 v[66:67], v[72:73], v[66:67], v[68:69]
	v_mul_f64_e32 v[96:97], v[16:17], v[26:27]
	v_mul_f64_e32 v[98:99], v[30:31], v[22:23]
	v_add_f64_e32 v[68:69], v[84:85], v[102:103]
	v_add_f64_e32 v[70:71], v[104:105], v[86:87]
	;; [unrolled: 1-line block ×8, first 2 shown]
	v_mul_f64_e32 v[84:85], v[18:19], v[22:23]
	v_mul_f64_e32 v[86:87], v[16:17], v[22:23]
	;; [unrolled: 1-line block ×6, first 2 shown]
	v_fma_f64 v[100:101], v[2:3], v[46:47], -v[100:101]
	v_fma_f64 v[104:105], v[4:5], v[46:47], v[108:109]
	v_fma_f64 v[2:3], v[2:3], v[50:51], -v[110:111]
	v_fma_f64 v[4:5], v[4:5], v[50:51], v[112:113]
	;; [unrolled: 2-line block ×4, first 2 shown]
	v_add_f64_e32 v[52:53], v[68:69], v[90:91]
	v_add_f64_e32 v[54:55], v[92:93], v[70:71]
	;; [unrolled: 1-line block ×8, first 2 shown]
	v_fma_f64 v[68:69], v[16:17], v[20:21], -v[84:85]
	v_fma_f64 v[70:71], v[18:19], v[20:21], v[86:87]
	v_fma_f64 v[16:17], v[16:17], v[24:25], -v[88:89]
	v_fma_f64 v[18:19], v[18:19], v[24:25], v[96:97]
	;; [unrolled: 2-line block ×4, first 2 shown]
	v_add_f64_e32 v[20:21], v[52:53], v[100:101]
	v_add_f64_e32 v[24:25], v[104:105], v[54:55]
	;; [unrolled: 1-line block ×16, first 2 shown]
	s_wait_alu 0xfffe
	s_cbranch_vccz .LBB275_19
.LBB275_10:                             ;   Parent Loop BB275_7 Depth=1
                                        ; =>  This Inner Loop Header: Depth=2
	s_mov_b32 s29, 0
	s_mov_b32 s37, s12
	s_and_saveexec_b32 s36, s0
	s_cbranch_execnz .LBB275_16
; %bb.11:                               ;   in Loop: Header=BB275_10 Depth=2
	s_wait_alu 0xfffe
	s_or_b32 exec_lo, exec_lo, s36
	s_and_saveexec_b32 s36, s37
	s_wait_alu 0xfffe
	s_xor_b32 s36, exec_lo, s36
	s_cbranch_execnz .LBB275_17
.LBB275_12:                             ;   in Loop: Header=BB275_10 Depth=2
	s_wait_alu 0xfffe
	s_or_b32 exec_lo, exec_lo, s36
	s_and_saveexec_b32 s36, s29
	s_cbranch_execz .LBB275_14
.LBB275_13:                             ;   in Loop: Header=BB275_10 Depth=2
	v_lshlrev_b64_e32 v[2:3], 4, v[14:15]
	s_delay_alu instid0(VALU_DEP_1) | instskip(SKIP_1) | instid1(VALU_DEP_2)
	v_add_co_u32 v2, vcc_lo, v42, v2
	s_wait_alu 0xfffd
	v_add_co_ci_u32_e64 v3, null, v43, v3, vcc_lo
	global_load_b128 v[2:5], v[2:3], off
	s_wait_loadcnt 0x0
	ds_store_2addr_b64 v34, v[2:3], v[4:5] offset1:1
.LBB275_14:                             ;   in Loop: Header=BB275_10 Depth=2
	s_wait_alu 0xfffe
	s_or_b32 exec_lo, exec_lo, s36
	v_add_nc_u32_e32 v0, s2, v32
	v_mov_b32_e32 v2, 0
	v_dual_mov_b32 v3, 0 :: v_dual_mov_b32 v4, 0
	v_mov_b32_e32 v5, 0
	s_delay_alu instid0(VALU_DEP_4)
	v_cmp_gt_u64_e32 vcc_lo, s[4:5], v[0:1]
	s_and_b32 s36, vcc_lo, s1
	s_wait_alu 0xfffe
	s_and_saveexec_b32 s29, s36
	s_cbranch_execz .LBB275_9
; %bb.15:                               ;   in Loop: Header=BB275_10 Depth=2
	v_mad_co_u64_u32 v[2:3], null, s18, v0, 0
	s_delay_alu instid0(VALU_DEP_1) | instskip(NEXT) | instid1(VALU_DEP_1)
	v_mad_co_u64_u32 v[3:4], null, s19, v0, v[3:4]
	v_lshlrev_b64_e32 v[2:3], 4, v[2:3]
	s_delay_alu instid0(VALU_DEP_1) | instskip(SKIP_1) | instid1(VALU_DEP_2)
	v_add_co_u32 v2, vcc_lo, v44, v2
	s_wait_alu 0xfffd
	v_add_co_ci_u32_e64 v3, null, v45, v3, vcc_lo
	global_load_b128 v[2:5], v[2:3], off
	s_wait_loadcnt 0x0
	v_xor_b32_e32 v5, 0x80000000, v5
	s_branch .LBB275_9
.LBB275_16:                             ;   in Loop: Header=BB275_10 Depth=2
	s_wait_alu 0xfffe
	v_add_nc_u32_e32 v0, s2, v33
	v_mov_b32_e32 v15, v1
	s_and_not1_b32 s37, s12, exec_lo
	s_mov_b32 s29, exec_lo
	s_delay_alu instid0(VALU_DEP_2)
	v_cmp_le_u64_e32 vcc_lo, s[4:5], v[0:1]
	v_mov_b32_e32 v14, v0
	s_and_b32 s38, vcc_lo, exec_lo
	s_wait_alu 0xfffe
	s_or_b32 s37, s37, s38
	s_or_b32 exec_lo, exec_lo, s36
	s_wait_alu 0xfffe
	s_and_saveexec_b32 s36, s37
	s_wait_alu 0xfffe
	s_xor_b32 s36, exec_lo, s36
	s_cbranch_execz .LBB275_12
.LBB275_17:                             ;   in Loop: Header=BB275_10 Depth=2
	v_dual_mov_b32 v0, v1 :: v_dual_mov_b32 v3, v1
	v_mov_b32_e32 v2, v1
	s_and_not1_b32 s29, s29, exec_lo
	ds_store_b128 v34, v[0:3]
	s_wait_alu 0xfffe
	s_or_b32 exec_lo, exec_lo, s36
	s_and_saveexec_b32 s36, s29
	s_cbranch_execnz .LBB275_13
	s_branch .LBB275_14
.LBB275_18:                             ;   in Loop: Header=BB275_7 Depth=1
	v_mov_b32_e32 v30, 0
	v_mov_b32_e32 v26, 0
	v_dual_mov_b32 v22, 0 :: v_dual_mov_b32 v31, 0
	v_dual_mov_b32 v24, 0 :: v_dual_mov_b32 v27, 0
	;; [unrolled: 1-line block ×3, first 2 shown]
	v_mov_b32_e32 v18, 0
	v_dual_mov_b32 v16, 0 :: v_dual_mov_b32 v25, 0
	v_mov_b32_e32 v21, 0
	v_mov_b32_e32 v19, 0
	;; [unrolled: 1-line block ×3, first 2 shown]
.LBB275_19:                             ;   in Loop: Header=BB275_7 Depth=1
	s_mul_u64 s[2:3], s[30:31], s[34:35]
	s_wait_alu 0xfffe
	s_lshl_b64 s[2:3], s[2:3], 4
	s_wait_alu 0xfffe
	s_add_nc_u64 s[2:3], s[26:27], s[2:3]
	s_wait_alu 0xfffe
	v_add_co_u32 v0, vcc_lo, s2, v10
	s_wait_alu 0xfffd
	v_add_co_ci_u32_e64 v42, null, s3, v11, vcc_lo
	s_and_saveexec_b32 s29, s11
	s_cbranch_execz .LBB275_24
; %bb.20:                               ;   in Loop: Header=BB275_7 Depth=1
	v_mul_f64_e32 v[2:3], s[8:9], v[30:31]
	v_mul_f64_e32 v[4:5], s[6:7], v[30:31]
	s_and_b32 vcc_lo, exec_lo, s10
	s_mov_b32 s36, -1
	s_delay_alu instid0(VALU_DEP_2) | instskip(NEXT) | instid1(VALU_DEP_2)
	v_fma_f64 v[2:3], s[6:7], v[28:29], -v[2:3]
	v_fma_f64 v[4:5], s[8:9], v[28:29], v[4:5]
	s_wait_alu 0xfffe
	s_cbranch_vccz .LBB275_22
; %bb.21:                               ;   in Loop: Header=BB275_7 Depth=1
	v_lshlrev_b64_e32 v[28:29], 4, v[6:7]
	s_mov_b32 s36, 0
	s_delay_alu instid0(VALU_DEP_1) | instskip(SKIP_1) | instid1(VALU_DEP_2)
	v_add_co_u32 v43, vcc_lo, v0, v28
	s_wait_alu 0xfffd
	v_add_co_ci_u32_e64 v44, null, v42, v29, vcc_lo
	global_load_b128 v[28:31], v[43:44], off
	s_wait_loadcnt 0x0
	v_mul_f64_e32 v[45:46], s[24:25], v[30:31]
	v_mul_f64_e32 v[30:31], s[22:23], v[30:31]
	s_delay_alu instid0(VALU_DEP_2) | instskip(NEXT) | instid1(VALU_DEP_2)
	v_fma_f64 v[45:46], s[22:23], v[28:29], -v[45:46]
	v_fma_f64 v[30:31], s[24:25], v[28:29], v[30:31]
	s_delay_alu instid0(VALU_DEP_2) | instskip(NEXT) | instid1(VALU_DEP_2)
	v_add_f64_e32 v[28:29], v[2:3], v[45:46]
	v_add_f64_e32 v[30:31], v[4:5], v[30:31]
	global_store_b128 v[43:44], v[28:31], off
.LBB275_22:                             ;   in Loop: Header=BB275_7 Depth=1
	s_wait_alu 0xfffe
	s_and_not1_b32 vcc_lo, exec_lo, s36
	s_wait_alu 0xfffe
	s_cbranch_vccnz .LBB275_24
; %bb.23:                               ;   in Loop: Header=BB275_7 Depth=1
	v_lshlrev_b64_e32 v[28:29], 4, v[6:7]
	s_delay_alu instid0(VALU_DEP_1) | instskip(SKIP_1) | instid1(VALU_DEP_2)
	v_add_co_u32 v28, vcc_lo, v0, v28
	s_wait_alu 0xfffd
	v_add_co_ci_u32_e64 v29, null, v42, v29, vcc_lo
	global_store_b128 v[28:29], v[2:5], off
.LBB275_24:                             ;   in Loop: Header=BB275_7 Depth=1
	s_wait_alu 0xfffe
	s_or_b32 exec_lo, exec_lo, s29
	s_and_saveexec_b32 s29, s13
	s_cbranch_execz .LBB275_29
; %bb.25:                               ;   in Loop: Header=BB275_7 Depth=1
	v_mul_f64_e32 v[2:3], s[8:9], v[26:27]
	v_mul_f64_e32 v[4:5], s[6:7], v[26:27]
	s_and_not1_b32 vcc_lo, exec_lo, s10
	s_mov_b32 s36, -1
	s_delay_alu instid0(VALU_DEP_2) | instskip(NEXT) | instid1(VALU_DEP_2)
	v_fma_f64 v[2:3], s[6:7], v[24:25], -v[2:3]
	v_fma_f64 v[4:5], s[8:9], v[24:25], v[4:5]
	s_wait_alu 0xfffe
	s_cbranch_vccnz .LBB275_27
; %bb.26:                               ;   in Loop: Header=BB275_7 Depth=1
	v_lshlrev_b64_e32 v[24:25], 4, v[8:9]
	s_mov_b32 s36, 0
	s_delay_alu instid0(VALU_DEP_1) | instskip(SKIP_1) | instid1(VALU_DEP_2)
	v_add_co_u32 v28, vcc_lo, v0, v24
	s_wait_alu 0xfffd
	v_add_co_ci_u32_e64 v29, null, v42, v25, vcc_lo
	global_load_b128 v[24:27], v[28:29], off
	s_wait_loadcnt 0x0
	v_mul_f64_e32 v[30:31], s[24:25], v[26:27]
	v_mul_f64_e32 v[26:27], s[22:23], v[26:27]
	s_delay_alu instid0(VALU_DEP_2) | instskip(NEXT) | instid1(VALU_DEP_2)
	v_fma_f64 v[30:31], s[22:23], v[24:25], -v[30:31]
	v_fma_f64 v[26:27], s[24:25], v[24:25], v[26:27]
	s_delay_alu instid0(VALU_DEP_2) | instskip(NEXT) | instid1(VALU_DEP_2)
	v_add_f64_e32 v[24:25], v[2:3], v[30:31]
	v_add_f64_e32 v[26:27], v[4:5], v[26:27]
	global_store_b128 v[28:29], v[24:27], off
.LBB275_27:                             ;   in Loop: Header=BB275_7 Depth=1
	s_wait_alu 0xfffe
	s_and_not1_b32 vcc_lo, exec_lo, s36
	s_wait_alu 0xfffe
	s_cbranch_vccnz .LBB275_29
; %bb.28:                               ;   in Loop: Header=BB275_7 Depth=1
	v_lshlrev_b64_e32 v[24:25], 4, v[8:9]
	s_delay_alu instid0(VALU_DEP_1) | instskip(SKIP_1) | instid1(VALU_DEP_2)
	v_add_co_u32 v24, vcc_lo, v0, v24
	s_wait_alu 0xfffd
	v_add_co_ci_u32_e64 v25, null, v42, v25, vcc_lo
	global_store_b128 v[24:25], v[2:5], off
.LBB275_29:                             ;   in Loop: Header=BB275_7 Depth=1
	s_wait_alu 0xfffe
	s_or_b32 exec_lo, exec_lo, s29
	v_add_co_u32 v0, vcc_lo, s2, v12
	s_wait_alu 0xfffd
	v_add_co_ci_u32_e64 v24, null, s3, v13, vcc_lo
	s_and_saveexec_b32 s2, s17
	s_cbranch_execz .LBB275_34
; %bb.30:                               ;   in Loop: Header=BB275_7 Depth=1
	v_mul_f64_e32 v[2:3], s[8:9], v[22:23]
	v_mul_f64_e32 v[4:5], s[6:7], v[22:23]
	s_and_not1_b32 vcc_lo, exec_lo, s10
	s_mov_b32 s3, -1
	s_delay_alu instid0(VALU_DEP_2) | instskip(NEXT) | instid1(VALU_DEP_2)
	v_fma_f64 v[2:3], s[6:7], v[20:21], -v[2:3]
	v_fma_f64 v[4:5], s[8:9], v[20:21], v[4:5]
	v_lshlrev_b64_e32 v[20:21], 4, v[6:7]
	s_wait_alu 0xfffe
	s_cbranch_vccnz .LBB275_32
; %bb.31:                               ;   in Loop: Header=BB275_7 Depth=1
	s_delay_alu instid0(VALU_DEP_1) | instskip(SKIP_1) | instid1(VALU_DEP_2)
	v_add_co_u32 v22, vcc_lo, v0, v20
	s_wait_alu 0xfffd
	v_add_co_ci_u32_e64 v23, null, v24, v21, vcc_lo
	s_mov_b32 s3, 0
	global_load_b128 v[25:28], v[22:23], off
	s_wait_loadcnt 0x0
	v_mul_f64_e32 v[29:30], s[24:25], v[27:28]
	v_mul_f64_e32 v[27:28], s[22:23], v[27:28]
	s_delay_alu instid0(VALU_DEP_2) | instskip(NEXT) | instid1(VALU_DEP_2)
	v_fma_f64 v[29:30], s[22:23], v[25:26], -v[29:30]
	v_fma_f64 v[27:28], s[24:25], v[25:26], v[27:28]
	s_delay_alu instid0(VALU_DEP_2) | instskip(NEXT) | instid1(VALU_DEP_2)
	v_add_f64_e32 v[25:26], v[2:3], v[29:30]
	v_add_f64_e32 v[27:28], v[4:5], v[27:28]
	global_store_b128 v[22:23], v[25:28], off
.LBB275_32:                             ;   in Loop: Header=BB275_7 Depth=1
	s_wait_alu 0xfffe
	s_and_not1_b32 vcc_lo, exec_lo, s3
	s_wait_alu 0xfffe
	s_cbranch_vccnz .LBB275_34
; %bb.33:                               ;   in Loop: Header=BB275_7 Depth=1
	v_add_co_u32 v20, vcc_lo, v0, v20
	s_wait_alu 0xfffd
	v_add_co_ci_u32_e64 v21, null, v24, v21, vcc_lo
	global_store_b128 v[20:21], v[2:5], off
.LBB275_34:                             ;   in Loop: Header=BB275_7 Depth=1
	s_wait_alu 0xfffe
	s_or_b32 exec_lo, exec_lo, s2
	s_and_saveexec_b32 s2, s28
	s_cbranch_execz .LBB275_6
; %bb.35:                               ;   in Loop: Header=BB275_7 Depth=1
	v_mul_f64_e32 v[2:3], s[8:9], v[16:17]
	v_mul_f64_e32 v[4:5], s[6:7], v[16:17]
	v_lshlrev_b64_e32 v[16:17], 4, v[8:9]
	s_and_not1_b32 vcc_lo, exec_lo, s10
	s_mov_b32 s3, -1
	s_delay_alu instid0(VALU_DEP_3) | instskip(NEXT) | instid1(VALU_DEP_3)
	v_fma_f64 v[2:3], s[6:7], v[18:19], -v[2:3]
	v_fma_f64 v[4:5], s[8:9], v[18:19], v[4:5]
	s_wait_alu 0xfffe
	s_cbranch_vccnz .LBB275_37
; %bb.36:                               ;   in Loop: Header=BB275_7 Depth=1
	v_add_co_u32 v22, vcc_lo, v0, v16
	s_wait_alu 0xfffd
	v_add_co_ci_u32_e64 v23, null, v24, v17, vcc_lo
	s_mov_b32 s3, 0
	global_load_b128 v[18:21], v[22:23], off
	s_wait_loadcnt 0x0
	v_mul_f64_e32 v[25:26], s[24:25], v[20:21]
	v_mul_f64_e32 v[20:21], s[22:23], v[20:21]
	s_delay_alu instid0(VALU_DEP_2) | instskip(NEXT) | instid1(VALU_DEP_2)
	v_fma_f64 v[25:26], s[22:23], v[18:19], -v[25:26]
	v_fma_f64 v[20:21], s[24:25], v[18:19], v[20:21]
	s_delay_alu instid0(VALU_DEP_2) | instskip(NEXT) | instid1(VALU_DEP_2)
	v_add_f64_e32 v[18:19], v[2:3], v[25:26]
	v_add_f64_e32 v[20:21], v[4:5], v[20:21]
	global_store_b128 v[22:23], v[18:21], off
.LBB275_37:                             ;   in Loop: Header=BB275_7 Depth=1
	s_wait_alu 0xfffe
	s_and_not1_b32 vcc_lo, exec_lo, s3
	s_wait_alu 0xfffe
	s_cbranch_vccnz .LBB275_6
; %bb.38:                               ;   in Loop: Header=BB275_7 Depth=1
	v_add_co_u32 v16, vcc_lo, v0, v16
	s_wait_alu 0xfffd
	v_add_co_ci_u32_e64 v17, null, v24, v17, vcc_lo
	global_store_b128 v[16:17], v[2:5], off
	s_branch .LBB275_6
.LBB275_39:
.LBB275_40:
	s_nop 0
	s_sendmsg sendmsg(MSG_DEALLOC_VGPRS)
	s_endpgm
	.section	.rodata,"a",@progbits
	.p2align	6, 0x0
	.amdhsa_kernel _ZL29rocblas_internal_gemmt_kernelIlLi16ELi32ELi8ELc84ELc67ELc85ELb0ELb1E19rocblas_complex_numIdES1_PKS1_PS1_EviT_T9_T10_S5_lS7_S5_lS6_T11_S5_li
		.amdhsa_group_segment_fixed_size 8192
		.amdhsa_private_segment_fixed_size 0
		.amdhsa_kernarg_size 124
		.amdhsa_user_sgpr_count 2
		.amdhsa_user_sgpr_dispatch_ptr 0
		.amdhsa_user_sgpr_queue_ptr 0
		.amdhsa_user_sgpr_kernarg_segment_ptr 1
		.amdhsa_user_sgpr_dispatch_id 0
		.amdhsa_user_sgpr_private_segment_size 0
		.amdhsa_wavefront_size32 1
		.amdhsa_uses_dynamic_stack 0
		.amdhsa_enable_private_segment 0
		.amdhsa_system_sgpr_workgroup_id_x 1
		.amdhsa_system_sgpr_workgroup_id_y 1
		.amdhsa_system_sgpr_workgroup_id_z 1
		.amdhsa_system_sgpr_workgroup_info 0
		.amdhsa_system_vgpr_workitem_id 1
		.amdhsa_next_free_vgpr 134
		.amdhsa_next_free_sgpr 40
		.amdhsa_reserve_vcc 1
		.amdhsa_float_round_mode_32 0
		.amdhsa_float_round_mode_16_64 0
		.amdhsa_float_denorm_mode_32 3
		.amdhsa_float_denorm_mode_16_64 3
		.amdhsa_fp16_overflow 0
		.amdhsa_workgroup_processor_mode 1
		.amdhsa_memory_ordered 1
		.amdhsa_forward_progress 1
		.amdhsa_inst_pref_size 28
		.amdhsa_round_robin_scheduling 0
		.amdhsa_exception_fp_ieee_invalid_op 0
		.amdhsa_exception_fp_denorm_src 0
		.amdhsa_exception_fp_ieee_div_zero 0
		.amdhsa_exception_fp_ieee_overflow 0
		.amdhsa_exception_fp_ieee_underflow 0
		.amdhsa_exception_fp_ieee_inexact 0
		.amdhsa_exception_int_div_zero 0
	.end_amdhsa_kernel
	.section	.text._ZL29rocblas_internal_gemmt_kernelIlLi16ELi32ELi8ELc84ELc67ELc85ELb0ELb1E19rocblas_complex_numIdES1_PKS1_PS1_EviT_T9_T10_S5_lS7_S5_lS6_T11_S5_li,"axG",@progbits,_ZL29rocblas_internal_gemmt_kernelIlLi16ELi32ELi8ELc84ELc67ELc85ELb0ELb1E19rocblas_complex_numIdES1_PKS1_PS1_EviT_T9_T10_S5_lS7_S5_lS6_T11_S5_li,comdat
.Lfunc_end275:
	.size	_ZL29rocblas_internal_gemmt_kernelIlLi16ELi32ELi8ELc84ELc67ELc85ELb0ELb1E19rocblas_complex_numIdES1_PKS1_PS1_EviT_T9_T10_S5_lS7_S5_lS6_T11_S5_li, .Lfunc_end275-_ZL29rocblas_internal_gemmt_kernelIlLi16ELi32ELi8ELc84ELc67ELc85ELb0ELb1E19rocblas_complex_numIdES1_PKS1_PS1_EviT_T9_T10_S5_lS7_S5_lS6_T11_S5_li
                                        ; -- End function
	.set _ZL29rocblas_internal_gemmt_kernelIlLi16ELi32ELi8ELc84ELc67ELc85ELb0ELb1E19rocblas_complex_numIdES1_PKS1_PS1_EviT_T9_T10_S5_lS7_S5_lS6_T11_S5_li.num_vgpr, 134
	.set _ZL29rocblas_internal_gemmt_kernelIlLi16ELi32ELi8ELc84ELc67ELc85ELb0ELb1E19rocblas_complex_numIdES1_PKS1_PS1_EviT_T9_T10_S5_lS7_S5_lS6_T11_S5_li.num_agpr, 0
	.set _ZL29rocblas_internal_gemmt_kernelIlLi16ELi32ELi8ELc84ELc67ELc85ELb0ELb1E19rocblas_complex_numIdES1_PKS1_PS1_EviT_T9_T10_S5_lS7_S5_lS6_T11_S5_li.numbered_sgpr, 40
	.set _ZL29rocblas_internal_gemmt_kernelIlLi16ELi32ELi8ELc84ELc67ELc85ELb0ELb1E19rocblas_complex_numIdES1_PKS1_PS1_EviT_T9_T10_S5_lS7_S5_lS6_T11_S5_li.num_named_barrier, 0
	.set _ZL29rocblas_internal_gemmt_kernelIlLi16ELi32ELi8ELc84ELc67ELc85ELb0ELb1E19rocblas_complex_numIdES1_PKS1_PS1_EviT_T9_T10_S5_lS7_S5_lS6_T11_S5_li.private_seg_size, 0
	.set _ZL29rocblas_internal_gemmt_kernelIlLi16ELi32ELi8ELc84ELc67ELc85ELb0ELb1E19rocblas_complex_numIdES1_PKS1_PS1_EviT_T9_T10_S5_lS7_S5_lS6_T11_S5_li.uses_vcc, 1
	.set _ZL29rocblas_internal_gemmt_kernelIlLi16ELi32ELi8ELc84ELc67ELc85ELb0ELb1E19rocblas_complex_numIdES1_PKS1_PS1_EviT_T9_T10_S5_lS7_S5_lS6_T11_S5_li.uses_flat_scratch, 0
	.set _ZL29rocblas_internal_gemmt_kernelIlLi16ELi32ELi8ELc84ELc67ELc85ELb0ELb1E19rocblas_complex_numIdES1_PKS1_PS1_EviT_T9_T10_S5_lS7_S5_lS6_T11_S5_li.has_dyn_sized_stack, 0
	.set _ZL29rocblas_internal_gemmt_kernelIlLi16ELi32ELi8ELc84ELc67ELc85ELb0ELb1E19rocblas_complex_numIdES1_PKS1_PS1_EviT_T9_T10_S5_lS7_S5_lS6_T11_S5_li.has_recursion, 0
	.set _ZL29rocblas_internal_gemmt_kernelIlLi16ELi32ELi8ELc84ELc67ELc85ELb0ELb1E19rocblas_complex_numIdES1_PKS1_PS1_EviT_T9_T10_S5_lS7_S5_lS6_T11_S5_li.has_indirect_call, 0
	.section	.AMDGPU.csdata,"",@progbits
; Kernel info:
; codeLenInByte = 3516
; TotalNumSgprs: 42
; NumVgprs: 134
; ScratchSize: 0
; MemoryBound: 1
; FloatMode: 240
; IeeeMode: 1
; LDSByteSize: 8192 bytes/workgroup (compile time only)
; SGPRBlocks: 0
; VGPRBlocks: 16
; NumSGPRsForWavesPerEU: 42
; NumVGPRsForWavesPerEU: 134
; Occupancy: 10
; WaveLimiterHint : 0
; COMPUTE_PGM_RSRC2:SCRATCH_EN: 0
; COMPUTE_PGM_RSRC2:USER_SGPR: 2
; COMPUTE_PGM_RSRC2:TRAP_HANDLER: 0
; COMPUTE_PGM_RSRC2:TGID_X_EN: 1
; COMPUTE_PGM_RSRC2:TGID_Y_EN: 1
; COMPUTE_PGM_RSRC2:TGID_Z_EN: 1
; COMPUTE_PGM_RSRC2:TIDIG_COMP_CNT: 1
	.section	.text._ZL29rocblas_internal_gemmt_kernelIlLi16ELi32ELi8ELc67ELc78ELc85ELb1ELb0E19rocblas_complex_numIdES1_PKS1_PS1_EviT_T9_T10_S5_lS7_S5_lS6_T11_S5_li,"axG",@progbits,_ZL29rocblas_internal_gemmt_kernelIlLi16ELi32ELi8ELc67ELc78ELc85ELb1ELb0E19rocblas_complex_numIdES1_PKS1_PS1_EviT_T9_T10_S5_lS7_S5_lS6_T11_S5_li,comdat
	.globl	_ZL29rocblas_internal_gemmt_kernelIlLi16ELi32ELi8ELc67ELc78ELc85ELb1ELb0E19rocblas_complex_numIdES1_PKS1_PS1_EviT_T9_T10_S5_lS7_S5_lS6_T11_S5_li ; -- Begin function _ZL29rocblas_internal_gemmt_kernelIlLi16ELi32ELi8ELc67ELc78ELc85ELb1ELb0E19rocblas_complex_numIdES1_PKS1_PS1_EviT_T9_T10_S5_lS7_S5_lS6_T11_S5_li
	.p2align	8
	.type	_ZL29rocblas_internal_gemmt_kernelIlLi16ELi32ELi8ELc67ELc78ELc85ELb1ELb0E19rocblas_complex_numIdES1_PKS1_PS1_EviT_T9_T10_S5_lS7_S5_lS6_T11_S5_li,@function
_ZL29rocblas_internal_gemmt_kernelIlLi16ELi32ELi8ELc67ELc78ELc85ELb1ELb0E19rocblas_complex_numIdES1_PKS1_PS1_EviT_T9_T10_S5_lS7_S5_lS6_T11_S5_li: ; @_ZL29rocblas_internal_gemmt_kernelIlLi16ELi32ELi8ELc67ELc78ELc85ELb1ELb0E19rocblas_complex_numIdES1_PKS1_PS1_EviT_T9_T10_S5_lS7_S5_lS6_T11_S5_li
; %bb.0:
	s_clause 0x1
	s_load_b256 s[24:31], s[0:1], 0x48
	s_load_b512 s[8:23], s[0:1], 0x8
	s_wait_kmcnt 0x0
	v_cmp_eq_f64_e64 s3, s[26:27], 1.0
	v_cmp_eq_f64_e64 s2, s[28:29], 0
	s_and_b32 s3, s3, s2
	s_delay_alu instid0(SALU_CYCLE_1)
	s_and_not1_b32 vcc_lo, exec_lo, s3
	s_mov_b32 s3, -1
	s_cbranch_vccnz .LBB276_3
; %bb.1:
	s_cmp_lg_u64 s[8:9], 0
	s_cbranch_scc0 .LBB276_38
; %bb.2:
	v_cmp_neq_f64_e64 s3, s[10:11], 0
	v_cmp_neq_f64_e64 s4, s[12:13], 0
	s_or_b32 s3, s3, s4
.LBB276_3:
	s_delay_alu instid0(SALU_CYCLE_1)
	s_and_b32 vcc_lo, exec_lo, s3
	s_cbranch_vccz .LBB276_39
; %bb.4:
	s_load_b32 s33, s[0:1], 0x78
	s_lshr_b32 s34, ttmp7, 16
	s_wait_kmcnt 0x0
	s_cmp_ge_u32 s34, s33
	s_cbranch_scc1 .LBB276_39
; %bb.5:
	v_and_b32_e32 v6, 0x3ff, v0
	v_bfe_u32 v7, v0, 10, 10
	s_lshl_b32 s36, ttmp7, 5
	s_clause 0x1
	s_load_b128 s[4:7], s[0:1], 0x68
	s_load_b32 s37, s[0:1], 0x0
	s_and_b32 s0, s36, 0x1fffe0
	s_lshl_b32 s36, ttmp9, 5
	v_lshl_add_u32 v4, v7, 4, v6
	v_and_b32_e32 v30, 7, v0
	s_ashr_i32 s1, s36, 31
	v_add_nc_u32_e32 v12, s0, v7
	s_mul_i32 s1, s16, s1
	v_lshrrev_b32_e32 v8, 3, v4
	v_and_b32_e32 v5, 31, v4
	v_lshlrev_b32_e32 v11, 4, v30
	v_lshrrev_b32_e32 v32, 5, v4
	v_cmp_neq_f64_e64 s3, s[10:11], 0
	v_add_nc_u32_e32 v9, s0, v8
	v_or_b32_e32 v10, s36, v5
	v_lshlrev_b32_e32 v14, 4, v5
	v_cmp_neq_f64_e64 s35, s[12:13], 0
	v_cmp_neq_f64_e64 s39, s[26:27], 0
	v_mad_co_u64_u32 v[0:1], null, s22, v9, 0
	v_mad_co_u64_u32 v[2:3], null, s16, v10, 0
	v_mul_lo_u32 v13, s17, v10
	v_cmp_gt_i64_e64 s38, s[8:9], 0
	s_wait_kmcnt 0x0
	v_cmp_gt_i32_e64 s0, s37, v10
	v_lshl_add_u32 v39, v7, 7, 0x1000
	v_mad_co_u64_u32 v[4:5], null, s23, v9, v[1:2]
	v_lshl_or_b32 v1, v8, 7, v11
	s_wait_alu 0xfffe
	v_add3_u32 v3, v3, s1, v13
	s_delay_alu instid0(VALU_DEP_2) | instskip(NEXT) | instid1(VALU_DEP_2)
	v_dual_mov_b32 v1, v4 :: v_dual_add_nc_u32 v34, 0x1000, v1
	v_lshlrev_b64_e32 v[2:3], 4, v[2:3]
	v_mad_co_u64_u32 v[4:5], null, s4, v12, 0
	v_lshlrev_b32_e32 v31, 4, v6
	s_delay_alu instid0(VALU_DEP_4) | instskip(SKIP_4) | instid1(VALU_DEP_4)
	v_lshlrev_b64_e32 v[0:1], 4, v[0:1]
	v_add_nc_u32_e32 v6, s36, v6
	v_add_co_u32 v35, s1, s14, v2
	s_wait_alu 0xf1ff
	v_add_co_ci_u32_e64 v36, null, s15, v3, s1
	v_add_co_u32 v37, s1, s20, v0
	v_mov_b32_e32 v0, v5
	s_wait_alu 0xf1ff
	v_add_co_ci_u32_e64 v38, null, s21, v1, s1
	v_add_nc_u32_e32 v8, 16, v6
	s_xor_b32 s1, s2, -1
	v_mad_co_u64_u32 v[0:1], null, s5, v12, v[0:1]
	s_or_b32 s16, s3, s35
	s_wait_alu 0xfffe
	s_or_b32 s14, s39, s1
	v_cmp_gt_i32_e32 vcc_lo, s37, v9
	v_ashrrev_i32_e32 v7, 31, v6
	v_ashrrev_i32_e32 v9, 31, v8
	s_and_b32 s16, s16, s38
	v_mov_b32_e32 v5, v0
	v_add_nc_u32_e32 v15, 16, v12
	v_cmp_gt_i32_e64 s1, s37, v12
	v_cmp_le_i32_e64 s2, v6, v12
	v_cmp_le_i32_e64 s3, v8, v12
	v_lshlrev_b64_e32 v[10:11], 4, v[4:5]
	v_mad_co_u64_u32 v[2:3], null, s4, v15, 0
	v_cmp_le_i32_e64 s4, v6, v15
	s_and_b32 s15, s1, s3
	s_mov_b32 s35, 0
	s_xor_b32 s17, vcc_lo, -1
	v_mov_b32_e32 v1, v3
	s_delay_alu instid0(VALU_DEP_1)
	v_mad_co_u64_u32 v[0:1], null, s5, v15, v[1:2]
	s_and_b32 s5, s1, s2
	v_cmp_gt_i32_e64 s2, s37, v15
	v_cmp_le_i32_e64 s1, v8, v15
	v_mov_b32_e32 v1, 0
	v_mov_b32_e32 v3, v0
	v_lshl_or_b32 v33, v32, 9, v14
	s_and_b32 s4, s2, s4
	s_and_b32 s1, s2, s1
	s_delay_alu instid0(VALU_DEP_2)
	v_lshlrev_b64_e32 v[12:13], 4, v[2:3]
	s_branch .LBB276_7
.LBB276_6:                              ;   in Loop: Header=BB276_7 Depth=1
	s_wait_alu 0xfffe
	s_or_b32 exec_lo, exec_lo, s2
	s_add_co_i32 s34, s34, 0x10000
	s_delay_alu instid0(SALU_CYCLE_1)
	s_cmp_lt_u32 s34, s33
	s_cbranch_scc0 .LBB276_39
.LBB276_7:                              ; =>This Loop Header: Depth=1
                                        ;     Child Loop BB276_10 Depth 2
	v_mov_b32_e32 v26, 0
	v_mov_b32_e32 v22, 0
	;; [unrolled: 1-line block ×3, first 2 shown]
	v_dual_mov_b32 v16, 0 :: v_dual_mov_b32 v27, 0
	v_dual_mov_b32 v28, 0 :: v_dual_mov_b32 v23, 0
	;; [unrolled: 1-line block ×5, first 2 shown]
	v_mov_b32_e32 v25, 0
	v_mov_b32_e32 v21, 0
	;; [unrolled: 1-line block ×3, first 2 shown]
	s_wait_alu 0xfffe
	s_and_not1_b32 vcc_lo, exec_lo, s16
	s_wait_alu 0xfffe
	s_cbranch_vccnz .LBB276_18
; %bb.8:                                ;   in Loop: Header=BB276_7 Depth=1
	s_mul_u64 s[2:3], s[18:19], s[34:35]
	s_mul_u64 s[20:21], s[24:25], s[34:35]
	s_wait_alu 0xfffe
	s_lshl_b64 s[2:3], s[2:3], 4
	v_mov_b32_e32 v14, 0
	s_wait_alu 0xfffe
	v_add_co_u32 v40, vcc_lo, v35, s2
	s_wait_alu 0xfffd
	v_add_co_ci_u32_e64 v41, null, s3, v36, vcc_lo
	s_lshl_b64 s[2:3], s[20:21], 4
	v_mov_b32_e32 v20, 0
	v_mov_b32_e32 v24, 0
	;; [unrolled: 1-line block ×3, first 2 shown]
	s_wait_alu 0xfffe
	v_add_co_u32 v42, vcc_lo, v37, s2
	v_dual_mov_b32 v15, 0 :: v_dual_mov_b32 v16, 0
	v_dual_mov_b32 v21, 0 :: v_dual_mov_b32 v18, 0
	;; [unrolled: 1-line block ×4, first 2 shown]
	v_mov_b32_e32 v17, 0
	v_mov_b32_e32 v19, 0
	;; [unrolled: 1-line block ×4, first 2 shown]
	s_wait_alu 0xfffd
	v_add_co_ci_u32_e64 v43, null, s3, v38, vcc_lo
	s_mov_b64 s[2:3], 0
	s_branch .LBB276_10
.LBB276_9:                              ;   in Loop: Header=BB276_10 Depth=2
	s_wait_alu 0xfffe
	s_or_b32 exec_lo, exec_lo, s20
	s_wait_dscnt 0x0
	s_barrier_signal -1
	s_barrier_wait -1
	global_inv scope:SCOPE_SE
	ds_load_b128 v[2:5], v39
	ds_load_b128 v[44:47], v31
	ds_load_b128 v[48:51], v31 offset:256
	ds_load_b128 v[52:55], v39 offset:2048
	ds_load_b128 v[56:59], v39 offset:16
	ds_load_b128 v[60:63], v39 offset:2064
	ds_load_b128 v[64:67], v31 offset:512
	ds_load_b128 v[68:71], v31 offset:768
	ds_load_b128 v[72:75], v39 offset:32
	ds_load_b128 v[76:79], v31 offset:1024
	ds_load_b128 v[80:83], v31 offset:1280
	ds_load_b128 v[84:87], v39 offset:2080
	s_add_nc_u64 s[2:3], s[2:3], 8
	s_wait_alu 0xfffe
	v_cmp_gt_i64_e64 s20, s[8:9], s[2:3]
	s_and_b32 vcc_lo, exec_lo, s20
	s_wait_dscnt 0xa
	v_mul_f64_e32 v[88:89], v[4:5], v[46:47]
	v_mul_f64_e32 v[90:91], v[2:3], v[46:47]
	s_wait_dscnt 0x9
	v_mul_f64_e32 v[92:93], v[4:5], v[50:51]
	v_mul_f64_e32 v[94:95], v[2:3], v[50:51]
	;; [unrolled: 3-line block ×3, first 2 shown]
	v_mul_f64_e32 v[98:99], v[54:55], v[50:51]
	v_mul_f64_e32 v[50:51], v[52:53], v[50:51]
	s_wait_dscnt 0x5
	v_mul_f64_e32 v[100:101], v[58:59], v[66:67]
	v_mul_f64_e32 v[102:103], v[56:57], v[66:67]
	s_wait_dscnt 0x4
	v_mul_f64_e32 v[104:105], v[58:59], v[70:71]
	v_mul_f64_e32 v[106:107], v[56:57], v[70:71]
	;; [unrolled: 1-line block ×6, first 2 shown]
	s_wait_dscnt 0x2
	v_mul_f64_e32 v[116:117], v[74:75], v[78:79]
	v_mul_f64_e32 v[118:119], v[72:73], v[78:79]
	s_wait_dscnt 0x1
	v_mul_f64_e32 v[120:121], v[74:75], v[82:83]
	v_mul_f64_e32 v[122:123], v[72:73], v[82:83]
	;; [unrolled: 3-line block ×3, first 2 shown]
	v_mul_f64_e32 v[126:127], v[86:87], v[82:83]
	v_mul_f64_e32 v[82:83], v[84:85], v[82:83]
	v_fma_f64 v[88:89], v[2:3], v[44:45], -v[88:89]
	v_fma_f64 v[90:91], v[4:5], v[44:45], v[90:91]
	v_fma_f64 v[92:93], v[2:3], v[48:49], -v[92:93]
	v_fma_f64 v[94:95], v[4:5], v[48:49], v[94:95]
	;; [unrolled: 2-line block ×8, first 2 shown]
	ds_load_b128 v[2:5], v39 offset:48
	ds_load_b128 v[44:47], v31 offset:1536
	;; [unrolled: 1-line block ×4, first 2 shown]
	v_fma_f64 v[116:117], v[72:73], v[76:77], -v[116:117]
	v_fma_f64 v[118:119], v[74:75], v[76:77], v[118:119]
	v_fma_f64 v[72:73], v[72:73], v[80:81], -v[120:121]
	v_fma_f64 v[74:75], v[74:75], v[80:81], v[122:123]
	;; [unrolled: 2-line block ×4, first 2 shown]
	s_wait_dscnt 0x2
	v_mul_f64_e32 v[106:107], v[2:3], v[46:47]
	s_wait_dscnt 0x1
	v_mul_f64_e32 v[108:109], v[4:5], v[50:51]
	v_mul_f64_e32 v[110:111], v[2:3], v[50:51]
	v_add_f64_e32 v[66:67], v[26:27], v[88:89]
	v_add_f64_e32 v[68:69], v[90:91], v[28:29]
	;; [unrolled: 1-line block ×8, first 2 shown]
	v_mul_f64_e32 v[98:99], v[4:5], v[46:47]
	s_wait_dscnt 0x0
	v_mul_f64_e32 v[112:113], v[54:55], v[46:47]
	v_mul_f64_e32 v[46:47], v[52:53], v[46:47]
	v_mul_f64_e32 v[114:115], v[54:55], v[50:51]
	v_mul_f64_e32 v[50:51], v[52:53], v[50:51]
	ds_load_b128 v[14:17], v39 offset:64
	ds_load_b128 v[18:21], v31 offset:2048
	;; [unrolled: 1-line block ×4, first 2 shown]
	s_wait_dscnt 0x1
	v_mul_f64_e32 v[122:123], v[14:15], v[24:25]
	s_wait_dscnt 0x0
	v_mul_f64_e32 v[124:125], v[28:29], v[20:21]
	v_mul_f64_e32 v[126:127], v[28:29], v[24:25]
	v_fma_f64 v[106:107], v[4:5], v[44:45], v[106:107]
	v_fma_f64 v[108:109], v[2:3], v[48:49], -v[108:109]
	v_fma_f64 v[110:111], v[4:5], v[48:49], v[110:111]
	v_add_f64_e32 v[82:83], v[66:67], v[100:101]
	v_add_f64_e32 v[84:85], v[102:103], v[68:69]
	;; [unrolled: 1-line block ×8, first 2 shown]
	v_mul_f64_e32 v[100:101], v[16:17], v[20:21]
	v_mul_f64_e32 v[102:103], v[14:15], v[20:21]
	;; [unrolled: 1-line block ×5, first 2 shown]
	v_fma_f64 v[98:99], v[2:3], v[44:45], -v[98:99]
	v_fma_f64 v[112:113], v[52:53], v[44:45], -v[112:113]
	v_fma_f64 v[128:129], v[54:55], v[44:45], v[46:47]
	v_fma_f64 v[114:115], v[52:53], v[48:49], -v[114:115]
	v_fma_f64 v[130:131], v[54:55], v[48:49], v[50:51]
	ds_load_b128 v[56:59], v39 offset:80
	ds_load_b128 v[60:63], v31 offset:2560
	;; [unrolled: 1-line block ×8, first 2 shown]
	v_add_f64_e32 v[82:83], v[82:83], v[116:117]
	v_add_f64_e32 v[84:85], v[118:119], v[84:85]
	;; [unrolled: 1-line block ×8, first 2 shown]
	s_wait_dscnt 0x6
	v_mul_f64_e32 v[88:89], v[58:59], v[62:63]
	v_mul_f64_e32 v[90:91], v[56:57], v[62:63]
	s_wait_dscnt 0x5
	v_mul_f64_e32 v[92:93], v[58:59], v[66:67]
	v_mul_f64_e32 v[94:95], v[56:57], v[66:67]
	;; [unrolled: 3-line block ×3, first 2 shown]
	v_mul_f64_e32 v[116:117], v[70:71], v[66:67]
	v_mul_f64_e32 v[66:67], v[68:69], v[66:67]
	v_fma_f64 v[100:101], v[14:15], v[18:19], -v[100:101]
	v_fma_f64 v[102:103], v[16:17], v[18:19], v[102:103]
	v_fma_f64 v[104:105], v[14:15], v[22:23], -v[104:105]
	v_fma_f64 v[118:119], v[16:17], v[22:23], v[122:123]
	v_fma_f64 v[120:121], v[26:27], v[18:19], -v[124:125]
	v_fma_f64 v[122:123], v[28:29], v[18:19], v[20:21]
	v_fma_f64 v[124:125], v[26:27], v[22:23], -v[126:127]
	v_fma_f64 v[126:127], v[28:29], v[22:23], v[24:25]
	ds_load_b128 v[14:17], v39 offset:112
	ds_load_b128 v[18:21], v31 offset:3584
	;; [unrolled: 1-line block ×4, first 2 shown]
	s_wait_loadcnt_dscnt 0x0
	s_barrier_signal -1
	s_barrier_wait -1
	global_inv scope:SCOPE_SE
	v_add_f64_e32 v[82:83], v[82:83], v[98:99]
	v_add_f64_e32 v[84:85], v[106:107], v[84:85]
	;; [unrolled: 1-line block ×8, first 2 shown]
	v_mul_f64_e32 v[98:99], v[4:5], v[46:47]
	v_mul_f64_e32 v[106:107], v[2:3], v[46:47]
	;; [unrolled: 1-line block ×8, first 2 shown]
	v_fma_f64 v[88:89], v[56:57], v[60:61], -v[88:89]
	v_fma_f64 v[90:91], v[58:59], v[60:61], v[90:91]
	v_fma_f64 v[56:57], v[56:57], v[64:65], -v[92:93]
	v_fma_f64 v[58:59], v[58:59], v[64:65], v[94:95]
	;; [unrolled: 2-line block ×4, first 2 shown]
	v_mul_f64_e32 v[94:95], v[14:15], v[24:25]
	v_mul_f64_e32 v[96:97], v[28:29], v[20:21]
	v_add_f64_e32 v[66:67], v[82:83], v[100:101]
	v_add_f64_e32 v[68:69], v[102:103], v[84:85]
	;; [unrolled: 1-line block ×8, first 2 shown]
	v_mul_f64_e32 v[82:83], v[16:17], v[20:21]
	v_mul_f64_e32 v[84:85], v[14:15], v[20:21]
	;; [unrolled: 1-line block ×6, first 2 shown]
	v_fma_f64 v[98:99], v[2:3], v[44:45], -v[98:99]
	v_fma_f64 v[102:103], v[4:5], v[44:45], v[106:107]
	v_fma_f64 v[2:3], v[2:3], v[48:49], -v[108:109]
	v_fma_f64 v[4:5], v[4:5], v[48:49], v[110:111]
	;; [unrolled: 2-line block ×4, first 2 shown]
	v_add_f64_e32 v[50:51], v[66:67], v[88:89]
	v_add_f64_e32 v[52:53], v[90:91], v[68:69]
	;; [unrolled: 1-line block ×8, first 2 shown]
	v_fma_f64 v[66:67], v[14:15], v[18:19], -v[82:83]
	v_fma_f64 v[68:69], v[16:17], v[18:19], v[84:85]
	v_fma_f64 v[14:15], v[14:15], v[22:23], -v[86:87]
	v_fma_f64 v[16:17], v[16:17], v[22:23], v[94:95]
	;; [unrolled: 2-line block ×4, first 2 shown]
	v_add_f64_e32 v[18:19], v[50:51], v[98:99]
	v_add_f64_e32 v[22:23], v[102:103], v[52:53]
	;; [unrolled: 1-line block ×16, first 2 shown]
	s_wait_alu 0xfffe
	s_cbranch_vccz .LBB276_18
.LBB276_10:                             ;   Parent Loop BB276_7 Depth=1
                                        ; =>  This Inner Loop Header: Depth=2
	v_mov_b32_e32 v2, 0
	v_dual_mov_b32 v3, 0 :: v_dual_mov_b32 v4, 0
	v_mov_b32_e32 v5, 0
	s_and_saveexec_b32 s20, s0
	s_cbranch_execz .LBB276_14
; %bb.11:                               ;   in Loop: Header=BB276_10 Depth=2
	v_mov_b32_e32 v4, 0
	v_mov_b32_e32 v2, 0
	s_wait_alu 0xfffe
	v_dual_mov_b32 v5, 0 :: v_dual_add_nc_u32 v0, s2, v32
	v_mov_b32_e32 v3, 0
	s_mov_b32 s21, exec_lo
	s_delay_alu instid0(VALU_DEP_2)
	v_cmpx_gt_u64_e64 s[8:9], v[0:1]
	s_cbranch_execz .LBB276_13
; %bb.12:                               ;   in Loop: Header=BB276_10 Depth=2
	v_lshlrev_b64_e32 v[2:3], 4, v[0:1]
	s_delay_alu instid0(VALU_DEP_1) | instskip(SKIP_1) | instid1(VALU_DEP_2)
	v_add_co_u32 v2, vcc_lo, v40, v2
	s_wait_alu 0xfffd
	v_add_co_ci_u32_e64 v3, null, v41, v3, vcc_lo
	global_load_b128 v[2:5], v[2:3], off
	s_wait_loadcnt 0x0
	v_xor_b32_e32 v5, 0x80000000, v5
.LBB276_13:                             ;   in Loop: Header=BB276_10 Depth=2
	s_wait_alu 0xfffe
	s_or_b32 exec_lo, exec_lo, s21
.LBB276_14:                             ;   in Loop: Header=BB276_10 Depth=2
	s_wait_alu 0xfffe
	s_or_b32 exec_lo, exec_lo, s20
	v_add_nc_u32_e32 v0, s2, v30
	ds_store_b128 v33, v[2:5]
	v_cmp_le_u64_e32 vcc_lo, s[8:9], v[0:1]
	s_or_b32 s20, vcc_lo, s17
	s_wait_alu 0xfffe
	s_and_saveexec_b32 s21, s20
	s_wait_alu 0xfffe
	s_xor_b32 s20, exec_lo, s21
; %bb.15:                               ;   in Loop: Header=BB276_10 Depth=2
	v_dual_mov_b32 v0, v1 :: v_dual_mov_b32 v3, v1
	v_mov_b32_e32 v2, v1
	ds_store_b128 v34, v[0:3]
; %bb.16:                               ;   in Loop: Header=BB276_10 Depth=2
	s_wait_alu 0xfffe
	s_and_not1_saveexec_b32 s20, s20
	s_cbranch_execz .LBB276_9
; %bb.17:                               ;   in Loop: Header=BB276_10 Depth=2
	v_lshlrev_b64_e32 v[2:3], 4, v[0:1]
	s_delay_alu instid0(VALU_DEP_1) | instskip(SKIP_1) | instid1(VALU_DEP_2)
	v_add_co_u32 v2, vcc_lo, v42, v2
	s_wait_alu 0xfffd
	v_add_co_ci_u32_e64 v3, null, v43, v3, vcc_lo
	global_load_b128 v[2:5], v[2:3], off
	s_wait_loadcnt 0x0
	ds_store_2addr_b64 v34, v[2:3], v[4:5] offset1:1
	s_branch .LBB276_9
.LBB276_18:                             ;   in Loop: Header=BB276_7 Depth=1
	s_mul_u64 s[2:3], s[6:7], s[34:35]
	s_wait_alu 0xfffe
	s_lshl_b64 s[2:3], s[2:3], 4
	s_wait_alu 0xfffe
	s_add_nc_u64 s[2:3], s[30:31], s[2:3]
	s_wait_alu 0xfffe
	v_add_co_u32 v0, vcc_lo, s2, v10
	s_wait_alu 0xfffd
	v_add_co_ci_u32_e64 v40, null, s3, v11, vcc_lo
	s_and_saveexec_b32 s20, s5
	s_cbranch_execz .LBB276_23
; %bb.19:                               ;   in Loop: Header=BB276_7 Depth=1
	v_mul_f64_e32 v[2:3], s[12:13], v[28:29]
	v_mul_f64_e32 v[4:5], s[10:11], v[28:29]
	s_and_b32 vcc_lo, exec_lo, s14
	s_mov_b32 s21, -1
	s_delay_alu instid0(VALU_DEP_2) | instskip(NEXT) | instid1(VALU_DEP_2)
	v_fma_f64 v[2:3], s[10:11], v[26:27], -v[2:3]
	v_fma_f64 v[4:5], s[12:13], v[26:27], v[4:5]
	s_wait_alu 0xfffe
	s_cbranch_vccz .LBB276_21
; %bb.20:                               ;   in Loop: Header=BB276_7 Depth=1
	v_lshlrev_b64_e32 v[26:27], 4, v[6:7]
	s_mov_b32 s21, 0
	s_delay_alu instid0(VALU_DEP_1) | instskip(SKIP_1) | instid1(VALU_DEP_2)
	v_add_co_u32 v41, vcc_lo, v0, v26
	s_wait_alu 0xfffd
	v_add_co_ci_u32_e64 v42, null, v40, v27, vcc_lo
	global_load_b128 v[26:29], v[41:42], off
	s_wait_loadcnt 0x0
	v_mul_f64_e32 v[43:44], s[28:29], v[28:29]
	v_mul_f64_e32 v[28:29], s[26:27], v[28:29]
	s_delay_alu instid0(VALU_DEP_2) | instskip(NEXT) | instid1(VALU_DEP_2)
	v_fma_f64 v[43:44], s[26:27], v[26:27], -v[43:44]
	v_fma_f64 v[28:29], s[28:29], v[26:27], v[28:29]
	s_delay_alu instid0(VALU_DEP_2) | instskip(NEXT) | instid1(VALU_DEP_2)
	v_add_f64_e32 v[26:27], v[2:3], v[43:44]
	v_add_f64_e32 v[28:29], v[4:5], v[28:29]
	global_store_b128 v[41:42], v[26:29], off
.LBB276_21:                             ;   in Loop: Header=BB276_7 Depth=1
	s_wait_alu 0xfffe
	s_and_not1_b32 vcc_lo, exec_lo, s21
	s_wait_alu 0xfffe
	s_cbranch_vccnz .LBB276_23
; %bb.22:                               ;   in Loop: Header=BB276_7 Depth=1
	v_lshlrev_b64_e32 v[26:27], 4, v[6:7]
	s_delay_alu instid0(VALU_DEP_1) | instskip(SKIP_1) | instid1(VALU_DEP_2)
	v_add_co_u32 v26, vcc_lo, v0, v26
	s_wait_alu 0xfffd
	v_add_co_ci_u32_e64 v27, null, v40, v27, vcc_lo
	global_store_b128 v[26:27], v[2:5], off
.LBB276_23:                             ;   in Loop: Header=BB276_7 Depth=1
	s_wait_alu 0xfffe
	s_or_b32 exec_lo, exec_lo, s20
	s_and_saveexec_b32 s20, s15
	s_cbranch_execz .LBB276_28
; %bb.24:                               ;   in Loop: Header=BB276_7 Depth=1
	v_mul_f64_e32 v[2:3], s[12:13], v[24:25]
	v_mul_f64_e32 v[4:5], s[10:11], v[24:25]
	s_and_not1_b32 vcc_lo, exec_lo, s14
	s_mov_b32 s21, -1
	s_delay_alu instid0(VALU_DEP_2) | instskip(NEXT) | instid1(VALU_DEP_2)
	v_fma_f64 v[2:3], s[10:11], v[22:23], -v[2:3]
	v_fma_f64 v[4:5], s[12:13], v[22:23], v[4:5]
	s_wait_alu 0xfffe
	s_cbranch_vccnz .LBB276_26
; %bb.25:                               ;   in Loop: Header=BB276_7 Depth=1
	v_lshlrev_b64_e32 v[22:23], 4, v[8:9]
	s_mov_b32 s21, 0
	s_delay_alu instid0(VALU_DEP_1) | instskip(SKIP_1) | instid1(VALU_DEP_2)
	v_add_co_u32 v26, vcc_lo, v0, v22
	s_wait_alu 0xfffd
	v_add_co_ci_u32_e64 v27, null, v40, v23, vcc_lo
	global_load_b128 v[22:25], v[26:27], off
	s_wait_loadcnt 0x0
	v_mul_f64_e32 v[28:29], s[28:29], v[24:25]
	v_mul_f64_e32 v[24:25], s[26:27], v[24:25]
	s_delay_alu instid0(VALU_DEP_2) | instskip(NEXT) | instid1(VALU_DEP_2)
	v_fma_f64 v[28:29], s[26:27], v[22:23], -v[28:29]
	v_fma_f64 v[24:25], s[28:29], v[22:23], v[24:25]
	s_delay_alu instid0(VALU_DEP_2) | instskip(NEXT) | instid1(VALU_DEP_2)
	v_add_f64_e32 v[22:23], v[2:3], v[28:29]
	v_add_f64_e32 v[24:25], v[4:5], v[24:25]
	global_store_b128 v[26:27], v[22:25], off
.LBB276_26:                             ;   in Loop: Header=BB276_7 Depth=1
	s_wait_alu 0xfffe
	s_and_not1_b32 vcc_lo, exec_lo, s21
	s_wait_alu 0xfffe
	s_cbranch_vccnz .LBB276_28
; %bb.27:                               ;   in Loop: Header=BB276_7 Depth=1
	v_lshlrev_b64_e32 v[22:23], 4, v[8:9]
	s_delay_alu instid0(VALU_DEP_1) | instskip(SKIP_1) | instid1(VALU_DEP_2)
	v_add_co_u32 v22, vcc_lo, v0, v22
	s_wait_alu 0xfffd
	v_add_co_ci_u32_e64 v23, null, v40, v23, vcc_lo
	global_store_b128 v[22:23], v[2:5], off
.LBB276_28:                             ;   in Loop: Header=BB276_7 Depth=1
	s_wait_alu 0xfffe
	s_or_b32 exec_lo, exec_lo, s20
	v_add_co_u32 v0, vcc_lo, s2, v12
	s_wait_alu 0xfffd
	v_add_co_ci_u32_e64 v22, null, s3, v13, vcc_lo
	s_and_saveexec_b32 s2, s4
	s_cbranch_execz .LBB276_33
; %bb.29:                               ;   in Loop: Header=BB276_7 Depth=1
	v_mul_f64_e32 v[2:3], s[12:13], v[20:21]
	v_mul_f64_e32 v[4:5], s[10:11], v[20:21]
	s_and_not1_b32 vcc_lo, exec_lo, s14
	s_mov_b32 s3, -1
	s_delay_alu instid0(VALU_DEP_2) | instskip(NEXT) | instid1(VALU_DEP_2)
	v_fma_f64 v[2:3], s[10:11], v[18:19], -v[2:3]
	v_fma_f64 v[4:5], s[12:13], v[18:19], v[4:5]
	v_lshlrev_b64_e32 v[18:19], 4, v[6:7]
	s_wait_alu 0xfffe
	s_cbranch_vccnz .LBB276_31
; %bb.30:                               ;   in Loop: Header=BB276_7 Depth=1
	s_delay_alu instid0(VALU_DEP_1) | instskip(SKIP_1) | instid1(VALU_DEP_2)
	v_add_co_u32 v20, vcc_lo, v0, v18
	s_wait_alu 0xfffd
	v_add_co_ci_u32_e64 v21, null, v22, v19, vcc_lo
	s_mov_b32 s3, 0
	global_load_b128 v[23:26], v[20:21], off
	s_wait_loadcnt 0x0
	v_mul_f64_e32 v[27:28], s[28:29], v[25:26]
	v_mul_f64_e32 v[25:26], s[26:27], v[25:26]
	s_delay_alu instid0(VALU_DEP_2) | instskip(NEXT) | instid1(VALU_DEP_2)
	v_fma_f64 v[27:28], s[26:27], v[23:24], -v[27:28]
	v_fma_f64 v[25:26], s[28:29], v[23:24], v[25:26]
	s_delay_alu instid0(VALU_DEP_2) | instskip(NEXT) | instid1(VALU_DEP_2)
	v_add_f64_e32 v[23:24], v[2:3], v[27:28]
	v_add_f64_e32 v[25:26], v[4:5], v[25:26]
	global_store_b128 v[20:21], v[23:26], off
.LBB276_31:                             ;   in Loop: Header=BB276_7 Depth=1
	s_wait_alu 0xfffe
	s_and_not1_b32 vcc_lo, exec_lo, s3
	s_wait_alu 0xfffe
	s_cbranch_vccnz .LBB276_33
; %bb.32:                               ;   in Loop: Header=BB276_7 Depth=1
	v_add_co_u32 v18, vcc_lo, v0, v18
	s_wait_alu 0xfffd
	v_add_co_ci_u32_e64 v19, null, v22, v19, vcc_lo
	global_store_b128 v[18:19], v[2:5], off
.LBB276_33:                             ;   in Loop: Header=BB276_7 Depth=1
	s_wait_alu 0xfffe
	s_or_b32 exec_lo, exec_lo, s2
	s_and_saveexec_b32 s2, s1
	s_cbranch_execz .LBB276_6
; %bb.34:                               ;   in Loop: Header=BB276_7 Depth=1
	v_mul_f64_e32 v[2:3], s[12:13], v[14:15]
	v_mul_f64_e32 v[4:5], s[10:11], v[14:15]
	v_lshlrev_b64_e32 v[14:15], 4, v[8:9]
	s_and_not1_b32 vcc_lo, exec_lo, s14
	s_mov_b32 s3, -1
	s_delay_alu instid0(VALU_DEP_3) | instskip(NEXT) | instid1(VALU_DEP_3)
	v_fma_f64 v[2:3], s[10:11], v[16:17], -v[2:3]
	v_fma_f64 v[4:5], s[12:13], v[16:17], v[4:5]
	s_wait_alu 0xfffe
	s_cbranch_vccnz .LBB276_36
; %bb.35:                               ;   in Loop: Header=BB276_7 Depth=1
	v_add_co_u32 v20, vcc_lo, v0, v14
	s_wait_alu 0xfffd
	v_add_co_ci_u32_e64 v21, null, v22, v15, vcc_lo
	s_mov_b32 s3, 0
	global_load_b128 v[16:19], v[20:21], off
	s_wait_loadcnt 0x0
	v_mul_f64_e32 v[23:24], s[28:29], v[18:19]
	v_mul_f64_e32 v[18:19], s[26:27], v[18:19]
	s_delay_alu instid0(VALU_DEP_2) | instskip(NEXT) | instid1(VALU_DEP_2)
	v_fma_f64 v[23:24], s[26:27], v[16:17], -v[23:24]
	v_fma_f64 v[18:19], s[28:29], v[16:17], v[18:19]
	s_delay_alu instid0(VALU_DEP_2) | instskip(NEXT) | instid1(VALU_DEP_2)
	v_add_f64_e32 v[16:17], v[2:3], v[23:24]
	v_add_f64_e32 v[18:19], v[4:5], v[18:19]
	global_store_b128 v[20:21], v[16:19], off
.LBB276_36:                             ;   in Loop: Header=BB276_7 Depth=1
	s_wait_alu 0xfffe
	s_and_not1_b32 vcc_lo, exec_lo, s3
	s_wait_alu 0xfffe
	s_cbranch_vccnz .LBB276_6
; %bb.37:                               ;   in Loop: Header=BB276_7 Depth=1
	v_add_co_u32 v14, vcc_lo, v0, v14
	s_wait_alu 0xfffd
	v_add_co_ci_u32_e64 v15, null, v22, v15, vcc_lo
	global_store_b128 v[14:15], v[2:5], off
	s_branch .LBB276_6
.LBB276_38:
.LBB276_39:
	s_nop 0
	s_sendmsg sendmsg(MSG_DEALLOC_VGPRS)
	s_endpgm
	.section	.rodata,"a",@progbits
	.p2align	6, 0x0
	.amdhsa_kernel _ZL29rocblas_internal_gemmt_kernelIlLi16ELi32ELi8ELc67ELc78ELc85ELb1ELb0E19rocblas_complex_numIdES1_PKS1_PS1_EviT_T9_T10_S5_lS7_S5_lS6_T11_S5_li
		.amdhsa_group_segment_fixed_size 8192
		.amdhsa_private_segment_fixed_size 0
		.amdhsa_kernarg_size 124
		.amdhsa_user_sgpr_count 2
		.amdhsa_user_sgpr_dispatch_ptr 0
		.amdhsa_user_sgpr_queue_ptr 0
		.amdhsa_user_sgpr_kernarg_segment_ptr 1
		.amdhsa_user_sgpr_dispatch_id 0
		.amdhsa_user_sgpr_private_segment_size 0
		.amdhsa_wavefront_size32 1
		.amdhsa_uses_dynamic_stack 0
		.amdhsa_enable_private_segment 0
		.amdhsa_system_sgpr_workgroup_id_x 1
		.amdhsa_system_sgpr_workgroup_id_y 1
		.amdhsa_system_sgpr_workgroup_id_z 1
		.amdhsa_system_sgpr_workgroup_info 0
		.amdhsa_system_vgpr_workitem_id 1
		.amdhsa_next_free_vgpr 132
		.amdhsa_next_free_sgpr 40
		.amdhsa_reserve_vcc 1
		.amdhsa_float_round_mode_32 0
		.amdhsa_float_round_mode_16_64 0
		.amdhsa_float_denorm_mode_32 3
		.amdhsa_float_denorm_mode_16_64 3
		.amdhsa_fp16_overflow 0
		.amdhsa_workgroup_processor_mode 1
		.amdhsa_memory_ordered 1
		.amdhsa_forward_progress 1
		.amdhsa_inst_pref_size 27
		.amdhsa_round_robin_scheduling 0
		.amdhsa_exception_fp_ieee_invalid_op 0
		.amdhsa_exception_fp_denorm_src 0
		.amdhsa_exception_fp_ieee_div_zero 0
		.amdhsa_exception_fp_ieee_overflow 0
		.amdhsa_exception_fp_ieee_underflow 0
		.amdhsa_exception_fp_ieee_inexact 0
		.amdhsa_exception_int_div_zero 0
	.end_amdhsa_kernel
	.section	.text._ZL29rocblas_internal_gemmt_kernelIlLi16ELi32ELi8ELc67ELc78ELc85ELb1ELb0E19rocblas_complex_numIdES1_PKS1_PS1_EviT_T9_T10_S5_lS7_S5_lS6_T11_S5_li,"axG",@progbits,_ZL29rocblas_internal_gemmt_kernelIlLi16ELi32ELi8ELc67ELc78ELc85ELb1ELb0E19rocblas_complex_numIdES1_PKS1_PS1_EviT_T9_T10_S5_lS7_S5_lS6_T11_S5_li,comdat
.Lfunc_end276:
	.size	_ZL29rocblas_internal_gemmt_kernelIlLi16ELi32ELi8ELc67ELc78ELc85ELb1ELb0E19rocblas_complex_numIdES1_PKS1_PS1_EviT_T9_T10_S5_lS7_S5_lS6_T11_S5_li, .Lfunc_end276-_ZL29rocblas_internal_gemmt_kernelIlLi16ELi32ELi8ELc67ELc78ELc85ELb1ELb0E19rocblas_complex_numIdES1_PKS1_PS1_EviT_T9_T10_S5_lS7_S5_lS6_T11_S5_li
                                        ; -- End function
	.set _ZL29rocblas_internal_gemmt_kernelIlLi16ELi32ELi8ELc67ELc78ELc85ELb1ELb0E19rocblas_complex_numIdES1_PKS1_PS1_EviT_T9_T10_S5_lS7_S5_lS6_T11_S5_li.num_vgpr, 132
	.set _ZL29rocblas_internal_gemmt_kernelIlLi16ELi32ELi8ELc67ELc78ELc85ELb1ELb0E19rocblas_complex_numIdES1_PKS1_PS1_EviT_T9_T10_S5_lS7_S5_lS6_T11_S5_li.num_agpr, 0
	.set _ZL29rocblas_internal_gemmt_kernelIlLi16ELi32ELi8ELc67ELc78ELc85ELb1ELb0E19rocblas_complex_numIdES1_PKS1_PS1_EviT_T9_T10_S5_lS7_S5_lS6_T11_S5_li.numbered_sgpr, 40
	.set _ZL29rocblas_internal_gemmt_kernelIlLi16ELi32ELi8ELc67ELc78ELc85ELb1ELb0E19rocblas_complex_numIdES1_PKS1_PS1_EviT_T9_T10_S5_lS7_S5_lS6_T11_S5_li.num_named_barrier, 0
	.set _ZL29rocblas_internal_gemmt_kernelIlLi16ELi32ELi8ELc67ELc78ELc85ELb1ELb0E19rocblas_complex_numIdES1_PKS1_PS1_EviT_T9_T10_S5_lS7_S5_lS6_T11_S5_li.private_seg_size, 0
	.set _ZL29rocblas_internal_gemmt_kernelIlLi16ELi32ELi8ELc67ELc78ELc85ELb1ELb0E19rocblas_complex_numIdES1_PKS1_PS1_EviT_T9_T10_S5_lS7_S5_lS6_T11_S5_li.uses_vcc, 1
	.set _ZL29rocblas_internal_gemmt_kernelIlLi16ELi32ELi8ELc67ELc78ELc85ELb1ELb0E19rocblas_complex_numIdES1_PKS1_PS1_EviT_T9_T10_S5_lS7_S5_lS6_T11_S5_li.uses_flat_scratch, 0
	.set _ZL29rocblas_internal_gemmt_kernelIlLi16ELi32ELi8ELc67ELc78ELc85ELb1ELb0E19rocblas_complex_numIdES1_PKS1_PS1_EviT_T9_T10_S5_lS7_S5_lS6_T11_S5_li.has_dyn_sized_stack, 0
	.set _ZL29rocblas_internal_gemmt_kernelIlLi16ELi32ELi8ELc67ELc78ELc85ELb1ELb0E19rocblas_complex_numIdES1_PKS1_PS1_EviT_T9_T10_S5_lS7_S5_lS6_T11_S5_li.has_recursion, 0
	.set _ZL29rocblas_internal_gemmt_kernelIlLi16ELi32ELi8ELc67ELc78ELc85ELb1ELb0E19rocblas_complex_numIdES1_PKS1_PS1_EviT_T9_T10_S5_lS7_S5_lS6_T11_S5_li.has_indirect_call, 0
	.section	.AMDGPU.csdata,"",@progbits
; Kernel info:
; codeLenInByte = 3456
; TotalNumSgprs: 42
; NumVgprs: 132
; ScratchSize: 0
; MemoryBound: 1
; FloatMode: 240
; IeeeMode: 1
; LDSByteSize: 8192 bytes/workgroup (compile time only)
; SGPRBlocks: 0
; VGPRBlocks: 16
; NumSGPRsForWavesPerEU: 42
; NumVGPRsForWavesPerEU: 132
; Occupancy: 10
; WaveLimiterHint : 0
; COMPUTE_PGM_RSRC2:SCRATCH_EN: 0
; COMPUTE_PGM_RSRC2:USER_SGPR: 2
; COMPUTE_PGM_RSRC2:TRAP_HANDLER: 0
; COMPUTE_PGM_RSRC2:TGID_X_EN: 1
; COMPUTE_PGM_RSRC2:TGID_Y_EN: 1
; COMPUTE_PGM_RSRC2:TGID_Z_EN: 1
; COMPUTE_PGM_RSRC2:TIDIG_COMP_CNT: 1
	.section	.text._ZL29rocblas_internal_gemmt_kernelIlLi16ELi32ELi8ELc67ELc84ELc85ELb1ELb0E19rocblas_complex_numIdES1_PKS1_PS1_EviT_T9_T10_S5_lS7_S5_lS6_T11_S5_li,"axG",@progbits,_ZL29rocblas_internal_gemmt_kernelIlLi16ELi32ELi8ELc67ELc84ELc85ELb1ELb0E19rocblas_complex_numIdES1_PKS1_PS1_EviT_T9_T10_S5_lS7_S5_lS6_T11_S5_li,comdat
	.globl	_ZL29rocblas_internal_gemmt_kernelIlLi16ELi32ELi8ELc67ELc84ELc85ELb1ELb0E19rocblas_complex_numIdES1_PKS1_PS1_EviT_T9_T10_S5_lS7_S5_lS6_T11_S5_li ; -- Begin function _ZL29rocblas_internal_gemmt_kernelIlLi16ELi32ELi8ELc67ELc84ELc85ELb1ELb0E19rocblas_complex_numIdES1_PKS1_PS1_EviT_T9_T10_S5_lS7_S5_lS6_T11_S5_li
	.p2align	8
	.type	_ZL29rocblas_internal_gemmt_kernelIlLi16ELi32ELi8ELc67ELc84ELc85ELb1ELb0E19rocblas_complex_numIdES1_PKS1_PS1_EviT_T9_T10_S5_lS7_S5_lS6_T11_S5_li,@function
_ZL29rocblas_internal_gemmt_kernelIlLi16ELi32ELi8ELc67ELc84ELc85ELb1ELb0E19rocblas_complex_numIdES1_PKS1_PS1_EviT_T9_T10_S5_lS7_S5_lS6_T11_S5_li: ; @_ZL29rocblas_internal_gemmt_kernelIlLi16ELi32ELi8ELc67ELc84ELc85ELb1ELb0E19rocblas_complex_numIdES1_PKS1_PS1_EviT_T9_T10_S5_lS7_S5_lS6_T11_S5_li
; %bb.0:
	s_clause 0x1
	s_load_b256 s[24:31], s[0:1], 0x48
	s_load_b512 s[8:23], s[0:1], 0x8
	s_wait_kmcnt 0x0
	v_cmp_eq_f64_e64 s3, s[26:27], 1.0
	v_cmp_eq_f64_e64 s2, s[28:29], 0
	s_and_b32 s3, s3, s2
	s_delay_alu instid0(SALU_CYCLE_1)
	s_and_not1_b32 vcc_lo, exec_lo, s3
	s_mov_b32 s3, -1
	s_cbranch_vccnz .LBB277_3
; %bb.1:
	s_cmp_lg_u64 s[8:9], 0
	s_cbranch_scc0 .LBB277_38
; %bb.2:
	v_cmp_neq_f64_e64 s3, s[10:11], 0
	v_cmp_neq_f64_e64 s4, s[12:13], 0
	s_or_b32 s3, s3, s4
.LBB277_3:
	s_delay_alu instid0(SALU_CYCLE_1)
	s_and_b32 vcc_lo, exec_lo, s3
	s_cbranch_vccz .LBB277_39
; %bb.4:
	s_load_b32 s33, s[0:1], 0x78
	s_lshr_b32 s34, ttmp7, 16
	s_wait_kmcnt 0x0
	s_cmp_ge_u32 s34, s33
	s_cbranch_scc1 .LBB277_39
; %bb.5:
	v_dual_mov_b32 v1, 0 :: v_dual_and_b32 v6, 0x3ff, v0
	v_bfe_u32 v7, v0, 10, 10
	v_and_b32_e32 v30, 7, v0
	s_lshl_b32 s37, ttmp9, 5
	s_clause 0x1
	s_load_b128 s[4:7], s[0:1], 0x68
	s_load_b32 s36, s[0:1], 0x0
	s_ashr_i32 s1, s37, 31
	v_lshl_add_u32 v4, v7, 4, v6
	s_mul_i32 s1, s16, s1
	v_cmp_neq_f64_e64 s3, s[10:11], 0
	v_cmp_neq_f64_e64 s35, s[12:13], 0
	v_cmp_neq_f64_e64 s39, s[26:27], 0
	v_and_b32_e32 v0, 31, v4
	s_lshl_b32 s0, ttmp7, 5
	v_lshrrev_b32_e32 v10, 3, v4
	s_and_b32 s0, s0, 0x1fffe0
	v_lshrrev_b32_e32 v31, 5, v4
	v_or_b32_e32 v5, s37, v0
	v_add_nc_u32_e32 v11, s0, v7
	v_lshlrev_b32_e32 v0, 4, v0
	v_add_nc_u32_e32 v4, s0, v10
	v_lshl_add_u32 v39, v7, 7, 0x1000
	v_mul_lo_u32 v8, s17, v5
	v_mad_co_u64_u32 v[2:3], null, s16, v5, 0
	v_add_nc_u32_e32 v12, 16, v11
	v_lshl_or_b32 v32, v31, 9, v0
	v_lshlrev_b32_e32 v0, 4, v4
	s_wait_kmcnt 0x0
	v_cmp_gt_i32_e64 s0, s36, v5
	v_cmp_gt_i32_e32 vcc_lo, s36, v4
	v_mad_co_u64_u32 v[4:5], null, s4, v12, 0
	v_add3_u32 v3, v3, s1, v8
	v_lshlrev_b32_e32 v38, 4, v6
	v_add_nc_u32_e32 v6, s37, v6
	v_cmp_gt_i64_e64 s38, s[8:9], 0
	s_xor_b32 s17, vcc_lo, -1
	v_lshlrev_b64_e32 v[2:3], 4, v[2:3]
	s_delay_alu instid0(VALU_DEP_1) | instskip(SKIP_1) | instid1(VALU_DEP_2)
	v_add_co_u32 v34, s1, s14, v2
	s_wait_alu 0xf1ff
	v_add_co_ci_u32_e64 v35, null, s15, v3, s1
	v_mad_co_u64_u32 v[2:3], null, s4, v11, 0
	v_lshlrev_b32_e32 v9, 4, v30
	v_add_co_u32 v36, s1, s20, v0
	s_wait_alu 0xf1ff
	v_add_co_ci_u32_e64 v37, null, s21, 0, s1
	s_xor_b32 s1, s2, -1
	v_mov_b32_e32 v0, v3
	v_lshl_or_b32 v8, v10, 7, v9
	s_or_b32 s16, s3, s35
	s_wait_alu 0xfffe
	s_or_b32 s14, s39, s1
	v_cmp_le_i32_e64 s4, v6, v12
	s_and_b32 s16, s16, s38
	v_add_nc_u32_e32 v33, 0x1000, v8
	v_mad_co_u64_u32 v[7:8], null, s5, v11, v[0:1]
	v_mov_b32_e32 v0, v5
	v_add_nc_u32_e32 v8, 16, v6
	v_cmp_gt_i32_e64 s1, s36, v11
	v_cmp_le_i32_e64 s2, v6, v11
	s_mov_b32 s35, 0
	v_mad_co_u64_u32 v[9:10], null, s5, v12, v[0:1]
	v_cmp_le_i32_e64 s3, v8, v11
	v_mov_b32_e32 v3, v7
	s_and_b32 s5, s1, s2
	v_cmp_gt_i32_e64 s2, s36, v12
	v_ashrrev_i32_e32 v7, 31, v6
	s_and_b32 s15, s1, s3
	v_mov_b32_e32 v5, v9
	v_cmp_le_i32_e64 s1, v8, v12
	v_lshlrev_b64_e32 v[10:11], 4, v[2:3]
	v_ashrrev_i32_e32 v9, 31, v8
	s_and_b32 s4, s2, s4
	v_lshlrev_b64_e32 v[12:13], 4, v[4:5]
	s_and_b32 s1, s2, s1
	s_branch .LBB277_7
.LBB277_6:                              ;   in Loop: Header=BB277_7 Depth=1
	s_wait_alu 0xfffe
	s_or_b32 exec_lo, exec_lo, s2
	s_add_co_i32 s34, s34, 0x10000
	s_delay_alu instid0(SALU_CYCLE_1)
	s_cmp_lt_u32 s34, s33
	s_cbranch_scc0 .LBB277_39
.LBB277_7:                              ; =>This Loop Header: Depth=1
                                        ;     Child Loop BB277_10 Depth 2
	v_mov_b32_e32 v26, 0
	v_mov_b32_e32 v22, 0
	;; [unrolled: 1-line block ×3, first 2 shown]
	v_dual_mov_b32 v16, 0 :: v_dual_mov_b32 v27, 0
	v_dual_mov_b32 v28, 0 :: v_dual_mov_b32 v23, 0
	;; [unrolled: 1-line block ×5, first 2 shown]
	v_mov_b32_e32 v25, 0
	v_mov_b32_e32 v21, 0
	;; [unrolled: 1-line block ×3, first 2 shown]
	s_wait_alu 0xfffe
	s_and_not1_b32 vcc_lo, exec_lo, s16
	s_wait_alu 0xfffe
	s_cbranch_vccnz .LBB277_18
; %bb.8:                                ;   in Loop: Header=BB277_7 Depth=1
	s_mul_u64 s[2:3], s[18:19], s[34:35]
	s_mul_u64 s[20:21], s[24:25], s[34:35]
	s_wait_alu 0xfffe
	s_lshl_b64 s[2:3], s[2:3], 4
	v_mov_b32_e32 v14, 0
	s_wait_alu 0xfffe
	v_add_co_u32 v40, vcc_lo, v34, s2
	s_wait_alu 0xfffd
	v_add_co_ci_u32_e64 v41, null, s3, v35, vcc_lo
	s_lshl_b64 s[2:3], s[20:21], 4
	v_mov_b32_e32 v20, 0
	v_mov_b32_e32 v24, 0
	;; [unrolled: 1-line block ×3, first 2 shown]
	s_wait_alu 0xfffe
	v_add_co_u32 v42, vcc_lo, v36, s2
	v_dual_mov_b32 v15, 0 :: v_dual_mov_b32 v16, 0
	v_dual_mov_b32 v21, 0 :: v_dual_mov_b32 v18, 0
	;; [unrolled: 1-line block ×4, first 2 shown]
	v_mov_b32_e32 v17, 0
	v_mov_b32_e32 v19, 0
	;; [unrolled: 1-line block ×4, first 2 shown]
	s_wait_alu 0xfffd
	v_add_co_ci_u32_e64 v43, null, s3, v37, vcc_lo
	s_mov_b64 s[2:3], 0
	s_branch .LBB277_10
.LBB277_9:                              ;   in Loop: Header=BB277_10 Depth=2
	s_wait_alu 0xfffe
	s_or_b32 exec_lo, exec_lo, s20
	s_wait_dscnt 0x0
	s_barrier_signal -1
	s_barrier_wait -1
	global_inv scope:SCOPE_SE
	ds_load_b128 v[2:5], v39
	ds_load_b128 v[44:47], v38
	ds_load_b128 v[48:51], v38 offset:256
	ds_load_b128 v[52:55], v39 offset:2048
	;; [unrolled: 1-line block ×10, first 2 shown]
	s_add_nc_u64 s[2:3], s[2:3], 8
	s_wait_alu 0xfffe
	v_cmp_gt_i64_e64 s20, s[8:9], s[2:3]
	s_and_b32 vcc_lo, exec_lo, s20
	s_wait_dscnt 0xa
	v_mul_f64_e32 v[88:89], v[4:5], v[46:47]
	v_mul_f64_e32 v[90:91], v[2:3], v[46:47]
	s_wait_dscnt 0x9
	v_mul_f64_e32 v[92:93], v[4:5], v[50:51]
	v_mul_f64_e32 v[94:95], v[2:3], v[50:51]
	;; [unrolled: 3-line block ×3, first 2 shown]
	v_mul_f64_e32 v[98:99], v[54:55], v[50:51]
	v_mul_f64_e32 v[50:51], v[52:53], v[50:51]
	s_wait_dscnt 0x5
	v_mul_f64_e32 v[100:101], v[58:59], v[66:67]
	v_mul_f64_e32 v[102:103], v[56:57], v[66:67]
	s_wait_dscnt 0x4
	v_mul_f64_e32 v[104:105], v[58:59], v[70:71]
	v_mul_f64_e32 v[106:107], v[56:57], v[70:71]
	;; [unrolled: 1-line block ×6, first 2 shown]
	s_wait_dscnt 0x2
	v_mul_f64_e32 v[116:117], v[74:75], v[78:79]
	v_mul_f64_e32 v[118:119], v[72:73], v[78:79]
	s_wait_dscnt 0x1
	v_mul_f64_e32 v[120:121], v[74:75], v[82:83]
	v_mul_f64_e32 v[122:123], v[72:73], v[82:83]
	s_wait_dscnt 0x0
	v_mul_f64_e32 v[124:125], v[86:87], v[78:79]
	v_mul_f64_e32 v[78:79], v[84:85], v[78:79]
	v_mul_f64_e32 v[126:127], v[86:87], v[82:83]
	v_mul_f64_e32 v[82:83], v[84:85], v[82:83]
	v_fma_f64 v[88:89], v[2:3], v[44:45], -v[88:89]
	v_fma_f64 v[90:91], v[4:5], v[44:45], v[90:91]
	v_fma_f64 v[92:93], v[2:3], v[48:49], -v[92:93]
	v_fma_f64 v[94:95], v[4:5], v[48:49], v[94:95]
	;; [unrolled: 2-line block ×8, first 2 shown]
	ds_load_b128 v[2:5], v39 offset:48
	ds_load_b128 v[44:47], v38 offset:1536
	;; [unrolled: 1-line block ×4, first 2 shown]
	v_fma_f64 v[116:117], v[72:73], v[76:77], -v[116:117]
	v_fma_f64 v[118:119], v[74:75], v[76:77], v[118:119]
	v_fma_f64 v[72:73], v[72:73], v[80:81], -v[120:121]
	v_fma_f64 v[74:75], v[74:75], v[80:81], v[122:123]
	;; [unrolled: 2-line block ×4, first 2 shown]
	s_wait_dscnt 0x2
	v_mul_f64_e32 v[106:107], v[2:3], v[46:47]
	s_wait_dscnt 0x1
	v_mul_f64_e32 v[108:109], v[4:5], v[50:51]
	v_mul_f64_e32 v[110:111], v[2:3], v[50:51]
	v_add_f64_e32 v[66:67], v[26:27], v[88:89]
	v_add_f64_e32 v[68:69], v[90:91], v[28:29]
	;; [unrolled: 1-line block ×8, first 2 shown]
	v_mul_f64_e32 v[98:99], v[4:5], v[46:47]
	s_wait_dscnt 0x0
	v_mul_f64_e32 v[112:113], v[54:55], v[46:47]
	v_mul_f64_e32 v[46:47], v[52:53], v[46:47]
	;; [unrolled: 1-line block ×4, first 2 shown]
	ds_load_b128 v[14:17], v39 offset:64
	ds_load_b128 v[18:21], v38 offset:2048
	ds_load_b128 v[22:25], v38 offset:2304
	ds_load_b128 v[26:29], v39 offset:2112
	s_wait_dscnt 0x1
	v_mul_f64_e32 v[122:123], v[14:15], v[24:25]
	s_wait_dscnt 0x0
	v_mul_f64_e32 v[124:125], v[28:29], v[20:21]
	v_mul_f64_e32 v[126:127], v[28:29], v[24:25]
	v_fma_f64 v[106:107], v[4:5], v[44:45], v[106:107]
	v_fma_f64 v[108:109], v[2:3], v[48:49], -v[108:109]
	v_fma_f64 v[110:111], v[4:5], v[48:49], v[110:111]
	v_add_f64_e32 v[82:83], v[66:67], v[100:101]
	v_add_f64_e32 v[84:85], v[102:103], v[68:69]
	v_add_f64_e32 v[86:87], v[70:71], v[56:57]
	v_add_f64_e32 v[88:89], v[58:59], v[88:89]
	v_add_f64_e32 v[90:91], v[90:91], v[104:105]
	v_add_f64_e32 v[92:93], v[64:65], v[92:93]
	v_add_f64_e32 v[94:95], v[94:95], v[60:61]
	v_add_f64_e32 v[96:97], v[62:63], v[96:97]
	v_mul_f64_e32 v[100:101], v[16:17], v[20:21]
	v_mul_f64_e32 v[102:103], v[14:15], v[20:21]
	;; [unrolled: 1-line block ×5, first 2 shown]
	v_fma_f64 v[98:99], v[2:3], v[44:45], -v[98:99]
	v_fma_f64 v[112:113], v[52:53], v[44:45], -v[112:113]
	v_fma_f64 v[128:129], v[54:55], v[44:45], v[46:47]
	v_fma_f64 v[114:115], v[52:53], v[48:49], -v[114:115]
	v_fma_f64 v[130:131], v[54:55], v[48:49], v[50:51]
	ds_load_b128 v[56:59], v39 offset:80
	ds_load_b128 v[60:63], v38 offset:2560
	;; [unrolled: 1-line block ×8, first 2 shown]
	v_add_f64_e32 v[82:83], v[82:83], v[116:117]
	v_add_f64_e32 v[84:85], v[118:119], v[84:85]
	;; [unrolled: 1-line block ×8, first 2 shown]
	s_wait_dscnt 0x6
	v_mul_f64_e32 v[88:89], v[58:59], v[62:63]
	v_mul_f64_e32 v[90:91], v[56:57], v[62:63]
	s_wait_dscnt 0x5
	v_mul_f64_e32 v[92:93], v[58:59], v[66:67]
	v_mul_f64_e32 v[94:95], v[56:57], v[66:67]
	;; [unrolled: 3-line block ×3, first 2 shown]
	v_mul_f64_e32 v[116:117], v[70:71], v[66:67]
	v_mul_f64_e32 v[66:67], v[68:69], v[66:67]
	v_fma_f64 v[100:101], v[14:15], v[18:19], -v[100:101]
	v_fma_f64 v[102:103], v[16:17], v[18:19], v[102:103]
	v_fma_f64 v[104:105], v[14:15], v[22:23], -v[104:105]
	v_fma_f64 v[118:119], v[16:17], v[22:23], v[122:123]
	;; [unrolled: 2-line block ×4, first 2 shown]
	ds_load_b128 v[14:17], v39 offset:112
	ds_load_b128 v[18:21], v38 offset:3584
	;; [unrolled: 1-line block ×4, first 2 shown]
	s_wait_loadcnt_dscnt 0x0
	s_barrier_signal -1
	s_barrier_wait -1
	global_inv scope:SCOPE_SE
	v_add_f64_e32 v[82:83], v[82:83], v[98:99]
	v_add_f64_e32 v[84:85], v[106:107], v[84:85]
	;; [unrolled: 1-line block ×8, first 2 shown]
	v_mul_f64_e32 v[98:99], v[4:5], v[46:47]
	v_mul_f64_e32 v[106:107], v[2:3], v[46:47]
	;; [unrolled: 1-line block ×8, first 2 shown]
	v_fma_f64 v[88:89], v[56:57], v[60:61], -v[88:89]
	v_fma_f64 v[90:91], v[58:59], v[60:61], v[90:91]
	v_fma_f64 v[56:57], v[56:57], v[64:65], -v[92:93]
	v_fma_f64 v[58:59], v[58:59], v[64:65], v[94:95]
	;; [unrolled: 2-line block ×4, first 2 shown]
	v_mul_f64_e32 v[94:95], v[14:15], v[24:25]
	v_mul_f64_e32 v[96:97], v[28:29], v[20:21]
	v_add_f64_e32 v[66:67], v[82:83], v[100:101]
	v_add_f64_e32 v[68:69], v[102:103], v[84:85]
	v_add_f64_e32 v[70:71], v[72:73], v[104:105]
	v_add_f64_e32 v[72:73], v[118:119], v[74:75]
	v_add_f64_e32 v[74:75], v[86:87], v[120:121]
	v_add_f64_e32 v[76:77], v[122:123], v[76:77]
	v_add_f64_e32 v[78:79], v[78:79], v[124:125]
	v_add_f64_e32 v[80:81], v[126:127], v[80:81]
	v_mul_f64_e32 v[82:83], v[16:17], v[20:21]
	v_mul_f64_e32 v[84:85], v[14:15], v[20:21]
	;; [unrolled: 1-line block ×6, first 2 shown]
	v_fma_f64 v[98:99], v[2:3], v[44:45], -v[98:99]
	v_fma_f64 v[102:103], v[4:5], v[44:45], v[106:107]
	v_fma_f64 v[2:3], v[2:3], v[48:49], -v[108:109]
	v_fma_f64 v[4:5], v[4:5], v[48:49], v[110:111]
	;; [unrolled: 2-line block ×4, first 2 shown]
	v_add_f64_e32 v[50:51], v[66:67], v[88:89]
	v_add_f64_e32 v[52:53], v[90:91], v[68:69]
	;; [unrolled: 1-line block ×8, first 2 shown]
	v_fma_f64 v[66:67], v[14:15], v[18:19], -v[82:83]
	v_fma_f64 v[68:69], v[16:17], v[18:19], v[84:85]
	v_fma_f64 v[14:15], v[14:15], v[22:23], -v[86:87]
	v_fma_f64 v[16:17], v[16:17], v[22:23], v[94:95]
	;; [unrolled: 2-line block ×4, first 2 shown]
	v_add_f64_e32 v[18:19], v[50:51], v[98:99]
	v_add_f64_e32 v[22:23], v[102:103], v[52:53]
	;; [unrolled: 1-line block ×16, first 2 shown]
	s_wait_alu 0xfffe
	s_cbranch_vccz .LBB277_18
.LBB277_10:                             ;   Parent Loop BB277_7 Depth=1
                                        ; =>  This Inner Loop Header: Depth=2
	v_mov_b32_e32 v2, 0
	v_dual_mov_b32 v3, 0 :: v_dual_mov_b32 v4, 0
	v_mov_b32_e32 v5, 0
	s_and_saveexec_b32 s20, s0
	s_cbranch_execz .LBB277_14
; %bb.11:                               ;   in Loop: Header=BB277_10 Depth=2
	v_mov_b32_e32 v4, 0
	v_mov_b32_e32 v2, 0
	s_wait_alu 0xfffe
	v_dual_mov_b32 v5, 0 :: v_dual_add_nc_u32 v0, s2, v31
	v_mov_b32_e32 v3, 0
	s_mov_b32 s21, exec_lo
	s_delay_alu instid0(VALU_DEP_2)
	v_cmpx_gt_u64_e64 s[8:9], v[0:1]
	s_cbranch_execz .LBB277_13
; %bb.12:                               ;   in Loop: Header=BB277_10 Depth=2
	v_lshlrev_b64_e32 v[2:3], 4, v[0:1]
	s_delay_alu instid0(VALU_DEP_1) | instskip(SKIP_1) | instid1(VALU_DEP_2)
	v_add_co_u32 v2, vcc_lo, v40, v2
	s_wait_alu 0xfffd
	v_add_co_ci_u32_e64 v3, null, v41, v3, vcc_lo
	global_load_b128 v[2:5], v[2:3], off
	s_wait_loadcnt 0x0
	v_xor_b32_e32 v5, 0x80000000, v5
.LBB277_13:                             ;   in Loop: Header=BB277_10 Depth=2
	s_wait_alu 0xfffe
	s_or_b32 exec_lo, exec_lo, s21
.LBB277_14:                             ;   in Loop: Header=BB277_10 Depth=2
	s_wait_alu 0xfffe
	s_or_b32 exec_lo, exec_lo, s20
	v_add_nc_u32_e32 v0, s2, v30
	ds_store_b128 v32, v[2:5]
	v_cmp_le_u64_e32 vcc_lo, s[8:9], v[0:1]
	s_or_b32 s20, vcc_lo, s17
	s_wait_alu 0xfffe
	s_and_saveexec_b32 s21, s20
	s_wait_alu 0xfffe
	s_xor_b32 s20, exec_lo, s21
; %bb.15:                               ;   in Loop: Header=BB277_10 Depth=2
	v_dual_mov_b32 v0, v1 :: v_dual_mov_b32 v3, v1
	v_mov_b32_e32 v2, v1
	ds_store_b128 v33, v[0:3]
; %bb.16:                               ;   in Loop: Header=BB277_10 Depth=2
	s_wait_alu 0xfffe
	s_and_not1_saveexec_b32 s20, s20
	s_cbranch_execz .LBB277_9
; %bb.17:                               ;   in Loop: Header=BB277_10 Depth=2
	v_mad_co_u64_u32 v[2:3], null, s22, v0, 0
	s_delay_alu instid0(VALU_DEP_1) | instskip(NEXT) | instid1(VALU_DEP_1)
	v_mad_co_u64_u32 v[3:4], null, s23, v0, v[3:4]
	v_lshlrev_b64_e32 v[2:3], 4, v[2:3]
	s_delay_alu instid0(VALU_DEP_1) | instskip(SKIP_1) | instid1(VALU_DEP_2)
	v_add_co_u32 v2, vcc_lo, v42, v2
	s_wait_alu 0xfffd
	v_add_co_ci_u32_e64 v3, null, v43, v3, vcc_lo
	global_load_b128 v[2:5], v[2:3], off
	s_wait_loadcnt 0x0
	ds_store_2addr_b64 v33, v[2:3], v[4:5] offset1:1
	s_branch .LBB277_9
.LBB277_18:                             ;   in Loop: Header=BB277_7 Depth=1
	s_mul_u64 s[2:3], s[6:7], s[34:35]
	s_wait_alu 0xfffe
	s_lshl_b64 s[2:3], s[2:3], 4
	s_wait_alu 0xfffe
	s_add_nc_u64 s[2:3], s[30:31], s[2:3]
	s_wait_alu 0xfffe
	v_add_co_u32 v0, vcc_lo, s2, v10
	s_wait_alu 0xfffd
	v_add_co_ci_u32_e64 v40, null, s3, v11, vcc_lo
	s_and_saveexec_b32 s20, s5
	s_cbranch_execz .LBB277_23
; %bb.19:                               ;   in Loop: Header=BB277_7 Depth=1
	v_mul_f64_e32 v[2:3], s[12:13], v[28:29]
	v_mul_f64_e32 v[4:5], s[10:11], v[28:29]
	s_and_b32 vcc_lo, exec_lo, s14
	s_mov_b32 s21, -1
	s_delay_alu instid0(VALU_DEP_2) | instskip(NEXT) | instid1(VALU_DEP_2)
	v_fma_f64 v[2:3], s[10:11], v[26:27], -v[2:3]
	v_fma_f64 v[4:5], s[12:13], v[26:27], v[4:5]
	s_wait_alu 0xfffe
	s_cbranch_vccz .LBB277_21
; %bb.20:                               ;   in Loop: Header=BB277_7 Depth=1
	v_lshlrev_b64_e32 v[26:27], 4, v[6:7]
	s_mov_b32 s21, 0
	s_delay_alu instid0(VALU_DEP_1) | instskip(SKIP_1) | instid1(VALU_DEP_2)
	v_add_co_u32 v41, vcc_lo, v0, v26
	s_wait_alu 0xfffd
	v_add_co_ci_u32_e64 v42, null, v40, v27, vcc_lo
	global_load_b128 v[26:29], v[41:42], off
	s_wait_loadcnt 0x0
	v_mul_f64_e32 v[43:44], s[28:29], v[28:29]
	v_mul_f64_e32 v[28:29], s[26:27], v[28:29]
	s_delay_alu instid0(VALU_DEP_2) | instskip(NEXT) | instid1(VALU_DEP_2)
	v_fma_f64 v[43:44], s[26:27], v[26:27], -v[43:44]
	v_fma_f64 v[28:29], s[28:29], v[26:27], v[28:29]
	s_delay_alu instid0(VALU_DEP_2) | instskip(NEXT) | instid1(VALU_DEP_2)
	v_add_f64_e32 v[26:27], v[2:3], v[43:44]
	v_add_f64_e32 v[28:29], v[4:5], v[28:29]
	global_store_b128 v[41:42], v[26:29], off
.LBB277_21:                             ;   in Loop: Header=BB277_7 Depth=1
	s_wait_alu 0xfffe
	s_and_not1_b32 vcc_lo, exec_lo, s21
	s_wait_alu 0xfffe
	s_cbranch_vccnz .LBB277_23
; %bb.22:                               ;   in Loop: Header=BB277_7 Depth=1
	v_lshlrev_b64_e32 v[26:27], 4, v[6:7]
	s_delay_alu instid0(VALU_DEP_1) | instskip(SKIP_1) | instid1(VALU_DEP_2)
	v_add_co_u32 v26, vcc_lo, v0, v26
	s_wait_alu 0xfffd
	v_add_co_ci_u32_e64 v27, null, v40, v27, vcc_lo
	global_store_b128 v[26:27], v[2:5], off
.LBB277_23:                             ;   in Loop: Header=BB277_7 Depth=1
	s_wait_alu 0xfffe
	s_or_b32 exec_lo, exec_lo, s20
	s_and_saveexec_b32 s20, s15
	s_cbranch_execz .LBB277_28
; %bb.24:                               ;   in Loop: Header=BB277_7 Depth=1
	v_mul_f64_e32 v[2:3], s[12:13], v[24:25]
	v_mul_f64_e32 v[4:5], s[10:11], v[24:25]
	s_and_not1_b32 vcc_lo, exec_lo, s14
	s_mov_b32 s21, -1
	s_delay_alu instid0(VALU_DEP_2) | instskip(NEXT) | instid1(VALU_DEP_2)
	v_fma_f64 v[2:3], s[10:11], v[22:23], -v[2:3]
	v_fma_f64 v[4:5], s[12:13], v[22:23], v[4:5]
	s_wait_alu 0xfffe
	s_cbranch_vccnz .LBB277_26
; %bb.25:                               ;   in Loop: Header=BB277_7 Depth=1
	v_lshlrev_b64_e32 v[22:23], 4, v[8:9]
	s_mov_b32 s21, 0
	s_delay_alu instid0(VALU_DEP_1) | instskip(SKIP_1) | instid1(VALU_DEP_2)
	v_add_co_u32 v26, vcc_lo, v0, v22
	s_wait_alu 0xfffd
	v_add_co_ci_u32_e64 v27, null, v40, v23, vcc_lo
	global_load_b128 v[22:25], v[26:27], off
	s_wait_loadcnt 0x0
	v_mul_f64_e32 v[28:29], s[28:29], v[24:25]
	v_mul_f64_e32 v[24:25], s[26:27], v[24:25]
	s_delay_alu instid0(VALU_DEP_2) | instskip(NEXT) | instid1(VALU_DEP_2)
	v_fma_f64 v[28:29], s[26:27], v[22:23], -v[28:29]
	v_fma_f64 v[24:25], s[28:29], v[22:23], v[24:25]
	s_delay_alu instid0(VALU_DEP_2) | instskip(NEXT) | instid1(VALU_DEP_2)
	v_add_f64_e32 v[22:23], v[2:3], v[28:29]
	v_add_f64_e32 v[24:25], v[4:5], v[24:25]
	global_store_b128 v[26:27], v[22:25], off
.LBB277_26:                             ;   in Loop: Header=BB277_7 Depth=1
	s_wait_alu 0xfffe
	s_and_not1_b32 vcc_lo, exec_lo, s21
	s_wait_alu 0xfffe
	s_cbranch_vccnz .LBB277_28
; %bb.27:                               ;   in Loop: Header=BB277_7 Depth=1
	v_lshlrev_b64_e32 v[22:23], 4, v[8:9]
	s_delay_alu instid0(VALU_DEP_1) | instskip(SKIP_1) | instid1(VALU_DEP_2)
	v_add_co_u32 v22, vcc_lo, v0, v22
	s_wait_alu 0xfffd
	v_add_co_ci_u32_e64 v23, null, v40, v23, vcc_lo
	global_store_b128 v[22:23], v[2:5], off
.LBB277_28:                             ;   in Loop: Header=BB277_7 Depth=1
	s_wait_alu 0xfffe
	s_or_b32 exec_lo, exec_lo, s20
	v_add_co_u32 v0, vcc_lo, s2, v12
	s_wait_alu 0xfffd
	v_add_co_ci_u32_e64 v22, null, s3, v13, vcc_lo
	s_and_saveexec_b32 s2, s4
	s_cbranch_execz .LBB277_33
; %bb.29:                               ;   in Loop: Header=BB277_7 Depth=1
	v_mul_f64_e32 v[2:3], s[12:13], v[20:21]
	v_mul_f64_e32 v[4:5], s[10:11], v[20:21]
	s_and_not1_b32 vcc_lo, exec_lo, s14
	s_mov_b32 s3, -1
	s_delay_alu instid0(VALU_DEP_2) | instskip(NEXT) | instid1(VALU_DEP_2)
	v_fma_f64 v[2:3], s[10:11], v[18:19], -v[2:3]
	v_fma_f64 v[4:5], s[12:13], v[18:19], v[4:5]
	v_lshlrev_b64_e32 v[18:19], 4, v[6:7]
	s_wait_alu 0xfffe
	s_cbranch_vccnz .LBB277_31
; %bb.30:                               ;   in Loop: Header=BB277_7 Depth=1
	s_delay_alu instid0(VALU_DEP_1) | instskip(SKIP_1) | instid1(VALU_DEP_2)
	v_add_co_u32 v20, vcc_lo, v0, v18
	s_wait_alu 0xfffd
	v_add_co_ci_u32_e64 v21, null, v22, v19, vcc_lo
	s_mov_b32 s3, 0
	global_load_b128 v[23:26], v[20:21], off
	s_wait_loadcnt 0x0
	v_mul_f64_e32 v[27:28], s[28:29], v[25:26]
	v_mul_f64_e32 v[25:26], s[26:27], v[25:26]
	s_delay_alu instid0(VALU_DEP_2) | instskip(NEXT) | instid1(VALU_DEP_2)
	v_fma_f64 v[27:28], s[26:27], v[23:24], -v[27:28]
	v_fma_f64 v[25:26], s[28:29], v[23:24], v[25:26]
	s_delay_alu instid0(VALU_DEP_2) | instskip(NEXT) | instid1(VALU_DEP_2)
	v_add_f64_e32 v[23:24], v[2:3], v[27:28]
	v_add_f64_e32 v[25:26], v[4:5], v[25:26]
	global_store_b128 v[20:21], v[23:26], off
.LBB277_31:                             ;   in Loop: Header=BB277_7 Depth=1
	s_wait_alu 0xfffe
	s_and_not1_b32 vcc_lo, exec_lo, s3
	s_wait_alu 0xfffe
	s_cbranch_vccnz .LBB277_33
; %bb.32:                               ;   in Loop: Header=BB277_7 Depth=1
	v_add_co_u32 v18, vcc_lo, v0, v18
	s_wait_alu 0xfffd
	v_add_co_ci_u32_e64 v19, null, v22, v19, vcc_lo
	global_store_b128 v[18:19], v[2:5], off
.LBB277_33:                             ;   in Loop: Header=BB277_7 Depth=1
	s_wait_alu 0xfffe
	s_or_b32 exec_lo, exec_lo, s2
	s_and_saveexec_b32 s2, s1
	s_cbranch_execz .LBB277_6
; %bb.34:                               ;   in Loop: Header=BB277_7 Depth=1
	v_mul_f64_e32 v[2:3], s[12:13], v[14:15]
	v_mul_f64_e32 v[4:5], s[10:11], v[14:15]
	v_lshlrev_b64_e32 v[14:15], 4, v[8:9]
	s_and_not1_b32 vcc_lo, exec_lo, s14
	s_mov_b32 s3, -1
	s_delay_alu instid0(VALU_DEP_3) | instskip(NEXT) | instid1(VALU_DEP_3)
	v_fma_f64 v[2:3], s[10:11], v[16:17], -v[2:3]
	v_fma_f64 v[4:5], s[12:13], v[16:17], v[4:5]
	s_wait_alu 0xfffe
	s_cbranch_vccnz .LBB277_36
; %bb.35:                               ;   in Loop: Header=BB277_7 Depth=1
	v_add_co_u32 v20, vcc_lo, v0, v14
	s_wait_alu 0xfffd
	v_add_co_ci_u32_e64 v21, null, v22, v15, vcc_lo
	s_mov_b32 s3, 0
	global_load_b128 v[16:19], v[20:21], off
	s_wait_loadcnt 0x0
	v_mul_f64_e32 v[23:24], s[28:29], v[18:19]
	v_mul_f64_e32 v[18:19], s[26:27], v[18:19]
	s_delay_alu instid0(VALU_DEP_2) | instskip(NEXT) | instid1(VALU_DEP_2)
	v_fma_f64 v[23:24], s[26:27], v[16:17], -v[23:24]
	v_fma_f64 v[18:19], s[28:29], v[16:17], v[18:19]
	s_delay_alu instid0(VALU_DEP_2) | instskip(NEXT) | instid1(VALU_DEP_2)
	v_add_f64_e32 v[16:17], v[2:3], v[23:24]
	v_add_f64_e32 v[18:19], v[4:5], v[18:19]
	global_store_b128 v[20:21], v[16:19], off
.LBB277_36:                             ;   in Loop: Header=BB277_7 Depth=1
	s_wait_alu 0xfffe
	s_and_not1_b32 vcc_lo, exec_lo, s3
	s_wait_alu 0xfffe
	s_cbranch_vccnz .LBB277_6
; %bb.37:                               ;   in Loop: Header=BB277_7 Depth=1
	v_add_co_u32 v14, vcc_lo, v0, v14
	s_wait_alu 0xfffd
	v_add_co_ci_u32_e64 v15, null, v22, v15, vcc_lo
	global_store_b128 v[14:15], v[2:5], off
	s_branch .LBB277_6
.LBB277_38:
.LBB277_39:
	s_nop 0
	s_sendmsg sendmsg(MSG_DEALLOC_VGPRS)
	s_endpgm
	.section	.rodata,"a",@progbits
	.p2align	6, 0x0
	.amdhsa_kernel _ZL29rocblas_internal_gemmt_kernelIlLi16ELi32ELi8ELc67ELc84ELc85ELb1ELb0E19rocblas_complex_numIdES1_PKS1_PS1_EviT_T9_T10_S5_lS7_S5_lS6_T11_S5_li
		.amdhsa_group_segment_fixed_size 8192
		.amdhsa_private_segment_fixed_size 0
		.amdhsa_kernarg_size 124
		.amdhsa_user_sgpr_count 2
		.amdhsa_user_sgpr_dispatch_ptr 0
		.amdhsa_user_sgpr_queue_ptr 0
		.amdhsa_user_sgpr_kernarg_segment_ptr 1
		.amdhsa_user_sgpr_dispatch_id 0
		.amdhsa_user_sgpr_private_segment_size 0
		.amdhsa_wavefront_size32 1
		.amdhsa_uses_dynamic_stack 0
		.amdhsa_enable_private_segment 0
		.amdhsa_system_sgpr_workgroup_id_x 1
		.amdhsa_system_sgpr_workgroup_id_y 1
		.amdhsa_system_sgpr_workgroup_id_z 1
		.amdhsa_system_sgpr_workgroup_info 0
		.amdhsa_system_vgpr_workitem_id 1
		.amdhsa_next_free_vgpr 132
		.amdhsa_next_free_sgpr 40
		.amdhsa_reserve_vcc 1
		.amdhsa_float_round_mode_32 0
		.amdhsa_float_round_mode_16_64 0
		.amdhsa_float_denorm_mode_32 3
		.amdhsa_float_denorm_mode_16_64 3
		.amdhsa_fp16_overflow 0
		.amdhsa_workgroup_processor_mode 1
		.amdhsa_memory_ordered 1
		.amdhsa_forward_progress 1
		.amdhsa_inst_pref_size 27
		.amdhsa_round_robin_scheduling 0
		.amdhsa_exception_fp_ieee_invalid_op 0
		.amdhsa_exception_fp_denorm_src 0
		.amdhsa_exception_fp_ieee_div_zero 0
		.amdhsa_exception_fp_ieee_overflow 0
		.amdhsa_exception_fp_ieee_underflow 0
		.amdhsa_exception_fp_ieee_inexact 0
		.amdhsa_exception_int_div_zero 0
	.end_amdhsa_kernel
	.section	.text._ZL29rocblas_internal_gemmt_kernelIlLi16ELi32ELi8ELc67ELc84ELc85ELb1ELb0E19rocblas_complex_numIdES1_PKS1_PS1_EviT_T9_T10_S5_lS7_S5_lS6_T11_S5_li,"axG",@progbits,_ZL29rocblas_internal_gemmt_kernelIlLi16ELi32ELi8ELc67ELc84ELc85ELb1ELb0E19rocblas_complex_numIdES1_PKS1_PS1_EviT_T9_T10_S5_lS7_S5_lS6_T11_S5_li,comdat
.Lfunc_end277:
	.size	_ZL29rocblas_internal_gemmt_kernelIlLi16ELi32ELi8ELc67ELc84ELc85ELb1ELb0E19rocblas_complex_numIdES1_PKS1_PS1_EviT_T9_T10_S5_lS7_S5_lS6_T11_S5_li, .Lfunc_end277-_ZL29rocblas_internal_gemmt_kernelIlLi16ELi32ELi8ELc67ELc84ELc85ELb1ELb0E19rocblas_complex_numIdES1_PKS1_PS1_EviT_T9_T10_S5_lS7_S5_lS6_T11_S5_li
                                        ; -- End function
	.set _ZL29rocblas_internal_gemmt_kernelIlLi16ELi32ELi8ELc67ELc84ELc85ELb1ELb0E19rocblas_complex_numIdES1_PKS1_PS1_EviT_T9_T10_S5_lS7_S5_lS6_T11_S5_li.num_vgpr, 132
	.set _ZL29rocblas_internal_gemmt_kernelIlLi16ELi32ELi8ELc67ELc84ELc85ELb1ELb0E19rocblas_complex_numIdES1_PKS1_PS1_EviT_T9_T10_S5_lS7_S5_lS6_T11_S5_li.num_agpr, 0
	.set _ZL29rocblas_internal_gemmt_kernelIlLi16ELi32ELi8ELc67ELc84ELc85ELb1ELb0E19rocblas_complex_numIdES1_PKS1_PS1_EviT_T9_T10_S5_lS7_S5_lS6_T11_S5_li.numbered_sgpr, 40
	.set _ZL29rocblas_internal_gemmt_kernelIlLi16ELi32ELi8ELc67ELc84ELc85ELb1ELb0E19rocblas_complex_numIdES1_PKS1_PS1_EviT_T9_T10_S5_lS7_S5_lS6_T11_S5_li.num_named_barrier, 0
	.set _ZL29rocblas_internal_gemmt_kernelIlLi16ELi32ELi8ELc67ELc84ELc85ELb1ELb0E19rocblas_complex_numIdES1_PKS1_PS1_EviT_T9_T10_S5_lS7_S5_lS6_T11_S5_li.private_seg_size, 0
	.set _ZL29rocblas_internal_gemmt_kernelIlLi16ELi32ELi8ELc67ELc84ELc85ELb1ELb0E19rocblas_complex_numIdES1_PKS1_PS1_EviT_T9_T10_S5_lS7_S5_lS6_T11_S5_li.uses_vcc, 1
	.set _ZL29rocblas_internal_gemmt_kernelIlLi16ELi32ELi8ELc67ELc84ELc85ELb1ELb0E19rocblas_complex_numIdES1_PKS1_PS1_EviT_T9_T10_S5_lS7_S5_lS6_T11_S5_li.uses_flat_scratch, 0
	.set _ZL29rocblas_internal_gemmt_kernelIlLi16ELi32ELi8ELc67ELc84ELc85ELb1ELb0E19rocblas_complex_numIdES1_PKS1_PS1_EviT_T9_T10_S5_lS7_S5_lS6_T11_S5_li.has_dyn_sized_stack, 0
	.set _ZL29rocblas_internal_gemmt_kernelIlLi16ELi32ELi8ELc67ELc84ELc85ELb1ELb0E19rocblas_complex_numIdES1_PKS1_PS1_EviT_T9_T10_S5_lS7_S5_lS6_T11_S5_li.has_recursion, 0
	.set _ZL29rocblas_internal_gemmt_kernelIlLi16ELi32ELi8ELc67ELc84ELc85ELb1ELb0E19rocblas_complex_numIdES1_PKS1_PS1_EviT_T9_T10_S5_lS7_S5_lS6_T11_S5_li.has_indirect_call, 0
	.section	.AMDGPU.csdata,"",@progbits
; Kernel info:
; codeLenInByte = 3440
; TotalNumSgprs: 42
; NumVgprs: 132
; ScratchSize: 0
; MemoryBound: 1
; FloatMode: 240
; IeeeMode: 1
; LDSByteSize: 8192 bytes/workgroup (compile time only)
; SGPRBlocks: 0
; VGPRBlocks: 16
; NumSGPRsForWavesPerEU: 42
; NumVGPRsForWavesPerEU: 132
; Occupancy: 10
; WaveLimiterHint : 0
; COMPUTE_PGM_RSRC2:SCRATCH_EN: 0
; COMPUTE_PGM_RSRC2:USER_SGPR: 2
; COMPUTE_PGM_RSRC2:TRAP_HANDLER: 0
; COMPUTE_PGM_RSRC2:TGID_X_EN: 1
; COMPUTE_PGM_RSRC2:TGID_Y_EN: 1
; COMPUTE_PGM_RSRC2:TGID_Z_EN: 1
; COMPUTE_PGM_RSRC2:TIDIG_COMP_CNT: 1
	.section	.text._ZL29rocblas_internal_gemmt_kernelIlLi16ELi32ELi8ELc67ELc67ELc85ELb1ELb1E19rocblas_complex_numIdES1_PKS1_PS1_EviT_T9_T10_S5_lS7_S5_lS6_T11_S5_li,"axG",@progbits,_ZL29rocblas_internal_gemmt_kernelIlLi16ELi32ELi8ELc67ELc67ELc85ELb1ELb1E19rocblas_complex_numIdES1_PKS1_PS1_EviT_T9_T10_S5_lS7_S5_lS6_T11_S5_li,comdat
	.globl	_ZL29rocblas_internal_gemmt_kernelIlLi16ELi32ELi8ELc67ELc67ELc85ELb1ELb1E19rocblas_complex_numIdES1_PKS1_PS1_EviT_T9_T10_S5_lS7_S5_lS6_T11_S5_li ; -- Begin function _ZL29rocblas_internal_gemmt_kernelIlLi16ELi32ELi8ELc67ELc67ELc85ELb1ELb1E19rocblas_complex_numIdES1_PKS1_PS1_EviT_T9_T10_S5_lS7_S5_lS6_T11_S5_li
	.p2align	8
	.type	_ZL29rocblas_internal_gemmt_kernelIlLi16ELi32ELi8ELc67ELc67ELc85ELb1ELb1E19rocblas_complex_numIdES1_PKS1_PS1_EviT_T9_T10_S5_lS7_S5_lS6_T11_S5_li,@function
_ZL29rocblas_internal_gemmt_kernelIlLi16ELi32ELi8ELc67ELc67ELc85ELb1ELb1E19rocblas_complex_numIdES1_PKS1_PS1_EviT_T9_T10_S5_lS7_S5_lS6_T11_S5_li: ; @_ZL29rocblas_internal_gemmt_kernelIlLi16ELi32ELi8ELc67ELc67ELc85ELb1ELb1E19rocblas_complex_numIdES1_PKS1_PS1_EviT_T9_T10_S5_lS7_S5_lS6_T11_S5_li
; %bb.0:
	s_clause 0x1
	s_load_b256 s[20:27], s[0:1], 0x48
	s_load_b512 s[4:19], s[0:1], 0x8
	s_wait_kmcnt 0x0
	v_cmp_eq_f64_e64 s3, s[22:23], 1.0
	v_cmp_eq_f64_e64 s2, s[24:25], 0
	s_and_b32 s3, s3, s2
	s_delay_alu instid0(SALU_CYCLE_1)
	s_and_not1_b32 vcc_lo, exec_lo, s3
	s_mov_b32 s3, -1
	s_cbranch_vccnz .LBB278_3
; %bb.1:
	s_cmp_lg_u64 s[4:5], 0
	s_cbranch_scc0 .LBB278_36
; %bb.2:
	v_cmp_neq_f64_e64 s3, s[6:7], 0
	v_cmp_neq_f64_e64 s28, s[8:9], 0
	s_or_b32 s3, s3, s28
.LBB278_3:
	s_delay_alu instid0(SALU_CYCLE_1)
	s_and_b32 vcc_lo, exec_lo, s3
	s_cbranch_vccz .LBB278_37
; %bb.4:
	s_load_b32 s33, s[0:1], 0x78
	s_lshr_b32 s34, ttmp7, 16
	s_wait_kmcnt 0x0
	s_cmp_ge_u32 s34, s33
	s_cbranch_scc1 .LBB278_37
; %bb.5:
	v_dual_mov_b32 v9, 0 :: v_dual_and_b32 v4, 0x3ff, v0
	v_bfe_u32 v5, v0, 10, 10
	v_cmp_neq_f64_e64 s3, s[6:7], 0
	v_cmp_neq_f64_e64 s35, s[8:9], 0
	s_lshl_b32 s37, ttmp9, 5
	v_and_b32_e32 v34, 7, v0
	v_lshl_add_u32 v2, v5, 4, v4
	s_clause 0x1
	s_load_b128 s[28:31], s[0:1], 0x68
	s_load_b32 s36, s[0:1], 0x0
	s_ashr_i32 s1, s37, 31
	s_lshl_b32 s0, ttmp7, 5
	s_mul_i32 s1, s12, s1
	v_and_b32_e32 v3, 31, v2
	v_lshlrev_b32_e32 v8, 4, v34
	v_lshrrev_b32_e32 v10, 3, v2
	s_and_b32 s0, s0, 0x1fffe0
	v_lshrrev_b32_e32 v35, 5, v2
	v_or_b32_e32 v6, s37, v3
	v_add_nc_u32_e32 v11, s0, v5
	v_lshlrev_b32_e32 v2, 4, v3
	v_add_nc_u32_e32 v3, s0, v10
	v_cmp_neq_f64_e64 s39, s[22:23], 0
	v_mul_lo_u32 v7, s13, v6
	v_mad_co_u64_u32 v[0:1], null, s12, v6, 0
	v_lshl_or_b32 v36, v35, 9, v2
	v_lshlrev_b32_e32 v2, 4, v3
	v_lshlrev_b32_e32 v42, 4, v4
	v_lshl_add_u32 v43, v5, 7, 0x1000
	s_wait_kmcnt 0x0
	v_cmp_gt_i32_e64 s0, s36, v6
	v_cmp_gt_i64_e64 s38, s[4:5], 0
	v_add3_u32 v1, v1, s1, v7
	v_lshl_or_b32 v7, v10, 7, v8
	v_cmp_gt_i32_e64 s1, s36, v3
	v_add_nc_u32_e32 v10, s37, v4
	s_delay_alu instid0(VALU_DEP_4) | instskip(NEXT) | instid1(VALU_DEP_4)
	v_lshlrev_b64_e32 v[0:1], 4, v[0:1]
	v_add_nc_u32_e32 v37, 0x1000, v7
	v_add_nc_u32_e32 v7, 16, v11
	s_delay_alu instid0(VALU_DEP_4) | instskip(NEXT) | instid1(VALU_DEP_4)
	v_add_nc_u32_e32 v12, 16, v10
	v_add_co_u32 v38, vcc_lo, s10, v0
	s_or_b32 s13, s3, s35
	v_add_co_ci_u32_e64 v39, null, s11, v1, vcc_lo
	v_mad_co_u64_u32 v[0:1], null, s28, v11, 0
	v_add_co_u32 v40, s3, s16, v2
	v_mad_co_u64_u32 v[2:3], null, s28, v7, 0
	v_add_co_ci_u32_e64 v41, null, s17, 0, s3
	s_xor_b32 s10, s2, -1
	v_cmp_gt_i32_e32 vcc_lo, s36, v11
	v_cmp_le_i32_e64 s2, v10, v11
	v_cmp_le_i32_e64 s3, v12, v11
	v_mad_co_u64_u32 v[4:5], null, s29, v11, v[1:2]
	v_mov_b32_e32 v1, v3
	s_delay_alu instid0(VALU_DEP_4) | instskip(NEXT) | instid1(VALU_DEP_3)
	s_and_b32 s11, vcc_lo, s2
	s_and_b32 s12, vcc_lo, s3
	v_cmp_gt_i32_e32 vcc_lo, s36, v7
	v_cmp_le_i32_e64 s2, v10, v7
	v_mad_co_u64_u32 v[5:6], null, s29, v7, v[1:2]
	v_mov_b32_e32 v1, v4
	v_cmp_le_i32_e64 s3, v12, v7
	v_ashrrev_i32_e32 v11, 31, v10
	v_ashrrev_i32_e32 v13, 31, v12
	s_wait_alu 0xfffe
	s_or_b32 s10, s39, s10
	v_lshlrev_b64_e32 v[14:15], 4, v[0:1]
	v_mov_b32_e32 v3, v5
	s_and_b32 s13, s13, s38
	s_and_b32 s16, vcc_lo, s2
	s_and_b32 s17, vcc_lo, s3
	s_mov_b32 s35, 0
	v_lshlrev_b64_e32 v[16:17], 4, v[2:3]
	s_branch .LBB278_7
.LBB278_6:                              ;   in Loop: Header=BB278_7 Depth=1
	s_wait_alu 0xfffe
	s_or_b32 exec_lo, exec_lo, s2
	s_add_co_i32 s34, s34, 0x10000
	s_delay_alu instid0(SALU_CYCLE_1)
	s_cmp_lt_u32 s34, s33
	s_cbranch_scc0 .LBB278_37
.LBB278_7:                              ; =>This Loop Header: Depth=1
                                        ;     Child Loop BB278_10 Depth 2
	v_mov_b32_e32 v30, 0
	v_mov_b32_e32 v26, 0
	;; [unrolled: 1-line block ×3, first 2 shown]
	v_dual_mov_b32 v20, 0 :: v_dual_mov_b32 v31, 0
	v_dual_mov_b32 v32, 0 :: v_dual_mov_b32 v27, 0
	;; [unrolled: 1-line block ×5, first 2 shown]
	v_mov_b32_e32 v29, 0
	v_mov_b32_e32 v25, 0
	;; [unrolled: 1-line block ×3, first 2 shown]
	s_wait_alu 0xfffe
	s_and_not1_b32 vcc_lo, exec_lo, s13
	s_wait_alu 0xfffe
	s_cbranch_vccnz .LBB278_16
; %bb.8:                                ;   in Loop: Header=BB278_7 Depth=1
	s_mul_u64 s[2:3], s[14:15], s[34:35]
	s_mul_u64 s[28:29], s[20:21], s[34:35]
	s_wait_alu 0xfffe
	s_lshl_b64 s[2:3], s[2:3], 4
	v_mov_b32_e32 v18, 0
	s_wait_alu 0xfffe
	v_add_co_u32 v44, vcc_lo, v38, s2
	s_wait_alu 0xfffd
	v_add_co_ci_u32_e64 v45, null, s3, v39, vcc_lo
	s_lshl_b64 s[2:3], s[28:29], 4
	v_mov_b32_e32 v24, 0
	v_mov_b32_e32 v28, 0
	;; [unrolled: 1-line block ×3, first 2 shown]
	s_wait_alu 0xfffe
	v_add_co_u32 v46, vcc_lo, v40, s2
	v_dual_mov_b32 v19, 0 :: v_dual_mov_b32 v20, 0
	v_dual_mov_b32 v25, 0 :: v_dual_mov_b32 v22, 0
	;; [unrolled: 1-line block ×4, first 2 shown]
	v_mov_b32_e32 v21, 0
	v_mov_b32_e32 v23, 0
	;; [unrolled: 1-line block ×4, first 2 shown]
	s_wait_alu 0xfffd
	v_add_co_ci_u32_e64 v47, null, s3, v41, vcc_lo
	s_mov_b64 s[2:3], 0
	s_branch .LBB278_10
.LBB278_9:                              ;   in Loop: Header=BB278_10 Depth=2
	s_wait_alu 0xfffe
	s_or_b32 exec_lo, exec_lo, s28
	ds_store_b128 v37, v[4:7]
	s_wait_dscnt 0x0
	s_barrier_signal -1
	s_barrier_wait -1
	global_inv scope:SCOPE_SE
	ds_load_b128 v[0:3], v43
	ds_load_b128 v[4:7], v42
	ds_load_b128 v[48:51], v42 offset:256
	ds_load_b128 v[52:55], v43 offset:2048
	;; [unrolled: 1-line block ×10, first 2 shown]
	s_add_nc_u64 s[2:3], s[2:3], 8
	s_wait_alu 0xfffe
	v_cmp_gt_i64_e64 s28, s[4:5], s[2:3]
	s_and_b32 vcc_lo, exec_lo, s28
	s_wait_dscnt 0xa
	v_mul_f64_e32 v[88:89], v[2:3], v[6:7]
	v_mul_f64_e32 v[90:91], v[0:1], v[6:7]
	s_wait_dscnt 0x9
	v_mul_f64_e32 v[92:93], v[2:3], v[50:51]
	v_mul_f64_e32 v[94:95], v[0:1], v[50:51]
	;; [unrolled: 3-line block ×3, first 2 shown]
	v_mul_f64_e32 v[98:99], v[54:55], v[50:51]
	v_mul_f64_e32 v[50:51], v[52:53], v[50:51]
	s_wait_dscnt 0x5
	v_mul_f64_e32 v[100:101], v[58:59], v[66:67]
	v_mul_f64_e32 v[102:103], v[56:57], v[66:67]
	s_wait_dscnt 0x4
	v_mul_f64_e32 v[104:105], v[58:59], v[70:71]
	v_mul_f64_e32 v[106:107], v[56:57], v[70:71]
	;; [unrolled: 1-line block ×6, first 2 shown]
	s_wait_dscnt 0x2
	v_mul_f64_e32 v[116:117], v[74:75], v[78:79]
	v_mul_f64_e32 v[118:119], v[72:73], v[78:79]
	s_wait_dscnt 0x1
	v_mul_f64_e32 v[120:121], v[74:75], v[82:83]
	v_mul_f64_e32 v[122:123], v[72:73], v[82:83]
	;; [unrolled: 3-line block ×3, first 2 shown]
	v_mul_f64_e32 v[126:127], v[86:87], v[82:83]
	v_mul_f64_e32 v[82:83], v[84:85], v[82:83]
	v_fma_f64 v[88:89], v[0:1], v[4:5], -v[88:89]
	v_fma_f64 v[90:91], v[2:3], v[4:5], v[90:91]
	v_fma_f64 v[92:93], v[0:1], v[48:49], -v[92:93]
	v_fma_f64 v[94:95], v[2:3], v[48:49], v[94:95]
	;; [unrolled: 2-line block ×8, first 2 shown]
	ds_load_b128 v[0:3], v43 offset:48
	ds_load_b128 v[4:7], v42 offset:1536
	ds_load_b128 v[48:51], v42 offset:1792
	ds_load_b128 v[52:55], v43 offset:2096
	v_fma_f64 v[116:117], v[72:73], v[76:77], -v[116:117]
	v_fma_f64 v[118:119], v[74:75], v[76:77], v[118:119]
	v_fma_f64 v[72:73], v[72:73], v[80:81], -v[120:121]
	v_fma_f64 v[74:75], v[74:75], v[80:81], v[122:123]
	;; [unrolled: 2-line block ×4, first 2 shown]
	s_wait_dscnt 0x2
	v_mul_f64_e32 v[106:107], v[0:1], v[6:7]
	s_wait_dscnt 0x1
	v_mul_f64_e32 v[108:109], v[2:3], v[50:51]
	v_mul_f64_e32 v[110:111], v[0:1], v[50:51]
	v_add_f64_e32 v[66:67], v[30:31], v[88:89]
	v_add_f64_e32 v[68:69], v[90:91], v[32:33]
	;; [unrolled: 1-line block ×8, first 2 shown]
	v_mul_f64_e32 v[98:99], v[2:3], v[6:7]
	s_wait_dscnt 0x0
	v_mul_f64_e32 v[112:113], v[54:55], v[6:7]
	v_mul_f64_e32 v[6:7], v[52:53], v[6:7]
	;; [unrolled: 1-line block ×4, first 2 shown]
	ds_load_b128 v[18:21], v43 offset:64
	ds_load_b128 v[22:25], v42 offset:2048
	;; [unrolled: 1-line block ×4, first 2 shown]
	s_wait_dscnt 0x1
	v_mul_f64_e32 v[122:123], v[18:19], v[28:29]
	s_wait_dscnt 0x0
	v_mul_f64_e32 v[124:125], v[32:33], v[24:25]
	v_mul_f64_e32 v[126:127], v[32:33], v[28:29]
	v_fma_f64 v[106:107], v[2:3], v[4:5], v[106:107]
	v_fma_f64 v[108:109], v[0:1], v[48:49], -v[108:109]
	v_fma_f64 v[110:111], v[2:3], v[48:49], v[110:111]
	v_add_f64_e32 v[82:83], v[66:67], v[100:101]
	v_add_f64_e32 v[84:85], v[102:103], v[68:69]
	;; [unrolled: 1-line block ×8, first 2 shown]
	v_mul_f64_e32 v[100:101], v[20:21], v[24:25]
	v_mul_f64_e32 v[102:103], v[18:19], v[24:25]
	;; [unrolled: 1-line block ×5, first 2 shown]
	v_fma_f64 v[98:99], v[0:1], v[4:5], -v[98:99]
	v_fma_f64 v[112:113], v[52:53], v[4:5], -v[112:113]
	v_fma_f64 v[128:129], v[54:55], v[4:5], v[6:7]
	v_fma_f64 v[114:115], v[52:53], v[48:49], -v[114:115]
	v_fma_f64 v[130:131], v[54:55], v[48:49], v[50:51]
	ds_load_b128 v[56:59], v43 offset:80
	ds_load_b128 v[60:63], v42 offset:2560
	;; [unrolled: 1-line block ×8, first 2 shown]
	v_add_f64_e32 v[82:83], v[82:83], v[116:117]
	v_add_f64_e32 v[84:85], v[118:119], v[84:85]
	;; [unrolled: 1-line block ×8, first 2 shown]
	s_wait_dscnt 0x6
	v_mul_f64_e32 v[88:89], v[58:59], v[62:63]
	v_mul_f64_e32 v[90:91], v[56:57], v[62:63]
	s_wait_dscnt 0x5
	v_mul_f64_e32 v[92:93], v[58:59], v[66:67]
	v_mul_f64_e32 v[94:95], v[56:57], v[66:67]
	;; [unrolled: 3-line block ×3, first 2 shown]
	v_mul_f64_e32 v[116:117], v[70:71], v[66:67]
	v_mul_f64_e32 v[66:67], v[68:69], v[66:67]
	v_fma_f64 v[100:101], v[18:19], v[22:23], -v[100:101]
	v_fma_f64 v[102:103], v[20:21], v[22:23], v[102:103]
	v_fma_f64 v[104:105], v[18:19], v[26:27], -v[104:105]
	v_fma_f64 v[118:119], v[20:21], v[26:27], v[122:123]
	;; [unrolled: 2-line block ×4, first 2 shown]
	ds_load_b128 v[18:21], v43 offset:112
	ds_load_b128 v[22:25], v42 offset:3584
	;; [unrolled: 1-line block ×4, first 2 shown]
	s_wait_loadcnt_dscnt 0x0
	s_barrier_signal -1
	s_barrier_wait -1
	global_inv scope:SCOPE_SE
	v_add_f64_e32 v[82:83], v[82:83], v[98:99]
	v_add_f64_e32 v[84:85], v[106:107], v[84:85]
	;; [unrolled: 1-line block ×8, first 2 shown]
	v_mul_f64_e32 v[98:99], v[2:3], v[6:7]
	v_mul_f64_e32 v[106:107], v[0:1], v[6:7]
	;; [unrolled: 1-line block ×8, first 2 shown]
	v_fma_f64 v[88:89], v[56:57], v[60:61], -v[88:89]
	v_fma_f64 v[90:91], v[58:59], v[60:61], v[90:91]
	v_fma_f64 v[56:57], v[56:57], v[64:65], -v[92:93]
	v_fma_f64 v[58:59], v[58:59], v[64:65], v[94:95]
	;; [unrolled: 2-line block ×4, first 2 shown]
	v_mul_f64_e32 v[94:95], v[18:19], v[28:29]
	v_mul_f64_e32 v[96:97], v[32:33], v[24:25]
	v_add_f64_e32 v[66:67], v[82:83], v[100:101]
	v_add_f64_e32 v[68:69], v[102:103], v[84:85]
	;; [unrolled: 1-line block ×8, first 2 shown]
	v_mul_f64_e32 v[82:83], v[20:21], v[24:25]
	v_mul_f64_e32 v[84:85], v[18:19], v[24:25]
	;; [unrolled: 1-line block ×6, first 2 shown]
	v_fma_f64 v[98:99], v[0:1], v[4:5], -v[98:99]
	v_fma_f64 v[102:103], v[2:3], v[4:5], v[106:107]
	v_fma_f64 v[0:1], v[0:1], v[48:49], -v[108:109]
	v_fma_f64 v[2:3], v[2:3], v[48:49], v[110:111]
	;; [unrolled: 2-line block ×4, first 2 shown]
	v_add_f64_e32 v[50:51], v[66:67], v[88:89]
	v_add_f64_e32 v[52:53], v[90:91], v[68:69]
	;; [unrolled: 1-line block ×8, first 2 shown]
	v_fma_f64 v[66:67], v[18:19], v[22:23], -v[82:83]
	v_fma_f64 v[68:69], v[20:21], v[22:23], v[84:85]
	v_fma_f64 v[18:19], v[18:19], v[26:27], -v[86:87]
	v_fma_f64 v[20:21], v[20:21], v[26:27], v[94:95]
	;; [unrolled: 2-line block ×4, first 2 shown]
	v_add_f64_e32 v[22:23], v[50:51], v[98:99]
	v_add_f64_e32 v[26:27], v[102:103], v[52:53]
	;; [unrolled: 1-line block ×16, first 2 shown]
	s_wait_alu 0xfffe
	s_cbranch_vccz .LBB278_16
.LBB278_10:                             ;   Parent Loop BB278_7 Depth=1
                                        ; =>  This Inner Loop Header: Depth=2
	v_mov_b32_e32 v0, 0
	v_dual_mov_b32 v1, 0 :: v_dual_mov_b32 v2, 0
	v_mov_b32_e32 v3, 0
	s_and_saveexec_b32 s28, s0
	s_cbranch_execz .LBB278_14
; %bb.11:                               ;   in Loop: Header=BB278_10 Depth=2
	v_mov_b32_e32 v2, 0
	v_mov_b32_e32 v0, 0
	s_wait_alu 0xfffe
	v_dual_mov_b32 v3, 0 :: v_dual_add_nc_u32 v8, s2, v35
	v_mov_b32_e32 v1, 0
	s_mov_b32 s29, exec_lo
	s_delay_alu instid0(VALU_DEP_2)
	v_cmpx_gt_u64_e64 s[4:5], v[8:9]
	s_cbranch_execz .LBB278_13
; %bb.12:                               ;   in Loop: Header=BB278_10 Depth=2
	v_lshlrev_b64_e32 v[0:1], 4, v[8:9]
	s_delay_alu instid0(VALU_DEP_1) | instskip(SKIP_1) | instid1(VALU_DEP_2)
	v_add_co_u32 v0, vcc_lo, v44, v0
	s_wait_alu 0xfffd
	v_add_co_ci_u32_e64 v1, null, v45, v1, vcc_lo
	global_load_b128 v[0:3], v[0:1], off
	s_wait_loadcnt 0x0
	v_xor_b32_e32 v3, 0x80000000, v3
.LBB278_13:                             ;   in Loop: Header=BB278_10 Depth=2
	s_wait_alu 0xfffe
	s_or_b32 exec_lo, exec_lo, s29
.LBB278_14:                             ;   in Loop: Header=BB278_10 Depth=2
	s_wait_alu 0xfffe
	s_or_b32 exec_lo, exec_lo, s28
	v_add_nc_u32_e32 v8, s2, v34
	v_mov_b32_e32 v4, 0
	v_dual_mov_b32 v5, 0 :: v_dual_mov_b32 v6, 0
	v_mov_b32_e32 v7, 0
	s_delay_alu instid0(VALU_DEP_4)
	v_cmp_gt_u64_e32 vcc_lo, s[4:5], v[8:9]
	ds_store_b128 v36, v[0:3]
	s_and_b32 s29, vcc_lo, s1
	s_wait_alu 0xfffe
	s_and_saveexec_b32 s28, s29
	s_cbranch_execz .LBB278_9
; %bb.15:                               ;   in Loop: Header=BB278_10 Depth=2
	v_mad_co_u64_u32 v[0:1], null, s18, v8, 0
	s_delay_alu instid0(VALU_DEP_1) | instskip(NEXT) | instid1(VALU_DEP_1)
	v_mad_co_u64_u32 v[1:2], null, s19, v8, v[1:2]
	v_lshlrev_b64_e32 v[0:1], 4, v[0:1]
	s_delay_alu instid0(VALU_DEP_1) | instskip(SKIP_1) | instid1(VALU_DEP_2)
	v_add_co_u32 v0, vcc_lo, v46, v0
	s_wait_alu 0xfffd
	v_add_co_ci_u32_e64 v1, null, v47, v1, vcc_lo
	global_load_b128 v[4:7], v[0:1], off
	s_wait_loadcnt 0x0
	v_xor_b32_e32 v7, 0x80000000, v7
	s_branch .LBB278_9
.LBB278_16:                             ;   in Loop: Header=BB278_7 Depth=1
	s_mul_u64 s[2:3], s[30:31], s[34:35]
	s_wait_alu 0xfffe
	s_lshl_b64 s[2:3], s[2:3], 4
	s_wait_alu 0xfffe
	s_add_nc_u64 s[2:3], s[26:27], s[2:3]
	s_wait_alu 0xfffe
	v_add_co_u32 v4, vcc_lo, s2, v14
	s_wait_alu 0xfffd
	v_add_co_ci_u32_e64 v5, null, s3, v15, vcc_lo
	s_and_saveexec_b32 s28, s11
	s_cbranch_execz .LBB278_21
; %bb.17:                               ;   in Loop: Header=BB278_7 Depth=1
	v_mul_f64_e32 v[0:1], s[8:9], v[32:33]
	v_mul_f64_e32 v[2:3], s[6:7], v[32:33]
	s_and_b32 vcc_lo, exec_lo, s10
	s_mov_b32 s29, -1
	s_delay_alu instid0(VALU_DEP_2) | instskip(NEXT) | instid1(VALU_DEP_2)
	v_fma_f64 v[0:1], s[6:7], v[30:31], -v[0:1]
	v_fma_f64 v[2:3], s[8:9], v[30:31], v[2:3]
	s_wait_alu 0xfffe
	s_cbranch_vccz .LBB278_19
; %bb.18:                               ;   in Loop: Header=BB278_7 Depth=1
	v_lshlrev_b64_e32 v[6:7], 4, v[10:11]
	s_mov_b32 s29, 0
	s_delay_alu instid0(VALU_DEP_1) | instskip(SKIP_1) | instid1(VALU_DEP_2)
	v_add_co_u32 v6, vcc_lo, v4, v6
	s_wait_alu 0xfffd
	v_add_co_ci_u32_e64 v7, null, v5, v7, vcc_lo
	global_load_b128 v[30:33], v[6:7], off
	s_wait_loadcnt 0x0
	v_mul_f64_e32 v[44:45], s[24:25], v[32:33]
	v_mul_f64_e32 v[32:33], s[22:23], v[32:33]
	s_delay_alu instid0(VALU_DEP_2) | instskip(NEXT) | instid1(VALU_DEP_2)
	v_fma_f64 v[44:45], s[22:23], v[30:31], -v[44:45]
	v_fma_f64 v[32:33], s[24:25], v[30:31], v[32:33]
	s_delay_alu instid0(VALU_DEP_2) | instskip(NEXT) | instid1(VALU_DEP_2)
	v_add_f64_e32 v[30:31], v[0:1], v[44:45]
	v_add_f64_e32 v[32:33], v[2:3], v[32:33]
	global_store_b128 v[6:7], v[30:33], off
.LBB278_19:                             ;   in Loop: Header=BB278_7 Depth=1
	s_wait_alu 0xfffe
	s_and_not1_b32 vcc_lo, exec_lo, s29
	s_wait_alu 0xfffe
	s_cbranch_vccnz .LBB278_21
; %bb.20:                               ;   in Loop: Header=BB278_7 Depth=1
	v_lshlrev_b64_e32 v[6:7], 4, v[10:11]
	s_delay_alu instid0(VALU_DEP_1) | instskip(SKIP_1) | instid1(VALU_DEP_2)
	v_add_co_u32 v6, vcc_lo, v4, v6
	s_wait_alu 0xfffd
	v_add_co_ci_u32_e64 v7, null, v5, v7, vcc_lo
	global_store_b128 v[6:7], v[0:3], off
.LBB278_21:                             ;   in Loop: Header=BB278_7 Depth=1
	s_wait_alu 0xfffe
	s_or_b32 exec_lo, exec_lo, s28
	s_and_saveexec_b32 s28, s12
	s_cbranch_execz .LBB278_26
; %bb.22:                               ;   in Loop: Header=BB278_7 Depth=1
	v_mul_f64_e32 v[0:1], s[8:9], v[28:29]
	v_mul_f64_e32 v[2:3], s[6:7], v[28:29]
	s_and_not1_b32 vcc_lo, exec_lo, s10
	s_mov_b32 s29, -1
	s_delay_alu instid0(VALU_DEP_2) | instskip(NEXT) | instid1(VALU_DEP_2)
	v_fma_f64 v[0:1], s[6:7], v[26:27], -v[0:1]
	v_fma_f64 v[2:3], s[8:9], v[26:27], v[2:3]
	s_wait_alu 0xfffe
	s_cbranch_vccnz .LBB278_24
; %bb.23:                               ;   in Loop: Header=BB278_7 Depth=1
	v_lshlrev_b64_e32 v[6:7], 4, v[12:13]
	s_mov_b32 s29, 0
	s_delay_alu instid0(VALU_DEP_1) | instskip(SKIP_1) | instid1(VALU_DEP_2)
	v_add_co_u32 v6, vcc_lo, v4, v6
	s_wait_alu 0xfffd
	v_add_co_ci_u32_e64 v7, null, v5, v7, vcc_lo
	global_load_b128 v[26:29], v[6:7], off
	s_wait_loadcnt 0x0
	v_mul_f64_e32 v[30:31], s[24:25], v[28:29]
	v_mul_f64_e32 v[28:29], s[22:23], v[28:29]
	s_delay_alu instid0(VALU_DEP_2) | instskip(NEXT) | instid1(VALU_DEP_2)
	v_fma_f64 v[30:31], s[22:23], v[26:27], -v[30:31]
	v_fma_f64 v[28:29], s[24:25], v[26:27], v[28:29]
	s_delay_alu instid0(VALU_DEP_2) | instskip(NEXT) | instid1(VALU_DEP_2)
	v_add_f64_e32 v[26:27], v[0:1], v[30:31]
	v_add_f64_e32 v[28:29], v[2:3], v[28:29]
	global_store_b128 v[6:7], v[26:29], off
.LBB278_24:                             ;   in Loop: Header=BB278_7 Depth=1
	s_wait_alu 0xfffe
	s_and_not1_b32 vcc_lo, exec_lo, s29
	s_wait_alu 0xfffe
	s_cbranch_vccnz .LBB278_26
; %bb.25:                               ;   in Loop: Header=BB278_7 Depth=1
	v_lshlrev_b64_e32 v[6:7], 4, v[12:13]
	s_delay_alu instid0(VALU_DEP_1) | instskip(SKIP_1) | instid1(VALU_DEP_2)
	v_add_co_u32 v4, vcc_lo, v4, v6
	s_wait_alu 0xfffd
	v_add_co_ci_u32_e64 v5, null, v5, v7, vcc_lo
	global_store_b128 v[4:5], v[0:3], off
.LBB278_26:                             ;   in Loop: Header=BB278_7 Depth=1
	s_wait_alu 0xfffe
	s_or_b32 exec_lo, exec_lo, s28
	v_add_co_u32 v6, vcc_lo, s2, v16
	s_wait_alu 0xfffd
	v_add_co_ci_u32_e64 v7, null, s3, v17, vcc_lo
	s_and_saveexec_b32 s2, s16
	s_cbranch_execz .LBB278_31
; %bb.27:                               ;   in Loop: Header=BB278_7 Depth=1
	v_mul_f64_e32 v[0:1], s[8:9], v[24:25]
	v_mul_f64_e32 v[2:3], s[6:7], v[24:25]
	v_lshlrev_b64_e32 v[4:5], 4, v[10:11]
	s_and_not1_b32 vcc_lo, exec_lo, s10
	s_mov_b32 s3, -1
	s_delay_alu instid0(VALU_DEP_3) | instskip(NEXT) | instid1(VALU_DEP_3)
	v_fma_f64 v[0:1], s[6:7], v[22:23], -v[0:1]
	v_fma_f64 v[2:3], s[8:9], v[22:23], v[2:3]
	s_wait_alu 0xfffe
	s_cbranch_vccnz .LBB278_29
; %bb.28:                               ;   in Loop: Header=BB278_7 Depth=1
	v_add_co_u32 v26, vcc_lo, v6, v4
	s_wait_alu 0xfffd
	v_add_co_ci_u32_e64 v27, null, v7, v5, vcc_lo
	s_mov_b32 s3, 0
	global_load_b128 v[22:25], v[26:27], off
	s_wait_loadcnt 0x0
	v_mul_f64_e32 v[28:29], s[24:25], v[24:25]
	v_mul_f64_e32 v[24:25], s[22:23], v[24:25]
	s_delay_alu instid0(VALU_DEP_2) | instskip(NEXT) | instid1(VALU_DEP_2)
	v_fma_f64 v[28:29], s[22:23], v[22:23], -v[28:29]
	v_fma_f64 v[24:25], s[24:25], v[22:23], v[24:25]
	s_delay_alu instid0(VALU_DEP_2) | instskip(NEXT) | instid1(VALU_DEP_2)
	v_add_f64_e32 v[22:23], v[0:1], v[28:29]
	v_add_f64_e32 v[24:25], v[2:3], v[24:25]
	global_store_b128 v[26:27], v[22:25], off
.LBB278_29:                             ;   in Loop: Header=BB278_7 Depth=1
	s_wait_alu 0xfffe
	s_and_not1_b32 vcc_lo, exec_lo, s3
	s_wait_alu 0xfffe
	s_cbranch_vccnz .LBB278_31
; %bb.30:                               ;   in Loop: Header=BB278_7 Depth=1
	v_add_co_u32 v4, vcc_lo, v6, v4
	s_wait_alu 0xfffd
	v_add_co_ci_u32_e64 v5, null, v7, v5, vcc_lo
	global_store_b128 v[4:5], v[0:3], off
.LBB278_31:                             ;   in Loop: Header=BB278_7 Depth=1
	s_wait_alu 0xfffe
	s_or_b32 exec_lo, exec_lo, s2
	s_and_saveexec_b32 s2, s17
	s_cbranch_execz .LBB278_6
; %bb.32:                               ;   in Loop: Header=BB278_7 Depth=1
	v_mul_f64_e32 v[0:1], s[8:9], v[18:19]
	v_mul_f64_e32 v[2:3], s[6:7], v[18:19]
	v_lshlrev_b64_e32 v[4:5], 4, v[12:13]
	s_and_not1_b32 vcc_lo, exec_lo, s10
	s_mov_b32 s3, -1
	s_delay_alu instid0(VALU_DEP_3) | instskip(NEXT) | instid1(VALU_DEP_3)
	v_fma_f64 v[0:1], s[6:7], v[20:21], -v[0:1]
	v_fma_f64 v[2:3], s[8:9], v[20:21], v[2:3]
	s_wait_alu 0xfffe
	s_cbranch_vccnz .LBB278_34
; %bb.33:                               ;   in Loop: Header=BB278_7 Depth=1
	v_add_co_u32 v22, vcc_lo, v6, v4
	s_wait_alu 0xfffd
	v_add_co_ci_u32_e64 v23, null, v7, v5, vcc_lo
	s_mov_b32 s3, 0
	global_load_b128 v[18:21], v[22:23], off
	s_wait_loadcnt 0x0
	v_mul_f64_e32 v[24:25], s[24:25], v[20:21]
	v_mul_f64_e32 v[20:21], s[22:23], v[20:21]
	s_delay_alu instid0(VALU_DEP_2) | instskip(NEXT) | instid1(VALU_DEP_2)
	v_fma_f64 v[24:25], s[22:23], v[18:19], -v[24:25]
	v_fma_f64 v[20:21], s[24:25], v[18:19], v[20:21]
	s_delay_alu instid0(VALU_DEP_2) | instskip(NEXT) | instid1(VALU_DEP_2)
	v_add_f64_e32 v[18:19], v[0:1], v[24:25]
	v_add_f64_e32 v[20:21], v[2:3], v[20:21]
	global_store_b128 v[22:23], v[18:21], off
.LBB278_34:                             ;   in Loop: Header=BB278_7 Depth=1
	s_wait_alu 0xfffe
	s_and_not1_b32 vcc_lo, exec_lo, s3
	s_wait_alu 0xfffe
	s_cbranch_vccnz .LBB278_6
; %bb.35:                               ;   in Loop: Header=BB278_7 Depth=1
	v_add_co_u32 v4, vcc_lo, v6, v4
	s_wait_alu 0xfffd
	v_add_co_ci_u32_e64 v5, null, v7, v5, vcc_lo
	global_store_b128 v[4:5], v[0:3], off
	s_branch .LBB278_6
.LBB278_36:
.LBB278_37:
	s_nop 0
	s_sendmsg sendmsg(MSG_DEALLOC_VGPRS)
	s_endpgm
	.section	.rodata,"a",@progbits
	.p2align	6, 0x0
	.amdhsa_kernel _ZL29rocblas_internal_gemmt_kernelIlLi16ELi32ELi8ELc67ELc67ELc85ELb1ELb1E19rocblas_complex_numIdES1_PKS1_PS1_EviT_T9_T10_S5_lS7_S5_lS6_T11_S5_li
		.amdhsa_group_segment_fixed_size 8192
		.amdhsa_private_segment_fixed_size 0
		.amdhsa_kernarg_size 124
		.amdhsa_user_sgpr_count 2
		.amdhsa_user_sgpr_dispatch_ptr 0
		.amdhsa_user_sgpr_queue_ptr 0
		.amdhsa_user_sgpr_kernarg_segment_ptr 1
		.amdhsa_user_sgpr_dispatch_id 0
		.amdhsa_user_sgpr_private_segment_size 0
		.amdhsa_wavefront_size32 1
		.amdhsa_uses_dynamic_stack 0
		.amdhsa_enable_private_segment 0
		.amdhsa_system_sgpr_workgroup_id_x 1
		.amdhsa_system_sgpr_workgroup_id_y 1
		.amdhsa_system_sgpr_workgroup_id_z 1
		.amdhsa_system_sgpr_workgroup_info 0
		.amdhsa_system_vgpr_workitem_id 1
		.amdhsa_next_free_vgpr 132
		.amdhsa_next_free_sgpr 40
		.amdhsa_reserve_vcc 1
		.amdhsa_float_round_mode_32 0
		.amdhsa_float_round_mode_16_64 0
		.amdhsa_float_denorm_mode_32 3
		.amdhsa_float_denorm_mode_16_64 3
		.amdhsa_fp16_overflow 0
		.amdhsa_workgroup_processor_mode 1
		.amdhsa_memory_ordered 1
		.amdhsa_forward_progress 1
		.amdhsa_inst_pref_size 27
		.amdhsa_round_robin_scheduling 0
		.amdhsa_exception_fp_ieee_invalid_op 0
		.amdhsa_exception_fp_denorm_src 0
		.amdhsa_exception_fp_ieee_div_zero 0
		.amdhsa_exception_fp_ieee_overflow 0
		.amdhsa_exception_fp_ieee_underflow 0
		.amdhsa_exception_fp_ieee_inexact 0
		.amdhsa_exception_int_div_zero 0
	.end_amdhsa_kernel
	.section	.text._ZL29rocblas_internal_gemmt_kernelIlLi16ELi32ELi8ELc67ELc67ELc85ELb1ELb1E19rocblas_complex_numIdES1_PKS1_PS1_EviT_T9_T10_S5_lS7_S5_lS6_T11_S5_li,"axG",@progbits,_ZL29rocblas_internal_gemmt_kernelIlLi16ELi32ELi8ELc67ELc67ELc85ELb1ELb1E19rocblas_complex_numIdES1_PKS1_PS1_EviT_T9_T10_S5_lS7_S5_lS6_T11_S5_li,comdat
.Lfunc_end278:
	.size	_ZL29rocblas_internal_gemmt_kernelIlLi16ELi32ELi8ELc67ELc67ELc85ELb1ELb1E19rocblas_complex_numIdES1_PKS1_PS1_EviT_T9_T10_S5_lS7_S5_lS6_T11_S5_li, .Lfunc_end278-_ZL29rocblas_internal_gemmt_kernelIlLi16ELi32ELi8ELc67ELc67ELc85ELb1ELb1E19rocblas_complex_numIdES1_PKS1_PS1_EviT_T9_T10_S5_lS7_S5_lS6_T11_S5_li
                                        ; -- End function
	.set _ZL29rocblas_internal_gemmt_kernelIlLi16ELi32ELi8ELc67ELc67ELc85ELb1ELb1E19rocblas_complex_numIdES1_PKS1_PS1_EviT_T9_T10_S5_lS7_S5_lS6_T11_S5_li.num_vgpr, 132
	.set _ZL29rocblas_internal_gemmt_kernelIlLi16ELi32ELi8ELc67ELc67ELc85ELb1ELb1E19rocblas_complex_numIdES1_PKS1_PS1_EviT_T9_T10_S5_lS7_S5_lS6_T11_S5_li.num_agpr, 0
	.set _ZL29rocblas_internal_gemmt_kernelIlLi16ELi32ELi8ELc67ELc67ELc85ELb1ELb1E19rocblas_complex_numIdES1_PKS1_PS1_EviT_T9_T10_S5_lS7_S5_lS6_T11_S5_li.numbered_sgpr, 40
	.set _ZL29rocblas_internal_gemmt_kernelIlLi16ELi32ELi8ELc67ELc67ELc85ELb1ELb1E19rocblas_complex_numIdES1_PKS1_PS1_EviT_T9_T10_S5_lS7_S5_lS6_T11_S5_li.num_named_barrier, 0
	.set _ZL29rocblas_internal_gemmt_kernelIlLi16ELi32ELi8ELc67ELc67ELc85ELb1ELb1E19rocblas_complex_numIdES1_PKS1_PS1_EviT_T9_T10_S5_lS7_S5_lS6_T11_S5_li.private_seg_size, 0
	.set _ZL29rocblas_internal_gemmt_kernelIlLi16ELi32ELi8ELc67ELc67ELc85ELb1ELb1E19rocblas_complex_numIdES1_PKS1_PS1_EviT_T9_T10_S5_lS7_S5_lS6_T11_S5_li.uses_vcc, 1
	.set _ZL29rocblas_internal_gemmt_kernelIlLi16ELi32ELi8ELc67ELc67ELc85ELb1ELb1E19rocblas_complex_numIdES1_PKS1_PS1_EviT_T9_T10_S5_lS7_S5_lS6_T11_S5_li.uses_flat_scratch, 0
	.set _ZL29rocblas_internal_gemmt_kernelIlLi16ELi32ELi8ELc67ELc67ELc85ELb1ELb1E19rocblas_complex_numIdES1_PKS1_PS1_EviT_T9_T10_S5_lS7_S5_lS6_T11_S5_li.has_dyn_sized_stack, 0
	.set _ZL29rocblas_internal_gemmt_kernelIlLi16ELi32ELi8ELc67ELc67ELc85ELb1ELb1E19rocblas_complex_numIdES1_PKS1_PS1_EviT_T9_T10_S5_lS7_S5_lS6_T11_S5_li.has_recursion, 0
	.set _ZL29rocblas_internal_gemmt_kernelIlLi16ELi32ELi8ELc67ELc67ELc85ELb1ELb1E19rocblas_complex_numIdES1_PKS1_PS1_EviT_T9_T10_S5_lS7_S5_lS6_T11_S5_li.has_indirect_call, 0
	.section	.AMDGPU.csdata,"",@progbits
; Kernel info:
; codeLenInByte = 3416
; TotalNumSgprs: 42
; NumVgprs: 132
; ScratchSize: 0
; MemoryBound: 1
; FloatMode: 240
; IeeeMode: 1
; LDSByteSize: 8192 bytes/workgroup (compile time only)
; SGPRBlocks: 0
; VGPRBlocks: 16
; NumSGPRsForWavesPerEU: 42
; NumVGPRsForWavesPerEU: 132
; Occupancy: 10
; WaveLimiterHint : 0
; COMPUTE_PGM_RSRC2:SCRATCH_EN: 0
; COMPUTE_PGM_RSRC2:USER_SGPR: 2
; COMPUTE_PGM_RSRC2:TRAP_HANDLER: 0
; COMPUTE_PGM_RSRC2:TGID_X_EN: 1
; COMPUTE_PGM_RSRC2:TGID_Y_EN: 1
; COMPUTE_PGM_RSRC2:TGID_Z_EN: 1
; COMPUTE_PGM_RSRC2:TIDIG_COMP_CNT: 1
	.section	.text._ZL29rocblas_internal_gemmt_kernelIlLi16ELi32ELi8ELc78ELc78ELc76ELb0ELb0E19rocblas_complex_numIdES1_PKS1_PS1_EviT_T9_T10_S5_lS7_S5_lS6_T11_S5_li,"axG",@progbits,_ZL29rocblas_internal_gemmt_kernelIlLi16ELi32ELi8ELc78ELc78ELc76ELb0ELb0E19rocblas_complex_numIdES1_PKS1_PS1_EviT_T9_T10_S5_lS7_S5_lS6_T11_S5_li,comdat
	.globl	_ZL29rocblas_internal_gemmt_kernelIlLi16ELi32ELi8ELc78ELc78ELc76ELb0ELb0E19rocblas_complex_numIdES1_PKS1_PS1_EviT_T9_T10_S5_lS7_S5_lS6_T11_S5_li ; -- Begin function _ZL29rocblas_internal_gemmt_kernelIlLi16ELi32ELi8ELc78ELc78ELc76ELb0ELb0E19rocblas_complex_numIdES1_PKS1_PS1_EviT_T9_T10_S5_lS7_S5_lS6_T11_S5_li
	.p2align	8
	.type	_ZL29rocblas_internal_gemmt_kernelIlLi16ELi32ELi8ELc78ELc78ELc76ELb0ELb0E19rocblas_complex_numIdES1_PKS1_PS1_EviT_T9_T10_S5_lS7_S5_lS6_T11_S5_li,@function
_ZL29rocblas_internal_gemmt_kernelIlLi16ELi32ELi8ELc78ELc78ELc76ELb0ELb0E19rocblas_complex_numIdES1_PKS1_PS1_EviT_T9_T10_S5_lS7_S5_lS6_T11_S5_li: ; @_ZL29rocblas_internal_gemmt_kernelIlLi16ELi32ELi8ELc78ELc78ELc76ELb0ELb0E19rocblas_complex_numIdES1_PKS1_PS1_EviT_T9_T10_S5_lS7_S5_lS6_T11_S5_li
; %bb.0:
	s_clause 0x1
	s_load_b256 s[24:31], s[0:1], 0x48
	s_load_b512 s[8:23], s[0:1], 0x8
	s_wait_kmcnt 0x0
	v_cmp_eq_f64_e64 s3, s[26:27], 1.0
	v_cmp_eq_f64_e64 s2, s[28:29], 0
	s_and_b32 s3, s3, s2
	s_delay_alu instid0(SALU_CYCLE_1)
	s_and_not1_b32 vcc_lo, exec_lo, s3
	s_mov_b32 s3, -1
	s_cbranch_vccnz .LBB279_3
; %bb.1:
	s_cmp_lg_u64 s[8:9], 0
	s_cbranch_scc0 .LBB279_41
; %bb.2:
	v_cmp_neq_f64_e64 s3, s[10:11], 0
	v_cmp_neq_f64_e64 s4, s[12:13], 0
	s_or_b32 s3, s3, s4
.LBB279_3:
	s_delay_alu instid0(SALU_CYCLE_1)
	s_and_b32 vcc_lo, exec_lo, s3
	s_cbranch_vccz .LBB279_42
; %bb.4:
	s_load_b32 s33, s[0:1], 0x78
	s_lshr_b32 s34, ttmp7, 16
	s_wait_kmcnt 0x0
	s_cmp_ge_u32 s34, s33
	s_cbranch_scc1 .LBB279_42
; %bb.5:
	v_and_b32_e32 v2, 0x3ff, v0
	v_bfe_u32 v7, v0, 10, 10
	s_clause 0x1
	s_load_b128 s[4:7], s[0:1], 0x68
	s_load_b32 s35, s[0:1], 0x0
	s_lshl_b32 s0, ttmp7, 5
	v_and_b32_e32 v30, 7, v0
	s_and_b32 s0, s0, 0x1fffe0
	v_lshl_add_u32 v3, v7, 4, v2
	s_lshl_b32 s1, ttmp9, 5
	v_lshlrev_b32_e32 v31, 4, v2
	v_lshlrev_b32_e32 v5, 4, v30
	v_add_nc_u32_e32 v6, s1, v2
	v_lshrrev_b32_e32 v4, 3, v3
	v_and_b32_e32 v10, 31, v3
	v_add_nc_u32_e32 v9, s0, v7
	v_lshrrev_b32_e32 v32, 5, v3
	v_cmp_neq_f64_e64 s38, s[26:27], 0
	v_add_nc_u32_e32 v8, s0, v4
	v_or_b32_e32 v2, s1, v10
	v_lshl_or_b32 v12, v4, 7, v5
	v_cmp_neq_f64_e64 s3, s[10:11], 0
	v_cmp_neq_f64_e64 s36, s[12:13], 0
	v_mad_co_u64_u32 v[0:1], null, s22, v8, 0
	v_ashrrev_i32_e32 v3, 31, v2
	s_wait_kmcnt 0x0
	v_cmp_gt_i32_e64 s0, s35, v2
	v_cmp_le_i32_e64 s22, s35, v2
	v_add_nc_u32_e32 v34, 0x1000, v12
	s_xor_b32 s2, s2, -1
	v_cmp_gt_i64_e64 s37, s[8:9], 0
	v_mad_co_u64_u32 v[4:5], null, s23, v8, v[1:2]
	v_lshlrev_b64_e32 v[2:3], 4, v[2:3]
	v_lshl_add_u32 v39, v7, 7, 0x1000
                                        ; implicit-def: $vgpr14_vgpr15
	s_delay_alu instid0(VALU_DEP_2) | instskip(NEXT) | instid1(VALU_DEP_4)
	v_add_co_u32 v35, s1, s14, v2
	v_mov_b32_e32 v1, v4
	v_mad_co_u64_u32 v[4:5], null, s4, v9, 0
	s_wait_alu 0xf1ff
	v_add_co_ci_u32_e64 v36, null, s15, v3, s1
	s_delay_alu instid0(VALU_DEP_3) | instskip(NEXT) | instid1(VALU_DEP_1)
	v_lshlrev_b64_e32 v[0:1], 4, v[0:1]
	v_add_co_u32 v37, s1, s20, v0
	s_delay_alu instid0(VALU_DEP_4) | instskip(SKIP_1) | instid1(VALU_DEP_3)
	v_dual_mov_b32 v0, v5 :: v_dual_add_nc_u32 v11, 16, v9
	s_wait_alu 0xf1ff
	v_add_co_ci_u32_e64 v38, null, s21, v1, s1
	s_or_b32 s14, s38, s2
	v_mad_co_u64_u32 v[0:1], null, s5, v9, v[0:1]
	v_mad_co_u64_u32 v[12:13], null, s4, v11, 0
	s_or_b32 s23, s3, s36
	s_wait_alu 0xfffe
	s_and_b32 s21, s23, s37
	v_mov_b32_e32 v5, v0
	v_cmp_gt_i32_e32 vcc_lo, s35, v8
	v_mov_b32_e32 v1, v13
	s_delay_alu instid0(VALU_DEP_1) | instskip(NEXT) | instid1(VALU_DEP_1)
	v_mad_co_u64_u32 v[1:2], null, s5, v11, v[1:2]
	v_mov_b32_e32 v13, v1
	v_mov_b32_e32 v1, 0
	v_cmp_le_i32_e64 s1, v9, v6
	v_cmp_gt_i32_e64 s2, s35, v6
	v_add_nc_u32_e32 v8, 16, v6
	v_lshlrev_b32_e32 v10, 4, v10
	v_lshlrev_b64_e32 v[12:13], 4, v[12:13]
	v_ashrrev_i32_e32 v7, 31, v6
	s_and_b32 s5, s1, s2
	v_cmp_le_i32_e64 s1, v11, v6
	v_cmp_le_i32_e64 s3, v9, v8
	v_cmp_gt_i32_e64 s4, s35, v8
	v_lshl_or_b32 v33, v32, 9, v10
	v_ashrrev_i32_e32 v9, 31, v8
	s_and_b32 s20, s1, s2
	v_cmp_le_i32_e64 s1, v11, v8
	v_lshlrev_b64_e32 v[10:11], 4, v[4:5]
	s_and_b32 s15, s3, s4
	s_mov_b32 s35, 0
	s_and_b32 s1, s1, s4
	s_xor_b32 s4, vcc_lo, -1
	s_branch .LBB279_7
.LBB279_6:                              ;   in Loop: Header=BB279_7 Depth=1
	s_wait_alu 0xfffe
	s_or_b32 exec_lo, exec_lo, s2
	s_add_co_i32 s34, s34, 0x10000
	s_wait_alu 0xfffe
	s_cmp_lt_u32 s34, s33
	s_cbranch_scc0 .LBB279_42
.LBB279_7:                              ; =>This Loop Header: Depth=1
                                        ;     Child Loop BB279_10 Depth 2
	v_mov_b32_e32 v4, 0
	v_mov_b32_e32 v5, 0
	s_wait_alu 0xfffe
	s_and_not1_b32 vcc_lo, exec_lo, s21
	s_wait_alu 0xfffe
	s_cbranch_vccnz .LBB279_20
; %bb.8:                                ;   in Loop: Header=BB279_7 Depth=1
	s_mul_u64 s[2:3], s[18:19], s[34:35]
	s_mul_u64 s[36:37], s[24:25], s[34:35]
	s_wait_alu 0xfffe
	s_lshl_b64 s[2:3], s[2:3], 4
	v_mov_b32_e32 v16, 0
	s_wait_alu 0xfffe
	v_add_co_u32 v40, vcc_lo, v35, s2
	s_wait_alu 0xfffd
	v_add_co_ci_u32_e64 v41, null, s3, v36, vcc_lo
	s_lshl_b64 s[2:3], s[36:37], 4
	v_mov_b32_e32 v22, 0
	v_mov_b32_e32 v26, 0
	;; [unrolled: 1-line block ×3, first 2 shown]
	s_wait_alu 0xfffe
	v_add_co_u32 v42, vcc_lo, v37, s2
	v_dual_mov_b32 v17, 0 :: v_dual_mov_b32 v18, 0
	v_dual_mov_b32 v23, 0 :: v_dual_mov_b32 v20, 0
	;; [unrolled: 1-line block ×4, first 2 shown]
	v_mov_b32_e32 v19, 0
	v_mov_b32_e32 v21, 0
	;; [unrolled: 1-line block ×4, first 2 shown]
	s_wait_alu 0xfffd
	v_add_co_ci_u32_e64 v43, null, s3, v38, vcc_lo
	s_mov_b64 s[2:3], 0
	s_branch .LBB279_10
.LBB279_9:                              ;   in Loop: Header=BB279_10 Depth=2
	s_wait_alu 0xfffe
	s_or_b32 exec_lo, exec_lo, s23
	s_wait_dscnt 0x0
	s_barrier_signal -1
	s_barrier_wait -1
	global_inv scope:SCOPE_SE
	ds_load_b128 v[44:47], v39
	ds_load_b128 v[48:51], v39 offset:16
	ds_load_b128 v[52:55], v39 offset:32
	;; [unrolled: 1-line block ×3, first 2 shown]
	ds_load_b128 v[60:63], v31
	s_add_nc_u64 s[2:3], s[2:3], 8
	s_wait_alu 0xfffe
	v_cmp_gt_i64_e64 s23, s[8:9], s[2:3]
	s_and_b32 vcc_lo, exec_lo, s23
	s_wait_dscnt 0x0
	v_mul_f64_e32 v[2:3], v[46:47], v[62:63]
	v_mul_f64_e32 v[64:65], v[44:45], v[62:63]
	s_delay_alu instid0(VALU_DEP_2) | instskip(NEXT) | instid1(VALU_DEP_2)
	v_fma_f64 v[2:3], v[44:45], v[60:61], -v[2:3]
	v_fma_f64 v[64:65], v[46:47], v[60:61], v[64:65]
	s_delay_alu instid0(VALU_DEP_2) | instskip(SKIP_4) | instid1(VALU_DEP_1)
	v_add_f64_e32 v[66:67], v[4:5], v[2:3]
	ds_load_b128 v[2:5], v31 offset:256
	v_add_f64_e32 v[28:29], v[64:65], v[28:29]
	s_wait_dscnt 0x0
	v_mul_f64_e32 v[64:65], v[46:47], v[4:5]
	v_fma_f64 v[64:65], v[44:45], v[2:3], -v[64:65]
	v_mul_f64_e32 v[44:45], v[44:45], v[4:5]
	s_delay_alu instid0(VALU_DEP_1) | instskip(NEXT) | instid1(VALU_DEP_3)
	v_fma_f64 v[44:45], v[46:47], v[2:3], v[44:45]
	v_add_f64_e32 v[46:47], v[24:25], v[64:65]
	s_delay_alu instid0(VALU_DEP_2) | instskip(SKIP_4) | instid1(VALU_DEP_2)
	v_add_f64_e32 v[44:45], v[44:45], v[26:27]
	ds_load_b128 v[24:27], v39 offset:2048
	s_wait_dscnt 0x0
	v_mul_f64_e32 v[64:65], v[26:27], v[62:63]
	v_mul_f64_e32 v[62:63], v[24:25], v[62:63]
	v_fma_f64 v[64:65], v[24:25], v[60:61], -v[64:65]
	s_delay_alu instid0(VALU_DEP_2) | instskip(NEXT) | instid1(VALU_DEP_2)
	v_fma_f64 v[60:61], v[26:27], v[60:61], v[62:63]
	v_add_f64_e32 v[62:63], v[20:21], v[64:65]
	v_mul_f64_e32 v[20:21], v[26:27], v[4:5]
	v_mul_f64_e32 v[4:5], v[24:25], v[4:5]
	s_delay_alu instid0(VALU_DEP_4) | instskip(NEXT) | instid1(VALU_DEP_3)
	v_add_f64_e32 v[60:61], v[60:61], v[22:23]
	v_fma_f64 v[20:21], v[24:25], v[2:3], -v[20:21]
	s_delay_alu instid0(VALU_DEP_3) | instskip(NEXT) | instid1(VALU_DEP_2)
	v_fma_f64 v[2:3], v[26:27], v[2:3], v[4:5]
	v_add_f64_e32 v[24:25], v[18:19], v[20:21]
	s_delay_alu instid0(VALU_DEP_2) | instskip(SKIP_4) | instid1(VALU_DEP_2)
	v_add_f64_e32 v[26:27], v[2:3], v[16:17]
	ds_load_b128 v[2:5], v31 offset:512
	s_wait_dscnt 0x0
	v_mul_f64_e32 v[16:17], v[50:51], v[4:5]
	v_mul_f64_e32 v[18:19], v[48:49], v[4:5]
	v_fma_f64 v[16:17], v[48:49], v[2:3], -v[16:17]
	s_delay_alu instid0(VALU_DEP_2) | instskip(NEXT) | instid1(VALU_DEP_2)
	v_fma_f64 v[18:19], v[50:51], v[2:3], v[18:19]
	v_add_f64_e32 v[64:65], v[66:67], v[16:17]
	s_delay_alu instid0(VALU_DEP_2) | instskip(SKIP_4) | instid1(VALU_DEP_2)
	v_add_f64_e32 v[28:29], v[18:19], v[28:29]
	ds_load_b128 v[16:19], v31 offset:768
	s_wait_dscnt 0x0
	v_mul_f64_e32 v[20:21], v[50:51], v[18:19]
	v_mul_f64_e32 v[22:23], v[48:49], v[18:19]
	v_fma_f64 v[20:21], v[48:49], v[16:17], -v[20:21]
	s_delay_alu instid0(VALU_DEP_2) | instskip(NEXT) | instid1(VALU_DEP_2)
	v_fma_f64 v[22:23], v[50:51], v[16:17], v[22:23]
	v_add_f64_e32 v[46:47], v[46:47], v[20:21]
	s_delay_alu instid0(VALU_DEP_2) | instskip(SKIP_4) | instid1(VALU_DEP_2)
	v_add_f64_e32 v[44:45], v[22:23], v[44:45]
	ds_load_b128 v[20:23], v39 offset:2064
	s_wait_dscnt 0x0
	v_mul_f64_e32 v[48:49], v[22:23], v[4:5]
	v_mul_f64_e32 v[4:5], v[20:21], v[4:5]
	v_fma_f64 v[48:49], v[20:21], v[2:3], -v[48:49]
	s_delay_alu instid0(VALU_DEP_2) | instskip(SKIP_1) | instid1(VALU_DEP_3)
	v_fma_f64 v[2:3], v[22:23], v[2:3], v[4:5]
	v_mul_f64_e32 v[4:5], v[20:21], v[18:19]
	v_add_f64_e32 v[48:49], v[62:63], v[48:49]
	s_delay_alu instid0(VALU_DEP_3) | instskip(SKIP_1) | instid1(VALU_DEP_4)
	v_add_f64_e32 v[50:51], v[2:3], v[60:61]
	v_mul_f64_e32 v[2:3], v[22:23], v[18:19]
	v_fma_f64 v[4:5], v[22:23], v[16:17], v[4:5]
	s_delay_alu instid0(VALU_DEP_2) | instskip(NEXT) | instid1(VALU_DEP_2)
	v_fma_f64 v[2:3], v[20:21], v[16:17], -v[2:3]
	v_add_f64_e32 v[26:27], v[4:5], v[26:27]
	s_delay_alu instid0(VALU_DEP_2) | instskip(SKIP_4) | instid1(VALU_DEP_2)
	v_add_f64_e32 v[24:25], v[24:25], v[2:3]
	ds_load_b128 v[2:5], v31 offset:1024
	s_wait_dscnt 0x0
	v_mul_f64_e32 v[16:17], v[54:55], v[4:5]
	v_mul_f64_e32 v[18:19], v[52:53], v[4:5]
	v_fma_f64 v[16:17], v[52:53], v[2:3], -v[16:17]
	s_delay_alu instid0(VALU_DEP_2) | instskip(NEXT) | instid1(VALU_DEP_2)
	v_fma_f64 v[18:19], v[54:55], v[2:3], v[18:19]
	v_add_f64_e32 v[60:61], v[64:65], v[16:17]
	s_delay_alu instid0(VALU_DEP_2) | instskip(SKIP_4) | instid1(VALU_DEP_2)
	v_add_f64_e32 v[28:29], v[18:19], v[28:29]
	ds_load_b128 v[16:19], v31 offset:1280
	s_wait_dscnt 0x0
	v_mul_f64_e32 v[20:21], v[54:55], v[18:19]
	v_mul_f64_e32 v[22:23], v[52:53], v[18:19]
	v_fma_f64 v[20:21], v[52:53], v[16:17], -v[20:21]
	s_delay_alu instid0(VALU_DEP_2) | instskip(NEXT) | instid1(VALU_DEP_2)
	v_fma_f64 v[22:23], v[54:55], v[16:17], v[22:23]
	v_add_f64_e32 v[46:47], v[46:47], v[20:21]
	s_delay_alu instid0(VALU_DEP_2) | instskip(SKIP_4) | instid1(VALU_DEP_2)
	v_add_f64_e32 v[44:45], v[22:23], v[44:45]
	ds_load_b128 v[20:23], v39 offset:2080
	s_wait_dscnt 0x0
	v_mul_f64_e32 v[52:53], v[22:23], v[4:5]
	v_mul_f64_e32 v[4:5], v[20:21], v[4:5]
	v_fma_f64 v[52:53], v[20:21], v[2:3], -v[52:53]
	s_delay_alu instid0(VALU_DEP_2) | instskip(SKIP_1) | instid1(VALU_DEP_3)
	v_fma_f64 v[2:3], v[22:23], v[2:3], v[4:5]
	v_mul_f64_e32 v[4:5], v[20:21], v[18:19]
	v_add_f64_e32 v[48:49], v[48:49], v[52:53]
	s_delay_alu instid0(VALU_DEP_3) | instskip(SKIP_1) | instid1(VALU_DEP_4)
	v_add_f64_e32 v[50:51], v[2:3], v[50:51]
	v_mul_f64_e32 v[2:3], v[22:23], v[18:19]
	v_fma_f64 v[4:5], v[22:23], v[16:17], v[4:5]
	s_delay_alu instid0(VALU_DEP_2) | instskip(NEXT) | instid1(VALU_DEP_2)
	v_fma_f64 v[2:3], v[20:21], v[16:17], -v[2:3]
	;; [unrolled: 38-line block ×3, first 2 shown]
	v_add_f64_e32 v[26:27], v[4:5], v[26:27]
	s_delay_alu instid0(VALU_DEP_2)
	v_add_f64_e32 v[24:25], v[24:25], v[2:3]
	ds_load_b128 v[2:5], v39 offset:64
	ds_load_b128 v[16:19], v31 offset:2048
	s_wait_dscnt 0x0
	v_mul_f64_e32 v[20:21], v[4:5], v[18:19]
	v_mul_f64_e32 v[22:23], v[2:3], v[18:19]
	s_delay_alu instid0(VALU_DEP_2) | instskip(NEXT) | instid1(VALU_DEP_2)
	v_fma_f64 v[20:21], v[2:3], v[16:17], -v[20:21]
	v_fma_f64 v[22:23], v[4:5], v[16:17], v[22:23]
	s_delay_alu instid0(VALU_DEP_2) | instskip(NEXT) | instid1(VALU_DEP_2)
	v_add_f64_e32 v[52:53], v[52:53], v[20:21]
	v_add_f64_e32 v[28:29], v[22:23], v[28:29]
	ds_load_b128 v[20:23], v31 offset:2304
	s_wait_dscnt 0x0
	v_mul_f64_e32 v[54:55], v[4:5], v[22:23]
	s_delay_alu instid0(VALU_DEP_1) | instskip(SKIP_1) | instid1(VALU_DEP_2)
	v_fma_f64 v[54:55], v[2:3], v[20:21], -v[54:55]
	v_mul_f64_e32 v[2:3], v[2:3], v[22:23]
	v_add_f64_e32 v[46:47], v[46:47], v[54:55]
	s_delay_alu instid0(VALU_DEP_2) | instskip(NEXT) | instid1(VALU_DEP_1)
	v_fma_f64 v[2:3], v[4:5], v[20:21], v[2:3]
	v_add_f64_e32 v[44:45], v[2:3], v[44:45]
	ds_load_b128 v[2:5], v39 offset:2112
	s_wait_dscnt 0x0
	v_mul_f64_e32 v[54:55], v[4:5], v[18:19]
	v_mul_f64_e32 v[18:19], v[2:3], v[18:19]
	s_delay_alu instid0(VALU_DEP_2) | instskip(NEXT) | instid1(VALU_DEP_2)
	v_fma_f64 v[54:55], v[2:3], v[16:17], -v[54:55]
	v_fma_f64 v[16:17], v[4:5], v[16:17], v[18:19]
	s_delay_alu instid0(VALU_DEP_2) | instskip(NEXT) | instid1(VALU_DEP_2)
	v_add_f64_e32 v[48:49], v[48:49], v[54:55]
	v_add_f64_e32 v[50:51], v[16:17], v[50:51]
	v_mul_f64_e32 v[16:17], v[4:5], v[22:23]
	s_delay_alu instid0(VALU_DEP_1) | instskip(SKIP_1) | instid1(VALU_DEP_2)
	v_fma_f64 v[16:17], v[2:3], v[20:21], -v[16:17]
	v_mul_f64_e32 v[2:3], v[2:3], v[22:23]
	v_add_f64_e32 v[24:25], v[24:25], v[16:17]
	s_delay_alu instid0(VALU_DEP_2) | instskip(NEXT) | instid1(VALU_DEP_1)
	v_fma_f64 v[2:3], v[4:5], v[20:21], v[2:3]
	v_add_f64_e32 v[26:27], v[2:3], v[26:27]
	ds_load_b128 v[2:5], v39 offset:80
	ds_load_b128 v[16:19], v31 offset:2560
	s_wait_dscnt 0x0
	v_mul_f64_e32 v[20:21], v[4:5], v[18:19]
	v_mul_f64_e32 v[22:23], v[2:3], v[18:19]
	s_delay_alu instid0(VALU_DEP_2) | instskip(NEXT) | instid1(VALU_DEP_2)
	v_fma_f64 v[20:21], v[2:3], v[16:17], -v[20:21]
	v_fma_f64 v[22:23], v[4:5], v[16:17], v[22:23]
	s_delay_alu instid0(VALU_DEP_2) | instskip(NEXT) | instid1(VALU_DEP_2)
	v_add_f64_e32 v[52:53], v[52:53], v[20:21]
	v_add_f64_e32 v[28:29], v[22:23], v[28:29]
	ds_load_b128 v[20:23], v31 offset:2816
	s_wait_dscnt 0x0
	v_mul_f64_e32 v[54:55], v[4:5], v[22:23]
	s_delay_alu instid0(VALU_DEP_1) | instskip(SKIP_1) | instid1(VALU_DEP_2)
	v_fma_f64 v[54:55], v[2:3], v[20:21], -v[54:55]
	v_mul_f64_e32 v[2:3], v[2:3], v[22:23]
	v_add_f64_e32 v[46:47], v[46:47], v[54:55]
	s_delay_alu instid0(VALU_DEP_2) | instskip(NEXT) | instid1(VALU_DEP_1)
	v_fma_f64 v[2:3], v[4:5], v[20:21], v[2:3]
	v_add_f64_e32 v[44:45], v[2:3], v[44:45]
	ds_load_b128 v[2:5], v39 offset:2128
	s_wait_dscnt 0x0
	v_mul_f64_e32 v[54:55], v[4:5], v[18:19]
	v_mul_f64_e32 v[18:19], v[2:3], v[18:19]
	s_delay_alu instid0(VALU_DEP_2) | instskip(NEXT) | instid1(VALU_DEP_2)
	v_fma_f64 v[54:55], v[2:3], v[16:17], -v[54:55]
	v_fma_f64 v[16:17], v[4:5], v[16:17], v[18:19]
	s_delay_alu instid0(VALU_DEP_2) | instskip(NEXT) | instid1(VALU_DEP_2)
	v_add_f64_e32 v[48:49], v[48:49], v[54:55]
	v_add_f64_e32 v[50:51], v[16:17], v[50:51]
	v_mul_f64_e32 v[16:17], v[4:5], v[22:23]
	s_delay_alu instid0(VALU_DEP_1) | instskip(SKIP_1) | instid1(VALU_DEP_2)
	v_fma_f64 v[16:17], v[2:3], v[20:21], -v[16:17]
	v_mul_f64_e32 v[2:3], v[2:3], v[22:23]
	v_add_f64_e32 v[24:25], v[24:25], v[16:17]
	s_delay_alu instid0(VALU_DEP_2) | instskip(NEXT) | instid1(VALU_DEP_1)
	v_fma_f64 v[2:3], v[4:5], v[20:21], v[2:3]
	v_add_f64_e32 v[26:27], v[2:3], v[26:27]
	ds_load_b128 v[2:5], v39 offset:96
	ds_load_b128 v[16:19], v31 offset:3072
	s_wait_dscnt 0x0
	v_mul_f64_e32 v[20:21], v[4:5], v[18:19]
	v_mul_f64_e32 v[22:23], v[2:3], v[18:19]
	s_delay_alu instid0(VALU_DEP_2) | instskip(NEXT) | instid1(VALU_DEP_2)
	v_fma_f64 v[20:21], v[2:3], v[16:17], -v[20:21]
	v_fma_f64 v[22:23], v[4:5], v[16:17], v[22:23]
	s_delay_alu instid0(VALU_DEP_2) | instskip(NEXT) | instid1(VALU_DEP_2)
	v_add_f64_e32 v[52:53], v[52:53], v[20:21]
	v_add_f64_e32 v[28:29], v[22:23], v[28:29]
	ds_load_b128 v[20:23], v31 offset:3328
	s_wait_dscnt 0x0
	v_mul_f64_e32 v[54:55], v[4:5], v[22:23]
	s_delay_alu instid0(VALU_DEP_1) | instskip(SKIP_1) | instid1(VALU_DEP_2)
	v_fma_f64 v[54:55], v[2:3], v[20:21], -v[54:55]
	v_mul_f64_e32 v[2:3], v[2:3], v[22:23]
	v_add_f64_e32 v[54:55], v[46:47], v[54:55]
	s_delay_alu instid0(VALU_DEP_2) | instskip(NEXT) | instid1(VALU_DEP_1)
	v_fma_f64 v[2:3], v[4:5], v[20:21], v[2:3]
	v_add_f64_e32 v[56:57], v[2:3], v[44:45]
	ds_load_b128 v[2:5], v39 offset:2144
	s_wait_dscnt 0x0
	v_mul_f64_e32 v[44:45], v[4:5], v[18:19]
	v_mul_f64_e32 v[18:19], v[2:3], v[18:19]
	s_delay_alu instid0(VALU_DEP_2) | instskip(NEXT) | instid1(VALU_DEP_2)
	v_fma_f64 v[44:45], v[2:3], v[16:17], -v[44:45]
	v_fma_f64 v[16:17], v[4:5], v[16:17], v[18:19]
	s_delay_alu instid0(VALU_DEP_2) | instskip(NEXT) | instid1(VALU_DEP_2)
	v_add_f64_e32 v[48:49], v[48:49], v[44:45]
	v_add_f64_e32 v[50:51], v[16:17], v[50:51]
	v_mul_f64_e32 v[16:17], v[4:5], v[22:23]
	s_delay_alu instid0(VALU_DEP_1) | instskip(SKIP_1) | instid1(VALU_DEP_2)
	v_fma_f64 v[16:17], v[2:3], v[20:21], -v[16:17]
	v_mul_f64_e32 v[2:3], v[2:3], v[22:23]
	v_add_f64_e32 v[58:59], v[24:25], v[16:17]
	s_delay_alu instid0(VALU_DEP_2)
	v_fma_f64 v[2:3], v[4:5], v[20:21], v[2:3]
	ds_load_b128 v[16:19], v39 offset:112
	ds_load_b128 v[20:23], v31 offset:3584
	;; [unrolled: 1-line block ×3, first 2 shown]
	s_wait_dscnt 0x1
	v_mul_f64_e32 v[24:25], v[16:17], v[22:23]
	v_mul_f64_e32 v[4:5], v[18:19], v[22:23]
	v_add_f64_e32 v[2:3], v[2:3], v[26:27]
	s_delay_alu instid0(VALU_DEP_3) | instskip(NEXT) | instid1(VALU_DEP_3)
	v_fma_f64 v[24:25], v[18:19], v[20:21], v[24:25]
	v_fma_f64 v[4:5], v[16:17], v[20:21], -v[4:5]
	s_delay_alu instid0(VALU_DEP_2) | instskip(SKIP_2) | instid1(VALU_DEP_3)
	v_add_f64_e32 v[28:29], v[24:25], v[28:29]
	s_wait_dscnt 0x0
	v_mul_f64_e32 v[24:25], v[18:19], v[46:47]
	v_add_f64_e32 v[4:5], v[52:53], v[4:5]
	s_delay_alu instid0(VALU_DEP_2) | instskip(SKIP_1) | instid1(VALU_DEP_2)
	v_fma_f64 v[24:25], v[16:17], v[44:45], -v[24:25]
	v_mul_f64_e32 v[16:17], v[16:17], v[46:47]
	v_add_f64_e32 v[24:25], v[54:55], v[24:25]
	s_delay_alu instid0(VALU_DEP_2) | instskip(NEXT) | instid1(VALU_DEP_1)
	v_fma_f64 v[16:17], v[18:19], v[44:45], v[16:17]
	v_add_f64_e32 v[26:27], v[16:17], v[56:57]
	ds_load_b128 v[16:19], v39 offset:2160
	s_wait_loadcnt_dscnt 0x0
	s_barrier_signal -1
	s_barrier_wait -1
	global_inv scope:SCOPE_SE
	v_mul_f64_e32 v[52:53], v[18:19], v[22:23]
	v_mul_f64_e32 v[22:23], v[16:17], v[22:23]
	s_delay_alu instid0(VALU_DEP_2) | instskip(NEXT) | instid1(VALU_DEP_2)
	v_fma_f64 v[52:53], v[16:17], v[20:21], -v[52:53]
	v_fma_f64 v[22:23], v[18:19], v[20:21], v[22:23]
	s_delay_alu instid0(VALU_DEP_2) | instskip(SKIP_1) | instid1(VALU_DEP_3)
	v_add_f64_e32 v[20:21], v[48:49], v[52:53]
	v_mul_f64_e32 v[48:49], v[18:19], v[46:47]
	v_add_f64_e32 v[22:23], v[22:23], v[50:51]
	s_delay_alu instid0(VALU_DEP_2) | instskip(SKIP_1) | instid1(VALU_DEP_1)
	v_fma_f64 v[48:49], v[16:17], v[44:45], -v[48:49]
	v_mul_f64_e32 v[16:17], v[16:17], v[46:47]
	v_fma_f64 v[16:17], v[18:19], v[44:45], v[16:17]
	s_delay_alu instid0(VALU_DEP_3) | instskip(NEXT) | instid1(VALU_DEP_2)
	v_add_f64_e32 v[18:19], v[58:59], v[48:49]
	v_add_f64_e32 v[16:17], v[16:17], v[2:3]
	s_wait_alu 0xfffe
	s_cbranch_vccz .LBB279_21
.LBB279_10:                             ;   Parent Loop BB279_7 Depth=1
                                        ; =>  This Inner Loop Header: Depth=2
	s_mov_b32 s23, 0
	s_mov_b32 s37, s22
	s_and_saveexec_b32 s36, s0
	s_cbranch_execnz .LBB279_18
; %bb.11:                               ;   in Loop: Header=BB279_10 Depth=2
	s_or_b32 exec_lo, exec_lo, s36
	s_and_saveexec_b32 s36, s37
	s_delay_alu instid0(SALU_CYCLE_1)
	s_xor_b32 s36, exec_lo, s36
	s_cbranch_execnz .LBB279_19
.LBB279_12:                             ;   in Loop: Header=BB279_10 Depth=2
	s_or_b32 exec_lo, exec_lo, s36
	s_wait_alu 0xfffe
	s_and_saveexec_b32 s36, s23
	s_cbranch_execz .LBB279_14
.LBB279_13:                             ;   in Loop: Header=BB279_10 Depth=2
	v_mul_lo_u32 v0, s17, v14
	v_mul_lo_u32 v44, s16, v15
	v_mad_co_u64_u32 v[2:3], null, s16, v14, 0
	s_delay_alu instid0(VALU_DEP_1) | instskip(NEXT) | instid1(VALU_DEP_1)
	v_add3_u32 v3, v3, v44, v0
	v_lshlrev_b64_e32 v[2:3], 4, v[2:3]
	s_delay_alu instid0(VALU_DEP_1) | instskip(SKIP_1) | instid1(VALU_DEP_2)
	v_add_co_u32 v2, vcc_lo, v40, v2
	s_wait_alu 0xfffd
	v_add_co_ci_u32_e64 v3, null, v41, v3, vcc_lo
	global_load_b128 v[44:47], v[2:3], off
	s_wait_loadcnt 0x0
	ds_store_2addr_b64 v33, v[44:45], v[46:47] offset1:1
.LBB279_14:                             ;   in Loop: Header=BB279_10 Depth=2
	s_or_b32 exec_lo, exec_lo, s36
	v_add_nc_u32_e32 v0, s2, v30
	s_delay_alu instid0(VALU_DEP_1) | instskip(SKIP_3) | instid1(SALU_CYCLE_1)
	v_cmp_le_u64_e32 vcc_lo, s[8:9], v[0:1]
	s_or_b32 s23, vcc_lo, s4
	s_wait_alu 0xfffe
	s_and_saveexec_b32 s36, s23
	s_xor_b32 s23, exec_lo, s36
; %bb.15:                               ;   in Loop: Header=BB279_10 Depth=2
	v_dual_mov_b32 v0, v1 :: v_dual_mov_b32 v3, v1
	v_mov_b32_e32 v2, v1
	ds_store_b128 v34, v[0:3]
; %bb.16:                               ;   in Loop: Header=BB279_10 Depth=2
	s_wait_alu 0xfffe
	s_and_not1_saveexec_b32 s23, s23
	s_cbranch_execz .LBB279_9
; %bb.17:                               ;   in Loop: Header=BB279_10 Depth=2
	v_lshlrev_b64_e32 v[2:3], 4, v[0:1]
	s_delay_alu instid0(VALU_DEP_1) | instskip(SKIP_1) | instid1(VALU_DEP_2)
	v_add_co_u32 v2, vcc_lo, v42, v2
	s_wait_alu 0xfffd
	v_add_co_ci_u32_e64 v3, null, v43, v3, vcc_lo
	global_load_b128 v[44:47], v[2:3], off
	s_wait_loadcnt 0x0
	ds_store_2addr_b64 v34, v[44:45], v[46:47] offset1:1
	s_branch .LBB279_9
.LBB279_18:                             ;   in Loop: Header=BB279_10 Depth=2
	s_wait_alu 0xfffe
	v_add_nc_u32_e32 v0, s2, v32
	v_mov_b32_e32 v15, v1
	s_and_not1_b32 s37, s22, exec_lo
	s_mov_b32 s23, exec_lo
	s_delay_alu instid0(VALU_DEP_2) | instskip(SKIP_2) | instid1(SALU_CYCLE_1)
	v_cmp_le_u64_e32 vcc_lo, s[8:9], v[0:1]
	v_mov_b32_e32 v14, v0
	s_and_b32 s38, vcc_lo, exec_lo
	s_or_b32 s37, s37, s38
	s_or_b32 exec_lo, exec_lo, s36
	s_and_saveexec_b32 s36, s37
	s_delay_alu instid0(SALU_CYCLE_1)
	s_xor_b32 s36, exec_lo, s36
	s_cbranch_execz .LBB279_12
.LBB279_19:                             ;   in Loop: Header=BB279_10 Depth=2
	v_dual_mov_b32 v0, v1 :: v_dual_mov_b32 v3, v1
	v_mov_b32_e32 v2, v1
	s_wait_alu 0xfffe
	s_and_not1_b32 s23, s23, exec_lo
	ds_store_b128 v33, v[0:3]
	s_or_b32 exec_lo, exec_lo, s36
	s_wait_alu 0xfffe
	s_and_saveexec_b32 s36, s23
	s_cbranch_execnz .LBB279_13
	s_branch .LBB279_14
.LBB279_20:                             ;   in Loop: Header=BB279_7 Depth=1
	v_mov_b32_e32 v28, 0
	v_mov_b32_e32 v26, 0
	v_dual_mov_b32 v22, 0 :: v_dual_mov_b32 v29, 0
	v_dual_mov_b32 v24, 0 :: v_dual_mov_b32 v27, 0
	;; [unrolled: 1-line block ×3, first 2 shown]
	v_mov_b32_e32 v18, 0
	v_dual_mov_b32 v16, 0 :: v_dual_mov_b32 v25, 0
	v_mov_b32_e32 v21, 0
	v_mov_b32_e32 v19, 0
	;; [unrolled: 1-line block ×3, first 2 shown]
.LBB279_21:                             ;   in Loop: Header=BB279_7 Depth=1
	s_mul_u64 s[2:3], s[6:7], s[34:35]
	s_wait_alu 0xfffe
	s_lshl_b64 s[2:3], s[2:3], 4
	s_wait_alu 0xfffe
	s_add_nc_u64 s[2:3], s[30:31], s[2:3]
	s_wait_alu 0xfffe
	v_add_co_u32 v0, vcc_lo, s2, v10
	s_wait_alu 0xfffd
	v_add_co_ci_u32_e64 v40, null, s3, v11, vcc_lo
	s_and_saveexec_b32 s23, s5
	s_cbranch_execz .LBB279_26
; %bb.22:                               ;   in Loop: Header=BB279_7 Depth=1
	v_mul_f64_e32 v[2:3], s[12:13], v[28:29]
	v_mul_f64_e32 v[28:29], s[10:11], v[28:29]
	s_and_b32 vcc_lo, exec_lo, s14
	s_mov_b32 s36, -1
	s_delay_alu instid0(VALU_DEP_2) | instskip(NEXT) | instid1(VALU_DEP_2)
	v_fma_f64 v[2:3], s[10:11], v[4:5], -v[2:3]
	v_fma_f64 v[4:5], s[12:13], v[4:5], v[28:29]
	s_wait_alu 0xfffe
	s_cbranch_vccz .LBB279_24
; %bb.23:                               ;   in Loop: Header=BB279_7 Depth=1
	v_lshlrev_b64_e32 v[28:29], 4, v[6:7]
	s_mov_b32 s36, 0
	s_delay_alu instid0(VALU_DEP_1) | instskip(SKIP_1) | instid1(VALU_DEP_2)
	v_add_co_u32 v28, vcc_lo, v0, v28
	s_wait_alu 0xfffd
	v_add_co_ci_u32_e64 v29, null, v40, v29, vcc_lo
	global_load_b128 v[41:44], v[28:29], off
	s_wait_loadcnt 0x0
	v_mul_f64_e32 v[45:46], s[28:29], v[43:44]
	v_mul_f64_e32 v[43:44], s[26:27], v[43:44]
	s_delay_alu instid0(VALU_DEP_2) | instskip(NEXT) | instid1(VALU_DEP_2)
	v_fma_f64 v[45:46], s[26:27], v[41:42], -v[45:46]
	v_fma_f64 v[43:44], s[28:29], v[41:42], v[43:44]
	s_delay_alu instid0(VALU_DEP_2) | instskip(NEXT) | instid1(VALU_DEP_2)
	v_add_f64_e32 v[41:42], v[2:3], v[45:46]
	v_add_f64_e32 v[43:44], v[4:5], v[43:44]
	global_store_b128 v[28:29], v[41:44], off
.LBB279_24:                             ;   in Loop: Header=BB279_7 Depth=1
	s_and_not1_b32 vcc_lo, exec_lo, s36
	s_wait_alu 0xfffe
	s_cbranch_vccnz .LBB279_26
; %bb.25:                               ;   in Loop: Header=BB279_7 Depth=1
	v_lshlrev_b64_e32 v[28:29], 4, v[6:7]
	s_delay_alu instid0(VALU_DEP_1) | instskip(SKIP_1) | instid1(VALU_DEP_2)
	v_add_co_u32 v28, vcc_lo, v0, v28
	s_wait_alu 0xfffd
	v_add_co_ci_u32_e64 v29, null, v40, v29, vcc_lo
	global_store_b128 v[28:29], v[2:5], off
.LBB279_26:                             ;   in Loop: Header=BB279_7 Depth=1
	s_wait_alu 0xfffe
	s_or_b32 exec_lo, exec_lo, s23
	s_and_saveexec_b32 s23, s15
	s_cbranch_execz .LBB279_31
; %bb.27:                               ;   in Loop: Header=BB279_7 Depth=1
	v_mul_f64_e32 v[2:3], s[12:13], v[26:27]
	v_mul_f64_e32 v[4:5], s[10:11], v[26:27]
	s_and_not1_b32 vcc_lo, exec_lo, s14
	s_mov_b32 s36, -1
	s_delay_alu instid0(VALU_DEP_2) | instskip(NEXT) | instid1(VALU_DEP_2)
	v_fma_f64 v[2:3], s[10:11], v[24:25], -v[2:3]
	v_fma_f64 v[4:5], s[12:13], v[24:25], v[4:5]
	s_wait_alu 0xfffe
	s_cbranch_vccnz .LBB279_29
; %bb.28:                               ;   in Loop: Header=BB279_7 Depth=1
	v_lshlrev_b64_e32 v[24:25], 4, v[8:9]
	s_mov_b32 s36, 0
	s_delay_alu instid0(VALU_DEP_1) | instskip(SKIP_1) | instid1(VALU_DEP_2)
	v_add_co_u32 v28, vcc_lo, v0, v24
	s_wait_alu 0xfffd
	v_add_co_ci_u32_e64 v29, null, v40, v25, vcc_lo
	global_load_b128 v[24:27], v[28:29], off
	s_wait_loadcnt 0x0
	v_mul_f64_e32 v[41:42], s[28:29], v[26:27]
	v_mul_f64_e32 v[26:27], s[26:27], v[26:27]
	s_delay_alu instid0(VALU_DEP_2) | instskip(NEXT) | instid1(VALU_DEP_2)
	v_fma_f64 v[41:42], s[26:27], v[24:25], -v[41:42]
	v_fma_f64 v[26:27], s[28:29], v[24:25], v[26:27]
	s_delay_alu instid0(VALU_DEP_2) | instskip(NEXT) | instid1(VALU_DEP_2)
	v_add_f64_e32 v[24:25], v[2:3], v[41:42]
	v_add_f64_e32 v[26:27], v[4:5], v[26:27]
	global_store_b128 v[28:29], v[24:27], off
.LBB279_29:                             ;   in Loop: Header=BB279_7 Depth=1
	s_and_not1_b32 vcc_lo, exec_lo, s36
	s_wait_alu 0xfffe
	s_cbranch_vccnz .LBB279_31
; %bb.30:                               ;   in Loop: Header=BB279_7 Depth=1
	v_lshlrev_b64_e32 v[24:25], 4, v[8:9]
	s_delay_alu instid0(VALU_DEP_1) | instskip(SKIP_1) | instid1(VALU_DEP_2)
	v_add_co_u32 v24, vcc_lo, v0, v24
	s_wait_alu 0xfffd
	v_add_co_ci_u32_e64 v25, null, v40, v25, vcc_lo
	global_store_b128 v[24:25], v[2:5], off
.LBB279_31:                             ;   in Loop: Header=BB279_7 Depth=1
	s_wait_alu 0xfffe
	s_or_b32 exec_lo, exec_lo, s23
	v_add_co_u32 v0, vcc_lo, s2, v12
	s_wait_alu 0xfffd
	v_add_co_ci_u32_e64 v24, null, s3, v13, vcc_lo
	s_and_saveexec_b32 s2, s20
	s_cbranch_execz .LBB279_36
; %bb.32:                               ;   in Loop: Header=BB279_7 Depth=1
	v_mul_f64_e32 v[2:3], s[12:13], v[22:23]
	v_mul_f64_e32 v[4:5], s[10:11], v[22:23]
	s_and_not1_b32 vcc_lo, exec_lo, s14
	s_mov_b32 s3, -1
	s_delay_alu instid0(VALU_DEP_2) | instskip(NEXT) | instid1(VALU_DEP_2)
	v_fma_f64 v[2:3], s[10:11], v[20:21], -v[2:3]
	v_fma_f64 v[4:5], s[12:13], v[20:21], v[4:5]
	v_lshlrev_b64_e32 v[20:21], 4, v[6:7]
	s_wait_alu 0xfffe
	s_cbranch_vccnz .LBB279_34
; %bb.33:                               ;   in Loop: Header=BB279_7 Depth=1
	s_delay_alu instid0(VALU_DEP_1) | instskip(SKIP_1) | instid1(VALU_DEP_2)
	v_add_co_u32 v22, vcc_lo, v0, v20
	s_wait_alu 0xfffd
	v_add_co_ci_u32_e64 v23, null, v24, v21, vcc_lo
	s_mov_b32 s3, 0
	global_load_b128 v[25:28], v[22:23], off
	s_wait_loadcnt 0x0
	v_mul_f64_e32 v[40:41], s[28:29], v[27:28]
	v_mul_f64_e32 v[27:28], s[26:27], v[27:28]
	s_delay_alu instid0(VALU_DEP_2) | instskip(NEXT) | instid1(VALU_DEP_2)
	v_fma_f64 v[40:41], s[26:27], v[25:26], -v[40:41]
	v_fma_f64 v[27:28], s[28:29], v[25:26], v[27:28]
	s_delay_alu instid0(VALU_DEP_2) | instskip(NEXT) | instid1(VALU_DEP_2)
	v_add_f64_e32 v[25:26], v[2:3], v[40:41]
	v_add_f64_e32 v[27:28], v[4:5], v[27:28]
	global_store_b128 v[22:23], v[25:28], off
.LBB279_34:                             ;   in Loop: Header=BB279_7 Depth=1
	s_wait_alu 0xfffe
	s_and_not1_b32 vcc_lo, exec_lo, s3
	s_wait_alu 0xfffe
	s_cbranch_vccnz .LBB279_36
; %bb.35:                               ;   in Loop: Header=BB279_7 Depth=1
	v_add_co_u32 v20, vcc_lo, v0, v20
	s_wait_alu 0xfffd
	v_add_co_ci_u32_e64 v21, null, v24, v21, vcc_lo
	global_store_b128 v[20:21], v[2:5], off
.LBB279_36:                             ;   in Loop: Header=BB279_7 Depth=1
	s_wait_alu 0xfffe
	s_or_b32 exec_lo, exec_lo, s2
	s_and_saveexec_b32 s2, s1
	s_cbranch_execz .LBB279_6
; %bb.37:                               ;   in Loop: Header=BB279_7 Depth=1
	v_mul_f64_e32 v[2:3], s[12:13], v[16:17]
	v_mul_f64_e32 v[4:5], s[10:11], v[16:17]
	v_lshlrev_b64_e32 v[16:17], 4, v[8:9]
	s_and_not1_b32 vcc_lo, exec_lo, s14
	s_mov_b32 s3, -1
	s_delay_alu instid0(VALU_DEP_3) | instskip(NEXT) | instid1(VALU_DEP_3)
	v_fma_f64 v[2:3], s[10:11], v[18:19], -v[2:3]
	v_fma_f64 v[4:5], s[12:13], v[18:19], v[4:5]
	s_wait_alu 0xfffe
	s_cbranch_vccnz .LBB279_39
; %bb.38:                               ;   in Loop: Header=BB279_7 Depth=1
	v_add_co_u32 v22, vcc_lo, v0, v16
	s_wait_alu 0xfffd
	v_add_co_ci_u32_e64 v23, null, v24, v17, vcc_lo
	s_mov_b32 s3, 0
	global_load_b128 v[18:21], v[22:23], off
	s_wait_loadcnt 0x0
	v_mul_f64_e32 v[25:26], s[28:29], v[20:21]
	v_mul_f64_e32 v[20:21], s[26:27], v[20:21]
	s_delay_alu instid0(VALU_DEP_2) | instskip(NEXT) | instid1(VALU_DEP_2)
	v_fma_f64 v[25:26], s[26:27], v[18:19], -v[25:26]
	v_fma_f64 v[20:21], s[28:29], v[18:19], v[20:21]
	s_delay_alu instid0(VALU_DEP_2) | instskip(NEXT) | instid1(VALU_DEP_2)
	v_add_f64_e32 v[18:19], v[2:3], v[25:26]
	v_add_f64_e32 v[20:21], v[4:5], v[20:21]
	global_store_b128 v[22:23], v[18:21], off
.LBB279_39:                             ;   in Loop: Header=BB279_7 Depth=1
	s_wait_alu 0xfffe
	s_and_not1_b32 vcc_lo, exec_lo, s3
	s_wait_alu 0xfffe
	s_cbranch_vccnz .LBB279_6
; %bb.40:                               ;   in Loop: Header=BB279_7 Depth=1
	v_add_co_u32 v16, vcc_lo, v0, v16
	s_wait_alu 0xfffd
	v_add_co_ci_u32_e64 v17, null, v24, v17, vcc_lo
	global_store_b128 v[16:17], v[2:5], off
	s_branch .LBB279_6
.LBB279_41:
.LBB279_42:
	s_endpgm
	.section	.rodata,"a",@progbits
	.p2align	6, 0x0
	.amdhsa_kernel _ZL29rocblas_internal_gemmt_kernelIlLi16ELi32ELi8ELc78ELc78ELc76ELb0ELb0E19rocblas_complex_numIdES1_PKS1_PS1_EviT_T9_T10_S5_lS7_S5_lS6_T11_S5_li
		.amdhsa_group_segment_fixed_size 8192
		.amdhsa_private_segment_fixed_size 0
		.amdhsa_kernarg_size 124
		.amdhsa_user_sgpr_count 2
		.amdhsa_user_sgpr_dispatch_ptr 0
		.amdhsa_user_sgpr_queue_ptr 0
		.amdhsa_user_sgpr_kernarg_segment_ptr 1
		.amdhsa_user_sgpr_dispatch_id 0
		.amdhsa_user_sgpr_private_segment_size 0
		.amdhsa_wavefront_size32 1
		.amdhsa_uses_dynamic_stack 0
		.amdhsa_enable_private_segment 0
		.amdhsa_system_sgpr_workgroup_id_x 1
		.amdhsa_system_sgpr_workgroup_id_y 1
		.amdhsa_system_sgpr_workgroup_id_z 1
		.amdhsa_system_sgpr_workgroup_info 0
		.amdhsa_system_vgpr_workitem_id 1
		.amdhsa_next_free_vgpr 68
		.amdhsa_next_free_sgpr 39
		.amdhsa_reserve_vcc 1
		.amdhsa_float_round_mode_32 0
		.amdhsa_float_round_mode_16_64 0
		.amdhsa_float_denorm_mode_32 3
		.amdhsa_float_denorm_mode_16_64 3
		.amdhsa_fp16_overflow 0
		.amdhsa_workgroup_processor_mode 1
		.amdhsa_memory_ordered 1
		.amdhsa_forward_progress 1
		.amdhsa_inst_pref_size 30
		.amdhsa_round_robin_scheduling 0
		.amdhsa_exception_fp_ieee_invalid_op 0
		.amdhsa_exception_fp_denorm_src 0
		.amdhsa_exception_fp_ieee_div_zero 0
		.amdhsa_exception_fp_ieee_overflow 0
		.amdhsa_exception_fp_ieee_underflow 0
		.amdhsa_exception_fp_ieee_inexact 0
		.amdhsa_exception_int_div_zero 0
	.end_amdhsa_kernel
	.section	.text._ZL29rocblas_internal_gemmt_kernelIlLi16ELi32ELi8ELc78ELc78ELc76ELb0ELb0E19rocblas_complex_numIdES1_PKS1_PS1_EviT_T9_T10_S5_lS7_S5_lS6_T11_S5_li,"axG",@progbits,_ZL29rocblas_internal_gemmt_kernelIlLi16ELi32ELi8ELc78ELc78ELc76ELb0ELb0E19rocblas_complex_numIdES1_PKS1_PS1_EviT_T9_T10_S5_lS7_S5_lS6_T11_S5_li,comdat
.Lfunc_end279:
	.size	_ZL29rocblas_internal_gemmt_kernelIlLi16ELi32ELi8ELc78ELc78ELc76ELb0ELb0E19rocblas_complex_numIdES1_PKS1_PS1_EviT_T9_T10_S5_lS7_S5_lS6_T11_S5_li, .Lfunc_end279-_ZL29rocblas_internal_gemmt_kernelIlLi16ELi32ELi8ELc78ELc78ELc76ELb0ELb0E19rocblas_complex_numIdES1_PKS1_PS1_EviT_T9_T10_S5_lS7_S5_lS6_T11_S5_li
                                        ; -- End function
	.set _ZL29rocblas_internal_gemmt_kernelIlLi16ELi32ELi8ELc78ELc78ELc76ELb0ELb0E19rocblas_complex_numIdES1_PKS1_PS1_EviT_T9_T10_S5_lS7_S5_lS6_T11_S5_li.num_vgpr, 68
	.set _ZL29rocblas_internal_gemmt_kernelIlLi16ELi32ELi8ELc78ELc78ELc76ELb0ELb0E19rocblas_complex_numIdES1_PKS1_PS1_EviT_T9_T10_S5_lS7_S5_lS6_T11_S5_li.num_agpr, 0
	.set _ZL29rocblas_internal_gemmt_kernelIlLi16ELi32ELi8ELc78ELc78ELc76ELb0ELb0E19rocblas_complex_numIdES1_PKS1_PS1_EviT_T9_T10_S5_lS7_S5_lS6_T11_S5_li.numbered_sgpr, 39
	.set _ZL29rocblas_internal_gemmt_kernelIlLi16ELi32ELi8ELc78ELc78ELc76ELb0ELb0E19rocblas_complex_numIdES1_PKS1_PS1_EviT_T9_T10_S5_lS7_S5_lS6_T11_S5_li.num_named_barrier, 0
	.set _ZL29rocblas_internal_gemmt_kernelIlLi16ELi32ELi8ELc78ELc78ELc76ELb0ELb0E19rocblas_complex_numIdES1_PKS1_PS1_EviT_T9_T10_S5_lS7_S5_lS6_T11_S5_li.private_seg_size, 0
	.set _ZL29rocblas_internal_gemmt_kernelIlLi16ELi32ELi8ELc78ELc78ELc76ELb0ELb0E19rocblas_complex_numIdES1_PKS1_PS1_EviT_T9_T10_S5_lS7_S5_lS6_T11_S5_li.uses_vcc, 1
	.set _ZL29rocblas_internal_gemmt_kernelIlLi16ELi32ELi8ELc78ELc78ELc76ELb0ELb0E19rocblas_complex_numIdES1_PKS1_PS1_EviT_T9_T10_S5_lS7_S5_lS6_T11_S5_li.uses_flat_scratch, 0
	.set _ZL29rocblas_internal_gemmt_kernelIlLi16ELi32ELi8ELc78ELc78ELc76ELb0ELb0E19rocblas_complex_numIdES1_PKS1_PS1_EviT_T9_T10_S5_lS7_S5_lS6_T11_S5_li.has_dyn_sized_stack, 0
	.set _ZL29rocblas_internal_gemmt_kernelIlLi16ELi32ELi8ELc78ELc78ELc76ELb0ELb0E19rocblas_complex_numIdES1_PKS1_PS1_EviT_T9_T10_S5_lS7_S5_lS6_T11_S5_li.has_recursion, 0
	.set _ZL29rocblas_internal_gemmt_kernelIlLi16ELi32ELi8ELc78ELc78ELc76ELb0ELb0E19rocblas_complex_numIdES1_PKS1_PS1_EviT_T9_T10_S5_lS7_S5_lS6_T11_S5_li.has_indirect_call, 0
	.section	.AMDGPU.csdata,"",@progbits
; Kernel info:
; codeLenInByte = 3808
; TotalNumSgprs: 41
; NumVgprs: 68
; ScratchSize: 0
; MemoryBound: 0
; FloatMode: 240
; IeeeMode: 1
; LDSByteSize: 8192 bytes/workgroup (compile time only)
; SGPRBlocks: 0
; VGPRBlocks: 8
; NumSGPRsForWavesPerEU: 41
; NumVGPRsForWavesPerEU: 68
; Occupancy: 16
; WaveLimiterHint : 0
; COMPUTE_PGM_RSRC2:SCRATCH_EN: 0
; COMPUTE_PGM_RSRC2:USER_SGPR: 2
; COMPUTE_PGM_RSRC2:TRAP_HANDLER: 0
; COMPUTE_PGM_RSRC2:TGID_X_EN: 1
; COMPUTE_PGM_RSRC2:TGID_Y_EN: 1
; COMPUTE_PGM_RSRC2:TGID_Z_EN: 1
; COMPUTE_PGM_RSRC2:TIDIG_COMP_CNT: 1
	.section	.text._ZL29rocblas_internal_gemmt_kernelIlLi16ELi32ELi8ELc78ELc84ELc76ELb0ELb0E19rocblas_complex_numIdES1_PKS1_PS1_EviT_T9_T10_S5_lS7_S5_lS6_T11_S5_li,"axG",@progbits,_ZL29rocblas_internal_gemmt_kernelIlLi16ELi32ELi8ELc78ELc84ELc76ELb0ELb0E19rocblas_complex_numIdES1_PKS1_PS1_EviT_T9_T10_S5_lS7_S5_lS6_T11_S5_li,comdat
	.globl	_ZL29rocblas_internal_gemmt_kernelIlLi16ELi32ELi8ELc78ELc84ELc76ELb0ELb0E19rocblas_complex_numIdES1_PKS1_PS1_EviT_T9_T10_S5_lS7_S5_lS6_T11_S5_li ; -- Begin function _ZL29rocblas_internal_gemmt_kernelIlLi16ELi32ELi8ELc78ELc84ELc76ELb0ELb0E19rocblas_complex_numIdES1_PKS1_PS1_EviT_T9_T10_S5_lS7_S5_lS6_T11_S5_li
	.p2align	8
	.type	_ZL29rocblas_internal_gemmt_kernelIlLi16ELi32ELi8ELc78ELc84ELc76ELb0ELb0E19rocblas_complex_numIdES1_PKS1_PS1_EviT_T9_T10_S5_lS7_S5_lS6_T11_S5_li,@function
_ZL29rocblas_internal_gemmt_kernelIlLi16ELi32ELi8ELc78ELc84ELc76ELb0ELb0E19rocblas_complex_numIdES1_PKS1_PS1_EviT_T9_T10_S5_lS7_S5_lS6_T11_S5_li: ; @_ZL29rocblas_internal_gemmt_kernelIlLi16ELi32ELi8ELc78ELc84ELc76ELb0ELb0E19rocblas_complex_numIdES1_PKS1_PS1_EviT_T9_T10_S5_lS7_S5_lS6_T11_S5_li
; %bb.0:
	s_clause 0x1
	s_load_b256 s[24:31], s[0:1], 0x48
	s_load_b512 s[8:23], s[0:1], 0x8
	s_wait_kmcnt 0x0
	v_cmp_eq_f64_e64 s3, s[26:27], 1.0
	v_cmp_eq_f64_e64 s2, s[28:29], 0
	s_and_b32 s3, s3, s2
	s_delay_alu instid0(SALU_CYCLE_1)
	s_and_not1_b32 vcc_lo, exec_lo, s3
	s_mov_b32 s3, -1
	s_cbranch_vccnz .LBB280_3
; %bb.1:
	s_cmp_lg_u64 s[8:9], 0
	s_cbranch_scc0 .LBB280_41
; %bb.2:
	v_cmp_neq_f64_e64 s3, s[10:11], 0
	v_cmp_neq_f64_e64 s4, s[12:13], 0
	s_or_b32 s3, s3, s4
.LBB280_3:
	s_delay_alu instid0(SALU_CYCLE_1)
	s_and_b32 vcc_lo, exec_lo, s3
	s_cbranch_vccz .LBB280_42
; %bb.4:
	s_load_b32 s33, s[0:1], 0x78
	s_lshr_b32 s34, ttmp7, 16
	s_wait_kmcnt 0x0
	s_cmp_ge_u32 s34, s33
	s_cbranch_scc1 .LBB280_42
; %bb.5:
	v_dual_mov_b32 v1, 0 :: v_dual_and_b32 v6, 0x3ff, v0
	v_bfe_u32 v7, v0, 10, 10
	s_clause 0x1
	s_load_b128 s[4:7], s[0:1], 0x68
	s_load_b32 s37, s[0:1], 0x0
	v_and_b32_e32 v30, 7, v0
	v_cmp_neq_f64_e64 s40, s[26:27], 0
	s_lshl_b32 s38, ttmp9, 5
	v_lshl_add_u32 v0, v7, 4, v6
	s_lshl_b32 s0, ttmp7, 5
	v_lshlrev_b32_e32 v5, 4, v30
	v_cmp_neq_f64_e64 s3, s[10:11], 0
	v_cmp_neq_f64_e64 s35, s[12:13], 0
	v_and_b32_e32 v3, 31, v0
	v_lshrrev_b32_e32 v4, 3, v0
	s_and_b32 s0, s0, 0x1fffe0
	v_lshrrev_b32_e32 v31, 5, v0
	v_add_nc_u32_e32 v11, s0, v7
	v_or_b32_e32 v2, s38, v3
	v_lshlrev_b32_e32 v8, 4, v3
	v_add_nc_u32_e32 v0, s0, v4
	v_lshl_or_b32 v4, v4, 7, v5
	v_add_nc_u32_e32 v12, 16, v11
	v_ashrrev_i32_e32 v3, 31, v2
	s_wait_kmcnt 0x0
	v_cmp_gt_i32_e64 s0, s37, v2
	v_cmp_le_i32_e64 s36, s37, v2
	v_add_nc_u32_e32 v33, 0x1000, v4
	v_mad_co_u64_u32 v[4:5], null, s4, v11, 0
	v_lshlrev_b64_e32 v[2:3], 4, v[2:3]
	v_cmp_gt_i32_e32 vcc_lo, s37, v0
	v_lshlrev_b32_e32 v0, 4, v0
	v_lshl_or_b32 v32, v31, 9, v8
	v_lshl_add_u32 v39, v7, 7, 0x1000
	v_lshlrev_b32_e32 v38, 4, v6
	v_add_co_u32 v34, s1, s14, v2
	s_wait_alu 0xf1ff
	v_add_co_ci_u32_e64 v35, null, s15, v3, s1
	v_mad_co_u64_u32 v[2:3], null, s4, v12, 0
	v_add_co_u32 v36, s1, s20, v0
	v_mov_b32_e32 v0, v5
	v_add_nc_u32_e32 v6, s38, v6
	s_wait_alu 0xf1ff
	v_add_co_ci_u32_e64 v37, null, s21, 0, s1
	s_xor_b32 s1, s2, -1
	v_mad_co_u64_u32 v[7:8], null, s5, v11, v[0:1]
	v_mov_b32_e32 v0, v3
	s_wait_alu 0xfffe
	s_or_b32 s14, s40, s1
	v_cmp_le_i32_e64 s1, v11, v6
	v_cmp_gt_i32_e64 s2, s37, v6
	v_add_nc_u32_e32 v8, 16, v6
	v_mad_co_u64_u32 v[9:10], null, s5, v12, v[0:1]
	v_mov_b32_e32 v5, v7
	s_delay_alu instid0(VALU_DEP_4)
	s_and_b32 s5, s1, s2
	v_cmp_gt_i64_e64 s39, s[8:9], 0
	s_or_b32 s35, s3, s35
	v_cmp_le_i32_e64 s3, v11, v8
	v_cmp_gt_i32_e64 s4, s37, v8
	v_mov_b32_e32 v3, v9
	v_cmp_le_i32_e64 s1, v12, v6
	v_lshlrev_b64_e32 v[10:11], 4, v[4:5]
	v_ashrrev_i32_e32 v7, 31, v6
	v_ashrrev_i32_e32 v9, 31, v8
	s_and_b32 s15, s3, s4
	s_and_b32 s20, s1, s2
	v_cmp_le_i32_e64 s1, v12, v8
	v_lshlrev_b64_e32 v[12:13], 4, v[2:3]
	s_and_b32 s21, s35, s39
	s_mov_b32 s35, 0
                                        ; implicit-def: $vgpr14_vgpr15
	s_and_b32 s1, s1, s4
	s_xor_b32 s4, vcc_lo, -1
	s_branch .LBB280_7
.LBB280_6:                              ;   in Loop: Header=BB280_7 Depth=1
	s_wait_alu 0xfffe
	s_or_b32 exec_lo, exec_lo, s2
	s_add_co_i32 s34, s34, 0x10000
	s_delay_alu instid0(SALU_CYCLE_1)
	s_cmp_lt_u32 s34, s33
	s_cbranch_scc0 .LBB280_42
.LBB280_7:                              ; =>This Loop Header: Depth=1
                                        ;     Child Loop BB280_10 Depth 2
	v_mov_b32_e32 v4, 0
	v_mov_b32_e32 v5, 0
	s_wait_alu 0xfffe
	s_and_not1_b32 vcc_lo, exec_lo, s21
	s_wait_alu 0xfffe
	s_cbranch_vccnz .LBB280_20
; %bb.8:                                ;   in Loop: Header=BB280_7 Depth=1
	s_mul_u64 s[2:3], s[18:19], s[34:35]
	s_mul_u64 s[38:39], s[24:25], s[34:35]
	s_wait_alu 0xfffe
	s_lshl_b64 s[2:3], s[2:3], 4
	v_mov_b32_e32 v16, 0
	s_wait_alu 0xfffe
	v_add_co_u32 v40, vcc_lo, v34, s2
	s_wait_alu 0xfffd
	v_add_co_ci_u32_e64 v41, null, s3, v35, vcc_lo
	s_lshl_b64 s[2:3], s[38:39], 4
	v_mov_b32_e32 v22, 0
	v_mov_b32_e32 v26, 0
	;; [unrolled: 1-line block ×3, first 2 shown]
	s_wait_alu 0xfffe
	v_add_co_u32 v42, vcc_lo, v36, s2
	v_dual_mov_b32 v17, 0 :: v_dual_mov_b32 v18, 0
	v_dual_mov_b32 v23, 0 :: v_dual_mov_b32 v20, 0
	;; [unrolled: 1-line block ×4, first 2 shown]
	v_mov_b32_e32 v19, 0
	v_mov_b32_e32 v21, 0
	;; [unrolled: 1-line block ×4, first 2 shown]
	s_wait_alu 0xfffd
	v_add_co_ci_u32_e64 v43, null, s3, v37, vcc_lo
	s_mov_b64 s[2:3], 0
	s_branch .LBB280_10
.LBB280_9:                              ;   in Loop: Header=BB280_10 Depth=2
	s_wait_alu 0xfffe
	s_or_b32 exec_lo, exec_lo, s37
	s_wait_dscnt 0x0
	s_barrier_signal -1
	s_barrier_wait -1
	global_inv scope:SCOPE_SE
	ds_load_b128 v[44:47], v39
	ds_load_b128 v[48:51], v39 offset:16
	ds_load_b128 v[52:55], v39 offset:32
	;; [unrolled: 1-line block ×3, first 2 shown]
	ds_load_b128 v[60:63], v38
	s_add_nc_u64 s[2:3], s[2:3], 8
	s_wait_alu 0xfffe
	v_cmp_gt_i64_e64 s37, s[8:9], s[2:3]
	s_and_b32 vcc_lo, exec_lo, s37
	s_wait_dscnt 0x0
	v_mul_f64_e32 v[2:3], v[46:47], v[62:63]
	v_mul_f64_e32 v[64:65], v[44:45], v[62:63]
	s_delay_alu instid0(VALU_DEP_2) | instskip(NEXT) | instid1(VALU_DEP_2)
	v_fma_f64 v[2:3], v[44:45], v[60:61], -v[2:3]
	v_fma_f64 v[64:65], v[46:47], v[60:61], v[64:65]
	s_delay_alu instid0(VALU_DEP_2) | instskip(SKIP_4) | instid1(VALU_DEP_1)
	v_add_f64_e32 v[66:67], v[4:5], v[2:3]
	ds_load_b128 v[2:5], v38 offset:256
	v_add_f64_e32 v[28:29], v[64:65], v[28:29]
	s_wait_dscnt 0x0
	v_mul_f64_e32 v[64:65], v[46:47], v[4:5]
	v_fma_f64 v[64:65], v[44:45], v[2:3], -v[64:65]
	v_mul_f64_e32 v[44:45], v[44:45], v[4:5]
	s_delay_alu instid0(VALU_DEP_1) | instskip(NEXT) | instid1(VALU_DEP_3)
	v_fma_f64 v[44:45], v[46:47], v[2:3], v[44:45]
	v_add_f64_e32 v[46:47], v[24:25], v[64:65]
	s_delay_alu instid0(VALU_DEP_2) | instskip(SKIP_4) | instid1(VALU_DEP_2)
	v_add_f64_e32 v[44:45], v[44:45], v[26:27]
	ds_load_b128 v[24:27], v39 offset:2048
	s_wait_dscnt 0x0
	v_mul_f64_e32 v[64:65], v[26:27], v[62:63]
	v_mul_f64_e32 v[62:63], v[24:25], v[62:63]
	v_fma_f64 v[64:65], v[24:25], v[60:61], -v[64:65]
	s_delay_alu instid0(VALU_DEP_2) | instskip(NEXT) | instid1(VALU_DEP_2)
	v_fma_f64 v[60:61], v[26:27], v[60:61], v[62:63]
	v_add_f64_e32 v[62:63], v[20:21], v[64:65]
	v_mul_f64_e32 v[20:21], v[26:27], v[4:5]
	v_mul_f64_e32 v[4:5], v[24:25], v[4:5]
	s_delay_alu instid0(VALU_DEP_4) | instskip(NEXT) | instid1(VALU_DEP_3)
	v_add_f64_e32 v[60:61], v[60:61], v[22:23]
	v_fma_f64 v[20:21], v[24:25], v[2:3], -v[20:21]
	s_delay_alu instid0(VALU_DEP_3) | instskip(NEXT) | instid1(VALU_DEP_2)
	v_fma_f64 v[2:3], v[26:27], v[2:3], v[4:5]
	v_add_f64_e32 v[24:25], v[18:19], v[20:21]
	s_delay_alu instid0(VALU_DEP_2) | instskip(SKIP_4) | instid1(VALU_DEP_2)
	v_add_f64_e32 v[26:27], v[2:3], v[16:17]
	ds_load_b128 v[2:5], v38 offset:512
	s_wait_dscnt 0x0
	v_mul_f64_e32 v[16:17], v[50:51], v[4:5]
	v_mul_f64_e32 v[18:19], v[48:49], v[4:5]
	v_fma_f64 v[16:17], v[48:49], v[2:3], -v[16:17]
	s_delay_alu instid0(VALU_DEP_2) | instskip(NEXT) | instid1(VALU_DEP_2)
	v_fma_f64 v[18:19], v[50:51], v[2:3], v[18:19]
	v_add_f64_e32 v[64:65], v[66:67], v[16:17]
	s_delay_alu instid0(VALU_DEP_2) | instskip(SKIP_4) | instid1(VALU_DEP_2)
	v_add_f64_e32 v[28:29], v[18:19], v[28:29]
	ds_load_b128 v[16:19], v38 offset:768
	s_wait_dscnt 0x0
	v_mul_f64_e32 v[20:21], v[50:51], v[18:19]
	v_mul_f64_e32 v[22:23], v[48:49], v[18:19]
	v_fma_f64 v[20:21], v[48:49], v[16:17], -v[20:21]
	s_delay_alu instid0(VALU_DEP_2) | instskip(NEXT) | instid1(VALU_DEP_2)
	v_fma_f64 v[22:23], v[50:51], v[16:17], v[22:23]
	v_add_f64_e32 v[46:47], v[46:47], v[20:21]
	s_delay_alu instid0(VALU_DEP_2) | instskip(SKIP_4) | instid1(VALU_DEP_2)
	v_add_f64_e32 v[44:45], v[22:23], v[44:45]
	ds_load_b128 v[20:23], v39 offset:2064
	s_wait_dscnt 0x0
	v_mul_f64_e32 v[48:49], v[22:23], v[4:5]
	v_mul_f64_e32 v[4:5], v[20:21], v[4:5]
	v_fma_f64 v[48:49], v[20:21], v[2:3], -v[48:49]
	s_delay_alu instid0(VALU_DEP_2) | instskip(SKIP_1) | instid1(VALU_DEP_3)
	v_fma_f64 v[2:3], v[22:23], v[2:3], v[4:5]
	v_mul_f64_e32 v[4:5], v[20:21], v[18:19]
	v_add_f64_e32 v[48:49], v[62:63], v[48:49]
	s_delay_alu instid0(VALU_DEP_3) | instskip(SKIP_1) | instid1(VALU_DEP_4)
	v_add_f64_e32 v[50:51], v[2:3], v[60:61]
	v_mul_f64_e32 v[2:3], v[22:23], v[18:19]
	v_fma_f64 v[4:5], v[22:23], v[16:17], v[4:5]
	s_delay_alu instid0(VALU_DEP_2) | instskip(NEXT) | instid1(VALU_DEP_2)
	v_fma_f64 v[2:3], v[20:21], v[16:17], -v[2:3]
	v_add_f64_e32 v[26:27], v[4:5], v[26:27]
	s_delay_alu instid0(VALU_DEP_2) | instskip(SKIP_4) | instid1(VALU_DEP_2)
	v_add_f64_e32 v[24:25], v[24:25], v[2:3]
	ds_load_b128 v[2:5], v38 offset:1024
	s_wait_dscnt 0x0
	v_mul_f64_e32 v[16:17], v[54:55], v[4:5]
	v_mul_f64_e32 v[18:19], v[52:53], v[4:5]
	v_fma_f64 v[16:17], v[52:53], v[2:3], -v[16:17]
	s_delay_alu instid0(VALU_DEP_2) | instskip(NEXT) | instid1(VALU_DEP_2)
	v_fma_f64 v[18:19], v[54:55], v[2:3], v[18:19]
	v_add_f64_e32 v[60:61], v[64:65], v[16:17]
	s_delay_alu instid0(VALU_DEP_2) | instskip(SKIP_4) | instid1(VALU_DEP_2)
	v_add_f64_e32 v[28:29], v[18:19], v[28:29]
	ds_load_b128 v[16:19], v38 offset:1280
	s_wait_dscnt 0x0
	v_mul_f64_e32 v[20:21], v[54:55], v[18:19]
	v_mul_f64_e32 v[22:23], v[52:53], v[18:19]
	v_fma_f64 v[20:21], v[52:53], v[16:17], -v[20:21]
	s_delay_alu instid0(VALU_DEP_2) | instskip(NEXT) | instid1(VALU_DEP_2)
	v_fma_f64 v[22:23], v[54:55], v[16:17], v[22:23]
	v_add_f64_e32 v[46:47], v[46:47], v[20:21]
	s_delay_alu instid0(VALU_DEP_2) | instskip(SKIP_4) | instid1(VALU_DEP_2)
	v_add_f64_e32 v[44:45], v[22:23], v[44:45]
	ds_load_b128 v[20:23], v39 offset:2080
	s_wait_dscnt 0x0
	v_mul_f64_e32 v[52:53], v[22:23], v[4:5]
	v_mul_f64_e32 v[4:5], v[20:21], v[4:5]
	v_fma_f64 v[52:53], v[20:21], v[2:3], -v[52:53]
	s_delay_alu instid0(VALU_DEP_2) | instskip(SKIP_1) | instid1(VALU_DEP_3)
	v_fma_f64 v[2:3], v[22:23], v[2:3], v[4:5]
	v_mul_f64_e32 v[4:5], v[20:21], v[18:19]
	v_add_f64_e32 v[48:49], v[48:49], v[52:53]
	s_delay_alu instid0(VALU_DEP_3) | instskip(SKIP_1) | instid1(VALU_DEP_4)
	v_add_f64_e32 v[50:51], v[2:3], v[50:51]
	v_mul_f64_e32 v[2:3], v[22:23], v[18:19]
	v_fma_f64 v[4:5], v[22:23], v[16:17], v[4:5]
	s_delay_alu instid0(VALU_DEP_2) | instskip(NEXT) | instid1(VALU_DEP_2)
	v_fma_f64 v[2:3], v[20:21], v[16:17], -v[2:3]
	;; [unrolled: 38-line block ×3, first 2 shown]
	v_add_f64_e32 v[26:27], v[4:5], v[26:27]
	s_delay_alu instid0(VALU_DEP_2)
	v_add_f64_e32 v[24:25], v[24:25], v[2:3]
	ds_load_b128 v[2:5], v39 offset:64
	ds_load_b128 v[16:19], v38 offset:2048
	s_wait_dscnt 0x0
	v_mul_f64_e32 v[20:21], v[4:5], v[18:19]
	v_mul_f64_e32 v[22:23], v[2:3], v[18:19]
	s_delay_alu instid0(VALU_DEP_2) | instskip(NEXT) | instid1(VALU_DEP_2)
	v_fma_f64 v[20:21], v[2:3], v[16:17], -v[20:21]
	v_fma_f64 v[22:23], v[4:5], v[16:17], v[22:23]
	s_delay_alu instid0(VALU_DEP_2) | instskip(NEXT) | instid1(VALU_DEP_2)
	v_add_f64_e32 v[52:53], v[52:53], v[20:21]
	v_add_f64_e32 v[28:29], v[22:23], v[28:29]
	ds_load_b128 v[20:23], v38 offset:2304
	s_wait_dscnt 0x0
	v_mul_f64_e32 v[54:55], v[4:5], v[22:23]
	s_delay_alu instid0(VALU_DEP_1) | instskip(SKIP_1) | instid1(VALU_DEP_2)
	v_fma_f64 v[54:55], v[2:3], v[20:21], -v[54:55]
	v_mul_f64_e32 v[2:3], v[2:3], v[22:23]
	v_add_f64_e32 v[46:47], v[46:47], v[54:55]
	s_delay_alu instid0(VALU_DEP_2) | instskip(NEXT) | instid1(VALU_DEP_1)
	v_fma_f64 v[2:3], v[4:5], v[20:21], v[2:3]
	v_add_f64_e32 v[44:45], v[2:3], v[44:45]
	ds_load_b128 v[2:5], v39 offset:2112
	s_wait_dscnt 0x0
	v_mul_f64_e32 v[54:55], v[4:5], v[18:19]
	v_mul_f64_e32 v[18:19], v[2:3], v[18:19]
	s_delay_alu instid0(VALU_DEP_2) | instskip(NEXT) | instid1(VALU_DEP_2)
	v_fma_f64 v[54:55], v[2:3], v[16:17], -v[54:55]
	v_fma_f64 v[16:17], v[4:5], v[16:17], v[18:19]
	s_delay_alu instid0(VALU_DEP_2) | instskip(NEXT) | instid1(VALU_DEP_2)
	v_add_f64_e32 v[48:49], v[48:49], v[54:55]
	v_add_f64_e32 v[50:51], v[16:17], v[50:51]
	v_mul_f64_e32 v[16:17], v[4:5], v[22:23]
	s_delay_alu instid0(VALU_DEP_1) | instskip(SKIP_1) | instid1(VALU_DEP_2)
	v_fma_f64 v[16:17], v[2:3], v[20:21], -v[16:17]
	v_mul_f64_e32 v[2:3], v[2:3], v[22:23]
	v_add_f64_e32 v[24:25], v[24:25], v[16:17]
	s_delay_alu instid0(VALU_DEP_2) | instskip(NEXT) | instid1(VALU_DEP_1)
	v_fma_f64 v[2:3], v[4:5], v[20:21], v[2:3]
	v_add_f64_e32 v[26:27], v[2:3], v[26:27]
	ds_load_b128 v[2:5], v39 offset:80
	ds_load_b128 v[16:19], v38 offset:2560
	s_wait_dscnt 0x0
	v_mul_f64_e32 v[20:21], v[4:5], v[18:19]
	v_mul_f64_e32 v[22:23], v[2:3], v[18:19]
	s_delay_alu instid0(VALU_DEP_2) | instskip(NEXT) | instid1(VALU_DEP_2)
	v_fma_f64 v[20:21], v[2:3], v[16:17], -v[20:21]
	v_fma_f64 v[22:23], v[4:5], v[16:17], v[22:23]
	s_delay_alu instid0(VALU_DEP_2) | instskip(NEXT) | instid1(VALU_DEP_2)
	v_add_f64_e32 v[52:53], v[52:53], v[20:21]
	v_add_f64_e32 v[28:29], v[22:23], v[28:29]
	ds_load_b128 v[20:23], v38 offset:2816
	s_wait_dscnt 0x0
	v_mul_f64_e32 v[54:55], v[4:5], v[22:23]
	s_delay_alu instid0(VALU_DEP_1) | instskip(SKIP_1) | instid1(VALU_DEP_2)
	v_fma_f64 v[54:55], v[2:3], v[20:21], -v[54:55]
	v_mul_f64_e32 v[2:3], v[2:3], v[22:23]
	v_add_f64_e32 v[46:47], v[46:47], v[54:55]
	s_delay_alu instid0(VALU_DEP_2) | instskip(NEXT) | instid1(VALU_DEP_1)
	v_fma_f64 v[2:3], v[4:5], v[20:21], v[2:3]
	v_add_f64_e32 v[44:45], v[2:3], v[44:45]
	ds_load_b128 v[2:5], v39 offset:2128
	s_wait_dscnt 0x0
	v_mul_f64_e32 v[54:55], v[4:5], v[18:19]
	v_mul_f64_e32 v[18:19], v[2:3], v[18:19]
	s_delay_alu instid0(VALU_DEP_2) | instskip(NEXT) | instid1(VALU_DEP_2)
	v_fma_f64 v[54:55], v[2:3], v[16:17], -v[54:55]
	v_fma_f64 v[16:17], v[4:5], v[16:17], v[18:19]
	s_delay_alu instid0(VALU_DEP_2) | instskip(NEXT) | instid1(VALU_DEP_2)
	v_add_f64_e32 v[48:49], v[48:49], v[54:55]
	v_add_f64_e32 v[50:51], v[16:17], v[50:51]
	v_mul_f64_e32 v[16:17], v[4:5], v[22:23]
	s_delay_alu instid0(VALU_DEP_1) | instskip(SKIP_1) | instid1(VALU_DEP_2)
	v_fma_f64 v[16:17], v[2:3], v[20:21], -v[16:17]
	v_mul_f64_e32 v[2:3], v[2:3], v[22:23]
	v_add_f64_e32 v[24:25], v[24:25], v[16:17]
	s_delay_alu instid0(VALU_DEP_2) | instskip(NEXT) | instid1(VALU_DEP_1)
	v_fma_f64 v[2:3], v[4:5], v[20:21], v[2:3]
	v_add_f64_e32 v[26:27], v[2:3], v[26:27]
	ds_load_b128 v[2:5], v39 offset:96
	ds_load_b128 v[16:19], v38 offset:3072
	s_wait_dscnt 0x0
	v_mul_f64_e32 v[20:21], v[4:5], v[18:19]
	v_mul_f64_e32 v[22:23], v[2:3], v[18:19]
	s_delay_alu instid0(VALU_DEP_2) | instskip(NEXT) | instid1(VALU_DEP_2)
	v_fma_f64 v[20:21], v[2:3], v[16:17], -v[20:21]
	v_fma_f64 v[22:23], v[4:5], v[16:17], v[22:23]
	s_delay_alu instid0(VALU_DEP_2) | instskip(NEXT) | instid1(VALU_DEP_2)
	v_add_f64_e32 v[52:53], v[52:53], v[20:21]
	v_add_f64_e32 v[28:29], v[22:23], v[28:29]
	ds_load_b128 v[20:23], v38 offset:3328
	s_wait_dscnt 0x0
	v_mul_f64_e32 v[54:55], v[4:5], v[22:23]
	s_delay_alu instid0(VALU_DEP_1) | instskip(SKIP_1) | instid1(VALU_DEP_2)
	v_fma_f64 v[54:55], v[2:3], v[20:21], -v[54:55]
	v_mul_f64_e32 v[2:3], v[2:3], v[22:23]
	v_add_f64_e32 v[54:55], v[46:47], v[54:55]
	s_delay_alu instid0(VALU_DEP_2) | instskip(NEXT) | instid1(VALU_DEP_1)
	v_fma_f64 v[2:3], v[4:5], v[20:21], v[2:3]
	v_add_f64_e32 v[56:57], v[2:3], v[44:45]
	ds_load_b128 v[2:5], v39 offset:2144
	s_wait_dscnt 0x0
	v_mul_f64_e32 v[44:45], v[4:5], v[18:19]
	v_mul_f64_e32 v[18:19], v[2:3], v[18:19]
	s_delay_alu instid0(VALU_DEP_2) | instskip(NEXT) | instid1(VALU_DEP_2)
	v_fma_f64 v[44:45], v[2:3], v[16:17], -v[44:45]
	v_fma_f64 v[16:17], v[4:5], v[16:17], v[18:19]
	s_delay_alu instid0(VALU_DEP_2) | instskip(NEXT) | instid1(VALU_DEP_2)
	v_add_f64_e32 v[48:49], v[48:49], v[44:45]
	v_add_f64_e32 v[50:51], v[16:17], v[50:51]
	v_mul_f64_e32 v[16:17], v[4:5], v[22:23]
	s_delay_alu instid0(VALU_DEP_1) | instskip(SKIP_1) | instid1(VALU_DEP_2)
	v_fma_f64 v[16:17], v[2:3], v[20:21], -v[16:17]
	v_mul_f64_e32 v[2:3], v[2:3], v[22:23]
	v_add_f64_e32 v[58:59], v[24:25], v[16:17]
	s_delay_alu instid0(VALU_DEP_2)
	v_fma_f64 v[2:3], v[4:5], v[20:21], v[2:3]
	ds_load_b128 v[16:19], v39 offset:112
	ds_load_b128 v[20:23], v38 offset:3584
	;; [unrolled: 1-line block ×3, first 2 shown]
	s_wait_dscnt 0x1
	v_mul_f64_e32 v[24:25], v[16:17], v[22:23]
	v_mul_f64_e32 v[4:5], v[18:19], v[22:23]
	v_add_f64_e32 v[2:3], v[2:3], v[26:27]
	s_delay_alu instid0(VALU_DEP_3) | instskip(NEXT) | instid1(VALU_DEP_3)
	v_fma_f64 v[24:25], v[18:19], v[20:21], v[24:25]
	v_fma_f64 v[4:5], v[16:17], v[20:21], -v[4:5]
	s_delay_alu instid0(VALU_DEP_2) | instskip(SKIP_2) | instid1(VALU_DEP_3)
	v_add_f64_e32 v[28:29], v[24:25], v[28:29]
	s_wait_dscnt 0x0
	v_mul_f64_e32 v[24:25], v[18:19], v[46:47]
	v_add_f64_e32 v[4:5], v[52:53], v[4:5]
	s_delay_alu instid0(VALU_DEP_2) | instskip(SKIP_1) | instid1(VALU_DEP_2)
	v_fma_f64 v[24:25], v[16:17], v[44:45], -v[24:25]
	v_mul_f64_e32 v[16:17], v[16:17], v[46:47]
	v_add_f64_e32 v[24:25], v[54:55], v[24:25]
	s_delay_alu instid0(VALU_DEP_2) | instskip(NEXT) | instid1(VALU_DEP_1)
	v_fma_f64 v[16:17], v[18:19], v[44:45], v[16:17]
	v_add_f64_e32 v[26:27], v[16:17], v[56:57]
	ds_load_b128 v[16:19], v39 offset:2160
	s_wait_loadcnt_dscnt 0x0
	s_barrier_signal -1
	s_barrier_wait -1
	global_inv scope:SCOPE_SE
	v_mul_f64_e32 v[52:53], v[18:19], v[22:23]
	v_mul_f64_e32 v[22:23], v[16:17], v[22:23]
	s_delay_alu instid0(VALU_DEP_2) | instskip(NEXT) | instid1(VALU_DEP_2)
	v_fma_f64 v[52:53], v[16:17], v[20:21], -v[52:53]
	v_fma_f64 v[22:23], v[18:19], v[20:21], v[22:23]
	s_delay_alu instid0(VALU_DEP_2) | instskip(SKIP_1) | instid1(VALU_DEP_3)
	v_add_f64_e32 v[20:21], v[48:49], v[52:53]
	v_mul_f64_e32 v[48:49], v[18:19], v[46:47]
	v_add_f64_e32 v[22:23], v[22:23], v[50:51]
	s_delay_alu instid0(VALU_DEP_2) | instskip(SKIP_1) | instid1(VALU_DEP_1)
	v_fma_f64 v[48:49], v[16:17], v[44:45], -v[48:49]
	v_mul_f64_e32 v[16:17], v[16:17], v[46:47]
	v_fma_f64 v[16:17], v[18:19], v[44:45], v[16:17]
	s_delay_alu instid0(VALU_DEP_3) | instskip(NEXT) | instid1(VALU_DEP_2)
	v_add_f64_e32 v[18:19], v[58:59], v[48:49]
	v_add_f64_e32 v[16:17], v[16:17], v[2:3]
	s_wait_alu 0xfffe
	s_cbranch_vccz .LBB280_21
.LBB280_10:                             ;   Parent Loop BB280_7 Depth=1
                                        ; =>  This Inner Loop Header: Depth=2
	s_mov_b32 s37, 0
	s_mov_b32 s39, s36
	s_and_saveexec_b32 s38, s0
	s_cbranch_execnz .LBB280_18
; %bb.11:                               ;   in Loop: Header=BB280_10 Depth=2
	s_wait_alu 0xfffe
	s_or_b32 exec_lo, exec_lo, s38
	s_and_saveexec_b32 s38, s39
	s_wait_alu 0xfffe
	s_xor_b32 s38, exec_lo, s38
	s_cbranch_execnz .LBB280_19
.LBB280_12:                             ;   in Loop: Header=BB280_10 Depth=2
	s_wait_alu 0xfffe
	s_or_b32 exec_lo, exec_lo, s38
	s_and_saveexec_b32 s38, s37
	s_cbranch_execz .LBB280_14
.LBB280_13:                             ;   in Loop: Header=BB280_10 Depth=2
	v_mul_lo_u32 v0, s17, v14
	v_mul_lo_u32 v44, s16, v15
	v_mad_co_u64_u32 v[2:3], null, s16, v14, 0
	s_delay_alu instid0(VALU_DEP_1) | instskip(NEXT) | instid1(VALU_DEP_1)
	v_add3_u32 v3, v3, v44, v0
	v_lshlrev_b64_e32 v[2:3], 4, v[2:3]
	s_delay_alu instid0(VALU_DEP_1) | instskip(SKIP_1) | instid1(VALU_DEP_2)
	v_add_co_u32 v2, vcc_lo, v40, v2
	s_wait_alu 0xfffd
	v_add_co_ci_u32_e64 v3, null, v41, v3, vcc_lo
	global_load_b128 v[44:47], v[2:3], off
	s_wait_loadcnt 0x0
	ds_store_2addr_b64 v32, v[44:45], v[46:47] offset1:1
.LBB280_14:                             ;   in Loop: Header=BB280_10 Depth=2
	s_wait_alu 0xfffe
	s_or_b32 exec_lo, exec_lo, s38
	v_add_nc_u32_e32 v0, s2, v30
	s_delay_alu instid0(VALU_DEP_1)
	v_cmp_le_u64_e32 vcc_lo, s[8:9], v[0:1]
	s_or_b32 s37, vcc_lo, s4
	s_wait_alu 0xfffe
	s_and_saveexec_b32 s38, s37
	s_wait_alu 0xfffe
	s_xor_b32 s37, exec_lo, s38
; %bb.15:                               ;   in Loop: Header=BB280_10 Depth=2
	v_dual_mov_b32 v0, v1 :: v_dual_mov_b32 v3, v1
	v_mov_b32_e32 v2, v1
	ds_store_b128 v33, v[0:3]
; %bb.16:                               ;   in Loop: Header=BB280_10 Depth=2
	s_wait_alu 0xfffe
	s_and_not1_saveexec_b32 s37, s37
	s_cbranch_execz .LBB280_9
; %bb.17:                               ;   in Loop: Header=BB280_10 Depth=2
	v_mad_co_u64_u32 v[2:3], null, s22, v0, 0
	s_delay_alu instid0(VALU_DEP_1) | instskip(NEXT) | instid1(VALU_DEP_1)
	v_mad_co_u64_u32 v[44:45], null, s23, v0, v[3:4]
	v_mov_b32_e32 v3, v44
	s_delay_alu instid0(VALU_DEP_1) | instskip(NEXT) | instid1(VALU_DEP_1)
	v_lshlrev_b64_e32 v[2:3], 4, v[2:3]
	v_add_co_u32 v2, vcc_lo, v42, v2
	s_wait_alu 0xfffd
	s_delay_alu instid0(VALU_DEP_2)
	v_add_co_ci_u32_e64 v3, null, v43, v3, vcc_lo
	global_load_b128 v[44:47], v[2:3], off
	s_wait_loadcnt 0x0
	ds_store_2addr_b64 v33, v[44:45], v[46:47] offset1:1
	s_branch .LBB280_9
.LBB280_18:                             ;   in Loop: Header=BB280_10 Depth=2
	s_wait_alu 0xfffe
	v_add_nc_u32_e32 v0, s2, v31
	v_mov_b32_e32 v15, v1
	s_and_not1_b32 s39, s36, exec_lo
	s_mov_b32 s37, exec_lo
	s_delay_alu instid0(VALU_DEP_2)
	v_cmp_le_u64_e32 vcc_lo, s[8:9], v[0:1]
	v_mov_b32_e32 v14, v0
	s_and_b32 s40, vcc_lo, exec_lo
	s_wait_alu 0xfffe
	s_or_b32 s39, s39, s40
	s_or_b32 exec_lo, exec_lo, s38
	s_wait_alu 0xfffe
	s_and_saveexec_b32 s38, s39
	s_wait_alu 0xfffe
	s_xor_b32 s38, exec_lo, s38
	s_cbranch_execz .LBB280_12
.LBB280_19:                             ;   in Loop: Header=BB280_10 Depth=2
	v_dual_mov_b32 v0, v1 :: v_dual_mov_b32 v3, v1
	v_mov_b32_e32 v2, v1
	s_and_not1_b32 s37, s37, exec_lo
	ds_store_b128 v32, v[0:3]
	s_wait_alu 0xfffe
	s_or_b32 exec_lo, exec_lo, s38
	s_and_saveexec_b32 s38, s37
	s_cbranch_execnz .LBB280_13
	s_branch .LBB280_14
.LBB280_20:                             ;   in Loop: Header=BB280_7 Depth=1
	v_mov_b32_e32 v28, 0
	v_mov_b32_e32 v26, 0
	v_dual_mov_b32 v22, 0 :: v_dual_mov_b32 v29, 0
	v_dual_mov_b32 v24, 0 :: v_dual_mov_b32 v27, 0
	;; [unrolled: 1-line block ×3, first 2 shown]
	v_mov_b32_e32 v18, 0
	v_dual_mov_b32 v16, 0 :: v_dual_mov_b32 v25, 0
	v_mov_b32_e32 v21, 0
	v_mov_b32_e32 v19, 0
	;; [unrolled: 1-line block ×3, first 2 shown]
.LBB280_21:                             ;   in Loop: Header=BB280_7 Depth=1
	s_mul_u64 s[2:3], s[6:7], s[34:35]
	s_wait_alu 0xfffe
	s_lshl_b64 s[2:3], s[2:3], 4
	s_wait_alu 0xfffe
	s_add_nc_u64 s[2:3], s[30:31], s[2:3]
	s_wait_alu 0xfffe
	v_add_co_u32 v0, vcc_lo, s2, v10
	s_wait_alu 0xfffd
	v_add_co_ci_u32_e64 v40, null, s3, v11, vcc_lo
	s_and_saveexec_b32 s37, s5
	s_cbranch_execz .LBB280_26
; %bb.22:                               ;   in Loop: Header=BB280_7 Depth=1
	v_mul_f64_e32 v[2:3], s[12:13], v[28:29]
	v_mul_f64_e32 v[28:29], s[10:11], v[28:29]
	s_and_b32 vcc_lo, exec_lo, s14
	s_mov_b32 s38, -1
	s_delay_alu instid0(VALU_DEP_2) | instskip(NEXT) | instid1(VALU_DEP_2)
	v_fma_f64 v[2:3], s[10:11], v[4:5], -v[2:3]
	v_fma_f64 v[4:5], s[12:13], v[4:5], v[28:29]
	s_wait_alu 0xfffe
	s_cbranch_vccz .LBB280_24
; %bb.23:                               ;   in Loop: Header=BB280_7 Depth=1
	v_lshlrev_b64_e32 v[28:29], 4, v[6:7]
	s_mov_b32 s38, 0
	s_delay_alu instid0(VALU_DEP_1) | instskip(SKIP_1) | instid1(VALU_DEP_2)
	v_add_co_u32 v28, vcc_lo, v0, v28
	s_wait_alu 0xfffd
	v_add_co_ci_u32_e64 v29, null, v40, v29, vcc_lo
	global_load_b128 v[41:44], v[28:29], off
	s_wait_loadcnt 0x0
	v_mul_f64_e32 v[45:46], s[28:29], v[43:44]
	v_mul_f64_e32 v[43:44], s[26:27], v[43:44]
	s_delay_alu instid0(VALU_DEP_2) | instskip(NEXT) | instid1(VALU_DEP_2)
	v_fma_f64 v[45:46], s[26:27], v[41:42], -v[45:46]
	v_fma_f64 v[43:44], s[28:29], v[41:42], v[43:44]
	s_delay_alu instid0(VALU_DEP_2) | instskip(NEXT) | instid1(VALU_DEP_2)
	v_add_f64_e32 v[41:42], v[2:3], v[45:46]
	v_add_f64_e32 v[43:44], v[4:5], v[43:44]
	global_store_b128 v[28:29], v[41:44], off
.LBB280_24:                             ;   in Loop: Header=BB280_7 Depth=1
	s_wait_alu 0xfffe
	s_and_not1_b32 vcc_lo, exec_lo, s38
	s_wait_alu 0xfffe
	s_cbranch_vccnz .LBB280_26
; %bb.25:                               ;   in Loop: Header=BB280_7 Depth=1
	v_lshlrev_b64_e32 v[28:29], 4, v[6:7]
	s_delay_alu instid0(VALU_DEP_1) | instskip(SKIP_1) | instid1(VALU_DEP_2)
	v_add_co_u32 v28, vcc_lo, v0, v28
	s_wait_alu 0xfffd
	v_add_co_ci_u32_e64 v29, null, v40, v29, vcc_lo
	global_store_b128 v[28:29], v[2:5], off
.LBB280_26:                             ;   in Loop: Header=BB280_7 Depth=1
	s_wait_alu 0xfffe
	s_or_b32 exec_lo, exec_lo, s37
	s_and_saveexec_b32 s37, s15
	s_cbranch_execz .LBB280_31
; %bb.27:                               ;   in Loop: Header=BB280_7 Depth=1
	v_mul_f64_e32 v[2:3], s[12:13], v[26:27]
	v_mul_f64_e32 v[4:5], s[10:11], v[26:27]
	s_and_not1_b32 vcc_lo, exec_lo, s14
	s_mov_b32 s38, -1
	s_delay_alu instid0(VALU_DEP_2) | instskip(NEXT) | instid1(VALU_DEP_2)
	v_fma_f64 v[2:3], s[10:11], v[24:25], -v[2:3]
	v_fma_f64 v[4:5], s[12:13], v[24:25], v[4:5]
	s_wait_alu 0xfffe
	s_cbranch_vccnz .LBB280_29
; %bb.28:                               ;   in Loop: Header=BB280_7 Depth=1
	v_lshlrev_b64_e32 v[24:25], 4, v[8:9]
	s_mov_b32 s38, 0
	s_delay_alu instid0(VALU_DEP_1) | instskip(SKIP_1) | instid1(VALU_DEP_2)
	v_add_co_u32 v28, vcc_lo, v0, v24
	s_wait_alu 0xfffd
	v_add_co_ci_u32_e64 v29, null, v40, v25, vcc_lo
	global_load_b128 v[24:27], v[28:29], off
	s_wait_loadcnt 0x0
	v_mul_f64_e32 v[41:42], s[28:29], v[26:27]
	v_mul_f64_e32 v[26:27], s[26:27], v[26:27]
	s_delay_alu instid0(VALU_DEP_2) | instskip(NEXT) | instid1(VALU_DEP_2)
	v_fma_f64 v[41:42], s[26:27], v[24:25], -v[41:42]
	v_fma_f64 v[26:27], s[28:29], v[24:25], v[26:27]
	s_delay_alu instid0(VALU_DEP_2) | instskip(NEXT) | instid1(VALU_DEP_2)
	v_add_f64_e32 v[24:25], v[2:3], v[41:42]
	v_add_f64_e32 v[26:27], v[4:5], v[26:27]
	global_store_b128 v[28:29], v[24:27], off
.LBB280_29:                             ;   in Loop: Header=BB280_7 Depth=1
	s_wait_alu 0xfffe
	s_and_not1_b32 vcc_lo, exec_lo, s38
	s_wait_alu 0xfffe
	s_cbranch_vccnz .LBB280_31
; %bb.30:                               ;   in Loop: Header=BB280_7 Depth=1
	v_lshlrev_b64_e32 v[24:25], 4, v[8:9]
	s_delay_alu instid0(VALU_DEP_1) | instskip(SKIP_1) | instid1(VALU_DEP_2)
	v_add_co_u32 v24, vcc_lo, v0, v24
	s_wait_alu 0xfffd
	v_add_co_ci_u32_e64 v25, null, v40, v25, vcc_lo
	global_store_b128 v[24:25], v[2:5], off
.LBB280_31:                             ;   in Loop: Header=BB280_7 Depth=1
	s_wait_alu 0xfffe
	s_or_b32 exec_lo, exec_lo, s37
	v_add_co_u32 v0, vcc_lo, s2, v12
	s_wait_alu 0xfffd
	v_add_co_ci_u32_e64 v24, null, s3, v13, vcc_lo
	s_and_saveexec_b32 s2, s20
	s_cbranch_execz .LBB280_36
; %bb.32:                               ;   in Loop: Header=BB280_7 Depth=1
	v_mul_f64_e32 v[2:3], s[12:13], v[22:23]
	v_mul_f64_e32 v[4:5], s[10:11], v[22:23]
	s_and_not1_b32 vcc_lo, exec_lo, s14
	s_mov_b32 s3, -1
	s_delay_alu instid0(VALU_DEP_2) | instskip(NEXT) | instid1(VALU_DEP_2)
	v_fma_f64 v[2:3], s[10:11], v[20:21], -v[2:3]
	v_fma_f64 v[4:5], s[12:13], v[20:21], v[4:5]
	v_lshlrev_b64_e32 v[20:21], 4, v[6:7]
	s_wait_alu 0xfffe
	s_cbranch_vccnz .LBB280_34
; %bb.33:                               ;   in Loop: Header=BB280_7 Depth=1
	s_delay_alu instid0(VALU_DEP_1) | instskip(SKIP_1) | instid1(VALU_DEP_2)
	v_add_co_u32 v22, vcc_lo, v0, v20
	s_wait_alu 0xfffd
	v_add_co_ci_u32_e64 v23, null, v24, v21, vcc_lo
	s_mov_b32 s3, 0
	global_load_b128 v[25:28], v[22:23], off
	s_wait_loadcnt 0x0
	v_mul_f64_e32 v[40:41], s[28:29], v[27:28]
	v_mul_f64_e32 v[27:28], s[26:27], v[27:28]
	s_delay_alu instid0(VALU_DEP_2) | instskip(NEXT) | instid1(VALU_DEP_2)
	v_fma_f64 v[40:41], s[26:27], v[25:26], -v[40:41]
	v_fma_f64 v[27:28], s[28:29], v[25:26], v[27:28]
	s_delay_alu instid0(VALU_DEP_2) | instskip(NEXT) | instid1(VALU_DEP_2)
	v_add_f64_e32 v[25:26], v[2:3], v[40:41]
	v_add_f64_e32 v[27:28], v[4:5], v[27:28]
	global_store_b128 v[22:23], v[25:28], off
.LBB280_34:                             ;   in Loop: Header=BB280_7 Depth=1
	s_wait_alu 0xfffe
	s_and_not1_b32 vcc_lo, exec_lo, s3
	s_wait_alu 0xfffe
	s_cbranch_vccnz .LBB280_36
; %bb.35:                               ;   in Loop: Header=BB280_7 Depth=1
	v_add_co_u32 v20, vcc_lo, v0, v20
	s_wait_alu 0xfffd
	v_add_co_ci_u32_e64 v21, null, v24, v21, vcc_lo
	global_store_b128 v[20:21], v[2:5], off
.LBB280_36:                             ;   in Loop: Header=BB280_7 Depth=1
	s_wait_alu 0xfffe
	s_or_b32 exec_lo, exec_lo, s2
	s_and_saveexec_b32 s2, s1
	s_cbranch_execz .LBB280_6
; %bb.37:                               ;   in Loop: Header=BB280_7 Depth=1
	v_mul_f64_e32 v[2:3], s[12:13], v[16:17]
	v_mul_f64_e32 v[4:5], s[10:11], v[16:17]
	v_lshlrev_b64_e32 v[16:17], 4, v[8:9]
	s_and_not1_b32 vcc_lo, exec_lo, s14
	s_mov_b32 s3, -1
	s_delay_alu instid0(VALU_DEP_3) | instskip(NEXT) | instid1(VALU_DEP_3)
	v_fma_f64 v[2:3], s[10:11], v[18:19], -v[2:3]
	v_fma_f64 v[4:5], s[12:13], v[18:19], v[4:5]
	s_wait_alu 0xfffe
	s_cbranch_vccnz .LBB280_39
; %bb.38:                               ;   in Loop: Header=BB280_7 Depth=1
	v_add_co_u32 v22, vcc_lo, v0, v16
	s_wait_alu 0xfffd
	v_add_co_ci_u32_e64 v23, null, v24, v17, vcc_lo
	s_mov_b32 s3, 0
	global_load_b128 v[18:21], v[22:23], off
	s_wait_loadcnt 0x0
	v_mul_f64_e32 v[25:26], s[28:29], v[20:21]
	v_mul_f64_e32 v[20:21], s[26:27], v[20:21]
	s_delay_alu instid0(VALU_DEP_2) | instskip(NEXT) | instid1(VALU_DEP_2)
	v_fma_f64 v[25:26], s[26:27], v[18:19], -v[25:26]
	v_fma_f64 v[20:21], s[28:29], v[18:19], v[20:21]
	s_delay_alu instid0(VALU_DEP_2) | instskip(NEXT) | instid1(VALU_DEP_2)
	v_add_f64_e32 v[18:19], v[2:3], v[25:26]
	v_add_f64_e32 v[20:21], v[4:5], v[20:21]
	global_store_b128 v[22:23], v[18:21], off
.LBB280_39:                             ;   in Loop: Header=BB280_7 Depth=1
	s_wait_alu 0xfffe
	s_and_not1_b32 vcc_lo, exec_lo, s3
	s_wait_alu 0xfffe
	s_cbranch_vccnz .LBB280_6
; %bb.40:                               ;   in Loop: Header=BB280_7 Depth=1
	v_add_co_u32 v16, vcc_lo, v0, v16
	s_wait_alu 0xfffd
	v_add_co_ci_u32_e64 v17, null, v24, v17, vcc_lo
	global_store_b128 v[16:17], v[2:5], off
	s_branch .LBB280_6
.LBB280_41:
.LBB280_42:
	s_endpgm
	.section	.rodata,"a",@progbits
	.p2align	6, 0x0
	.amdhsa_kernel _ZL29rocblas_internal_gemmt_kernelIlLi16ELi32ELi8ELc78ELc84ELc76ELb0ELb0E19rocblas_complex_numIdES1_PKS1_PS1_EviT_T9_T10_S5_lS7_S5_lS6_T11_S5_li
		.amdhsa_group_segment_fixed_size 8192
		.amdhsa_private_segment_fixed_size 0
		.amdhsa_kernarg_size 124
		.amdhsa_user_sgpr_count 2
		.amdhsa_user_sgpr_dispatch_ptr 0
		.amdhsa_user_sgpr_queue_ptr 0
		.amdhsa_user_sgpr_kernarg_segment_ptr 1
		.amdhsa_user_sgpr_dispatch_id 0
		.amdhsa_user_sgpr_private_segment_size 0
		.amdhsa_wavefront_size32 1
		.amdhsa_uses_dynamic_stack 0
		.amdhsa_enable_private_segment 0
		.amdhsa_system_sgpr_workgroup_id_x 1
		.amdhsa_system_sgpr_workgroup_id_y 1
		.amdhsa_system_sgpr_workgroup_id_z 1
		.amdhsa_system_sgpr_workgroup_info 0
		.amdhsa_system_vgpr_workitem_id 1
		.amdhsa_next_free_vgpr 68
		.amdhsa_next_free_sgpr 41
		.amdhsa_reserve_vcc 1
		.amdhsa_float_round_mode_32 0
		.amdhsa_float_round_mode_16_64 0
		.amdhsa_float_denorm_mode_32 3
		.amdhsa_float_denorm_mode_16_64 3
		.amdhsa_fp16_overflow 0
		.amdhsa_workgroup_processor_mode 1
		.amdhsa_memory_ordered 1
		.amdhsa_forward_progress 1
		.amdhsa_inst_pref_size 30
		.amdhsa_round_robin_scheduling 0
		.amdhsa_exception_fp_ieee_invalid_op 0
		.amdhsa_exception_fp_denorm_src 0
		.amdhsa_exception_fp_ieee_div_zero 0
		.amdhsa_exception_fp_ieee_overflow 0
		.amdhsa_exception_fp_ieee_underflow 0
		.amdhsa_exception_fp_ieee_inexact 0
		.amdhsa_exception_int_div_zero 0
	.end_amdhsa_kernel
	.section	.text._ZL29rocblas_internal_gemmt_kernelIlLi16ELi32ELi8ELc78ELc84ELc76ELb0ELb0E19rocblas_complex_numIdES1_PKS1_PS1_EviT_T9_T10_S5_lS7_S5_lS6_T11_S5_li,"axG",@progbits,_ZL29rocblas_internal_gemmt_kernelIlLi16ELi32ELi8ELc78ELc84ELc76ELb0ELb0E19rocblas_complex_numIdES1_PKS1_PS1_EviT_T9_T10_S5_lS7_S5_lS6_T11_S5_li,comdat
.Lfunc_end280:
	.size	_ZL29rocblas_internal_gemmt_kernelIlLi16ELi32ELi8ELc78ELc84ELc76ELb0ELb0E19rocblas_complex_numIdES1_PKS1_PS1_EviT_T9_T10_S5_lS7_S5_lS6_T11_S5_li, .Lfunc_end280-_ZL29rocblas_internal_gemmt_kernelIlLi16ELi32ELi8ELc78ELc84ELc76ELb0ELb0E19rocblas_complex_numIdES1_PKS1_PS1_EviT_T9_T10_S5_lS7_S5_lS6_T11_S5_li
                                        ; -- End function
	.set _ZL29rocblas_internal_gemmt_kernelIlLi16ELi32ELi8ELc78ELc84ELc76ELb0ELb0E19rocblas_complex_numIdES1_PKS1_PS1_EviT_T9_T10_S5_lS7_S5_lS6_T11_S5_li.num_vgpr, 68
	.set _ZL29rocblas_internal_gemmt_kernelIlLi16ELi32ELi8ELc78ELc84ELc76ELb0ELb0E19rocblas_complex_numIdES1_PKS1_PS1_EviT_T9_T10_S5_lS7_S5_lS6_T11_S5_li.num_agpr, 0
	.set _ZL29rocblas_internal_gemmt_kernelIlLi16ELi32ELi8ELc78ELc84ELc76ELb0ELb0E19rocblas_complex_numIdES1_PKS1_PS1_EviT_T9_T10_S5_lS7_S5_lS6_T11_S5_li.numbered_sgpr, 41
	.set _ZL29rocblas_internal_gemmt_kernelIlLi16ELi32ELi8ELc78ELc84ELc76ELb0ELb0E19rocblas_complex_numIdES1_PKS1_PS1_EviT_T9_T10_S5_lS7_S5_lS6_T11_S5_li.num_named_barrier, 0
	.set _ZL29rocblas_internal_gemmt_kernelIlLi16ELi32ELi8ELc78ELc84ELc76ELb0ELb0E19rocblas_complex_numIdES1_PKS1_PS1_EviT_T9_T10_S5_lS7_S5_lS6_T11_S5_li.private_seg_size, 0
	.set _ZL29rocblas_internal_gemmt_kernelIlLi16ELi32ELi8ELc78ELc84ELc76ELb0ELb0E19rocblas_complex_numIdES1_PKS1_PS1_EviT_T9_T10_S5_lS7_S5_lS6_T11_S5_li.uses_vcc, 1
	.set _ZL29rocblas_internal_gemmt_kernelIlLi16ELi32ELi8ELc78ELc84ELc76ELb0ELb0E19rocblas_complex_numIdES1_PKS1_PS1_EviT_T9_T10_S5_lS7_S5_lS6_T11_S5_li.uses_flat_scratch, 0
	.set _ZL29rocblas_internal_gemmt_kernelIlLi16ELi32ELi8ELc78ELc84ELc76ELb0ELb0E19rocblas_complex_numIdES1_PKS1_PS1_EviT_T9_T10_S5_lS7_S5_lS6_T11_S5_li.has_dyn_sized_stack, 0
	.set _ZL29rocblas_internal_gemmt_kernelIlLi16ELi32ELi8ELc78ELc84ELc76ELb0ELb0E19rocblas_complex_numIdES1_PKS1_PS1_EviT_T9_T10_S5_lS7_S5_lS6_T11_S5_li.has_recursion, 0
	.set _ZL29rocblas_internal_gemmt_kernelIlLi16ELi32ELi8ELc78ELc84ELc76ELb0ELb0E19rocblas_complex_numIdES1_PKS1_PS1_EviT_T9_T10_S5_lS7_S5_lS6_T11_S5_li.has_indirect_call, 0
	.section	.AMDGPU.csdata,"",@progbits
; Kernel info:
; codeLenInByte = 3828
; TotalNumSgprs: 43
; NumVgprs: 68
; ScratchSize: 0
; MemoryBound: 0
; FloatMode: 240
; IeeeMode: 1
; LDSByteSize: 8192 bytes/workgroup (compile time only)
; SGPRBlocks: 0
; VGPRBlocks: 8
; NumSGPRsForWavesPerEU: 43
; NumVGPRsForWavesPerEU: 68
; Occupancy: 16
; WaveLimiterHint : 0
; COMPUTE_PGM_RSRC2:SCRATCH_EN: 0
; COMPUTE_PGM_RSRC2:USER_SGPR: 2
; COMPUTE_PGM_RSRC2:TRAP_HANDLER: 0
; COMPUTE_PGM_RSRC2:TGID_X_EN: 1
; COMPUTE_PGM_RSRC2:TGID_Y_EN: 1
; COMPUTE_PGM_RSRC2:TGID_Z_EN: 1
; COMPUTE_PGM_RSRC2:TIDIG_COMP_CNT: 1
	.section	.text._ZL29rocblas_internal_gemmt_kernelIlLi16ELi32ELi8ELc78ELc67ELc76ELb0ELb1E19rocblas_complex_numIdES1_PKS1_PS1_EviT_T9_T10_S5_lS7_S5_lS6_T11_S5_li,"axG",@progbits,_ZL29rocblas_internal_gemmt_kernelIlLi16ELi32ELi8ELc78ELc67ELc76ELb0ELb1E19rocblas_complex_numIdES1_PKS1_PS1_EviT_T9_T10_S5_lS7_S5_lS6_T11_S5_li,comdat
	.globl	_ZL29rocblas_internal_gemmt_kernelIlLi16ELi32ELi8ELc78ELc67ELc76ELb0ELb1E19rocblas_complex_numIdES1_PKS1_PS1_EviT_T9_T10_S5_lS7_S5_lS6_T11_S5_li ; -- Begin function _ZL29rocblas_internal_gemmt_kernelIlLi16ELi32ELi8ELc78ELc67ELc76ELb0ELb1E19rocblas_complex_numIdES1_PKS1_PS1_EviT_T9_T10_S5_lS7_S5_lS6_T11_S5_li
	.p2align	8
	.type	_ZL29rocblas_internal_gemmt_kernelIlLi16ELi32ELi8ELc78ELc67ELc76ELb0ELb1E19rocblas_complex_numIdES1_PKS1_PS1_EviT_T9_T10_S5_lS7_S5_lS6_T11_S5_li,@function
_ZL29rocblas_internal_gemmt_kernelIlLi16ELi32ELi8ELc78ELc67ELc76ELb0ELb1E19rocblas_complex_numIdES1_PKS1_PS1_EviT_T9_T10_S5_lS7_S5_lS6_T11_S5_li: ; @_ZL29rocblas_internal_gemmt_kernelIlLi16ELi32ELi8ELc78ELc67ELc76ELb0ELb1E19rocblas_complex_numIdES1_PKS1_PS1_EviT_T9_T10_S5_lS7_S5_lS6_T11_S5_li
; %bb.0:
	s_clause 0x1
	s_load_b256 s[24:31], s[0:1], 0x48
	s_load_b512 s[8:23], s[0:1], 0x8
	s_wait_kmcnt 0x0
	v_cmp_eq_f64_e64 s3, s[26:27], 1.0
	v_cmp_eq_f64_e64 s2, s[28:29], 0
	s_and_b32 s3, s3, s2
	s_delay_alu instid0(SALU_CYCLE_1)
	s_and_not1_b32 vcc_lo, exec_lo, s3
	s_mov_b32 s3, -1
	s_cbranch_vccnz .LBB281_3
; %bb.1:
	s_cmp_lg_u64 s[8:9], 0
	s_cbranch_scc0 .LBB281_39
; %bb.2:
	v_cmp_neq_f64_e64 s3, s[10:11], 0
	v_cmp_neq_f64_e64 s4, s[12:13], 0
	s_or_b32 s3, s3, s4
.LBB281_3:
	s_delay_alu instid0(SALU_CYCLE_1)
	s_and_b32 vcc_lo, exec_lo, s3
	s_cbranch_vccz .LBB281_40
; %bb.4:
	s_load_b32 s33, s[0:1], 0x78
	s_lshr_b32 s34, ttmp7, 16
	s_wait_kmcnt 0x0
	s_cmp_ge_u32 s34, s33
	s_cbranch_scc1 .LBB281_40
; %bb.5:
	v_cmp_neq_f64_e64 s3, s[10:11], 0
	v_cmp_neq_f64_e64 s35, s[12:13], 0
	v_dual_mov_b32 v1, 0 :: v_dual_and_b32 v6, 0x3ff, v0
	v_bfe_u32 v7, v0, 10, 10
	s_clause 0x1
	s_load_b128 s[4:7], s[0:1], 0x68
	s_load_b32 s37, s[0:1], 0x0
	v_and_b32_e32 v32, 7, v0
	s_lshl_b32 s0, ttmp7, 5
	s_lshl_b32 s38, ttmp9, 5
	v_lshl_add_u32 v0, v7, 4, v6
	s_and_b32 s0, s0, 0x1fffe0
	v_lshlrev_b32_e32 v5, 4, v32
	v_add_nc_u32_e32 v11, s0, v7
	v_cmp_neq_f64_e64 s40, s[26:27], 0
	v_lshrrev_b32_e32 v4, 3, v0
	v_and_b32_e32 v3, 31, v0
	v_lshrrev_b32_e32 v33, 5, v0
	v_add_nc_u32_e32 v12, 16, v11
	v_lshl_add_u32 v41, v7, 7, 0x1000
	v_add_nc_u32_e32 v0, s0, v4
	v_lshl_or_b32 v4, v4, 7, v5
	v_lshlrev_b32_e32 v40, 4, v6
	v_add_nc_u32_e32 v6, s38, v6
	v_cmp_gt_i64_e64 s39, s[8:9], 0
                                        ; implicit-def: $vgpr14_vgpr15
	s_delay_alu instid0(VALU_DEP_4)
	v_add_nc_u32_e32 v35, 0x1000, v4
	s_wait_kmcnt 0x0
	v_mad_co_u64_u32 v[4:5], null, s4, v11, 0
	v_cmp_gt_i32_e64 s1, s37, v0
	v_lshlrev_b32_e32 v0, 4, v0
	s_or_b32 s35, s3, s35
	s_delay_alu instid0(VALU_DEP_1)
	v_add_co_u32 v38, s3, s20, v0
	v_mov_b32_e32 v0, v5
	v_or_b32_e32 v2, s38, v3
	v_lshlrev_b32_e32 v8, 4, v3
	v_add_co_ci_u32_e64 v39, null, s21, 0, s3
	s_and_b32 s20, s35, s39
	v_ashrrev_i32_e32 v3, 31, v2
	v_cmp_gt_i32_e64 s0, s37, v2
	v_cmp_le_i32_e64 s36, s37, v2
	v_lshl_or_b32 v34, v33, 9, v8
	v_mad_co_u64_u32 v[7:8], null, s5, v11, v[0:1]
	v_lshlrev_b64_e32 v[2:3], 4, v[2:3]
	v_add_nc_u32_e32 v8, 16, v6
	s_mov_b32 s35, 0
	s_delay_alu instid0(VALU_DEP_2) | instskip(NEXT) | instid1(VALU_DEP_1)
	v_add_co_u32 v36, vcc_lo, s14, v2
	v_add_co_ci_u32_e64 v37, null, s15, v3, vcc_lo
	v_mad_co_u64_u32 v[2:3], null, s4, v12, 0
	s_xor_b32 s14, s2, -1
	v_cmp_gt_i32_e64 s2, s37, v6
	v_cmp_gt_i32_e64 s4, s37, v8
	v_mov_b32_e32 v5, v7
	v_ashrrev_i32_e32 v7, 31, v6
	v_mov_b32_e32 v0, v3
	v_cmp_le_i32_e32 vcc_lo, v11, v6
	v_cmp_le_i32_e64 s3, v11, v8
	s_delay_alu instid0(VALU_DEP_3)
	v_mad_co_u64_u32 v[9:10], null, s5, v12, v[0:1]
	s_wait_alu 0xfffe
	s_or_b32 s5, s40, s14
	s_and_b32 s14, vcc_lo, s2
	s_and_b32 s15, s3, s4
	v_lshlrev_b64_e32 v[10:11], 4, v[4:5]
	s_delay_alu instid0(VALU_DEP_2) | instskip(SKIP_3) | instid1(VALU_DEP_4)
	v_mov_b32_e32 v3, v9
	v_cmp_le_i32_e32 vcc_lo, v12, v6
	v_cmp_le_i32_e64 s3, v12, v8
	v_ashrrev_i32_e32 v9, 31, v8
	v_lshlrev_b64_e32 v[12:13], 4, v[2:3]
	s_and_b32 s21, vcc_lo, s2
	s_and_b32 s4, s3, s4
	s_branch .LBB281_7
.LBB281_6:                              ;   in Loop: Header=BB281_7 Depth=1
	s_wait_alu 0xfffe
	s_or_b32 exec_lo, exec_lo, s2
	s_add_co_i32 s34, s34, 0x10000
	s_delay_alu instid0(SALU_CYCLE_1)
	s_cmp_lt_u32 s34, s33
	s_cbranch_scc0 .LBB281_40
.LBB281_7:                              ; =>This Loop Header: Depth=1
                                        ;     Child Loop BB281_10 Depth 2
	v_mov_b32_e32 v28, 0
	v_mov_b32_e32 v29, 0
	s_and_not1_b32 vcc_lo, exec_lo, s20
	s_wait_alu 0xfffe
	s_cbranch_vccnz .LBB281_18
; %bb.8:                                ;   in Loop: Header=BB281_7 Depth=1
	s_mul_u64 s[2:3], s[18:19], s[34:35]
	s_mul_u64 s[38:39], s[24:25], s[34:35]
	s_wait_alu 0xfffe
	s_lshl_b64 s[2:3], s[2:3], 4
	v_mov_b32_e32 v16, 0
	s_wait_alu 0xfffe
	v_add_co_u32 v42, vcc_lo, v36, s2
	s_wait_alu 0xfffd
	v_add_co_ci_u32_e64 v43, null, s3, v37, vcc_lo
	s_lshl_b64 s[2:3], s[38:39], 4
	v_mov_b32_e32 v22, 0
	v_mov_b32_e32 v26, 0
	;; [unrolled: 1-line block ×3, first 2 shown]
	s_wait_alu 0xfffe
	v_add_co_u32 v44, vcc_lo, v38, s2
	v_dual_mov_b32 v17, 0 :: v_dual_mov_b32 v18, 0
	v_dual_mov_b32 v23, 0 :: v_dual_mov_b32 v20, 0
	;; [unrolled: 1-line block ×4, first 2 shown]
	v_mov_b32_e32 v19, 0
	v_mov_b32_e32 v21, 0
	v_mov_b32_e32 v25, 0
	v_mov_b32_e32 v29, 0
	s_wait_alu 0xfffd
	v_add_co_ci_u32_e64 v45, null, s3, v39, vcc_lo
	s_mov_b64 s[2:3], 0
	s_branch .LBB281_10
.LBB281_9:                              ;   in Loop: Header=BB281_10 Depth=2
	s_wait_alu 0xfffe
	s_or_b32 exec_lo, exec_lo, s37
	ds_store_b128 v35, v[2:5]
	s_wait_dscnt 0x0
	s_barrier_signal -1
	s_barrier_wait -1
	global_inv scope:SCOPE_SE
	ds_load_b128 v[2:5], v41
	ds_load_b128 v[46:49], v40
	ds_load_b128 v[50:53], v40 offset:256
	ds_load_b128 v[54:57], v41 offset:2048
	;; [unrolled: 1-line block ×10, first 2 shown]
	s_add_nc_u64 s[2:3], s[2:3], 8
	s_wait_alu 0xfffe
	v_cmp_gt_i64_e64 s37, s[8:9], s[2:3]
	s_and_b32 vcc_lo, exec_lo, s37
	s_wait_dscnt 0xa
	v_mul_f64_e32 v[90:91], v[4:5], v[48:49]
	v_mul_f64_e32 v[92:93], v[2:3], v[48:49]
	s_wait_dscnt 0x9
	v_mul_f64_e32 v[94:95], v[4:5], v[52:53]
	v_mul_f64_e32 v[96:97], v[2:3], v[52:53]
	;; [unrolled: 3-line block ×3, first 2 shown]
	v_mul_f64_e32 v[100:101], v[56:57], v[52:53]
	v_mul_f64_e32 v[52:53], v[54:55], v[52:53]
	s_wait_dscnt 0x5
	v_mul_f64_e32 v[102:103], v[60:61], v[68:69]
	v_mul_f64_e32 v[104:105], v[58:59], v[68:69]
	s_wait_dscnt 0x4
	v_mul_f64_e32 v[106:107], v[60:61], v[72:73]
	v_mul_f64_e32 v[108:109], v[58:59], v[72:73]
	;; [unrolled: 1-line block ×6, first 2 shown]
	s_wait_dscnt 0x2
	v_mul_f64_e32 v[118:119], v[76:77], v[80:81]
	v_mul_f64_e32 v[120:121], v[74:75], v[80:81]
	s_wait_dscnt 0x1
	v_mul_f64_e32 v[122:123], v[76:77], v[84:85]
	v_mul_f64_e32 v[124:125], v[74:75], v[84:85]
	;; [unrolled: 3-line block ×3, first 2 shown]
	v_mul_f64_e32 v[128:129], v[88:89], v[84:85]
	v_mul_f64_e32 v[84:85], v[86:87], v[84:85]
	v_fma_f64 v[90:91], v[2:3], v[46:47], -v[90:91]
	v_fma_f64 v[92:93], v[4:5], v[46:47], v[92:93]
	v_fma_f64 v[94:95], v[2:3], v[50:51], -v[94:95]
	v_fma_f64 v[96:97], v[4:5], v[50:51], v[96:97]
	;; [unrolled: 2-line block ×8, first 2 shown]
	ds_load_b128 v[2:5], v41 offset:48
	ds_load_b128 v[46:49], v40 offset:1536
	ds_load_b128 v[50:53], v40 offset:1792
	ds_load_b128 v[54:57], v41 offset:2096
	v_fma_f64 v[118:119], v[74:75], v[78:79], -v[118:119]
	v_fma_f64 v[120:121], v[76:77], v[78:79], v[120:121]
	v_fma_f64 v[74:75], v[74:75], v[82:83], -v[122:123]
	v_fma_f64 v[76:77], v[76:77], v[82:83], v[124:125]
	;; [unrolled: 2-line block ×4, first 2 shown]
	s_wait_dscnt 0x2
	v_mul_f64_e32 v[108:109], v[2:3], v[48:49]
	s_wait_dscnt 0x1
	v_mul_f64_e32 v[110:111], v[4:5], v[52:53]
	v_mul_f64_e32 v[112:113], v[2:3], v[52:53]
	v_add_f64_e32 v[68:69], v[28:29], v[90:91]
	v_add_f64_e32 v[70:71], v[92:93], v[30:31]
	;; [unrolled: 1-line block ×8, first 2 shown]
	v_mul_f64_e32 v[100:101], v[4:5], v[48:49]
	s_wait_dscnt 0x0
	v_mul_f64_e32 v[114:115], v[56:57], v[48:49]
	v_mul_f64_e32 v[48:49], v[54:55], v[48:49]
	;; [unrolled: 1-line block ×4, first 2 shown]
	ds_load_b128 v[16:19], v41 offset:64
	ds_load_b128 v[20:23], v40 offset:2048
	;; [unrolled: 1-line block ×4, first 2 shown]
	s_wait_dscnt 0x1
	v_mul_f64_e32 v[124:125], v[16:17], v[26:27]
	s_wait_dscnt 0x0
	v_mul_f64_e32 v[126:127], v[30:31], v[22:23]
	v_mul_f64_e32 v[128:129], v[30:31], v[26:27]
	v_fma_f64 v[108:109], v[4:5], v[46:47], v[108:109]
	v_fma_f64 v[110:111], v[2:3], v[50:51], -v[110:111]
	v_fma_f64 v[112:113], v[4:5], v[50:51], v[112:113]
	v_add_f64_e32 v[84:85], v[68:69], v[102:103]
	v_add_f64_e32 v[86:87], v[104:105], v[70:71]
	;; [unrolled: 1-line block ×8, first 2 shown]
	v_mul_f64_e32 v[102:103], v[18:19], v[22:23]
	v_mul_f64_e32 v[104:105], v[16:17], v[22:23]
	;; [unrolled: 1-line block ×5, first 2 shown]
	v_fma_f64 v[100:101], v[2:3], v[46:47], -v[100:101]
	v_fma_f64 v[114:115], v[54:55], v[46:47], -v[114:115]
	v_fma_f64 v[130:131], v[56:57], v[46:47], v[48:49]
	v_fma_f64 v[116:117], v[54:55], v[50:51], -v[116:117]
	v_fma_f64 v[132:133], v[56:57], v[50:51], v[52:53]
	ds_load_b128 v[58:61], v41 offset:80
	ds_load_b128 v[62:65], v40 offset:2560
	;; [unrolled: 1-line block ×8, first 2 shown]
	v_add_f64_e32 v[84:85], v[84:85], v[118:119]
	v_add_f64_e32 v[86:87], v[120:121], v[86:87]
	;; [unrolled: 1-line block ×8, first 2 shown]
	s_wait_dscnt 0x6
	v_mul_f64_e32 v[90:91], v[60:61], v[64:65]
	v_mul_f64_e32 v[92:93], v[58:59], v[64:65]
	s_wait_dscnt 0x5
	v_mul_f64_e32 v[94:95], v[60:61], v[68:69]
	v_mul_f64_e32 v[96:97], v[58:59], v[68:69]
	;; [unrolled: 3-line block ×3, first 2 shown]
	v_mul_f64_e32 v[118:119], v[72:73], v[68:69]
	v_mul_f64_e32 v[68:69], v[70:71], v[68:69]
	v_fma_f64 v[102:103], v[16:17], v[20:21], -v[102:103]
	v_fma_f64 v[104:105], v[18:19], v[20:21], v[104:105]
	v_fma_f64 v[106:107], v[16:17], v[24:25], -v[106:107]
	v_fma_f64 v[120:121], v[18:19], v[24:25], v[124:125]
	;; [unrolled: 2-line block ×4, first 2 shown]
	ds_load_b128 v[16:19], v41 offset:112
	ds_load_b128 v[20:23], v40 offset:3584
	;; [unrolled: 1-line block ×4, first 2 shown]
	s_wait_loadcnt_dscnt 0x0
	s_barrier_signal -1
	s_barrier_wait -1
	global_inv scope:SCOPE_SE
	v_add_f64_e32 v[84:85], v[84:85], v[100:101]
	v_add_f64_e32 v[86:87], v[108:109], v[86:87]
	;; [unrolled: 1-line block ×8, first 2 shown]
	v_mul_f64_e32 v[100:101], v[4:5], v[48:49]
	v_mul_f64_e32 v[108:109], v[2:3], v[48:49]
	;; [unrolled: 1-line block ×8, first 2 shown]
	v_fma_f64 v[90:91], v[58:59], v[62:63], -v[90:91]
	v_fma_f64 v[92:93], v[60:61], v[62:63], v[92:93]
	v_fma_f64 v[58:59], v[58:59], v[66:67], -v[94:95]
	v_fma_f64 v[60:61], v[60:61], v[66:67], v[96:97]
	;; [unrolled: 2-line block ×4, first 2 shown]
	v_mul_f64_e32 v[96:97], v[16:17], v[26:27]
	v_mul_f64_e32 v[98:99], v[30:31], v[22:23]
	v_add_f64_e32 v[68:69], v[84:85], v[102:103]
	v_add_f64_e32 v[70:71], v[104:105], v[86:87]
	;; [unrolled: 1-line block ×8, first 2 shown]
	v_mul_f64_e32 v[84:85], v[18:19], v[22:23]
	v_mul_f64_e32 v[86:87], v[16:17], v[22:23]
	;; [unrolled: 1-line block ×6, first 2 shown]
	v_fma_f64 v[100:101], v[2:3], v[46:47], -v[100:101]
	v_fma_f64 v[104:105], v[4:5], v[46:47], v[108:109]
	v_fma_f64 v[2:3], v[2:3], v[50:51], -v[110:111]
	v_fma_f64 v[4:5], v[4:5], v[50:51], v[112:113]
	;; [unrolled: 2-line block ×4, first 2 shown]
	v_add_f64_e32 v[52:53], v[68:69], v[90:91]
	v_add_f64_e32 v[54:55], v[92:93], v[70:71]
	;; [unrolled: 1-line block ×8, first 2 shown]
	v_fma_f64 v[68:69], v[16:17], v[20:21], -v[84:85]
	v_fma_f64 v[70:71], v[18:19], v[20:21], v[86:87]
	v_fma_f64 v[16:17], v[16:17], v[24:25], -v[88:89]
	v_fma_f64 v[18:19], v[18:19], v[24:25], v[96:97]
	;; [unrolled: 2-line block ×4, first 2 shown]
	v_add_f64_e32 v[20:21], v[52:53], v[100:101]
	v_add_f64_e32 v[24:25], v[104:105], v[54:55]
	;; [unrolled: 1-line block ×16, first 2 shown]
	s_wait_alu 0xfffe
	s_cbranch_vccz .LBB281_19
.LBB281_10:                             ;   Parent Loop BB281_7 Depth=1
                                        ; =>  This Inner Loop Header: Depth=2
	s_mov_b32 s37, 0
	s_mov_b32 s39, s36
	s_and_saveexec_b32 s38, s0
	s_cbranch_execnz .LBB281_16
; %bb.11:                               ;   in Loop: Header=BB281_10 Depth=2
	s_wait_alu 0xfffe
	s_or_b32 exec_lo, exec_lo, s38
	s_and_saveexec_b32 s38, s39
	s_wait_alu 0xfffe
	s_xor_b32 s38, exec_lo, s38
	s_cbranch_execnz .LBB281_17
.LBB281_12:                             ;   in Loop: Header=BB281_10 Depth=2
	s_wait_alu 0xfffe
	s_or_b32 exec_lo, exec_lo, s38
	s_and_saveexec_b32 s38, s37
	s_cbranch_execz .LBB281_14
.LBB281_13:                             ;   in Loop: Header=BB281_10 Depth=2
	v_mul_lo_u32 v0, s17, v14
	v_mul_lo_u32 v4, s16, v15
	v_mad_co_u64_u32 v[2:3], null, s16, v14, 0
	s_delay_alu instid0(VALU_DEP_1) | instskip(NEXT) | instid1(VALU_DEP_1)
	v_add3_u32 v3, v3, v4, v0
	v_lshlrev_b64_e32 v[2:3], 4, v[2:3]
	s_delay_alu instid0(VALU_DEP_1) | instskip(SKIP_1) | instid1(VALU_DEP_2)
	v_add_co_u32 v2, vcc_lo, v42, v2
	s_wait_alu 0xfffd
	v_add_co_ci_u32_e64 v3, null, v43, v3, vcc_lo
	global_load_b128 v[2:5], v[2:3], off
	s_wait_loadcnt 0x0
	ds_store_2addr_b64 v34, v[2:3], v[4:5] offset1:1
.LBB281_14:                             ;   in Loop: Header=BB281_10 Depth=2
	s_wait_alu 0xfffe
	s_or_b32 exec_lo, exec_lo, s38
	v_add_nc_u32_e32 v0, s2, v32
	v_mov_b32_e32 v2, 0
	v_dual_mov_b32 v3, 0 :: v_dual_mov_b32 v4, 0
	v_mov_b32_e32 v5, 0
	s_delay_alu instid0(VALU_DEP_4)
	v_cmp_gt_u64_e32 vcc_lo, s[8:9], v[0:1]
	s_and_b32 s38, vcc_lo, s1
	s_wait_alu 0xfffe
	s_and_saveexec_b32 s37, s38
	s_cbranch_execz .LBB281_9
; %bb.15:                               ;   in Loop: Header=BB281_10 Depth=2
	v_mad_co_u64_u32 v[2:3], null, s22, v0, 0
	s_delay_alu instid0(VALU_DEP_1) | instskip(NEXT) | instid1(VALU_DEP_1)
	v_mad_co_u64_u32 v[3:4], null, s23, v0, v[3:4]
	v_lshlrev_b64_e32 v[2:3], 4, v[2:3]
	s_delay_alu instid0(VALU_DEP_1) | instskip(SKIP_1) | instid1(VALU_DEP_2)
	v_add_co_u32 v2, vcc_lo, v44, v2
	s_wait_alu 0xfffd
	v_add_co_ci_u32_e64 v3, null, v45, v3, vcc_lo
	global_load_b128 v[2:5], v[2:3], off
	s_wait_loadcnt 0x0
	v_xor_b32_e32 v5, 0x80000000, v5
	s_branch .LBB281_9
.LBB281_16:                             ;   in Loop: Header=BB281_10 Depth=2
	s_wait_alu 0xfffe
	v_add_nc_u32_e32 v0, s2, v33
	v_mov_b32_e32 v15, v1
	s_and_not1_b32 s39, s36, exec_lo
	s_mov_b32 s37, exec_lo
	s_delay_alu instid0(VALU_DEP_2)
	v_cmp_le_u64_e32 vcc_lo, s[8:9], v[0:1]
	v_mov_b32_e32 v14, v0
	s_and_b32 s40, vcc_lo, exec_lo
	s_wait_alu 0xfffe
	s_or_b32 s39, s39, s40
	s_or_b32 exec_lo, exec_lo, s38
	s_wait_alu 0xfffe
	s_and_saveexec_b32 s38, s39
	s_wait_alu 0xfffe
	s_xor_b32 s38, exec_lo, s38
	s_cbranch_execz .LBB281_12
.LBB281_17:                             ;   in Loop: Header=BB281_10 Depth=2
	v_dual_mov_b32 v0, v1 :: v_dual_mov_b32 v3, v1
	v_mov_b32_e32 v2, v1
	s_and_not1_b32 s37, s37, exec_lo
	ds_store_b128 v34, v[0:3]
	s_wait_alu 0xfffe
	s_or_b32 exec_lo, exec_lo, s38
	s_and_saveexec_b32 s38, s37
	s_cbranch_execnz .LBB281_13
	s_branch .LBB281_14
.LBB281_18:                             ;   in Loop: Header=BB281_7 Depth=1
	v_mov_b32_e32 v30, 0
	v_mov_b32_e32 v26, 0
	v_dual_mov_b32 v22, 0 :: v_dual_mov_b32 v31, 0
	v_dual_mov_b32 v24, 0 :: v_dual_mov_b32 v27, 0
	;; [unrolled: 1-line block ×3, first 2 shown]
	v_mov_b32_e32 v18, 0
	v_dual_mov_b32 v16, 0 :: v_dual_mov_b32 v25, 0
	v_mov_b32_e32 v21, 0
	v_mov_b32_e32 v19, 0
	;; [unrolled: 1-line block ×3, first 2 shown]
.LBB281_19:                             ;   in Loop: Header=BB281_7 Depth=1
	s_mul_u64 s[2:3], s[6:7], s[34:35]
	s_wait_alu 0xfffe
	s_lshl_b64 s[2:3], s[2:3], 4
	s_wait_alu 0xfffe
	s_add_nc_u64 s[2:3], s[30:31], s[2:3]
	s_wait_alu 0xfffe
	v_add_co_u32 v0, vcc_lo, s2, v10
	s_wait_alu 0xfffd
	v_add_co_ci_u32_e64 v42, null, s3, v11, vcc_lo
	s_and_saveexec_b32 s37, s14
	s_cbranch_execz .LBB281_24
; %bb.20:                               ;   in Loop: Header=BB281_7 Depth=1
	v_mul_f64_e32 v[2:3], s[12:13], v[30:31]
	v_mul_f64_e32 v[4:5], s[10:11], v[30:31]
	s_and_b32 vcc_lo, exec_lo, s5
	s_mov_b32 s38, -1
	s_delay_alu instid0(VALU_DEP_2) | instskip(NEXT) | instid1(VALU_DEP_2)
	v_fma_f64 v[2:3], s[10:11], v[28:29], -v[2:3]
	v_fma_f64 v[4:5], s[12:13], v[28:29], v[4:5]
	s_wait_alu 0xfffe
	s_cbranch_vccz .LBB281_22
; %bb.21:                               ;   in Loop: Header=BB281_7 Depth=1
	v_lshlrev_b64_e32 v[28:29], 4, v[6:7]
	s_mov_b32 s38, 0
	s_delay_alu instid0(VALU_DEP_1) | instskip(SKIP_1) | instid1(VALU_DEP_2)
	v_add_co_u32 v43, vcc_lo, v0, v28
	s_wait_alu 0xfffd
	v_add_co_ci_u32_e64 v44, null, v42, v29, vcc_lo
	global_load_b128 v[28:31], v[43:44], off
	s_wait_loadcnt 0x0
	v_mul_f64_e32 v[45:46], s[28:29], v[30:31]
	v_mul_f64_e32 v[30:31], s[26:27], v[30:31]
	s_delay_alu instid0(VALU_DEP_2) | instskip(NEXT) | instid1(VALU_DEP_2)
	v_fma_f64 v[45:46], s[26:27], v[28:29], -v[45:46]
	v_fma_f64 v[30:31], s[28:29], v[28:29], v[30:31]
	s_delay_alu instid0(VALU_DEP_2) | instskip(NEXT) | instid1(VALU_DEP_2)
	v_add_f64_e32 v[28:29], v[2:3], v[45:46]
	v_add_f64_e32 v[30:31], v[4:5], v[30:31]
	global_store_b128 v[43:44], v[28:31], off
.LBB281_22:                             ;   in Loop: Header=BB281_7 Depth=1
	s_wait_alu 0xfffe
	s_and_not1_b32 vcc_lo, exec_lo, s38
	s_wait_alu 0xfffe
	s_cbranch_vccnz .LBB281_24
; %bb.23:                               ;   in Loop: Header=BB281_7 Depth=1
	v_lshlrev_b64_e32 v[28:29], 4, v[6:7]
	s_delay_alu instid0(VALU_DEP_1) | instskip(SKIP_1) | instid1(VALU_DEP_2)
	v_add_co_u32 v28, vcc_lo, v0, v28
	s_wait_alu 0xfffd
	v_add_co_ci_u32_e64 v29, null, v42, v29, vcc_lo
	global_store_b128 v[28:29], v[2:5], off
.LBB281_24:                             ;   in Loop: Header=BB281_7 Depth=1
	s_wait_alu 0xfffe
	s_or_b32 exec_lo, exec_lo, s37
	s_and_saveexec_b32 s37, s15
	s_cbranch_execz .LBB281_29
; %bb.25:                               ;   in Loop: Header=BB281_7 Depth=1
	v_mul_f64_e32 v[2:3], s[12:13], v[26:27]
	v_mul_f64_e32 v[4:5], s[10:11], v[26:27]
	s_and_not1_b32 vcc_lo, exec_lo, s5
	s_mov_b32 s38, -1
	s_delay_alu instid0(VALU_DEP_2) | instskip(NEXT) | instid1(VALU_DEP_2)
	v_fma_f64 v[2:3], s[10:11], v[24:25], -v[2:3]
	v_fma_f64 v[4:5], s[12:13], v[24:25], v[4:5]
	s_wait_alu 0xfffe
	s_cbranch_vccnz .LBB281_27
; %bb.26:                               ;   in Loop: Header=BB281_7 Depth=1
	v_lshlrev_b64_e32 v[24:25], 4, v[8:9]
	s_mov_b32 s38, 0
	s_delay_alu instid0(VALU_DEP_1) | instskip(SKIP_1) | instid1(VALU_DEP_2)
	v_add_co_u32 v28, vcc_lo, v0, v24
	s_wait_alu 0xfffd
	v_add_co_ci_u32_e64 v29, null, v42, v25, vcc_lo
	global_load_b128 v[24:27], v[28:29], off
	s_wait_loadcnt 0x0
	v_mul_f64_e32 v[30:31], s[28:29], v[26:27]
	v_mul_f64_e32 v[26:27], s[26:27], v[26:27]
	s_delay_alu instid0(VALU_DEP_2) | instskip(NEXT) | instid1(VALU_DEP_2)
	v_fma_f64 v[30:31], s[26:27], v[24:25], -v[30:31]
	v_fma_f64 v[26:27], s[28:29], v[24:25], v[26:27]
	s_delay_alu instid0(VALU_DEP_2) | instskip(NEXT) | instid1(VALU_DEP_2)
	v_add_f64_e32 v[24:25], v[2:3], v[30:31]
	v_add_f64_e32 v[26:27], v[4:5], v[26:27]
	global_store_b128 v[28:29], v[24:27], off
.LBB281_27:                             ;   in Loop: Header=BB281_7 Depth=1
	s_wait_alu 0xfffe
	s_and_not1_b32 vcc_lo, exec_lo, s38
	s_wait_alu 0xfffe
	s_cbranch_vccnz .LBB281_29
; %bb.28:                               ;   in Loop: Header=BB281_7 Depth=1
	v_lshlrev_b64_e32 v[24:25], 4, v[8:9]
	s_delay_alu instid0(VALU_DEP_1) | instskip(SKIP_1) | instid1(VALU_DEP_2)
	v_add_co_u32 v24, vcc_lo, v0, v24
	s_wait_alu 0xfffd
	v_add_co_ci_u32_e64 v25, null, v42, v25, vcc_lo
	global_store_b128 v[24:25], v[2:5], off
.LBB281_29:                             ;   in Loop: Header=BB281_7 Depth=1
	s_wait_alu 0xfffe
	s_or_b32 exec_lo, exec_lo, s37
	v_add_co_u32 v0, vcc_lo, s2, v12
	s_wait_alu 0xfffd
	v_add_co_ci_u32_e64 v24, null, s3, v13, vcc_lo
	s_and_saveexec_b32 s2, s21
	s_cbranch_execz .LBB281_34
; %bb.30:                               ;   in Loop: Header=BB281_7 Depth=1
	v_mul_f64_e32 v[2:3], s[12:13], v[22:23]
	v_mul_f64_e32 v[4:5], s[10:11], v[22:23]
	s_and_not1_b32 vcc_lo, exec_lo, s5
	s_mov_b32 s3, -1
	s_delay_alu instid0(VALU_DEP_2) | instskip(NEXT) | instid1(VALU_DEP_2)
	v_fma_f64 v[2:3], s[10:11], v[20:21], -v[2:3]
	v_fma_f64 v[4:5], s[12:13], v[20:21], v[4:5]
	v_lshlrev_b64_e32 v[20:21], 4, v[6:7]
	s_wait_alu 0xfffe
	s_cbranch_vccnz .LBB281_32
; %bb.31:                               ;   in Loop: Header=BB281_7 Depth=1
	s_delay_alu instid0(VALU_DEP_1) | instskip(SKIP_1) | instid1(VALU_DEP_2)
	v_add_co_u32 v22, vcc_lo, v0, v20
	s_wait_alu 0xfffd
	v_add_co_ci_u32_e64 v23, null, v24, v21, vcc_lo
	s_mov_b32 s3, 0
	global_load_b128 v[25:28], v[22:23], off
	s_wait_loadcnt 0x0
	v_mul_f64_e32 v[29:30], s[28:29], v[27:28]
	v_mul_f64_e32 v[27:28], s[26:27], v[27:28]
	s_delay_alu instid0(VALU_DEP_2) | instskip(NEXT) | instid1(VALU_DEP_2)
	v_fma_f64 v[29:30], s[26:27], v[25:26], -v[29:30]
	v_fma_f64 v[27:28], s[28:29], v[25:26], v[27:28]
	s_delay_alu instid0(VALU_DEP_2) | instskip(NEXT) | instid1(VALU_DEP_2)
	v_add_f64_e32 v[25:26], v[2:3], v[29:30]
	v_add_f64_e32 v[27:28], v[4:5], v[27:28]
	global_store_b128 v[22:23], v[25:28], off
.LBB281_32:                             ;   in Loop: Header=BB281_7 Depth=1
	s_wait_alu 0xfffe
	s_and_not1_b32 vcc_lo, exec_lo, s3
	s_wait_alu 0xfffe
	s_cbranch_vccnz .LBB281_34
; %bb.33:                               ;   in Loop: Header=BB281_7 Depth=1
	v_add_co_u32 v20, vcc_lo, v0, v20
	s_wait_alu 0xfffd
	v_add_co_ci_u32_e64 v21, null, v24, v21, vcc_lo
	global_store_b128 v[20:21], v[2:5], off
.LBB281_34:                             ;   in Loop: Header=BB281_7 Depth=1
	s_wait_alu 0xfffe
	s_or_b32 exec_lo, exec_lo, s2
	s_and_saveexec_b32 s2, s4
	s_cbranch_execz .LBB281_6
; %bb.35:                               ;   in Loop: Header=BB281_7 Depth=1
	v_mul_f64_e32 v[2:3], s[12:13], v[16:17]
	v_mul_f64_e32 v[4:5], s[10:11], v[16:17]
	v_lshlrev_b64_e32 v[16:17], 4, v[8:9]
	s_and_not1_b32 vcc_lo, exec_lo, s5
	s_mov_b32 s3, -1
	s_delay_alu instid0(VALU_DEP_3) | instskip(NEXT) | instid1(VALU_DEP_3)
	v_fma_f64 v[2:3], s[10:11], v[18:19], -v[2:3]
	v_fma_f64 v[4:5], s[12:13], v[18:19], v[4:5]
	s_wait_alu 0xfffe
	s_cbranch_vccnz .LBB281_37
; %bb.36:                               ;   in Loop: Header=BB281_7 Depth=1
	v_add_co_u32 v22, vcc_lo, v0, v16
	s_wait_alu 0xfffd
	v_add_co_ci_u32_e64 v23, null, v24, v17, vcc_lo
	s_mov_b32 s3, 0
	global_load_b128 v[18:21], v[22:23], off
	s_wait_loadcnt 0x0
	v_mul_f64_e32 v[25:26], s[28:29], v[20:21]
	v_mul_f64_e32 v[20:21], s[26:27], v[20:21]
	s_delay_alu instid0(VALU_DEP_2) | instskip(NEXT) | instid1(VALU_DEP_2)
	v_fma_f64 v[25:26], s[26:27], v[18:19], -v[25:26]
	v_fma_f64 v[20:21], s[28:29], v[18:19], v[20:21]
	s_delay_alu instid0(VALU_DEP_2) | instskip(NEXT) | instid1(VALU_DEP_2)
	v_add_f64_e32 v[18:19], v[2:3], v[25:26]
	v_add_f64_e32 v[20:21], v[4:5], v[20:21]
	global_store_b128 v[22:23], v[18:21], off
.LBB281_37:                             ;   in Loop: Header=BB281_7 Depth=1
	s_wait_alu 0xfffe
	s_and_not1_b32 vcc_lo, exec_lo, s3
	s_wait_alu 0xfffe
	s_cbranch_vccnz .LBB281_6
; %bb.38:                               ;   in Loop: Header=BB281_7 Depth=1
	v_add_co_u32 v16, vcc_lo, v0, v16
	s_wait_alu 0xfffd
	v_add_co_ci_u32_e64 v17, null, v24, v17, vcc_lo
	global_store_b128 v[16:17], v[2:5], off
	s_branch .LBB281_6
.LBB281_39:
.LBB281_40:
	s_nop 0
	s_sendmsg sendmsg(MSG_DEALLOC_VGPRS)
	s_endpgm
	.section	.rodata,"a",@progbits
	.p2align	6, 0x0
	.amdhsa_kernel _ZL29rocblas_internal_gemmt_kernelIlLi16ELi32ELi8ELc78ELc67ELc76ELb0ELb1E19rocblas_complex_numIdES1_PKS1_PS1_EviT_T9_T10_S5_lS7_S5_lS6_T11_S5_li
		.amdhsa_group_segment_fixed_size 8192
		.amdhsa_private_segment_fixed_size 0
		.amdhsa_kernarg_size 124
		.amdhsa_user_sgpr_count 2
		.amdhsa_user_sgpr_dispatch_ptr 0
		.amdhsa_user_sgpr_queue_ptr 0
		.amdhsa_user_sgpr_kernarg_segment_ptr 1
		.amdhsa_user_sgpr_dispatch_id 0
		.amdhsa_user_sgpr_private_segment_size 0
		.amdhsa_wavefront_size32 1
		.amdhsa_uses_dynamic_stack 0
		.amdhsa_enable_private_segment 0
		.amdhsa_system_sgpr_workgroup_id_x 1
		.amdhsa_system_sgpr_workgroup_id_y 1
		.amdhsa_system_sgpr_workgroup_id_z 1
		.amdhsa_system_sgpr_workgroup_info 0
		.amdhsa_system_vgpr_workitem_id 1
		.amdhsa_next_free_vgpr 134
		.amdhsa_next_free_sgpr 41
		.amdhsa_reserve_vcc 1
		.amdhsa_float_round_mode_32 0
		.amdhsa_float_round_mode_16_64 0
		.amdhsa_float_denorm_mode_32 3
		.amdhsa_float_denorm_mode_16_64 3
		.amdhsa_fp16_overflow 0
		.amdhsa_workgroup_processor_mode 1
		.amdhsa_memory_ordered 1
		.amdhsa_forward_progress 1
		.amdhsa_inst_pref_size 28
		.amdhsa_round_robin_scheduling 0
		.amdhsa_exception_fp_ieee_invalid_op 0
		.amdhsa_exception_fp_denorm_src 0
		.amdhsa_exception_fp_ieee_div_zero 0
		.amdhsa_exception_fp_ieee_overflow 0
		.amdhsa_exception_fp_ieee_underflow 0
		.amdhsa_exception_fp_ieee_inexact 0
		.amdhsa_exception_int_div_zero 0
	.end_amdhsa_kernel
	.section	.text._ZL29rocblas_internal_gemmt_kernelIlLi16ELi32ELi8ELc78ELc67ELc76ELb0ELb1E19rocblas_complex_numIdES1_PKS1_PS1_EviT_T9_T10_S5_lS7_S5_lS6_T11_S5_li,"axG",@progbits,_ZL29rocblas_internal_gemmt_kernelIlLi16ELi32ELi8ELc78ELc67ELc76ELb0ELb1E19rocblas_complex_numIdES1_PKS1_PS1_EviT_T9_T10_S5_lS7_S5_lS6_T11_S5_li,comdat
.Lfunc_end281:
	.size	_ZL29rocblas_internal_gemmt_kernelIlLi16ELi32ELi8ELc78ELc67ELc76ELb0ELb1E19rocblas_complex_numIdES1_PKS1_PS1_EviT_T9_T10_S5_lS7_S5_lS6_T11_S5_li, .Lfunc_end281-_ZL29rocblas_internal_gemmt_kernelIlLi16ELi32ELi8ELc78ELc67ELc76ELb0ELb1E19rocblas_complex_numIdES1_PKS1_PS1_EviT_T9_T10_S5_lS7_S5_lS6_T11_S5_li
                                        ; -- End function
	.set _ZL29rocblas_internal_gemmt_kernelIlLi16ELi32ELi8ELc78ELc67ELc76ELb0ELb1E19rocblas_complex_numIdES1_PKS1_PS1_EviT_T9_T10_S5_lS7_S5_lS6_T11_S5_li.num_vgpr, 134
	.set _ZL29rocblas_internal_gemmt_kernelIlLi16ELi32ELi8ELc78ELc67ELc76ELb0ELb1E19rocblas_complex_numIdES1_PKS1_PS1_EviT_T9_T10_S5_lS7_S5_lS6_T11_S5_li.num_agpr, 0
	.set _ZL29rocblas_internal_gemmt_kernelIlLi16ELi32ELi8ELc78ELc67ELc76ELb0ELb1E19rocblas_complex_numIdES1_PKS1_PS1_EviT_T9_T10_S5_lS7_S5_lS6_T11_S5_li.numbered_sgpr, 41
	.set _ZL29rocblas_internal_gemmt_kernelIlLi16ELi32ELi8ELc78ELc67ELc76ELb0ELb1E19rocblas_complex_numIdES1_PKS1_PS1_EviT_T9_T10_S5_lS7_S5_lS6_T11_S5_li.num_named_barrier, 0
	.set _ZL29rocblas_internal_gemmt_kernelIlLi16ELi32ELi8ELc78ELc67ELc76ELb0ELb1E19rocblas_complex_numIdES1_PKS1_PS1_EviT_T9_T10_S5_lS7_S5_lS6_T11_S5_li.private_seg_size, 0
	.set _ZL29rocblas_internal_gemmt_kernelIlLi16ELi32ELi8ELc78ELc67ELc76ELb0ELb1E19rocblas_complex_numIdES1_PKS1_PS1_EviT_T9_T10_S5_lS7_S5_lS6_T11_S5_li.uses_vcc, 1
	.set _ZL29rocblas_internal_gemmt_kernelIlLi16ELi32ELi8ELc78ELc67ELc76ELb0ELb1E19rocblas_complex_numIdES1_PKS1_PS1_EviT_T9_T10_S5_lS7_S5_lS6_T11_S5_li.uses_flat_scratch, 0
	.set _ZL29rocblas_internal_gemmt_kernelIlLi16ELi32ELi8ELc78ELc67ELc76ELb0ELb1E19rocblas_complex_numIdES1_PKS1_PS1_EviT_T9_T10_S5_lS7_S5_lS6_T11_S5_li.has_dyn_sized_stack, 0
	.set _ZL29rocblas_internal_gemmt_kernelIlLi16ELi32ELi8ELc78ELc67ELc76ELb0ELb1E19rocblas_complex_numIdES1_PKS1_PS1_EviT_T9_T10_S5_lS7_S5_lS6_T11_S5_li.has_recursion, 0
	.set _ZL29rocblas_internal_gemmt_kernelIlLi16ELi32ELi8ELc78ELc67ELc76ELb0ELb1E19rocblas_complex_numIdES1_PKS1_PS1_EviT_T9_T10_S5_lS7_S5_lS6_T11_S5_li.has_indirect_call, 0
	.section	.AMDGPU.csdata,"",@progbits
; Kernel info:
; codeLenInByte = 3528
; TotalNumSgprs: 43
; NumVgprs: 134
; ScratchSize: 0
; MemoryBound: 1
; FloatMode: 240
; IeeeMode: 1
; LDSByteSize: 8192 bytes/workgroup (compile time only)
; SGPRBlocks: 0
; VGPRBlocks: 16
; NumSGPRsForWavesPerEU: 43
; NumVGPRsForWavesPerEU: 134
; Occupancy: 10
; WaveLimiterHint : 0
; COMPUTE_PGM_RSRC2:SCRATCH_EN: 0
; COMPUTE_PGM_RSRC2:USER_SGPR: 2
; COMPUTE_PGM_RSRC2:TRAP_HANDLER: 0
; COMPUTE_PGM_RSRC2:TGID_X_EN: 1
; COMPUTE_PGM_RSRC2:TGID_Y_EN: 1
; COMPUTE_PGM_RSRC2:TGID_Z_EN: 1
; COMPUTE_PGM_RSRC2:TIDIG_COMP_CNT: 1
	.section	.text._ZL29rocblas_internal_gemmt_kernelIlLi16ELi32ELi8ELc84ELc78ELc76ELb0ELb0E19rocblas_complex_numIdES1_PKS1_PS1_EviT_T9_T10_S5_lS7_S5_lS6_T11_S5_li,"axG",@progbits,_ZL29rocblas_internal_gemmt_kernelIlLi16ELi32ELi8ELc84ELc78ELc76ELb0ELb0E19rocblas_complex_numIdES1_PKS1_PS1_EviT_T9_T10_S5_lS7_S5_lS6_T11_S5_li,comdat
	.globl	_ZL29rocblas_internal_gemmt_kernelIlLi16ELi32ELi8ELc84ELc78ELc76ELb0ELb0E19rocblas_complex_numIdES1_PKS1_PS1_EviT_T9_T10_S5_lS7_S5_lS6_T11_S5_li ; -- Begin function _ZL29rocblas_internal_gemmt_kernelIlLi16ELi32ELi8ELc84ELc78ELc76ELb0ELb0E19rocblas_complex_numIdES1_PKS1_PS1_EviT_T9_T10_S5_lS7_S5_lS6_T11_S5_li
	.p2align	8
	.type	_ZL29rocblas_internal_gemmt_kernelIlLi16ELi32ELi8ELc84ELc78ELc76ELb0ELb0E19rocblas_complex_numIdES1_PKS1_PS1_EviT_T9_T10_S5_lS7_S5_lS6_T11_S5_li,@function
_ZL29rocblas_internal_gemmt_kernelIlLi16ELi32ELi8ELc84ELc78ELc76ELb0ELb0E19rocblas_complex_numIdES1_PKS1_PS1_EviT_T9_T10_S5_lS7_S5_lS6_T11_S5_li: ; @_ZL29rocblas_internal_gemmt_kernelIlLi16ELi32ELi8ELc84ELc78ELc76ELb0ELb0E19rocblas_complex_numIdES1_PKS1_PS1_EviT_T9_T10_S5_lS7_S5_lS6_T11_S5_li
; %bb.0:
	s_clause 0x1
	s_load_b256 s[24:31], s[0:1], 0x48
	s_load_b512 s[8:23], s[0:1], 0x8
	s_wait_kmcnt 0x0
	v_cmp_eq_f64_e64 s3, s[26:27], 1.0
	v_cmp_eq_f64_e64 s2, s[28:29], 0
	s_and_b32 s3, s3, s2
	s_delay_alu instid0(SALU_CYCLE_1)
	s_and_not1_b32 vcc_lo, exec_lo, s3
	s_mov_b32 s3, -1
	s_cbranch_vccnz .LBB282_3
; %bb.1:
	s_cmp_lg_u64 s[8:9], 0
	s_cbranch_scc0 .LBB282_41
; %bb.2:
	v_cmp_neq_f64_e64 s3, s[10:11], 0
	v_cmp_neq_f64_e64 s4, s[12:13], 0
	s_or_b32 s3, s3, s4
.LBB282_3:
	s_delay_alu instid0(SALU_CYCLE_1)
	s_and_b32 vcc_lo, exec_lo, s3
	s_cbranch_vccz .LBB282_42
; %bb.4:
	s_load_b32 s33, s[0:1], 0x78
	s_lshr_b32 s34, ttmp7, 16
	s_wait_kmcnt 0x0
	s_cmp_ge_u32 s34, s33
	s_cbranch_scc1 .LBB282_42
; %bb.5:
	v_and_b32_e32 v6, 0x3ff, v0
	v_bfe_u32 v7, v0, 10, 10
	s_lshl_b32 s36, ttmp7, 5
	s_clause 0x1
	s_load_b128 s[4:7], s[0:1], 0x68
	s_load_b32 s37, s[0:1], 0x0
	s_and_b32 s0, s36, 0x1fffe0
	s_lshl_b32 s36, ttmp9, 5
	v_lshl_add_u32 v2, v7, 4, v6
	v_and_b32_e32 v30, 7, v0
	v_cmp_neq_f64_e64 s39, s[26:27], 0
	s_ashr_i32 s1, s36, 31
	v_add_nc_u32_e32 v12, s0, v7
	v_lshrrev_b32_e32 v8, 3, v2
	v_and_b32_e32 v4, 31, v2
	v_lshrrev_b32_e32 v31, 5, v2
	v_lshlrev_b32_e32 v11, 4, v30
	s_mul_i32 s1, s16, s1
	v_add_nc_u32_e32 v9, s0, v8
	v_or_b32_e32 v10, s36, v4
	v_lshlrev_b32_e32 v15, 4, v4
	v_cmp_neq_f64_e64 s3, s[10:11], 0
	v_cmp_neq_f64_e64 s35, s[12:13], 0
	v_mad_co_u64_u32 v[0:1], null, s22, v9, 0
	v_mad_co_u64_u32 v[2:3], null, s16, v10, 0
	v_mul_lo_u32 v13, s17, v10
	v_add_nc_u32_e32 v14, 16, v12
	s_wait_kmcnt 0x0
	v_cmp_gt_i32_e64 s0, s37, v10
	v_cmp_le_i32_e64 s16, s37, v10
	v_cmp_gt_i64_e64 s38, s[8:9], 0
	v_lshl_or_b32 v32, v31, 9, v15
	v_mad_co_u64_u32 v[4:5], null, s23, v9, v[1:2]
	v_lshl_or_b32 v1, v8, 7, v11
	s_wait_alu 0xfffe
	v_add3_u32 v3, v3, s1, v13
	v_lshl_add_u32 v39, v7, 7, 0x1000
	s_delay_alu instid0(VALU_DEP_3) | instskip(SKIP_1) | instid1(VALU_DEP_4)
	v_add_nc_u32_e32 v33, 0x1000, v1
	v_mov_b32_e32 v1, v4
	v_lshlrev_b64_e32 v[2:3], 4, v[2:3]
	v_mad_co_u64_u32 v[4:5], null, s4, v12, 0
	v_lshlrev_b32_e32 v38, 4, v6
	s_delay_alu instid0(VALU_DEP_4)
	v_lshlrev_b64_e32 v[0:1], 4, v[0:1]
	v_add_nc_u32_e32 v6, s36, v6
	v_add_co_u32 v34, s1, s14, v2
	s_wait_alu 0xf1ff
	v_add_co_ci_u32_e64 v35, null, s15, v3, s1
	v_mad_co_u64_u32 v[2:3], null, s4, v14, 0
	v_add_co_u32 v36, s1, s20, v0
	v_mov_b32_e32 v0, v5
	s_wait_alu 0xf1ff
	v_add_co_ci_u32_e64 v37, null, s21, v1, s1
	s_xor_b32 s1, s2, -1
	v_cmp_gt_i32_e64 s2, s37, v6
	v_mad_co_u64_u32 v[0:1], null, s5, v12, v[0:1]
	v_mov_b32_e32 v1, v3
	s_wait_alu 0xfffe
	s_or_b32 s14, s39, s1
	v_add_nc_u32_e32 v8, 16, v6
	v_cmp_gt_i32_e32 vcc_lo, s37, v9
	s_or_b32 s22, s3, s35
	v_mad_co_u64_u32 v[10:11], null, s5, v14, v[1:2]
	v_mov_b32_e32 v1, 0
	v_mov_b32_e32 v5, v0
	v_cmp_gt_i32_e64 s4, s37, v8
	v_ashrrev_i32_e32 v7, 31, v6
	v_ashrrev_i32_e32 v9, 31, v8
	s_wait_alu 0xfffe
	s_and_b32 s20, s22, s38
	v_mov_b32_e32 v3, v10
	v_cmp_le_i32_e64 s1, v12, v6
	v_cmp_le_i32_e64 s3, v12, v8
	v_lshlrev_b64_e32 v[10:11], 4, v[4:5]
	s_mov_b32 s35, 0
	v_lshlrev_b64_e32 v[12:13], 4, v[2:3]
	s_and_b32 s5, s1, s2
	v_cmp_le_i32_e64 s1, v14, v6
	s_and_b32 s15, s3, s4
	s_and_b32 s17, s1, s2
	v_cmp_le_i32_e64 s1, v14, v8
                                        ; implicit-def: $vgpr14_vgpr15
	s_and_b32 s1, s1, s4
	s_xor_b32 s4, vcc_lo, -1
	s_branch .LBB282_7
.LBB282_6:                              ;   in Loop: Header=BB282_7 Depth=1
	s_wait_alu 0xfffe
	s_or_b32 exec_lo, exec_lo, s2
	s_add_co_i32 s34, s34, 0x10000
	s_delay_alu instid0(SALU_CYCLE_1)
	s_cmp_lt_u32 s34, s33
	s_cbranch_scc0 .LBB282_42
.LBB282_7:                              ; =>This Loop Header: Depth=1
                                        ;     Child Loop BB282_10 Depth 2
	v_mov_b32_e32 v4, 0
	v_mov_b32_e32 v5, 0
	s_wait_alu 0xfffe
	s_and_not1_b32 vcc_lo, exec_lo, s20
	s_wait_alu 0xfffe
	s_cbranch_vccnz .LBB282_20
; %bb.8:                                ;   in Loop: Header=BB282_7 Depth=1
	s_mul_u64 s[2:3], s[18:19], s[34:35]
	s_mul_u64 s[22:23], s[24:25], s[34:35]
	s_wait_alu 0xfffe
	s_lshl_b64 s[2:3], s[2:3], 4
	v_mov_b32_e32 v16, 0
	s_wait_alu 0xfffe
	v_add_co_u32 v40, vcc_lo, v34, s2
	s_wait_alu 0xfffd
	v_add_co_ci_u32_e64 v41, null, s3, v35, vcc_lo
	s_lshl_b64 s[2:3], s[22:23], 4
	v_mov_b32_e32 v22, 0
	v_mov_b32_e32 v26, 0
	;; [unrolled: 1-line block ×3, first 2 shown]
	s_wait_alu 0xfffe
	v_add_co_u32 v42, vcc_lo, v36, s2
	v_dual_mov_b32 v17, 0 :: v_dual_mov_b32 v18, 0
	v_dual_mov_b32 v23, 0 :: v_dual_mov_b32 v20, 0
	;; [unrolled: 1-line block ×4, first 2 shown]
	v_mov_b32_e32 v19, 0
	v_mov_b32_e32 v21, 0
	;; [unrolled: 1-line block ×4, first 2 shown]
	s_wait_alu 0xfffd
	v_add_co_ci_u32_e64 v43, null, s3, v37, vcc_lo
	s_mov_b64 s[2:3], 0
	s_branch .LBB282_10
.LBB282_9:                              ;   in Loop: Header=BB282_10 Depth=2
	s_wait_alu 0xfffe
	s_or_b32 exec_lo, exec_lo, s21
	s_wait_dscnt 0x0
	s_barrier_signal -1
	s_barrier_wait -1
	global_inv scope:SCOPE_SE
	ds_load_b128 v[44:47], v39
	ds_load_b128 v[48:51], v39 offset:16
	ds_load_b128 v[52:55], v39 offset:32
	;; [unrolled: 1-line block ×3, first 2 shown]
	ds_load_b128 v[60:63], v38
	s_add_nc_u64 s[2:3], s[2:3], 8
	s_wait_alu 0xfffe
	v_cmp_gt_i64_e64 s21, s[8:9], s[2:3]
	s_and_b32 vcc_lo, exec_lo, s21
	s_wait_dscnt 0x0
	v_mul_f64_e32 v[2:3], v[46:47], v[62:63]
	v_mul_f64_e32 v[64:65], v[44:45], v[62:63]
	s_delay_alu instid0(VALU_DEP_2) | instskip(NEXT) | instid1(VALU_DEP_2)
	v_fma_f64 v[2:3], v[44:45], v[60:61], -v[2:3]
	v_fma_f64 v[64:65], v[46:47], v[60:61], v[64:65]
	s_delay_alu instid0(VALU_DEP_2) | instskip(SKIP_4) | instid1(VALU_DEP_1)
	v_add_f64_e32 v[66:67], v[4:5], v[2:3]
	ds_load_b128 v[2:5], v38 offset:256
	v_add_f64_e32 v[28:29], v[64:65], v[28:29]
	s_wait_dscnt 0x0
	v_mul_f64_e32 v[64:65], v[46:47], v[4:5]
	v_fma_f64 v[64:65], v[44:45], v[2:3], -v[64:65]
	v_mul_f64_e32 v[44:45], v[44:45], v[4:5]
	s_delay_alu instid0(VALU_DEP_1) | instskip(NEXT) | instid1(VALU_DEP_3)
	v_fma_f64 v[44:45], v[46:47], v[2:3], v[44:45]
	v_add_f64_e32 v[46:47], v[24:25], v[64:65]
	s_delay_alu instid0(VALU_DEP_2) | instskip(SKIP_4) | instid1(VALU_DEP_2)
	v_add_f64_e32 v[44:45], v[44:45], v[26:27]
	ds_load_b128 v[24:27], v39 offset:2048
	s_wait_dscnt 0x0
	v_mul_f64_e32 v[64:65], v[26:27], v[62:63]
	v_mul_f64_e32 v[62:63], v[24:25], v[62:63]
	v_fma_f64 v[64:65], v[24:25], v[60:61], -v[64:65]
	s_delay_alu instid0(VALU_DEP_2) | instskip(NEXT) | instid1(VALU_DEP_2)
	v_fma_f64 v[60:61], v[26:27], v[60:61], v[62:63]
	v_add_f64_e32 v[62:63], v[20:21], v[64:65]
	v_mul_f64_e32 v[20:21], v[26:27], v[4:5]
	v_mul_f64_e32 v[4:5], v[24:25], v[4:5]
	s_delay_alu instid0(VALU_DEP_4) | instskip(NEXT) | instid1(VALU_DEP_3)
	v_add_f64_e32 v[60:61], v[60:61], v[22:23]
	v_fma_f64 v[20:21], v[24:25], v[2:3], -v[20:21]
	s_delay_alu instid0(VALU_DEP_3) | instskip(NEXT) | instid1(VALU_DEP_2)
	v_fma_f64 v[2:3], v[26:27], v[2:3], v[4:5]
	v_add_f64_e32 v[24:25], v[18:19], v[20:21]
	s_delay_alu instid0(VALU_DEP_2) | instskip(SKIP_4) | instid1(VALU_DEP_2)
	v_add_f64_e32 v[26:27], v[2:3], v[16:17]
	ds_load_b128 v[2:5], v38 offset:512
	s_wait_dscnt 0x0
	v_mul_f64_e32 v[16:17], v[50:51], v[4:5]
	v_mul_f64_e32 v[18:19], v[48:49], v[4:5]
	v_fma_f64 v[16:17], v[48:49], v[2:3], -v[16:17]
	s_delay_alu instid0(VALU_DEP_2) | instskip(NEXT) | instid1(VALU_DEP_2)
	v_fma_f64 v[18:19], v[50:51], v[2:3], v[18:19]
	v_add_f64_e32 v[64:65], v[66:67], v[16:17]
	s_delay_alu instid0(VALU_DEP_2) | instskip(SKIP_4) | instid1(VALU_DEP_2)
	v_add_f64_e32 v[28:29], v[18:19], v[28:29]
	ds_load_b128 v[16:19], v38 offset:768
	s_wait_dscnt 0x0
	v_mul_f64_e32 v[20:21], v[50:51], v[18:19]
	v_mul_f64_e32 v[22:23], v[48:49], v[18:19]
	v_fma_f64 v[20:21], v[48:49], v[16:17], -v[20:21]
	s_delay_alu instid0(VALU_DEP_2) | instskip(NEXT) | instid1(VALU_DEP_2)
	v_fma_f64 v[22:23], v[50:51], v[16:17], v[22:23]
	v_add_f64_e32 v[46:47], v[46:47], v[20:21]
	s_delay_alu instid0(VALU_DEP_2) | instskip(SKIP_4) | instid1(VALU_DEP_2)
	v_add_f64_e32 v[44:45], v[22:23], v[44:45]
	ds_load_b128 v[20:23], v39 offset:2064
	s_wait_dscnt 0x0
	v_mul_f64_e32 v[48:49], v[22:23], v[4:5]
	v_mul_f64_e32 v[4:5], v[20:21], v[4:5]
	v_fma_f64 v[48:49], v[20:21], v[2:3], -v[48:49]
	s_delay_alu instid0(VALU_DEP_2) | instskip(SKIP_1) | instid1(VALU_DEP_3)
	v_fma_f64 v[2:3], v[22:23], v[2:3], v[4:5]
	v_mul_f64_e32 v[4:5], v[20:21], v[18:19]
	v_add_f64_e32 v[48:49], v[62:63], v[48:49]
	s_delay_alu instid0(VALU_DEP_3) | instskip(SKIP_1) | instid1(VALU_DEP_4)
	v_add_f64_e32 v[50:51], v[2:3], v[60:61]
	v_mul_f64_e32 v[2:3], v[22:23], v[18:19]
	v_fma_f64 v[4:5], v[22:23], v[16:17], v[4:5]
	s_delay_alu instid0(VALU_DEP_2) | instskip(NEXT) | instid1(VALU_DEP_2)
	v_fma_f64 v[2:3], v[20:21], v[16:17], -v[2:3]
	v_add_f64_e32 v[26:27], v[4:5], v[26:27]
	s_delay_alu instid0(VALU_DEP_2) | instskip(SKIP_4) | instid1(VALU_DEP_2)
	v_add_f64_e32 v[24:25], v[24:25], v[2:3]
	ds_load_b128 v[2:5], v38 offset:1024
	s_wait_dscnt 0x0
	v_mul_f64_e32 v[16:17], v[54:55], v[4:5]
	v_mul_f64_e32 v[18:19], v[52:53], v[4:5]
	v_fma_f64 v[16:17], v[52:53], v[2:3], -v[16:17]
	s_delay_alu instid0(VALU_DEP_2) | instskip(NEXT) | instid1(VALU_DEP_2)
	v_fma_f64 v[18:19], v[54:55], v[2:3], v[18:19]
	v_add_f64_e32 v[60:61], v[64:65], v[16:17]
	s_delay_alu instid0(VALU_DEP_2) | instskip(SKIP_4) | instid1(VALU_DEP_2)
	v_add_f64_e32 v[28:29], v[18:19], v[28:29]
	ds_load_b128 v[16:19], v38 offset:1280
	s_wait_dscnt 0x0
	v_mul_f64_e32 v[20:21], v[54:55], v[18:19]
	v_mul_f64_e32 v[22:23], v[52:53], v[18:19]
	v_fma_f64 v[20:21], v[52:53], v[16:17], -v[20:21]
	s_delay_alu instid0(VALU_DEP_2) | instskip(NEXT) | instid1(VALU_DEP_2)
	v_fma_f64 v[22:23], v[54:55], v[16:17], v[22:23]
	v_add_f64_e32 v[46:47], v[46:47], v[20:21]
	s_delay_alu instid0(VALU_DEP_2) | instskip(SKIP_4) | instid1(VALU_DEP_2)
	v_add_f64_e32 v[44:45], v[22:23], v[44:45]
	ds_load_b128 v[20:23], v39 offset:2080
	s_wait_dscnt 0x0
	v_mul_f64_e32 v[52:53], v[22:23], v[4:5]
	v_mul_f64_e32 v[4:5], v[20:21], v[4:5]
	v_fma_f64 v[52:53], v[20:21], v[2:3], -v[52:53]
	s_delay_alu instid0(VALU_DEP_2) | instskip(SKIP_1) | instid1(VALU_DEP_3)
	v_fma_f64 v[2:3], v[22:23], v[2:3], v[4:5]
	v_mul_f64_e32 v[4:5], v[20:21], v[18:19]
	v_add_f64_e32 v[48:49], v[48:49], v[52:53]
	s_delay_alu instid0(VALU_DEP_3) | instskip(SKIP_1) | instid1(VALU_DEP_4)
	v_add_f64_e32 v[50:51], v[2:3], v[50:51]
	v_mul_f64_e32 v[2:3], v[22:23], v[18:19]
	v_fma_f64 v[4:5], v[22:23], v[16:17], v[4:5]
	s_delay_alu instid0(VALU_DEP_2) | instskip(NEXT) | instid1(VALU_DEP_2)
	v_fma_f64 v[2:3], v[20:21], v[16:17], -v[2:3]
	;; [unrolled: 38-line block ×3, first 2 shown]
	v_add_f64_e32 v[26:27], v[4:5], v[26:27]
	s_delay_alu instid0(VALU_DEP_2)
	v_add_f64_e32 v[24:25], v[24:25], v[2:3]
	ds_load_b128 v[2:5], v39 offset:64
	ds_load_b128 v[16:19], v38 offset:2048
	s_wait_dscnt 0x0
	v_mul_f64_e32 v[20:21], v[4:5], v[18:19]
	v_mul_f64_e32 v[22:23], v[2:3], v[18:19]
	s_delay_alu instid0(VALU_DEP_2) | instskip(NEXT) | instid1(VALU_DEP_2)
	v_fma_f64 v[20:21], v[2:3], v[16:17], -v[20:21]
	v_fma_f64 v[22:23], v[4:5], v[16:17], v[22:23]
	s_delay_alu instid0(VALU_DEP_2) | instskip(NEXT) | instid1(VALU_DEP_2)
	v_add_f64_e32 v[52:53], v[52:53], v[20:21]
	v_add_f64_e32 v[28:29], v[22:23], v[28:29]
	ds_load_b128 v[20:23], v38 offset:2304
	s_wait_dscnt 0x0
	v_mul_f64_e32 v[54:55], v[4:5], v[22:23]
	s_delay_alu instid0(VALU_DEP_1) | instskip(SKIP_1) | instid1(VALU_DEP_2)
	v_fma_f64 v[54:55], v[2:3], v[20:21], -v[54:55]
	v_mul_f64_e32 v[2:3], v[2:3], v[22:23]
	v_add_f64_e32 v[46:47], v[46:47], v[54:55]
	s_delay_alu instid0(VALU_DEP_2) | instskip(NEXT) | instid1(VALU_DEP_1)
	v_fma_f64 v[2:3], v[4:5], v[20:21], v[2:3]
	v_add_f64_e32 v[44:45], v[2:3], v[44:45]
	ds_load_b128 v[2:5], v39 offset:2112
	s_wait_dscnt 0x0
	v_mul_f64_e32 v[54:55], v[4:5], v[18:19]
	v_mul_f64_e32 v[18:19], v[2:3], v[18:19]
	s_delay_alu instid0(VALU_DEP_2) | instskip(NEXT) | instid1(VALU_DEP_2)
	v_fma_f64 v[54:55], v[2:3], v[16:17], -v[54:55]
	v_fma_f64 v[16:17], v[4:5], v[16:17], v[18:19]
	s_delay_alu instid0(VALU_DEP_2) | instskip(NEXT) | instid1(VALU_DEP_2)
	v_add_f64_e32 v[48:49], v[48:49], v[54:55]
	v_add_f64_e32 v[50:51], v[16:17], v[50:51]
	v_mul_f64_e32 v[16:17], v[4:5], v[22:23]
	s_delay_alu instid0(VALU_DEP_1) | instskip(SKIP_1) | instid1(VALU_DEP_2)
	v_fma_f64 v[16:17], v[2:3], v[20:21], -v[16:17]
	v_mul_f64_e32 v[2:3], v[2:3], v[22:23]
	v_add_f64_e32 v[24:25], v[24:25], v[16:17]
	s_delay_alu instid0(VALU_DEP_2) | instskip(NEXT) | instid1(VALU_DEP_1)
	v_fma_f64 v[2:3], v[4:5], v[20:21], v[2:3]
	v_add_f64_e32 v[26:27], v[2:3], v[26:27]
	ds_load_b128 v[2:5], v39 offset:80
	ds_load_b128 v[16:19], v38 offset:2560
	s_wait_dscnt 0x0
	v_mul_f64_e32 v[20:21], v[4:5], v[18:19]
	v_mul_f64_e32 v[22:23], v[2:3], v[18:19]
	s_delay_alu instid0(VALU_DEP_2) | instskip(NEXT) | instid1(VALU_DEP_2)
	v_fma_f64 v[20:21], v[2:3], v[16:17], -v[20:21]
	v_fma_f64 v[22:23], v[4:5], v[16:17], v[22:23]
	s_delay_alu instid0(VALU_DEP_2) | instskip(NEXT) | instid1(VALU_DEP_2)
	v_add_f64_e32 v[52:53], v[52:53], v[20:21]
	v_add_f64_e32 v[28:29], v[22:23], v[28:29]
	ds_load_b128 v[20:23], v38 offset:2816
	s_wait_dscnt 0x0
	v_mul_f64_e32 v[54:55], v[4:5], v[22:23]
	s_delay_alu instid0(VALU_DEP_1) | instskip(SKIP_1) | instid1(VALU_DEP_2)
	v_fma_f64 v[54:55], v[2:3], v[20:21], -v[54:55]
	v_mul_f64_e32 v[2:3], v[2:3], v[22:23]
	v_add_f64_e32 v[46:47], v[46:47], v[54:55]
	s_delay_alu instid0(VALU_DEP_2) | instskip(NEXT) | instid1(VALU_DEP_1)
	v_fma_f64 v[2:3], v[4:5], v[20:21], v[2:3]
	v_add_f64_e32 v[44:45], v[2:3], v[44:45]
	ds_load_b128 v[2:5], v39 offset:2128
	s_wait_dscnt 0x0
	v_mul_f64_e32 v[54:55], v[4:5], v[18:19]
	v_mul_f64_e32 v[18:19], v[2:3], v[18:19]
	s_delay_alu instid0(VALU_DEP_2) | instskip(NEXT) | instid1(VALU_DEP_2)
	v_fma_f64 v[54:55], v[2:3], v[16:17], -v[54:55]
	v_fma_f64 v[16:17], v[4:5], v[16:17], v[18:19]
	s_delay_alu instid0(VALU_DEP_2) | instskip(NEXT) | instid1(VALU_DEP_2)
	v_add_f64_e32 v[48:49], v[48:49], v[54:55]
	v_add_f64_e32 v[50:51], v[16:17], v[50:51]
	v_mul_f64_e32 v[16:17], v[4:5], v[22:23]
	s_delay_alu instid0(VALU_DEP_1) | instskip(SKIP_1) | instid1(VALU_DEP_2)
	v_fma_f64 v[16:17], v[2:3], v[20:21], -v[16:17]
	v_mul_f64_e32 v[2:3], v[2:3], v[22:23]
	v_add_f64_e32 v[24:25], v[24:25], v[16:17]
	s_delay_alu instid0(VALU_DEP_2) | instskip(NEXT) | instid1(VALU_DEP_1)
	v_fma_f64 v[2:3], v[4:5], v[20:21], v[2:3]
	v_add_f64_e32 v[26:27], v[2:3], v[26:27]
	ds_load_b128 v[2:5], v39 offset:96
	ds_load_b128 v[16:19], v38 offset:3072
	s_wait_dscnt 0x0
	v_mul_f64_e32 v[20:21], v[4:5], v[18:19]
	v_mul_f64_e32 v[22:23], v[2:3], v[18:19]
	s_delay_alu instid0(VALU_DEP_2) | instskip(NEXT) | instid1(VALU_DEP_2)
	v_fma_f64 v[20:21], v[2:3], v[16:17], -v[20:21]
	v_fma_f64 v[22:23], v[4:5], v[16:17], v[22:23]
	s_delay_alu instid0(VALU_DEP_2) | instskip(NEXT) | instid1(VALU_DEP_2)
	v_add_f64_e32 v[52:53], v[52:53], v[20:21]
	v_add_f64_e32 v[28:29], v[22:23], v[28:29]
	ds_load_b128 v[20:23], v38 offset:3328
	s_wait_dscnt 0x0
	v_mul_f64_e32 v[54:55], v[4:5], v[22:23]
	s_delay_alu instid0(VALU_DEP_1) | instskip(SKIP_1) | instid1(VALU_DEP_2)
	v_fma_f64 v[54:55], v[2:3], v[20:21], -v[54:55]
	v_mul_f64_e32 v[2:3], v[2:3], v[22:23]
	v_add_f64_e32 v[54:55], v[46:47], v[54:55]
	s_delay_alu instid0(VALU_DEP_2) | instskip(NEXT) | instid1(VALU_DEP_1)
	v_fma_f64 v[2:3], v[4:5], v[20:21], v[2:3]
	v_add_f64_e32 v[56:57], v[2:3], v[44:45]
	ds_load_b128 v[2:5], v39 offset:2144
	s_wait_dscnt 0x0
	v_mul_f64_e32 v[44:45], v[4:5], v[18:19]
	v_mul_f64_e32 v[18:19], v[2:3], v[18:19]
	s_delay_alu instid0(VALU_DEP_2) | instskip(NEXT) | instid1(VALU_DEP_2)
	v_fma_f64 v[44:45], v[2:3], v[16:17], -v[44:45]
	v_fma_f64 v[16:17], v[4:5], v[16:17], v[18:19]
	s_delay_alu instid0(VALU_DEP_2) | instskip(NEXT) | instid1(VALU_DEP_2)
	v_add_f64_e32 v[48:49], v[48:49], v[44:45]
	v_add_f64_e32 v[50:51], v[16:17], v[50:51]
	v_mul_f64_e32 v[16:17], v[4:5], v[22:23]
	s_delay_alu instid0(VALU_DEP_1) | instskip(SKIP_1) | instid1(VALU_DEP_2)
	v_fma_f64 v[16:17], v[2:3], v[20:21], -v[16:17]
	v_mul_f64_e32 v[2:3], v[2:3], v[22:23]
	v_add_f64_e32 v[58:59], v[24:25], v[16:17]
	s_delay_alu instid0(VALU_DEP_2)
	v_fma_f64 v[2:3], v[4:5], v[20:21], v[2:3]
	ds_load_b128 v[16:19], v39 offset:112
	ds_load_b128 v[20:23], v38 offset:3584
	;; [unrolled: 1-line block ×3, first 2 shown]
	s_wait_dscnt 0x1
	v_mul_f64_e32 v[24:25], v[16:17], v[22:23]
	v_mul_f64_e32 v[4:5], v[18:19], v[22:23]
	v_add_f64_e32 v[2:3], v[2:3], v[26:27]
	s_delay_alu instid0(VALU_DEP_3) | instskip(NEXT) | instid1(VALU_DEP_3)
	v_fma_f64 v[24:25], v[18:19], v[20:21], v[24:25]
	v_fma_f64 v[4:5], v[16:17], v[20:21], -v[4:5]
	s_delay_alu instid0(VALU_DEP_2) | instskip(SKIP_2) | instid1(VALU_DEP_3)
	v_add_f64_e32 v[28:29], v[24:25], v[28:29]
	s_wait_dscnt 0x0
	v_mul_f64_e32 v[24:25], v[18:19], v[46:47]
	v_add_f64_e32 v[4:5], v[52:53], v[4:5]
	s_delay_alu instid0(VALU_DEP_2) | instskip(SKIP_1) | instid1(VALU_DEP_2)
	v_fma_f64 v[24:25], v[16:17], v[44:45], -v[24:25]
	v_mul_f64_e32 v[16:17], v[16:17], v[46:47]
	v_add_f64_e32 v[24:25], v[54:55], v[24:25]
	s_delay_alu instid0(VALU_DEP_2) | instskip(NEXT) | instid1(VALU_DEP_1)
	v_fma_f64 v[16:17], v[18:19], v[44:45], v[16:17]
	v_add_f64_e32 v[26:27], v[16:17], v[56:57]
	ds_load_b128 v[16:19], v39 offset:2160
	s_wait_loadcnt_dscnt 0x0
	s_barrier_signal -1
	s_barrier_wait -1
	global_inv scope:SCOPE_SE
	v_mul_f64_e32 v[52:53], v[18:19], v[22:23]
	v_mul_f64_e32 v[22:23], v[16:17], v[22:23]
	s_delay_alu instid0(VALU_DEP_2) | instskip(NEXT) | instid1(VALU_DEP_2)
	v_fma_f64 v[52:53], v[16:17], v[20:21], -v[52:53]
	v_fma_f64 v[22:23], v[18:19], v[20:21], v[22:23]
	s_delay_alu instid0(VALU_DEP_2) | instskip(SKIP_1) | instid1(VALU_DEP_3)
	v_add_f64_e32 v[20:21], v[48:49], v[52:53]
	v_mul_f64_e32 v[48:49], v[18:19], v[46:47]
	v_add_f64_e32 v[22:23], v[22:23], v[50:51]
	s_delay_alu instid0(VALU_DEP_2) | instskip(SKIP_1) | instid1(VALU_DEP_1)
	v_fma_f64 v[48:49], v[16:17], v[44:45], -v[48:49]
	v_mul_f64_e32 v[16:17], v[16:17], v[46:47]
	v_fma_f64 v[16:17], v[18:19], v[44:45], v[16:17]
	s_delay_alu instid0(VALU_DEP_3) | instskip(NEXT) | instid1(VALU_DEP_2)
	v_add_f64_e32 v[18:19], v[58:59], v[48:49]
	v_add_f64_e32 v[16:17], v[16:17], v[2:3]
	s_wait_alu 0xfffe
	s_cbranch_vccz .LBB282_21
.LBB282_10:                             ;   Parent Loop BB282_7 Depth=1
                                        ; =>  This Inner Loop Header: Depth=2
	s_mov_b32 s21, 0
	s_mov_b32 s23, s16
	s_and_saveexec_b32 s22, s0
	s_cbranch_execnz .LBB282_18
; %bb.11:                               ;   in Loop: Header=BB282_10 Depth=2
	s_wait_alu 0xfffe
	s_or_b32 exec_lo, exec_lo, s22
	s_and_saveexec_b32 s22, s23
	s_wait_alu 0xfffe
	s_xor_b32 s22, exec_lo, s22
	s_cbranch_execnz .LBB282_19
.LBB282_12:                             ;   in Loop: Header=BB282_10 Depth=2
	s_wait_alu 0xfffe
	s_or_b32 exec_lo, exec_lo, s22
	s_and_saveexec_b32 s22, s21
	s_cbranch_execz .LBB282_14
.LBB282_13:                             ;   in Loop: Header=BB282_10 Depth=2
	v_lshlrev_b64_e32 v[2:3], 4, v[14:15]
	s_delay_alu instid0(VALU_DEP_1) | instskip(SKIP_1) | instid1(VALU_DEP_2)
	v_add_co_u32 v2, vcc_lo, v40, v2
	s_wait_alu 0xfffd
	v_add_co_ci_u32_e64 v3, null, v41, v3, vcc_lo
	global_load_b128 v[44:47], v[2:3], off
	s_wait_loadcnt 0x0
	ds_store_2addr_b64 v32, v[44:45], v[46:47] offset1:1
.LBB282_14:                             ;   in Loop: Header=BB282_10 Depth=2
	s_wait_alu 0xfffe
	s_or_b32 exec_lo, exec_lo, s22
	v_add_nc_u32_e32 v0, s2, v30
	s_delay_alu instid0(VALU_DEP_1)
	v_cmp_le_u64_e32 vcc_lo, s[8:9], v[0:1]
	s_or_b32 s21, vcc_lo, s4
	s_wait_alu 0xfffe
	s_and_saveexec_b32 s22, s21
	s_wait_alu 0xfffe
	s_xor_b32 s21, exec_lo, s22
; %bb.15:                               ;   in Loop: Header=BB282_10 Depth=2
	v_dual_mov_b32 v0, v1 :: v_dual_mov_b32 v3, v1
	v_mov_b32_e32 v2, v1
	ds_store_b128 v33, v[0:3]
; %bb.16:                               ;   in Loop: Header=BB282_10 Depth=2
	s_wait_alu 0xfffe
	s_and_not1_saveexec_b32 s21, s21
	s_cbranch_execz .LBB282_9
; %bb.17:                               ;   in Loop: Header=BB282_10 Depth=2
	v_lshlrev_b64_e32 v[2:3], 4, v[0:1]
	s_delay_alu instid0(VALU_DEP_1) | instskip(SKIP_1) | instid1(VALU_DEP_2)
	v_add_co_u32 v2, vcc_lo, v42, v2
	s_wait_alu 0xfffd
	v_add_co_ci_u32_e64 v3, null, v43, v3, vcc_lo
	global_load_b128 v[44:47], v[2:3], off
	s_wait_loadcnt 0x0
	ds_store_2addr_b64 v33, v[44:45], v[46:47] offset1:1
	s_branch .LBB282_9
.LBB282_18:                             ;   in Loop: Header=BB282_10 Depth=2
	s_wait_alu 0xfffe
	v_add_nc_u32_e32 v0, s2, v31
	v_mov_b32_e32 v15, v1
	s_and_not1_b32 s23, s16, exec_lo
	s_mov_b32 s21, exec_lo
	s_delay_alu instid0(VALU_DEP_2)
	v_cmp_le_u64_e32 vcc_lo, s[8:9], v[0:1]
	v_mov_b32_e32 v14, v0
	s_and_b32 s36, vcc_lo, exec_lo
	s_wait_alu 0xfffe
	s_or_b32 s23, s23, s36
	s_or_b32 exec_lo, exec_lo, s22
	s_wait_alu 0xfffe
	s_and_saveexec_b32 s22, s23
	s_wait_alu 0xfffe
	s_xor_b32 s22, exec_lo, s22
	s_cbranch_execz .LBB282_12
.LBB282_19:                             ;   in Loop: Header=BB282_10 Depth=2
	v_dual_mov_b32 v0, v1 :: v_dual_mov_b32 v3, v1
	v_mov_b32_e32 v2, v1
	s_and_not1_b32 s21, s21, exec_lo
	ds_store_b128 v32, v[0:3]
	s_wait_alu 0xfffe
	s_or_b32 exec_lo, exec_lo, s22
	s_and_saveexec_b32 s22, s21
	s_cbranch_execnz .LBB282_13
	s_branch .LBB282_14
.LBB282_20:                             ;   in Loop: Header=BB282_7 Depth=1
	v_mov_b32_e32 v28, 0
	v_mov_b32_e32 v26, 0
	v_dual_mov_b32 v22, 0 :: v_dual_mov_b32 v29, 0
	v_dual_mov_b32 v24, 0 :: v_dual_mov_b32 v27, 0
	;; [unrolled: 1-line block ×3, first 2 shown]
	v_mov_b32_e32 v18, 0
	v_dual_mov_b32 v16, 0 :: v_dual_mov_b32 v25, 0
	v_mov_b32_e32 v21, 0
	v_mov_b32_e32 v19, 0
	;; [unrolled: 1-line block ×3, first 2 shown]
.LBB282_21:                             ;   in Loop: Header=BB282_7 Depth=1
	s_mul_u64 s[2:3], s[6:7], s[34:35]
	s_wait_alu 0xfffe
	s_lshl_b64 s[2:3], s[2:3], 4
	s_wait_alu 0xfffe
	s_add_nc_u64 s[2:3], s[30:31], s[2:3]
	s_wait_alu 0xfffe
	v_add_co_u32 v0, vcc_lo, s2, v10
	s_wait_alu 0xfffd
	v_add_co_ci_u32_e64 v40, null, s3, v11, vcc_lo
	s_and_saveexec_b32 s21, s5
	s_cbranch_execz .LBB282_26
; %bb.22:                               ;   in Loop: Header=BB282_7 Depth=1
	v_mul_f64_e32 v[2:3], s[12:13], v[28:29]
	v_mul_f64_e32 v[28:29], s[10:11], v[28:29]
	s_and_b32 vcc_lo, exec_lo, s14
	s_mov_b32 s22, -1
	s_delay_alu instid0(VALU_DEP_2) | instskip(NEXT) | instid1(VALU_DEP_2)
	v_fma_f64 v[2:3], s[10:11], v[4:5], -v[2:3]
	v_fma_f64 v[4:5], s[12:13], v[4:5], v[28:29]
	s_wait_alu 0xfffe
	s_cbranch_vccz .LBB282_24
; %bb.23:                               ;   in Loop: Header=BB282_7 Depth=1
	v_lshlrev_b64_e32 v[28:29], 4, v[6:7]
	s_mov_b32 s22, 0
	s_delay_alu instid0(VALU_DEP_1) | instskip(SKIP_1) | instid1(VALU_DEP_2)
	v_add_co_u32 v28, vcc_lo, v0, v28
	s_wait_alu 0xfffd
	v_add_co_ci_u32_e64 v29, null, v40, v29, vcc_lo
	global_load_b128 v[41:44], v[28:29], off
	s_wait_loadcnt 0x0
	v_mul_f64_e32 v[45:46], s[28:29], v[43:44]
	v_mul_f64_e32 v[43:44], s[26:27], v[43:44]
	s_delay_alu instid0(VALU_DEP_2) | instskip(NEXT) | instid1(VALU_DEP_2)
	v_fma_f64 v[45:46], s[26:27], v[41:42], -v[45:46]
	v_fma_f64 v[43:44], s[28:29], v[41:42], v[43:44]
	s_delay_alu instid0(VALU_DEP_2) | instskip(NEXT) | instid1(VALU_DEP_2)
	v_add_f64_e32 v[41:42], v[2:3], v[45:46]
	v_add_f64_e32 v[43:44], v[4:5], v[43:44]
	global_store_b128 v[28:29], v[41:44], off
.LBB282_24:                             ;   in Loop: Header=BB282_7 Depth=1
	s_wait_alu 0xfffe
	s_and_not1_b32 vcc_lo, exec_lo, s22
	s_wait_alu 0xfffe
	s_cbranch_vccnz .LBB282_26
; %bb.25:                               ;   in Loop: Header=BB282_7 Depth=1
	v_lshlrev_b64_e32 v[28:29], 4, v[6:7]
	s_delay_alu instid0(VALU_DEP_1) | instskip(SKIP_1) | instid1(VALU_DEP_2)
	v_add_co_u32 v28, vcc_lo, v0, v28
	s_wait_alu 0xfffd
	v_add_co_ci_u32_e64 v29, null, v40, v29, vcc_lo
	global_store_b128 v[28:29], v[2:5], off
.LBB282_26:                             ;   in Loop: Header=BB282_7 Depth=1
	s_wait_alu 0xfffe
	s_or_b32 exec_lo, exec_lo, s21
	s_and_saveexec_b32 s21, s15
	s_cbranch_execz .LBB282_31
; %bb.27:                               ;   in Loop: Header=BB282_7 Depth=1
	v_mul_f64_e32 v[2:3], s[12:13], v[26:27]
	v_mul_f64_e32 v[4:5], s[10:11], v[26:27]
	s_and_not1_b32 vcc_lo, exec_lo, s14
	s_mov_b32 s22, -1
	s_delay_alu instid0(VALU_DEP_2) | instskip(NEXT) | instid1(VALU_DEP_2)
	v_fma_f64 v[2:3], s[10:11], v[24:25], -v[2:3]
	v_fma_f64 v[4:5], s[12:13], v[24:25], v[4:5]
	s_wait_alu 0xfffe
	s_cbranch_vccnz .LBB282_29
; %bb.28:                               ;   in Loop: Header=BB282_7 Depth=1
	v_lshlrev_b64_e32 v[24:25], 4, v[8:9]
	s_mov_b32 s22, 0
	s_delay_alu instid0(VALU_DEP_1) | instskip(SKIP_1) | instid1(VALU_DEP_2)
	v_add_co_u32 v28, vcc_lo, v0, v24
	s_wait_alu 0xfffd
	v_add_co_ci_u32_e64 v29, null, v40, v25, vcc_lo
	global_load_b128 v[24:27], v[28:29], off
	s_wait_loadcnt 0x0
	v_mul_f64_e32 v[41:42], s[28:29], v[26:27]
	v_mul_f64_e32 v[26:27], s[26:27], v[26:27]
	s_delay_alu instid0(VALU_DEP_2) | instskip(NEXT) | instid1(VALU_DEP_2)
	v_fma_f64 v[41:42], s[26:27], v[24:25], -v[41:42]
	v_fma_f64 v[26:27], s[28:29], v[24:25], v[26:27]
	s_delay_alu instid0(VALU_DEP_2) | instskip(NEXT) | instid1(VALU_DEP_2)
	v_add_f64_e32 v[24:25], v[2:3], v[41:42]
	v_add_f64_e32 v[26:27], v[4:5], v[26:27]
	global_store_b128 v[28:29], v[24:27], off
.LBB282_29:                             ;   in Loop: Header=BB282_7 Depth=1
	s_wait_alu 0xfffe
	s_and_not1_b32 vcc_lo, exec_lo, s22
	s_wait_alu 0xfffe
	s_cbranch_vccnz .LBB282_31
; %bb.30:                               ;   in Loop: Header=BB282_7 Depth=1
	v_lshlrev_b64_e32 v[24:25], 4, v[8:9]
	s_delay_alu instid0(VALU_DEP_1) | instskip(SKIP_1) | instid1(VALU_DEP_2)
	v_add_co_u32 v24, vcc_lo, v0, v24
	s_wait_alu 0xfffd
	v_add_co_ci_u32_e64 v25, null, v40, v25, vcc_lo
	global_store_b128 v[24:25], v[2:5], off
.LBB282_31:                             ;   in Loop: Header=BB282_7 Depth=1
	s_wait_alu 0xfffe
	s_or_b32 exec_lo, exec_lo, s21
	v_add_co_u32 v0, vcc_lo, s2, v12
	s_wait_alu 0xfffd
	v_add_co_ci_u32_e64 v24, null, s3, v13, vcc_lo
	s_and_saveexec_b32 s2, s17
	s_cbranch_execz .LBB282_36
; %bb.32:                               ;   in Loop: Header=BB282_7 Depth=1
	v_mul_f64_e32 v[2:3], s[12:13], v[22:23]
	v_mul_f64_e32 v[4:5], s[10:11], v[22:23]
	s_and_not1_b32 vcc_lo, exec_lo, s14
	s_mov_b32 s3, -1
	s_delay_alu instid0(VALU_DEP_2) | instskip(NEXT) | instid1(VALU_DEP_2)
	v_fma_f64 v[2:3], s[10:11], v[20:21], -v[2:3]
	v_fma_f64 v[4:5], s[12:13], v[20:21], v[4:5]
	v_lshlrev_b64_e32 v[20:21], 4, v[6:7]
	s_wait_alu 0xfffe
	s_cbranch_vccnz .LBB282_34
; %bb.33:                               ;   in Loop: Header=BB282_7 Depth=1
	s_delay_alu instid0(VALU_DEP_1) | instskip(SKIP_1) | instid1(VALU_DEP_2)
	v_add_co_u32 v22, vcc_lo, v0, v20
	s_wait_alu 0xfffd
	v_add_co_ci_u32_e64 v23, null, v24, v21, vcc_lo
	s_mov_b32 s3, 0
	global_load_b128 v[25:28], v[22:23], off
	s_wait_loadcnt 0x0
	v_mul_f64_e32 v[40:41], s[28:29], v[27:28]
	v_mul_f64_e32 v[27:28], s[26:27], v[27:28]
	s_delay_alu instid0(VALU_DEP_2) | instskip(NEXT) | instid1(VALU_DEP_2)
	v_fma_f64 v[40:41], s[26:27], v[25:26], -v[40:41]
	v_fma_f64 v[27:28], s[28:29], v[25:26], v[27:28]
	s_delay_alu instid0(VALU_DEP_2) | instskip(NEXT) | instid1(VALU_DEP_2)
	v_add_f64_e32 v[25:26], v[2:3], v[40:41]
	v_add_f64_e32 v[27:28], v[4:5], v[27:28]
	global_store_b128 v[22:23], v[25:28], off
.LBB282_34:                             ;   in Loop: Header=BB282_7 Depth=1
	s_wait_alu 0xfffe
	s_and_not1_b32 vcc_lo, exec_lo, s3
	s_wait_alu 0xfffe
	s_cbranch_vccnz .LBB282_36
; %bb.35:                               ;   in Loop: Header=BB282_7 Depth=1
	v_add_co_u32 v20, vcc_lo, v0, v20
	s_wait_alu 0xfffd
	v_add_co_ci_u32_e64 v21, null, v24, v21, vcc_lo
	global_store_b128 v[20:21], v[2:5], off
.LBB282_36:                             ;   in Loop: Header=BB282_7 Depth=1
	s_wait_alu 0xfffe
	s_or_b32 exec_lo, exec_lo, s2
	s_and_saveexec_b32 s2, s1
	s_cbranch_execz .LBB282_6
; %bb.37:                               ;   in Loop: Header=BB282_7 Depth=1
	v_mul_f64_e32 v[2:3], s[12:13], v[16:17]
	v_mul_f64_e32 v[4:5], s[10:11], v[16:17]
	v_lshlrev_b64_e32 v[16:17], 4, v[8:9]
	s_and_not1_b32 vcc_lo, exec_lo, s14
	s_mov_b32 s3, -1
	s_delay_alu instid0(VALU_DEP_3) | instskip(NEXT) | instid1(VALU_DEP_3)
	v_fma_f64 v[2:3], s[10:11], v[18:19], -v[2:3]
	v_fma_f64 v[4:5], s[12:13], v[18:19], v[4:5]
	s_wait_alu 0xfffe
	s_cbranch_vccnz .LBB282_39
; %bb.38:                               ;   in Loop: Header=BB282_7 Depth=1
	v_add_co_u32 v22, vcc_lo, v0, v16
	s_wait_alu 0xfffd
	v_add_co_ci_u32_e64 v23, null, v24, v17, vcc_lo
	s_mov_b32 s3, 0
	global_load_b128 v[18:21], v[22:23], off
	s_wait_loadcnt 0x0
	v_mul_f64_e32 v[25:26], s[28:29], v[20:21]
	v_mul_f64_e32 v[20:21], s[26:27], v[20:21]
	s_delay_alu instid0(VALU_DEP_2) | instskip(NEXT) | instid1(VALU_DEP_2)
	v_fma_f64 v[25:26], s[26:27], v[18:19], -v[25:26]
	v_fma_f64 v[20:21], s[28:29], v[18:19], v[20:21]
	s_delay_alu instid0(VALU_DEP_2) | instskip(NEXT) | instid1(VALU_DEP_2)
	v_add_f64_e32 v[18:19], v[2:3], v[25:26]
	v_add_f64_e32 v[20:21], v[4:5], v[20:21]
	global_store_b128 v[22:23], v[18:21], off
.LBB282_39:                             ;   in Loop: Header=BB282_7 Depth=1
	s_wait_alu 0xfffe
	s_and_not1_b32 vcc_lo, exec_lo, s3
	s_wait_alu 0xfffe
	s_cbranch_vccnz .LBB282_6
; %bb.40:                               ;   in Loop: Header=BB282_7 Depth=1
	v_add_co_u32 v16, vcc_lo, v0, v16
	s_wait_alu 0xfffd
	v_add_co_ci_u32_e64 v17, null, v24, v17, vcc_lo
	global_store_b128 v[16:17], v[2:5], off
	s_branch .LBB282_6
.LBB282_41:
.LBB282_42:
	s_endpgm
	.section	.rodata,"a",@progbits
	.p2align	6, 0x0
	.amdhsa_kernel _ZL29rocblas_internal_gemmt_kernelIlLi16ELi32ELi8ELc84ELc78ELc76ELb0ELb0E19rocblas_complex_numIdES1_PKS1_PS1_EviT_T9_T10_S5_lS7_S5_lS6_T11_S5_li
		.amdhsa_group_segment_fixed_size 8192
		.amdhsa_private_segment_fixed_size 0
		.amdhsa_kernarg_size 124
		.amdhsa_user_sgpr_count 2
		.amdhsa_user_sgpr_dispatch_ptr 0
		.amdhsa_user_sgpr_queue_ptr 0
		.amdhsa_user_sgpr_kernarg_segment_ptr 1
		.amdhsa_user_sgpr_dispatch_id 0
		.amdhsa_user_sgpr_private_segment_size 0
		.amdhsa_wavefront_size32 1
		.amdhsa_uses_dynamic_stack 0
		.amdhsa_enable_private_segment 0
		.amdhsa_system_sgpr_workgroup_id_x 1
		.amdhsa_system_sgpr_workgroup_id_y 1
		.amdhsa_system_sgpr_workgroup_id_z 1
		.amdhsa_system_sgpr_workgroup_info 0
		.amdhsa_system_vgpr_workitem_id 1
		.amdhsa_next_free_vgpr 68
		.amdhsa_next_free_sgpr 40
		.amdhsa_reserve_vcc 1
		.amdhsa_float_round_mode_32 0
		.amdhsa_float_round_mode_16_64 0
		.amdhsa_float_denorm_mode_32 3
		.amdhsa_float_denorm_mode_16_64 3
		.amdhsa_fp16_overflow 0
		.amdhsa_workgroup_processor_mode 1
		.amdhsa_memory_ordered 1
		.amdhsa_forward_progress 1
		.amdhsa_inst_pref_size 30
		.amdhsa_round_robin_scheduling 0
		.amdhsa_exception_fp_ieee_invalid_op 0
		.amdhsa_exception_fp_denorm_src 0
		.amdhsa_exception_fp_ieee_div_zero 0
		.amdhsa_exception_fp_ieee_overflow 0
		.amdhsa_exception_fp_ieee_underflow 0
		.amdhsa_exception_fp_ieee_inexact 0
		.amdhsa_exception_int_div_zero 0
	.end_amdhsa_kernel
	.section	.text._ZL29rocblas_internal_gemmt_kernelIlLi16ELi32ELi8ELc84ELc78ELc76ELb0ELb0E19rocblas_complex_numIdES1_PKS1_PS1_EviT_T9_T10_S5_lS7_S5_lS6_T11_S5_li,"axG",@progbits,_ZL29rocblas_internal_gemmt_kernelIlLi16ELi32ELi8ELc84ELc78ELc76ELb0ELb0E19rocblas_complex_numIdES1_PKS1_PS1_EviT_T9_T10_S5_lS7_S5_lS6_T11_S5_li,comdat
.Lfunc_end282:
	.size	_ZL29rocblas_internal_gemmt_kernelIlLi16ELi32ELi8ELc84ELc78ELc76ELb0ELb0E19rocblas_complex_numIdES1_PKS1_PS1_EviT_T9_T10_S5_lS7_S5_lS6_T11_S5_li, .Lfunc_end282-_ZL29rocblas_internal_gemmt_kernelIlLi16ELi32ELi8ELc84ELc78ELc76ELb0ELb0E19rocblas_complex_numIdES1_PKS1_PS1_EviT_T9_T10_S5_lS7_S5_lS6_T11_S5_li
                                        ; -- End function
	.set _ZL29rocblas_internal_gemmt_kernelIlLi16ELi32ELi8ELc84ELc78ELc76ELb0ELb0E19rocblas_complex_numIdES1_PKS1_PS1_EviT_T9_T10_S5_lS7_S5_lS6_T11_S5_li.num_vgpr, 68
	.set _ZL29rocblas_internal_gemmt_kernelIlLi16ELi32ELi8ELc84ELc78ELc76ELb0ELb0E19rocblas_complex_numIdES1_PKS1_PS1_EviT_T9_T10_S5_lS7_S5_lS6_T11_S5_li.num_agpr, 0
	.set _ZL29rocblas_internal_gemmt_kernelIlLi16ELi32ELi8ELc84ELc78ELc76ELb0ELb0E19rocblas_complex_numIdES1_PKS1_PS1_EviT_T9_T10_S5_lS7_S5_lS6_T11_S5_li.numbered_sgpr, 40
	.set _ZL29rocblas_internal_gemmt_kernelIlLi16ELi32ELi8ELc84ELc78ELc76ELb0ELb0E19rocblas_complex_numIdES1_PKS1_PS1_EviT_T9_T10_S5_lS7_S5_lS6_T11_S5_li.num_named_barrier, 0
	.set _ZL29rocblas_internal_gemmt_kernelIlLi16ELi32ELi8ELc84ELc78ELc76ELb0ELb0E19rocblas_complex_numIdES1_PKS1_PS1_EviT_T9_T10_S5_lS7_S5_lS6_T11_S5_li.private_seg_size, 0
	.set _ZL29rocblas_internal_gemmt_kernelIlLi16ELi32ELi8ELc84ELc78ELc76ELb0ELb0E19rocblas_complex_numIdES1_PKS1_PS1_EviT_T9_T10_S5_lS7_S5_lS6_T11_S5_li.uses_vcc, 1
	.set _ZL29rocblas_internal_gemmt_kernelIlLi16ELi32ELi8ELc84ELc78ELc76ELb0ELb0E19rocblas_complex_numIdES1_PKS1_PS1_EviT_T9_T10_S5_lS7_S5_lS6_T11_S5_li.uses_flat_scratch, 0
	.set _ZL29rocblas_internal_gemmt_kernelIlLi16ELi32ELi8ELc84ELc78ELc76ELb0ELb0E19rocblas_complex_numIdES1_PKS1_PS1_EviT_T9_T10_S5_lS7_S5_lS6_T11_S5_li.has_dyn_sized_stack, 0
	.set _ZL29rocblas_internal_gemmt_kernelIlLi16ELi32ELi8ELc84ELc78ELc76ELb0ELb0E19rocblas_complex_numIdES1_PKS1_PS1_EviT_T9_T10_S5_lS7_S5_lS6_T11_S5_li.has_recursion, 0
	.set _ZL29rocblas_internal_gemmt_kernelIlLi16ELi32ELi8ELc84ELc78ELc76ELb0ELb0E19rocblas_complex_numIdES1_PKS1_PS1_EviT_T9_T10_S5_lS7_S5_lS6_T11_S5_li.has_indirect_call, 0
	.section	.AMDGPU.csdata,"",@progbits
; Kernel info:
; codeLenInByte = 3824
; TotalNumSgprs: 42
; NumVgprs: 68
; ScratchSize: 0
; MemoryBound: 0
; FloatMode: 240
; IeeeMode: 1
; LDSByteSize: 8192 bytes/workgroup (compile time only)
; SGPRBlocks: 0
; VGPRBlocks: 8
; NumSGPRsForWavesPerEU: 42
; NumVGPRsForWavesPerEU: 68
; Occupancy: 16
; WaveLimiterHint : 0
; COMPUTE_PGM_RSRC2:SCRATCH_EN: 0
; COMPUTE_PGM_RSRC2:USER_SGPR: 2
; COMPUTE_PGM_RSRC2:TRAP_HANDLER: 0
; COMPUTE_PGM_RSRC2:TGID_X_EN: 1
; COMPUTE_PGM_RSRC2:TGID_Y_EN: 1
; COMPUTE_PGM_RSRC2:TGID_Z_EN: 1
; COMPUTE_PGM_RSRC2:TIDIG_COMP_CNT: 1
	.section	.text._ZL29rocblas_internal_gemmt_kernelIlLi16ELi32ELi8ELc84ELc84ELc76ELb0ELb0E19rocblas_complex_numIdES1_PKS1_PS1_EviT_T9_T10_S5_lS7_S5_lS6_T11_S5_li,"axG",@progbits,_ZL29rocblas_internal_gemmt_kernelIlLi16ELi32ELi8ELc84ELc84ELc76ELb0ELb0E19rocblas_complex_numIdES1_PKS1_PS1_EviT_T9_T10_S5_lS7_S5_lS6_T11_S5_li,comdat
	.globl	_ZL29rocblas_internal_gemmt_kernelIlLi16ELi32ELi8ELc84ELc84ELc76ELb0ELb0E19rocblas_complex_numIdES1_PKS1_PS1_EviT_T9_T10_S5_lS7_S5_lS6_T11_S5_li ; -- Begin function _ZL29rocblas_internal_gemmt_kernelIlLi16ELi32ELi8ELc84ELc84ELc76ELb0ELb0E19rocblas_complex_numIdES1_PKS1_PS1_EviT_T9_T10_S5_lS7_S5_lS6_T11_S5_li
	.p2align	8
	.type	_ZL29rocblas_internal_gemmt_kernelIlLi16ELi32ELi8ELc84ELc84ELc76ELb0ELb0E19rocblas_complex_numIdES1_PKS1_PS1_EviT_T9_T10_S5_lS7_S5_lS6_T11_S5_li,@function
_ZL29rocblas_internal_gemmt_kernelIlLi16ELi32ELi8ELc84ELc84ELc76ELb0ELb0E19rocblas_complex_numIdES1_PKS1_PS1_EviT_T9_T10_S5_lS7_S5_lS6_T11_S5_li: ; @_ZL29rocblas_internal_gemmt_kernelIlLi16ELi32ELi8ELc84ELc84ELc76ELb0ELb0E19rocblas_complex_numIdES1_PKS1_PS1_EviT_T9_T10_S5_lS7_S5_lS6_T11_S5_li
; %bb.0:
	s_clause 0x1
	s_load_b256 s[24:31], s[0:1], 0x48
	s_load_b512 s[8:23], s[0:1], 0x8
	s_wait_kmcnt 0x0
	v_cmp_eq_f64_e64 s3, s[26:27], 1.0
	v_cmp_eq_f64_e64 s2, s[28:29], 0
	s_and_b32 s3, s3, s2
	s_delay_alu instid0(SALU_CYCLE_1)
	s_and_not1_b32 vcc_lo, exec_lo, s3
	s_mov_b32 s3, -1
	s_cbranch_vccnz .LBB283_3
; %bb.1:
	s_cmp_lg_u64 s[8:9], 0
	s_cbranch_scc0 .LBB283_41
; %bb.2:
	v_cmp_neq_f64_e64 s3, s[10:11], 0
	v_cmp_neq_f64_e64 s4, s[12:13], 0
	s_or_b32 s3, s3, s4
.LBB283_3:
	s_delay_alu instid0(SALU_CYCLE_1)
	s_and_b32 vcc_lo, exec_lo, s3
	s_cbranch_vccz .LBB283_42
; %bb.4:
	s_load_b32 s33, s[0:1], 0x78
	s_lshr_b32 s34, ttmp7, 16
	s_wait_kmcnt 0x0
	s_cmp_ge_u32 s34, s33
	s_cbranch_scc1 .LBB283_42
; %bb.5:
	v_and_b32_e32 v6, 0x3ff, v0
	v_bfe_u32 v7, v0, 10, 10
	s_clause 0x1
	s_load_b128 s[4:7], s[0:1], 0x68
	s_load_b32 s36, s[0:1], 0x0
	s_lshl_b32 s37, ttmp9, 5
	v_and_b32_e32 v30, 7, v0
	v_cmp_neq_f64_e64 s39, s[26:27], 0
	v_lshl_add_u32 v2, v7, 4, v6
	s_lshl_b32 s0, ttmp7, 5
	s_ashr_i32 s1, s37, 31
	s_and_b32 s0, s0, 0x1fffe0
	s_mul_i32 s1, s16, s1
	v_and_b32_e32 v3, 31, v2
	v_lshrrev_b32_e32 v8, 3, v2
	v_add_nc_u32_e32 v11, s0, v7
	v_lshrrev_b32_e32 v31, 5, v2
	v_cmp_neq_f64_e64 s3, s[10:11], 0
	v_or_b32_e32 v4, s37, v3
	v_add_nc_u32_e32 v2, s0, v8
	v_lshlrev_b32_e32 v3, 4, v3
	v_cmp_neq_f64_e64 s35, s[12:13], 0
	v_add_nc_u32_e32 v12, 16, v11
	v_mul_lo_u32 v5, s17, v4
	v_mad_co_u64_u32 v[0:1], null, s16, v4, 0
	s_wait_kmcnt 0x0
	v_cmp_gt_i32_e64 s0, s36, v4
	v_cmp_le_i32_e64 s16, s36, v4
	v_lshl_or_b32 v32, v31, 9, v3
	v_cmp_gt_i32_e32 vcc_lo, s36, v2
	v_lshlrev_b32_e32 v4, 4, v2
	v_mad_co_u64_u32 v[2:3], null, s4, v11, 0
	v_add3_u32 v1, v1, s1, v5
	v_lshlrev_b32_e32 v9, 4, v30
	v_lshl_add_u32 v39, v7, 7, 0x1000
	v_cmp_gt_i64_e64 s38, s[8:9], 0
                                        ; implicit-def: $vgpr14_vgpr15
	s_delay_alu instid0(VALU_DEP_4) | instskip(NEXT) | instid1(VALU_DEP_1)
	v_lshlrev_b64_e32 v[0:1], 4, v[0:1]
	v_add_co_u32 v34, s1, s14, v0
	v_mov_b32_e32 v0, v3
	v_lshl_or_b32 v5, v8, 7, v9
	s_wait_alu 0xf1ff
	s_delay_alu instid0(VALU_DEP_4) | instskip(SKIP_1) | instid1(VALU_DEP_3)
	v_add_co_ci_u32_e64 v35, null, s15, v1, s1
	v_add_co_u32 v36, s1, s20, v4
	v_add_nc_u32_e32 v33, 0x1000, v5
	v_mad_co_u64_u32 v[4:5], null, s4, v12, 0
	v_dual_mov_b32 v1, 0 :: v_dual_lshlrev_b32 v38, 4, v6
	v_add_nc_u32_e32 v6, s37, v6
	s_wait_alu 0xf1ff
	v_add_co_ci_u32_e64 v37, null, s21, 0, s1
	s_delay_alu instid0(VALU_DEP_3)
	v_mad_co_u64_u32 v[7:8], null, s5, v11, v[0:1]
	v_mov_b32_e32 v0, v5
	s_xor_b32 s1, s2, -1
	v_cmp_gt_i32_e64 s2, s36, v6
	s_wait_alu 0xfffe
	s_or_b32 s14, s39, s1
	v_cmp_le_i32_e64 s1, v11, v6
	v_mad_co_u64_u32 v[9:10], null, s5, v12, v[0:1]
	v_dual_mov_b32 v3, v7 :: v_dual_add_nc_u32 v8, 16, v6
	s_delay_alu instid0(VALU_DEP_3)
	s_and_b32 s5, s1, s2
	v_cmp_le_i32_e64 s1, v12, v6
	s_or_b32 s35, s3, s35
	v_cmp_le_i32_e64 s3, v11, v8
	v_mov_b32_e32 v5, v9
	v_cmp_gt_i32_e64 s4, s36, v8
	s_and_b32 s17, s1, s2
	v_cmp_le_i32_e64 s1, v12, v8
	v_lshlrev_b64_e32 v[10:11], 4, v[2:3]
	v_lshlrev_b64_e32 v[12:13], 4, v[4:5]
	v_ashrrev_i32_e32 v7, 31, v6
	v_ashrrev_i32_e32 v9, 31, v8
	s_and_b32 s15, s3, s4
	s_and_b32 s20, s35, s38
	;; [unrolled: 1-line block ×3, first 2 shown]
	s_mov_b32 s35, 0
	s_xor_b32 s4, vcc_lo, -1
	s_branch .LBB283_7
.LBB283_6:                              ;   in Loop: Header=BB283_7 Depth=1
	s_wait_alu 0xfffe
	s_or_b32 exec_lo, exec_lo, s2
	s_add_co_i32 s34, s34, 0x10000
	s_delay_alu instid0(SALU_CYCLE_1)
	s_cmp_lt_u32 s34, s33
	s_cbranch_scc0 .LBB283_42
.LBB283_7:                              ; =>This Loop Header: Depth=1
                                        ;     Child Loop BB283_10 Depth 2
	v_mov_b32_e32 v4, 0
	v_mov_b32_e32 v5, 0
	s_wait_alu 0xfffe
	s_and_not1_b32 vcc_lo, exec_lo, s20
	s_wait_alu 0xfffe
	s_cbranch_vccnz .LBB283_20
; %bb.8:                                ;   in Loop: Header=BB283_7 Depth=1
	s_mul_u64 s[2:3], s[18:19], s[34:35]
	s_mul_u64 s[36:37], s[24:25], s[34:35]
	s_wait_alu 0xfffe
	s_lshl_b64 s[2:3], s[2:3], 4
	v_mov_b32_e32 v16, 0
	s_wait_alu 0xfffe
	v_add_co_u32 v40, vcc_lo, v34, s2
	s_wait_alu 0xfffd
	v_add_co_ci_u32_e64 v41, null, s3, v35, vcc_lo
	s_lshl_b64 s[2:3], s[36:37], 4
	v_mov_b32_e32 v22, 0
	v_mov_b32_e32 v26, 0
	;; [unrolled: 1-line block ×3, first 2 shown]
	s_wait_alu 0xfffe
	v_add_co_u32 v42, vcc_lo, v36, s2
	v_dual_mov_b32 v17, 0 :: v_dual_mov_b32 v18, 0
	v_dual_mov_b32 v23, 0 :: v_dual_mov_b32 v20, 0
	;; [unrolled: 1-line block ×4, first 2 shown]
	v_mov_b32_e32 v19, 0
	v_mov_b32_e32 v21, 0
	;; [unrolled: 1-line block ×4, first 2 shown]
	s_wait_alu 0xfffd
	v_add_co_ci_u32_e64 v43, null, s3, v37, vcc_lo
	s_mov_b64 s[2:3], 0
	s_branch .LBB283_10
.LBB283_9:                              ;   in Loop: Header=BB283_10 Depth=2
	s_wait_alu 0xfffe
	s_or_b32 exec_lo, exec_lo, s21
	s_wait_dscnt 0x0
	s_barrier_signal -1
	s_barrier_wait -1
	global_inv scope:SCOPE_SE
	ds_load_b128 v[44:47], v39
	ds_load_b128 v[48:51], v39 offset:16
	ds_load_b128 v[52:55], v39 offset:32
	;; [unrolled: 1-line block ×3, first 2 shown]
	ds_load_b128 v[60:63], v38
	s_add_nc_u64 s[2:3], s[2:3], 8
	s_wait_alu 0xfffe
	v_cmp_gt_i64_e64 s21, s[8:9], s[2:3]
	s_and_b32 vcc_lo, exec_lo, s21
	s_wait_dscnt 0x0
	v_mul_f64_e32 v[2:3], v[46:47], v[62:63]
	v_mul_f64_e32 v[64:65], v[44:45], v[62:63]
	s_delay_alu instid0(VALU_DEP_2) | instskip(NEXT) | instid1(VALU_DEP_2)
	v_fma_f64 v[2:3], v[44:45], v[60:61], -v[2:3]
	v_fma_f64 v[64:65], v[46:47], v[60:61], v[64:65]
	s_delay_alu instid0(VALU_DEP_2) | instskip(SKIP_4) | instid1(VALU_DEP_1)
	v_add_f64_e32 v[66:67], v[4:5], v[2:3]
	ds_load_b128 v[2:5], v38 offset:256
	v_add_f64_e32 v[28:29], v[64:65], v[28:29]
	s_wait_dscnt 0x0
	v_mul_f64_e32 v[64:65], v[46:47], v[4:5]
	v_fma_f64 v[64:65], v[44:45], v[2:3], -v[64:65]
	v_mul_f64_e32 v[44:45], v[44:45], v[4:5]
	s_delay_alu instid0(VALU_DEP_1) | instskip(NEXT) | instid1(VALU_DEP_3)
	v_fma_f64 v[44:45], v[46:47], v[2:3], v[44:45]
	v_add_f64_e32 v[46:47], v[24:25], v[64:65]
	s_delay_alu instid0(VALU_DEP_2) | instskip(SKIP_4) | instid1(VALU_DEP_2)
	v_add_f64_e32 v[44:45], v[44:45], v[26:27]
	ds_load_b128 v[24:27], v39 offset:2048
	s_wait_dscnt 0x0
	v_mul_f64_e32 v[64:65], v[26:27], v[62:63]
	v_mul_f64_e32 v[62:63], v[24:25], v[62:63]
	v_fma_f64 v[64:65], v[24:25], v[60:61], -v[64:65]
	s_delay_alu instid0(VALU_DEP_2) | instskip(NEXT) | instid1(VALU_DEP_2)
	v_fma_f64 v[60:61], v[26:27], v[60:61], v[62:63]
	v_add_f64_e32 v[62:63], v[20:21], v[64:65]
	v_mul_f64_e32 v[20:21], v[26:27], v[4:5]
	v_mul_f64_e32 v[4:5], v[24:25], v[4:5]
	s_delay_alu instid0(VALU_DEP_4) | instskip(NEXT) | instid1(VALU_DEP_3)
	v_add_f64_e32 v[60:61], v[60:61], v[22:23]
	v_fma_f64 v[20:21], v[24:25], v[2:3], -v[20:21]
	s_delay_alu instid0(VALU_DEP_3) | instskip(NEXT) | instid1(VALU_DEP_2)
	v_fma_f64 v[2:3], v[26:27], v[2:3], v[4:5]
	v_add_f64_e32 v[24:25], v[18:19], v[20:21]
	s_delay_alu instid0(VALU_DEP_2) | instskip(SKIP_4) | instid1(VALU_DEP_2)
	v_add_f64_e32 v[26:27], v[2:3], v[16:17]
	ds_load_b128 v[2:5], v38 offset:512
	s_wait_dscnt 0x0
	v_mul_f64_e32 v[16:17], v[50:51], v[4:5]
	v_mul_f64_e32 v[18:19], v[48:49], v[4:5]
	v_fma_f64 v[16:17], v[48:49], v[2:3], -v[16:17]
	s_delay_alu instid0(VALU_DEP_2) | instskip(NEXT) | instid1(VALU_DEP_2)
	v_fma_f64 v[18:19], v[50:51], v[2:3], v[18:19]
	v_add_f64_e32 v[64:65], v[66:67], v[16:17]
	s_delay_alu instid0(VALU_DEP_2) | instskip(SKIP_4) | instid1(VALU_DEP_2)
	v_add_f64_e32 v[28:29], v[18:19], v[28:29]
	ds_load_b128 v[16:19], v38 offset:768
	s_wait_dscnt 0x0
	v_mul_f64_e32 v[20:21], v[50:51], v[18:19]
	v_mul_f64_e32 v[22:23], v[48:49], v[18:19]
	v_fma_f64 v[20:21], v[48:49], v[16:17], -v[20:21]
	s_delay_alu instid0(VALU_DEP_2) | instskip(NEXT) | instid1(VALU_DEP_2)
	v_fma_f64 v[22:23], v[50:51], v[16:17], v[22:23]
	v_add_f64_e32 v[46:47], v[46:47], v[20:21]
	s_delay_alu instid0(VALU_DEP_2) | instskip(SKIP_4) | instid1(VALU_DEP_2)
	v_add_f64_e32 v[44:45], v[22:23], v[44:45]
	ds_load_b128 v[20:23], v39 offset:2064
	s_wait_dscnt 0x0
	v_mul_f64_e32 v[48:49], v[22:23], v[4:5]
	v_mul_f64_e32 v[4:5], v[20:21], v[4:5]
	v_fma_f64 v[48:49], v[20:21], v[2:3], -v[48:49]
	s_delay_alu instid0(VALU_DEP_2) | instskip(SKIP_1) | instid1(VALU_DEP_3)
	v_fma_f64 v[2:3], v[22:23], v[2:3], v[4:5]
	v_mul_f64_e32 v[4:5], v[20:21], v[18:19]
	v_add_f64_e32 v[48:49], v[62:63], v[48:49]
	s_delay_alu instid0(VALU_DEP_3) | instskip(SKIP_1) | instid1(VALU_DEP_4)
	v_add_f64_e32 v[50:51], v[2:3], v[60:61]
	v_mul_f64_e32 v[2:3], v[22:23], v[18:19]
	v_fma_f64 v[4:5], v[22:23], v[16:17], v[4:5]
	s_delay_alu instid0(VALU_DEP_2) | instskip(NEXT) | instid1(VALU_DEP_2)
	v_fma_f64 v[2:3], v[20:21], v[16:17], -v[2:3]
	v_add_f64_e32 v[26:27], v[4:5], v[26:27]
	s_delay_alu instid0(VALU_DEP_2) | instskip(SKIP_4) | instid1(VALU_DEP_2)
	v_add_f64_e32 v[24:25], v[24:25], v[2:3]
	ds_load_b128 v[2:5], v38 offset:1024
	s_wait_dscnt 0x0
	v_mul_f64_e32 v[16:17], v[54:55], v[4:5]
	v_mul_f64_e32 v[18:19], v[52:53], v[4:5]
	v_fma_f64 v[16:17], v[52:53], v[2:3], -v[16:17]
	s_delay_alu instid0(VALU_DEP_2) | instskip(NEXT) | instid1(VALU_DEP_2)
	v_fma_f64 v[18:19], v[54:55], v[2:3], v[18:19]
	v_add_f64_e32 v[60:61], v[64:65], v[16:17]
	s_delay_alu instid0(VALU_DEP_2) | instskip(SKIP_4) | instid1(VALU_DEP_2)
	v_add_f64_e32 v[28:29], v[18:19], v[28:29]
	ds_load_b128 v[16:19], v38 offset:1280
	s_wait_dscnt 0x0
	v_mul_f64_e32 v[20:21], v[54:55], v[18:19]
	v_mul_f64_e32 v[22:23], v[52:53], v[18:19]
	v_fma_f64 v[20:21], v[52:53], v[16:17], -v[20:21]
	s_delay_alu instid0(VALU_DEP_2) | instskip(NEXT) | instid1(VALU_DEP_2)
	v_fma_f64 v[22:23], v[54:55], v[16:17], v[22:23]
	v_add_f64_e32 v[46:47], v[46:47], v[20:21]
	s_delay_alu instid0(VALU_DEP_2) | instskip(SKIP_4) | instid1(VALU_DEP_2)
	v_add_f64_e32 v[44:45], v[22:23], v[44:45]
	ds_load_b128 v[20:23], v39 offset:2080
	s_wait_dscnt 0x0
	v_mul_f64_e32 v[52:53], v[22:23], v[4:5]
	v_mul_f64_e32 v[4:5], v[20:21], v[4:5]
	v_fma_f64 v[52:53], v[20:21], v[2:3], -v[52:53]
	s_delay_alu instid0(VALU_DEP_2) | instskip(SKIP_1) | instid1(VALU_DEP_3)
	v_fma_f64 v[2:3], v[22:23], v[2:3], v[4:5]
	v_mul_f64_e32 v[4:5], v[20:21], v[18:19]
	v_add_f64_e32 v[48:49], v[48:49], v[52:53]
	s_delay_alu instid0(VALU_DEP_3) | instskip(SKIP_1) | instid1(VALU_DEP_4)
	v_add_f64_e32 v[50:51], v[2:3], v[50:51]
	v_mul_f64_e32 v[2:3], v[22:23], v[18:19]
	v_fma_f64 v[4:5], v[22:23], v[16:17], v[4:5]
	s_delay_alu instid0(VALU_DEP_2) | instskip(NEXT) | instid1(VALU_DEP_2)
	v_fma_f64 v[2:3], v[20:21], v[16:17], -v[2:3]
	;; [unrolled: 38-line block ×3, first 2 shown]
	v_add_f64_e32 v[26:27], v[4:5], v[26:27]
	s_delay_alu instid0(VALU_DEP_2)
	v_add_f64_e32 v[24:25], v[24:25], v[2:3]
	ds_load_b128 v[2:5], v39 offset:64
	ds_load_b128 v[16:19], v38 offset:2048
	s_wait_dscnt 0x0
	v_mul_f64_e32 v[20:21], v[4:5], v[18:19]
	v_mul_f64_e32 v[22:23], v[2:3], v[18:19]
	s_delay_alu instid0(VALU_DEP_2) | instskip(NEXT) | instid1(VALU_DEP_2)
	v_fma_f64 v[20:21], v[2:3], v[16:17], -v[20:21]
	v_fma_f64 v[22:23], v[4:5], v[16:17], v[22:23]
	s_delay_alu instid0(VALU_DEP_2) | instskip(NEXT) | instid1(VALU_DEP_2)
	v_add_f64_e32 v[52:53], v[52:53], v[20:21]
	v_add_f64_e32 v[28:29], v[22:23], v[28:29]
	ds_load_b128 v[20:23], v38 offset:2304
	s_wait_dscnt 0x0
	v_mul_f64_e32 v[54:55], v[4:5], v[22:23]
	s_delay_alu instid0(VALU_DEP_1) | instskip(SKIP_1) | instid1(VALU_DEP_2)
	v_fma_f64 v[54:55], v[2:3], v[20:21], -v[54:55]
	v_mul_f64_e32 v[2:3], v[2:3], v[22:23]
	v_add_f64_e32 v[46:47], v[46:47], v[54:55]
	s_delay_alu instid0(VALU_DEP_2) | instskip(NEXT) | instid1(VALU_DEP_1)
	v_fma_f64 v[2:3], v[4:5], v[20:21], v[2:3]
	v_add_f64_e32 v[44:45], v[2:3], v[44:45]
	ds_load_b128 v[2:5], v39 offset:2112
	s_wait_dscnt 0x0
	v_mul_f64_e32 v[54:55], v[4:5], v[18:19]
	v_mul_f64_e32 v[18:19], v[2:3], v[18:19]
	s_delay_alu instid0(VALU_DEP_2) | instskip(NEXT) | instid1(VALU_DEP_2)
	v_fma_f64 v[54:55], v[2:3], v[16:17], -v[54:55]
	v_fma_f64 v[16:17], v[4:5], v[16:17], v[18:19]
	s_delay_alu instid0(VALU_DEP_2) | instskip(NEXT) | instid1(VALU_DEP_2)
	v_add_f64_e32 v[48:49], v[48:49], v[54:55]
	v_add_f64_e32 v[50:51], v[16:17], v[50:51]
	v_mul_f64_e32 v[16:17], v[4:5], v[22:23]
	s_delay_alu instid0(VALU_DEP_1) | instskip(SKIP_1) | instid1(VALU_DEP_2)
	v_fma_f64 v[16:17], v[2:3], v[20:21], -v[16:17]
	v_mul_f64_e32 v[2:3], v[2:3], v[22:23]
	v_add_f64_e32 v[24:25], v[24:25], v[16:17]
	s_delay_alu instid0(VALU_DEP_2) | instskip(NEXT) | instid1(VALU_DEP_1)
	v_fma_f64 v[2:3], v[4:5], v[20:21], v[2:3]
	v_add_f64_e32 v[26:27], v[2:3], v[26:27]
	ds_load_b128 v[2:5], v39 offset:80
	ds_load_b128 v[16:19], v38 offset:2560
	s_wait_dscnt 0x0
	v_mul_f64_e32 v[20:21], v[4:5], v[18:19]
	v_mul_f64_e32 v[22:23], v[2:3], v[18:19]
	s_delay_alu instid0(VALU_DEP_2) | instskip(NEXT) | instid1(VALU_DEP_2)
	v_fma_f64 v[20:21], v[2:3], v[16:17], -v[20:21]
	v_fma_f64 v[22:23], v[4:5], v[16:17], v[22:23]
	s_delay_alu instid0(VALU_DEP_2) | instskip(NEXT) | instid1(VALU_DEP_2)
	v_add_f64_e32 v[52:53], v[52:53], v[20:21]
	v_add_f64_e32 v[28:29], v[22:23], v[28:29]
	ds_load_b128 v[20:23], v38 offset:2816
	s_wait_dscnt 0x0
	v_mul_f64_e32 v[54:55], v[4:5], v[22:23]
	s_delay_alu instid0(VALU_DEP_1) | instskip(SKIP_1) | instid1(VALU_DEP_2)
	v_fma_f64 v[54:55], v[2:3], v[20:21], -v[54:55]
	v_mul_f64_e32 v[2:3], v[2:3], v[22:23]
	v_add_f64_e32 v[46:47], v[46:47], v[54:55]
	s_delay_alu instid0(VALU_DEP_2) | instskip(NEXT) | instid1(VALU_DEP_1)
	v_fma_f64 v[2:3], v[4:5], v[20:21], v[2:3]
	v_add_f64_e32 v[44:45], v[2:3], v[44:45]
	ds_load_b128 v[2:5], v39 offset:2128
	s_wait_dscnt 0x0
	v_mul_f64_e32 v[54:55], v[4:5], v[18:19]
	v_mul_f64_e32 v[18:19], v[2:3], v[18:19]
	s_delay_alu instid0(VALU_DEP_2) | instskip(NEXT) | instid1(VALU_DEP_2)
	v_fma_f64 v[54:55], v[2:3], v[16:17], -v[54:55]
	v_fma_f64 v[16:17], v[4:5], v[16:17], v[18:19]
	s_delay_alu instid0(VALU_DEP_2) | instskip(NEXT) | instid1(VALU_DEP_2)
	v_add_f64_e32 v[48:49], v[48:49], v[54:55]
	v_add_f64_e32 v[50:51], v[16:17], v[50:51]
	v_mul_f64_e32 v[16:17], v[4:5], v[22:23]
	s_delay_alu instid0(VALU_DEP_1) | instskip(SKIP_1) | instid1(VALU_DEP_2)
	v_fma_f64 v[16:17], v[2:3], v[20:21], -v[16:17]
	v_mul_f64_e32 v[2:3], v[2:3], v[22:23]
	v_add_f64_e32 v[24:25], v[24:25], v[16:17]
	s_delay_alu instid0(VALU_DEP_2) | instskip(NEXT) | instid1(VALU_DEP_1)
	v_fma_f64 v[2:3], v[4:5], v[20:21], v[2:3]
	v_add_f64_e32 v[26:27], v[2:3], v[26:27]
	ds_load_b128 v[2:5], v39 offset:96
	ds_load_b128 v[16:19], v38 offset:3072
	s_wait_dscnt 0x0
	v_mul_f64_e32 v[20:21], v[4:5], v[18:19]
	v_mul_f64_e32 v[22:23], v[2:3], v[18:19]
	s_delay_alu instid0(VALU_DEP_2) | instskip(NEXT) | instid1(VALU_DEP_2)
	v_fma_f64 v[20:21], v[2:3], v[16:17], -v[20:21]
	v_fma_f64 v[22:23], v[4:5], v[16:17], v[22:23]
	s_delay_alu instid0(VALU_DEP_2) | instskip(NEXT) | instid1(VALU_DEP_2)
	v_add_f64_e32 v[52:53], v[52:53], v[20:21]
	v_add_f64_e32 v[28:29], v[22:23], v[28:29]
	ds_load_b128 v[20:23], v38 offset:3328
	s_wait_dscnt 0x0
	v_mul_f64_e32 v[54:55], v[4:5], v[22:23]
	s_delay_alu instid0(VALU_DEP_1) | instskip(SKIP_1) | instid1(VALU_DEP_2)
	v_fma_f64 v[54:55], v[2:3], v[20:21], -v[54:55]
	v_mul_f64_e32 v[2:3], v[2:3], v[22:23]
	v_add_f64_e32 v[54:55], v[46:47], v[54:55]
	s_delay_alu instid0(VALU_DEP_2) | instskip(NEXT) | instid1(VALU_DEP_1)
	v_fma_f64 v[2:3], v[4:5], v[20:21], v[2:3]
	v_add_f64_e32 v[56:57], v[2:3], v[44:45]
	ds_load_b128 v[2:5], v39 offset:2144
	s_wait_dscnt 0x0
	v_mul_f64_e32 v[44:45], v[4:5], v[18:19]
	v_mul_f64_e32 v[18:19], v[2:3], v[18:19]
	s_delay_alu instid0(VALU_DEP_2) | instskip(NEXT) | instid1(VALU_DEP_2)
	v_fma_f64 v[44:45], v[2:3], v[16:17], -v[44:45]
	v_fma_f64 v[16:17], v[4:5], v[16:17], v[18:19]
	s_delay_alu instid0(VALU_DEP_2) | instskip(NEXT) | instid1(VALU_DEP_2)
	v_add_f64_e32 v[48:49], v[48:49], v[44:45]
	v_add_f64_e32 v[50:51], v[16:17], v[50:51]
	v_mul_f64_e32 v[16:17], v[4:5], v[22:23]
	s_delay_alu instid0(VALU_DEP_1) | instskip(SKIP_1) | instid1(VALU_DEP_2)
	v_fma_f64 v[16:17], v[2:3], v[20:21], -v[16:17]
	v_mul_f64_e32 v[2:3], v[2:3], v[22:23]
	v_add_f64_e32 v[58:59], v[24:25], v[16:17]
	s_delay_alu instid0(VALU_DEP_2)
	v_fma_f64 v[2:3], v[4:5], v[20:21], v[2:3]
	ds_load_b128 v[16:19], v39 offset:112
	ds_load_b128 v[20:23], v38 offset:3584
	;; [unrolled: 1-line block ×3, first 2 shown]
	s_wait_dscnt 0x1
	v_mul_f64_e32 v[24:25], v[16:17], v[22:23]
	v_mul_f64_e32 v[4:5], v[18:19], v[22:23]
	v_add_f64_e32 v[2:3], v[2:3], v[26:27]
	s_delay_alu instid0(VALU_DEP_3) | instskip(NEXT) | instid1(VALU_DEP_3)
	v_fma_f64 v[24:25], v[18:19], v[20:21], v[24:25]
	v_fma_f64 v[4:5], v[16:17], v[20:21], -v[4:5]
	s_delay_alu instid0(VALU_DEP_2) | instskip(SKIP_2) | instid1(VALU_DEP_3)
	v_add_f64_e32 v[28:29], v[24:25], v[28:29]
	s_wait_dscnt 0x0
	v_mul_f64_e32 v[24:25], v[18:19], v[46:47]
	v_add_f64_e32 v[4:5], v[52:53], v[4:5]
	s_delay_alu instid0(VALU_DEP_2) | instskip(SKIP_1) | instid1(VALU_DEP_2)
	v_fma_f64 v[24:25], v[16:17], v[44:45], -v[24:25]
	v_mul_f64_e32 v[16:17], v[16:17], v[46:47]
	v_add_f64_e32 v[24:25], v[54:55], v[24:25]
	s_delay_alu instid0(VALU_DEP_2) | instskip(NEXT) | instid1(VALU_DEP_1)
	v_fma_f64 v[16:17], v[18:19], v[44:45], v[16:17]
	v_add_f64_e32 v[26:27], v[16:17], v[56:57]
	ds_load_b128 v[16:19], v39 offset:2160
	s_wait_loadcnt_dscnt 0x0
	s_barrier_signal -1
	s_barrier_wait -1
	global_inv scope:SCOPE_SE
	v_mul_f64_e32 v[52:53], v[18:19], v[22:23]
	v_mul_f64_e32 v[22:23], v[16:17], v[22:23]
	s_delay_alu instid0(VALU_DEP_2) | instskip(NEXT) | instid1(VALU_DEP_2)
	v_fma_f64 v[52:53], v[16:17], v[20:21], -v[52:53]
	v_fma_f64 v[22:23], v[18:19], v[20:21], v[22:23]
	s_delay_alu instid0(VALU_DEP_2) | instskip(SKIP_1) | instid1(VALU_DEP_3)
	v_add_f64_e32 v[20:21], v[48:49], v[52:53]
	v_mul_f64_e32 v[48:49], v[18:19], v[46:47]
	v_add_f64_e32 v[22:23], v[22:23], v[50:51]
	s_delay_alu instid0(VALU_DEP_2) | instskip(SKIP_1) | instid1(VALU_DEP_1)
	v_fma_f64 v[48:49], v[16:17], v[44:45], -v[48:49]
	v_mul_f64_e32 v[16:17], v[16:17], v[46:47]
	v_fma_f64 v[16:17], v[18:19], v[44:45], v[16:17]
	s_delay_alu instid0(VALU_DEP_3) | instskip(NEXT) | instid1(VALU_DEP_2)
	v_add_f64_e32 v[18:19], v[58:59], v[48:49]
	v_add_f64_e32 v[16:17], v[16:17], v[2:3]
	s_wait_alu 0xfffe
	s_cbranch_vccz .LBB283_21
.LBB283_10:                             ;   Parent Loop BB283_7 Depth=1
                                        ; =>  This Inner Loop Header: Depth=2
	s_mov_b32 s21, 0
	s_mov_b32 s37, s16
	s_and_saveexec_b32 s36, s0
	s_cbranch_execnz .LBB283_18
; %bb.11:                               ;   in Loop: Header=BB283_10 Depth=2
	s_wait_alu 0xfffe
	s_or_b32 exec_lo, exec_lo, s36
	s_and_saveexec_b32 s36, s37
	s_wait_alu 0xfffe
	s_xor_b32 s36, exec_lo, s36
	s_cbranch_execnz .LBB283_19
.LBB283_12:                             ;   in Loop: Header=BB283_10 Depth=2
	s_wait_alu 0xfffe
	s_or_b32 exec_lo, exec_lo, s36
	s_and_saveexec_b32 s36, s21
	s_cbranch_execz .LBB283_14
.LBB283_13:                             ;   in Loop: Header=BB283_10 Depth=2
	v_lshlrev_b64_e32 v[2:3], 4, v[14:15]
	s_delay_alu instid0(VALU_DEP_1) | instskip(SKIP_1) | instid1(VALU_DEP_2)
	v_add_co_u32 v2, vcc_lo, v40, v2
	s_wait_alu 0xfffd
	v_add_co_ci_u32_e64 v3, null, v41, v3, vcc_lo
	global_load_b128 v[44:47], v[2:3], off
	s_wait_loadcnt 0x0
	ds_store_2addr_b64 v32, v[44:45], v[46:47] offset1:1
.LBB283_14:                             ;   in Loop: Header=BB283_10 Depth=2
	s_wait_alu 0xfffe
	s_or_b32 exec_lo, exec_lo, s36
	v_add_nc_u32_e32 v0, s2, v30
	s_delay_alu instid0(VALU_DEP_1)
	v_cmp_le_u64_e32 vcc_lo, s[8:9], v[0:1]
	s_or_b32 s21, vcc_lo, s4
	s_wait_alu 0xfffe
	s_and_saveexec_b32 s36, s21
	s_wait_alu 0xfffe
	s_xor_b32 s21, exec_lo, s36
; %bb.15:                               ;   in Loop: Header=BB283_10 Depth=2
	v_dual_mov_b32 v0, v1 :: v_dual_mov_b32 v3, v1
	v_mov_b32_e32 v2, v1
	ds_store_b128 v33, v[0:3]
; %bb.16:                               ;   in Loop: Header=BB283_10 Depth=2
	s_wait_alu 0xfffe
	s_and_not1_saveexec_b32 s21, s21
	s_cbranch_execz .LBB283_9
; %bb.17:                               ;   in Loop: Header=BB283_10 Depth=2
	v_mad_co_u64_u32 v[2:3], null, s22, v0, 0
	s_delay_alu instid0(VALU_DEP_1) | instskip(NEXT) | instid1(VALU_DEP_1)
	v_mad_co_u64_u32 v[44:45], null, s23, v0, v[3:4]
	v_mov_b32_e32 v3, v44
	s_delay_alu instid0(VALU_DEP_1) | instskip(NEXT) | instid1(VALU_DEP_1)
	v_lshlrev_b64_e32 v[2:3], 4, v[2:3]
	v_add_co_u32 v2, vcc_lo, v42, v2
	s_wait_alu 0xfffd
	s_delay_alu instid0(VALU_DEP_2)
	v_add_co_ci_u32_e64 v3, null, v43, v3, vcc_lo
	global_load_b128 v[44:47], v[2:3], off
	s_wait_loadcnt 0x0
	ds_store_2addr_b64 v33, v[44:45], v[46:47] offset1:1
	s_branch .LBB283_9
.LBB283_18:                             ;   in Loop: Header=BB283_10 Depth=2
	s_wait_alu 0xfffe
	v_add_nc_u32_e32 v0, s2, v31
	v_mov_b32_e32 v15, v1
	s_and_not1_b32 s37, s16, exec_lo
	s_mov_b32 s21, exec_lo
	s_delay_alu instid0(VALU_DEP_2)
	v_cmp_le_u64_e32 vcc_lo, s[8:9], v[0:1]
	v_mov_b32_e32 v14, v0
	s_and_b32 s38, vcc_lo, exec_lo
	s_wait_alu 0xfffe
	s_or_b32 s37, s37, s38
	s_or_b32 exec_lo, exec_lo, s36
	s_wait_alu 0xfffe
	s_and_saveexec_b32 s36, s37
	s_wait_alu 0xfffe
	s_xor_b32 s36, exec_lo, s36
	s_cbranch_execz .LBB283_12
.LBB283_19:                             ;   in Loop: Header=BB283_10 Depth=2
	v_dual_mov_b32 v0, v1 :: v_dual_mov_b32 v3, v1
	v_mov_b32_e32 v2, v1
	s_and_not1_b32 s21, s21, exec_lo
	ds_store_b128 v32, v[0:3]
	s_wait_alu 0xfffe
	s_or_b32 exec_lo, exec_lo, s36
	s_and_saveexec_b32 s36, s21
	s_cbranch_execnz .LBB283_13
	s_branch .LBB283_14
.LBB283_20:                             ;   in Loop: Header=BB283_7 Depth=1
	v_mov_b32_e32 v28, 0
	v_mov_b32_e32 v26, 0
	v_dual_mov_b32 v22, 0 :: v_dual_mov_b32 v29, 0
	v_dual_mov_b32 v24, 0 :: v_dual_mov_b32 v27, 0
	v_dual_mov_b32 v20, 0 :: v_dual_mov_b32 v23, 0
	v_mov_b32_e32 v18, 0
	v_dual_mov_b32 v16, 0 :: v_dual_mov_b32 v25, 0
	v_mov_b32_e32 v21, 0
	v_mov_b32_e32 v19, 0
	;; [unrolled: 1-line block ×3, first 2 shown]
.LBB283_21:                             ;   in Loop: Header=BB283_7 Depth=1
	s_mul_u64 s[2:3], s[6:7], s[34:35]
	s_wait_alu 0xfffe
	s_lshl_b64 s[2:3], s[2:3], 4
	s_wait_alu 0xfffe
	s_add_nc_u64 s[2:3], s[30:31], s[2:3]
	s_wait_alu 0xfffe
	v_add_co_u32 v0, vcc_lo, s2, v10
	s_wait_alu 0xfffd
	v_add_co_ci_u32_e64 v40, null, s3, v11, vcc_lo
	s_and_saveexec_b32 s21, s5
	s_cbranch_execz .LBB283_26
; %bb.22:                               ;   in Loop: Header=BB283_7 Depth=1
	v_mul_f64_e32 v[2:3], s[12:13], v[28:29]
	v_mul_f64_e32 v[28:29], s[10:11], v[28:29]
	s_and_b32 vcc_lo, exec_lo, s14
	s_mov_b32 s36, -1
	s_delay_alu instid0(VALU_DEP_2) | instskip(NEXT) | instid1(VALU_DEP_2)
	v_fma_f64 v[2:3], s[10:11], v[4:5], -v[2:3]
	v_fma_f64 v[4:5], s[12:13], v[4:5], v[28:29]
	s_wait_alu 0xfffe
	s_cbranch_vccz .LBB283_24
; %bb.23:                               ;   in Loop: Header=BB283_7 Depth=1
	v_lshlrev_b64_e32 v[28:29], 4, v[6:7]
	s_mov_b32 s36, 0
	s_delay_alu instid0(VALU_DEP_1) | instskip(SKIP_1) | instid1(VALU_DEP_2)
	v_add_co_u32 v28, vcc_lo, v0, v28
	s_wait_alu 0xfffd
	v_add_co_ci_u32_e64 v29, null, v40, v29, vcc_lo
	global_load_b128 v[41:44], v[28:29], off
	s_wait_loadcnt 0x0
	v_mul_f64_e32 v[45:46], s[28:29], v[43:44]
	v_mul_f64_e32 v[43:44], s[26:27], v[43:44]
	s_delay_alu instid0(VALU_DEP_2) | instskip(NEXT) | instid1(VALU_DEP_2)
	v_fma_f64 v[45:46], s[26:27], v[41:42], -v[45:46]
	v_fma_f64 v[43:44], s[28:29], v[41:42], v[43:44]
	s_delay_alu instid0(VALU_DEP_2) | instskip(NEXT) | instid1(VALU_DEP_2)
	v_add_f64_e32 v[41:42], v[2:3], v[45:46]
	v_add_f64_e32 v[43:44], v[4:5], v[43:44]
	global_store_b128 v[28:29], v[41:44], off
.LBB283_24:                             ;   in Loop: Header=BB283_7 Depth=1
	s_wait_alu 0xfffe
	s_and_not1_b32 vcc_lo, exec_lo, s36
	s_wait_alu 0xfffe
	s_cbranch_vccnz .LBB283_26
; %bb.25:                               ;   in Loop: Header=BB283_7 Depth=1
	v_lshlrev_b64_e32 v[28:29], 4, v[6:7]
	s_delay_alu instid0(VALU_DEP_1) | instskip(SKIP_1) | instid1(VALU_DEP_2)
	v_add_co_u32 v28, vcc_lo, v0, v28
	s_wait_alu 0xfffd
	v_add_co_ci_u32_e64 v29, null, v40, v29, vcc_lo
	global_store_b128 v[28:29], v[2:5], off
.LBB283_26:                             ;   in Loop: Header=BB283_7 Depth=1
	s_wait_alu 0xfffe
	s_or_b32 exec_lo, exec_lo, s21
	s_and_saveexec_b32 s21, s15
	s_cbranch_execz .LBB283_31
; %bb.27:                               ;   in Loop: Header=BB283_7 Depth=1
	v_mul_f64_e32 v[2:3], s[12:13], v[26:27]
	v_mul_f64_e32 v[4:5], s[10:11], v[26:27]
	s_and_not1_b32 vcc_lo, exec_lo, s14
	s_mov_b32 s36, -1
	s_delay_alu instid0(VALU_DEP_2) | instskip(NEXT) | instid1(VALU_DEP_2)
	v_fma_f64 v[2:3], s[10:11], v[24:25], -v[2:3]
	v_fma_f64 v[4:5], s[12:13], v[24:25], v[4:5]
	s_wait_alu 0xfffe
	s_cbranch_vccnz .LBB283_29
; %bb.28:                               ;   in Loop: Header=BB283_7 Depth=1
	v_lshlrev_b64_e32 v[24:25], 4, v[8:9]
	s_mov_b32 s36, 0
	s_delay_alu instid0(VALU_DEP_1) | instskip(SKIP_1) | instid1(VALU_DEP_2)
	v_add_co_u32 v28, vcc_lo, v0, v24
	s_wait_alu 0xfffd
	v_add_co_ci_u32_e64 v29, null, v40, v25, vcc_lo
	global_load_b128 v[24:27], v[28:29], off
	s_wait_loadcnt 0x0
	v_mul_f64_e32 v[41:42], s[28:29], v[26:27]
	v_mul_f64_e32 v[26:27], s[26:27], v[26:27]
	s_delay_alu instid0(VALU_DEP_2) | instskip(NEXT) | instid1(VALU_DEP_2)
	v_fma_f64 v[41:42], s[26:27], v[24:25], -v[41:42]
	v_fma_f64 v[26:27], s[28:29], v[24:25], v[26:27]
	s_delay_alu instid0(VALU_DEP_2) | instskip(NEXT) | instid1(VALU_DEP_2)
	v_add_f64_e32 v[24:25], v[2:3], v[41:42]
	v_add_f64_e32 v[26:27], v[4:5], v[26:27]
	global_store_b128 v[28:29], v[24:27], off
.LBB283_29:                             ;   in Loop: Header=BB283_7 Depth=1
	s_wait_alu 0xfffe
	s_and_not1_b32 vcc_lo, exec_lo, s36
	s_wait_alu 0xfffe
	s_cbranch_vccnz .LBB283_31
; %bb.30:                               ;   in Loop: Header=BB283_7 Depth=1
	v_lshlrev_b64_e32 v[24:25], 4, v[8:9]
	s_delay_alu instid0(VALU_DEP_1) | instskip(SKIP_1) | instid1(VALU_DEP_2)
	v_add_co_u32 v24, vcc_lo, v0, v24
	s_wait_alu 0xfffd
	v_add_co_ci_u32_e64 v25, null, v40, v25, vcc_lo
	global_store_b128 v[24:25], v[2:5], off
.LBB283_31:                             ;   in Loop: Header=BB283_7 Depth=1
	s_wait_alu 0xfffe
	s_or_b32 exec_lo, exec_lo, s21
	v_add_co_u32 v0, vcc_lo, s2, v12
	s_wait_alu 0xfffd
	v_add_co_ci_u32_e64 v24, null, s3, v13, vcc_lo
	s_and_saveexec_b32 s2, s17
	s_cbranch_execz .LBB283_36
; %bb.32:                               ;   in Loop: Header=BB283_7 Depth=1
	v_mul_f64_e32 v[2:3], s[12:13], v[22:23]
	v_mul_f64_e32 v[4:5], s[10:11], v[22:23]
	s_and_not1_b32 vcc_lo, exec_lo, s14
	s_mov_b32 s3, -1
	s_delay_alu instid0(VALU_DEP_2) | instskip(NEXT) | instid1(VALU_DEP_2)
	v_fma_f64 v[2:3], s[10:11], v[20:21], -v[2:3]
	v_fma_f64 v[4:5], s[12:13], v[20:21], v[4:5]
	v_lshlrev_b64_e32 v[20:21], 4, v[6:7]
	s_wait_alu 0xfffe
	s_cbranch_vccnz .LBB283_34
; %bb.33:                               ;   in Loop: Header=BB283_7 Depth=1
	s_delay_alu instid0(VALU_DEP_1) | instskip(SKIP_1) | instid1(VALU_DEP_2)
	v_add_co_u32 v22, vcc_lo, v0, v20
	s_wait_alu 0xfffd
	v_add_co_ci_u32_e64 v23, null, v24, v21, vcc_lo
	s_mov_b32 s3, 0
	global_load_b128 v[25:28], v[22:23], off
	s_wait_loadcnt 0x0
	v_mul_f64_e32 v[40:41], s[28:29], v[27:28]
	v_mul_f64_e32 v[27:28], s[26:27], v[27:28]
	s_delay_alu instid0(VALU_DEP_2) | instskip(NEXT) | instid1(VALU_DEP_2)
	v_fma_f64 v[40:41], s[26:27], v[25:26], -v[40:41]
	v_fma_f64 v[27:28], s[28:29], v[25:26], v[27:28]
	s_delay_alu instid0(VALU_DEP_2) | instskip(NEXT) | instid1(VALU_DEP_2)
	v_add_f64_e32 v[25:26], v[2:3], v[40:41]
	v_add_f64_e32 v[27:28], v[4:5], v[27:28]
	global_store_b128 v[22:23], v[25:28], off
.LBB283_34:                             ;   in Loop: Header=BB283_7 Depth=1
	s_wait_alu 0xfffe
	s_and_not1_b32 vcc_lo, exec_lo, s3
	s_wait_alu 0xfffe
	s_cbranch_vccnz .LBB283_36
; %bb.35:                               ;   in Loop: Header=BB283_7 Depth=1
	v_add_co_u32 v20, vcc_lo, v0, v20
	s_wait_alu 0xfffd
	v_add_co_ci_u32_e64 v21, null, v24, v21, vcc_lo
	global_store_b128 v[20:21], v[2:5], off
.LBB283_36:                             ;   in Loop: Header=BB283_7 Depth=1
	s_wait_alu 0xfffe
	s_or_b32 exec_lo, exec_lo, s2
	s_and_saveexec_b32 s2, s1
	s_cbranch_execz .LBB283_6
; %bb.37:                               ;   in Loop: Header=BB283_7 Depth=1
	v_mul_f64_e32 v[2:3], s[12:13], v[16:17]
	v_mul_f64_e32 v[4:5], s[10:11], v[16:17]
	v_lshlrev_b64_e32 v[16:17], 4, v[8:9]
	s_and_not1_b32 vcc_lo, exec_lo, s14
	s_mov_b32 s3, -1
	s_delay_alu instid0(VALU_DEP_3) | instskip(NEXT) | instid1(VALU_DEP_3)
	v_fma_f64 v[2:3], s[10:11], v[18:19], -v[2:3]
	v_fma_f64 v[4:5], s[12:13], v[18:19], v[4:5]
	s_wait_alu 0xfffe
	s_cbranch_vccnz .LBB283_39
; %bb.38:                               ;   in Loop: Header=BB283_7 Depth=1
	v_add_co_u32 v22, vcc_lo, v0, v16
	s_wait_alu 0xfffd
	v_add_co_ci_u32_e64 v23, null, v24, v17, vcc_lo
	s_mov_b32 s3, 0
	global_load_b128 v[18:21], v[22:23], off
	s_wait_loadcnt 0x0
	v_mul_f64_e32 v[25:26], s[28:29], v[20:21]
	v_mul_f64_e32 v[20:21], s[26:27], v[20:21]
	s_delay_alu instid0(VALU_DEP_2) | instskip(NEXT) | instid1(VALU_DEP_2)
	v_fma_f64 v[25:26], s[26:27], v[18:19], -v[25:26]
	v_fma_f64 v[20:21], s[28:29], v[18:19], v[20:21]
	s_delay_alu instid0(VALU_DEP_2) | instskip(NEXT) | instid1(VALU_DEP_2)
	v_add_f64_e32 v[18:19], v[2:3], v[25:26]
	v_add_f64_e32 v[20:21], v[4:5], v[20:21]
	global_store_b128 v[22:23], v[18:21], off
.LBB283_39:                             ;   in Loop: Header=BB283_7 Depth=1
	s_wait_alu 0xfffe
	s_and_not1_b32 vcc_lo, exec_lo, s3
	s_wait_alu 0xfffe
	s_cbranch_vccnz .LBB283_6
; %bb.40:                               ;   in Loop: Header=BB283_7 Depth=1
	v_add_co_u32 v16, vcc_lo, v0, v16
	s_wait_alu 0xfffd
	v_add_co_ci_u32_e64 v17, null, v24, v17, vcc_lo
	global_store_b128 v[16:17], v[2:5], off
	s_branch .LBB283_6
.LBB283_41:
.LBB283_42:
	s_endpgm
	.section	.rodata,"a",@progbits
	.p2align	6, 0x0
	.amdhsa_kernel _ZL29rocblas_internal_gemmt_kernelIlLi16ELi32ELi8ELc84ELc84ELc76ELb0ELb0E19rocblas_complex_numIdES1_PKS1_PS1_EviT_T9_T10_S5_lS7_S5_lS6_T11_S5_li
		.amdhsa_group_segment_fixed_size 8192
		.amdhsa_private_segment_fixed_size 0
		.amdhsa_kernarg_size 124
		.amdhsa_user_sgpr_count 2
		.amdhsa_user_sgpr_dispatch_ptr 0
		.amdhsa_user_sgpr_queue_ptr 0
		.amdhsa_user_sgpr_kernarg_segment_ptr 1
		.amdhsa_user_sgpr_dispatch_id 0
		.amdhsa_user_sgpr_private_segment_size 0
		.amdhsa_wavefront_size32 1
		.amdhsa_uses_dynamic_stack 0
		.amdhsa_enable_private_segment 0
		.amdhsa_system_sgpr_workgroup_id_x 1
		.amdhsa_system_sgpr_workgroup_id_y 1
		.amdhsa_system_sgpr_workgroup_id_z 1
		.amdhsa_system_sgpr_workgroup_info 0
		.amdhsa_system_vgpr_workitem_id 1
		.amdhsa_next_free_vgpr 68
		.amdhsa_next_free_sgpr 40
		.amdhsa_reserve_vcc 1
		.amdhsa_float_round_mode_32 0
		.amdhsa_float_round_mode_16_64 0
		.amdhsa_float_denorm_mode_32 3
		.amdhsa_float_denorm_mode_16_64 3
		.amdhsa_fp16_overflow 0
		.amdhsa_workgroup_processor_mode 1
		.amdhsa_memory_ordered 1
		.amdhsa_forward_progress 1
		.amdhsa_inst_pref_size 30
		.amdhsa_round_robin_scheduling 0
		.amdhsa_exception_fp_ieee_invalid_op 0
		.amdhsa_exception_fp_denorm_src 0
		.amdhsa_exception_fp_ieee_div_zero 0
		.amdhsa_exception_fp_ieee_overflow 0
		.amdhsa_exception_fp_ieee_underflow 0
		.amdhsa_exception_fp_ieee_inexact 0
		.amdhsa_exception_int_div_zero 0
	.end_amdhsa_kernel
	.section	.text._ZL29rocblas_internal_gemmt_kernelIlLi16ELi32ELi8ELc84ELc84ELc76ELb0ELb0E19rocblas_complex_numIdES1_PKS1_PS1_EviT_T9_T10_S5_lS7_S5_lS6_T11_S5_li,"axG",@progbits,_ZL29rocblas_internal_gemmt_kernelIlLi16ELi32ELi8ELc84ELc84ELc76ELb0ELb0E19rocblas_complex_numIdES1_PKS1_PS1_EviT_T9_T10_S5_lS7_S5_lS6_T11_S5_li,comdat
.Lfunc_end283:
	.size	_ZL29rocblas_internal_gemmt_kernelIlLi16ELi32ELi8ELc84ELc84ELc76ELb0ELb0E19rocblas_complex_numIdES1_PKS1_PS1_EviT_T9_T10_S5_lS7_S5_lS6_T11_S5_li, .Lfunc_end283-_ZL29rocblas_internal_gemmt_kernelIlLi16ELi32ELi8ELc84ELc84ELc76ELb0ELb0E19rocblas_complex_numIdES1_PKS1_PS1_EviT_T9_T10_S5_lS7_S5_lS6_T11_S5_li
                                        ; -- End function
	.set _ZL29rocblas_internal_gemmt_kernelIlLi16ELi32ELi8ELc84ELc84ELc76ELb0ELb0E19rocblas_complex_numIdES1_PKS1_PS1_EviT_T9_T10_S5_lS7_S5_lS6_T11_S5_li.num_vgpr, 68
	.set _ZL29rocblas_internal_gemmt_kernelIlLi16ELi32ELi8ELc84ELc84ELc76ELb0ELb0E19rocblas_complex_numIdES1_PKS1_PS1_EviT_T9_T10_S5_lS7_S5_lS6_T11_S5_li.num_agpr, 0
	.set _ZL29rocblas_internal_gemmt_kernelIlLi16ELi32ELi8ELc84ELc84ELc76ELb0ELb0E19rocblas_complex_numIdES1_PKS1_PS1_EviT_T9_T10_S5_lS7_S5_lS6_T11_S5_li.numbered_sgpr, 40
	.set _ZL29rocblas_internal_gemmt_kernelIlLi16ELi32ELi8ELc84ELc84ELc76ELb0ELb0E19rocblas_complex_numIdES1_PKS1_PS1_EviT_T9_T10_S5_lS7_S5_lS6_T11_S5_li.num_named_barrier, 0
	.set _ZL29rocblas_internal_gemmt_kernelIlLi16ELi32ELi8ELc84ELc84ELc76ELb0ELb0E19rocblas_complex_numIdES1_PKS1_PS1_EviT_T9_T10_S5_lS7_S5_lS6_T11_S5_li.private_seg_size, 0
	.set _ZL29rocblas_internal_gemmt_kernelIlLi16ELi32ELi8ELc84ELc84ELc76ELb0ELb0E19rocblas_complex_numIdES1_PKS1_PS1_EviT_T9_T10_S5_lS7_S5_lS6_T11_S5_li.uses_vcc, 1
	.set _ZL29rocblas_internal_gemmt_kernelIlLi16ELi32ELi8ELc84ELc84ELc76ELb0ELb0E19rocblas_complex_numIdES1_PKS1_PS1_EviT_T9_T10_S5_lS7_S5_lS6_T11_S5_li.uses_flat_scratch, 0
	.set _ZL29rocblas_internal_gemmt_kernelIlLi16ELi32ELi8ELc84ELc84ELc76ELb0ELb0E19rocblas_complex_numIdES1_PKS1_PS1_EviT_T9_T10_S5_lS7_S5_lS6_T11_S5_li.has_dyn_sized_stack, 0
	.set _ZL29rocblas_internal_gemmt_kernelIlLi16ELi32ELi8ELc84ELc84ELc76ELb0ELb0E19rocblas_complex_numIdES1_PKS1_PS1_EviT_T9_T10_S5_lS7_S5_lS6_T11_S5_li.has_recursion, 0
	.set _ZL29rocblas_internal_gemmt_kernelIlLi16ELi32ELi8ELc84ELc84ELc76ELb0ELb0E19rocblas_complex_numIdES1_PKS1_PS1_EviT_T9_T10_S5_lS7_S5_lS6_T11_S5_li.has_indirect_call, 0
	.section	.AMDGPU.csdata,"",@progbits
; Kernel info:
; codeLenInByte = 3832
; TotalNumSgprs: 42
; NumVgprs: 68
; ScratchSize: 0
; MemoryBound: 0
; FloatMode: 240
; IeeeMode: 1
; LDSByteSize: 8192 bytes/workgroup (compile time only)
; SGPRBlocks: 0
; VGPRBlocks: 8
; NumSGPRsForWavesPerEU: 42
; NumVGPRsForWavesPerEU: 68
; Occupancy: 16
; WaveLimiterHint : 0
; COMPUTE_PGM_RSRC2:SCRATCH_EN: 0
; COMPUTE_PGM_RSRC2:USER_SGPR: 2
; COMPUTE_PGM_RSRC2:TRAP_HANDLER: 0
; COMPUTE_PGM_RSRC2:TGID_X_EN: 1
; COMPUTE_PGM_RSRC2:TGID_Y_EN: 1
; COMPUTE_PGM_RSRC2:TGID_Z_EN: 1
; COMPUTE_PGM_RSRC2:TIDIG_COMP_CNT: 1
	.section	.text._ZL29rocblas_internal_gemmt_kernelIlLi16ELi32ELi8ELc84ELc67ELc76ELb0ELb1E19rocblas_complex_numIdES1_PKS1_PS1_EviT_T9_T10_S5_lS7_S5_lS6_T11_S5_li,"axG",@progbits,_ZL29rocblas_internal_gemmt_kernelIlLi16ELi32ELi8ELc84ELc67ELc76ELb0ELb1E19rocblas_complex_numIdES1_PKS1_PS1_EviT_T9_T10_S5_lS7_S5_lS6_T11_S5_li,comdat
	.globl	_ZL29rocblas_internal_gemmt_kernelIlLi16ELi32ELi8ELc84ELc67ELc76ELb0ELb1E19rocblas_complex_numIdES1_PKS1_PS1_EviT_T9_T10_S5_lS7_S5_lS6_T11_S5_li ; -- Begin function _ZL29rocblas_internal_gemmt_kernelIlLi16ELi32ELi8ELc84ELc67ELc76ELb0ELb1E19rocblas_complex_numIdES1_PKS1_PS1_EviT_T9_T10_S5_lS7_S5_lS6_T11_S5_li
	.p2align	8
	.type	_ZL29rocblas_internal_gemmt_kernelIlLi16ELi32ELi8ELc84ELc67ELc76ELb0ELb1E19rocblas_complex_numIdES1_PKS1_PS1_EviT_T9_T10_S5_lS7_S5_lS6_T11_S5_li,@function
_ZL29rocblas_internal_gemmt_kernelIlLi16ELi32ELi8ELc84ELc67ELc76ELb0ELb1E19rocblas_complex_numIdES1_PKS1_PS1_EviT_T9_T10_S5_lS7_S5_lS6_T11_S5_li: ; @_ZL29rocblas_internal_gemmt_kernelIlLi16ELi32ELi8ELc84ELc67ELc76ELb0ELb1E19rocblas_complex_numIdES1_PKS1_PS1_EviT_T9_T10_S5_lS7_S5_lS6_T11_S5_li
; %bb.0:
	s_clause 0x1
	s_load_b256 s[24:31], s[0:1], 0x48
	s_load_b512 s[8:23], s[0:1], 0x8
	s_wait_kmcnt 0x0
	v_cmp_eq_f64_e64 s3, s[26:27], 1.0
	v_cmp_eq_f64_e64 s2, s[28:29], 0
	s_and_b32 s3, s3, s2
	s_delay_alu instid0(SALU_CYCLE_1)
	s_and_not1_b32 vcc_lo, exec_lo, s3
	s_mov_b32 s3, -1
	s_cbranch_vccnz .LBB284_3
; %bb.1:
	s_cmp_lg_u64 s[8:9], 0
	s_cbranch_scc0 .LBB284_39
; %bb.2:
	v_cmp_neq_f64_e64 s3, s[10:11], 0
	v_cmp_neq_f64_e64 s4, s[12:13], 0
	s_or_b32 s3, s3, s4
.LBB284_3:
	s_delay_alu instid0(SALU_CYCLE_1)
	s_and_b32 vcc_lo, exec_lo, s3
	s_cbranch_vccz .LBB284_40
; %bb.4:
	s_load_b32 s33, s[0:1], 0x78
	s_lshr_b32 s34, ttmp7, 16
	s_wait_kmcnt 0x0
	s_cmp_ge_u32 s34, s33
	s_cbranch_scc1 .LBB284_40
; %bb.5:
	v_and_b32_e32 v6, 0x3ff, v0
	v_bfe_u32 v7, v0, 10, 10
	v_cmp_neq_f64_e64 s3, s[10:11], 0
	v_cmp_neq_f64_e64 s35, s[12:13], 0
	s_clause 0x1
	s_load_b128 s[4:7], s[0:1], 0x68
	s_load_b32 s36, s[0:1], 0x0
	s_lshl_b32 s37, ttmp9, 5
	v_lshl_add_u32 v2, v7, 4, v6
	v_and_b32_e32 v32, 7, v0
	s_lshl_b32 s0, ttmp7, 5
	s_ashr_i32 s1, s37, 31
	s_and_b32 s0, s0, 0x1fffe0
	v_and_b32_e32 v3, 31, v2
	v_lshrrev_b32_e32 v8, 3, v2
	s_mul_i32 s1, s16, s1
	v_add_nc_u32_e32 v11, s0, v7
	v_lshrrev_b32_e32 v33, 5, v2
	v_or_b32_e32 v4, s37, v3
	v_add_nc_u32_e32 v2, s0, v8
	v_lshlrev_b32_e32 v3, 4, v3
	v_cmp_neq_f64_e64 s39, s[26:27], 0
	v_add_nc_u32_e32 v12, 16, v11
	v_mul_lo_u32 v5, s17, v4
	v_mad_co_u64_u32 v[0:1], null, s16, v4, 0
	s_wait_kmcnt 0x0
	v_cmp_gt_i32_e64 s0, s36, v4
	v_cmp_le_i32_e64 s16, s36, v4
	v_lshl_or_b32 v34, v33, 9, v3
	v_lshlrev_b32_e32 v4, 4, v2
	v_lshl_add_u32 v41, v7, 7, 0x1000
	v_cmp_gt_i64_e64 s38, s[8:9], 0
	v_add3_u32 v1, v1, s1, v5
	v_cmp_gt_i32_e64 s1, s36, v2
	v_mad_co_u64_u32 v[2:3], null, s4, v11, 0
	v_lshlrev_b32_e32 v9, 4, v32
	s_delay_alu instid0(VALU_DEP_4) | instskip(SKIP_1) | instid1(VALU_DEP_1)
	v_lshlrev_b64_e32 v[0:1], 4, v[0:1]
                                        ; implicit-def: $vgpr14_vgpr15
	s_or_b32 s17, s3, s35
	v_add_co_u32 v36, vcc_lo, s14, v0
	s_delay_alu instid0(VALU_DEP_4) | instskip(SKIP_3) | instid1(VALU_DEP_3)
	v_mov_b32_e32 v0, v3
	v_lshl_or_b32 v5, v8, 7, v9
	v_add_co_u32 v38, s3, s20, v4
	v_add_co_ci_u32_e64 v37, null, s15, v1, vcc_lo
	v_add_nc_u32_e32 v35, 0x1000, v5
	v_mad_co_u64_u32 v[4:5], null, s4, v12, 0
	v_dual_mov_b32 v1, 0 :: v_dual_lshlrev_b32 v40, 4, v6
	v_add_nc_u32_e32 v6, s37, v6
	v_add_co_ci_u32_e64 v39, null, s21, 0, s3
	s_delay_alu instid0(VALU_DEP_3) | instskip(SKIP_1) | instid1(VALU_DEP_4)
	v_mad_co_u64_u32 v[7:8], null, s5, v11, v[0:1]
	v_mov_b32_e32 v0, v5
	v_add_nc_u32_e32 v8, 16, v6
	s_xor_b32 s14, s2, -1
	v_cmp_le_i32_e32 vcc_lo, v11, v6
	v_cmp_gt_i32_e64 s2, s36, v6
	v_mad_co_u64_u32 v[9:10], null, s5, v12, v[0:1]
	v_cmp_le_i32_e64 s3, v11, v8
	v_cmp_gt_i32_e64 s4, s36, v8
	v_mov_b32_e32 v3, v7
	s_wait_alu 0xfffe
	s_or_b32 s5, s39, s14
	s_and_b32 s14, vcc_lo, s2
	v_cmp_le_i32_e32 vcc_lo, v12, v6
	v_mov_b32_e32 v5, v9
	s_and_b32 s15, s3, s4
	v_cmp_le_i32_e64 s3, v12, v8
	v_lshlrev_b64_e32 v[10:11], 4, v[2:3]
	v_ashrrev_i32_e32 v7, 31, v6
	v_lshlrev_b64_e32 v[12:13], 4, v[4:5]
	v_ashrrev_i32_e32 v9, 31, v8
	s_and_b32 s17, s17, s38
	s_and_b32 s20, vcc_lo, s2
	s_and_b32 s4, s3, s4
	s_mov_b32 s35, 0
	s_branch .LBB284_7
.LBB284_6:                              ;   in Loop: Header=BB284_7 Depth=1
	s_wait_alu 0xfffe
	s_or_b32 exec_lo, exec_lo, s2
	s_add_co_i32 s34, s34, 0x10000
	s_delay_alu instid0(SALU_CYCLE_1)
	s_cmp_lt_u32 s34, s33
	s_cbranch_scc0 .LBB284_40
.LBB284_7:                              ; =>This Loop Header: Depth=1
                                        ;     Child Loop BB284_10 Depth 2
	v_mov_b32_e32 v28, 0
	v_mov_b32_e32 v29, 0
	s_wait_alu 0xfffe
	s_and_not1_b32 vcc_lo, exec_lo, s17
	s_wait_alu 0xfffe
	s_cbranch_vccnz .LBB284_18
; %bb.8:                                ;   in Loop: Header=BB284_7 Depth=1
	s_mul_u64 s[2:3], s[18:19], s[34:35]
	s_mul_u64 s[36:37], s[24:25], s[34:35]
	s_wait_alu 0xfffe
	s_lshl_b64 s[2:3], s[2:3], 4
	v_mov_b32_e32 v16, 0
	s_wait_alu 0xfffe
	v_add_co_u32 v42, vcc_lo, v36, s2
	s_wait_alu 0xfffd
	v_add_co_ci_u32_e64 v43, null, s3, v37, vcc_lo
	s_lshl_b64 s[2:3], s[36:37], 4
	v_mov_b32_e32 v22, 0
	v_mov_b32_e32 v26, 0
	v_mov_b32_e32 v30, 0
	s_wait_alu 0xfffe
	v_add_co_u32 v44, vcc_lo, v38, s2
	v_dual_mov_b32 v17, 0 :: v_dual_mov_b32 v18, 0
	v_dual_mov_b32 v23, 0 :: v_dual_mov_b32 v20, 0
	;; [unrolled: 1-line block ×4, first 2 shown]
	v_mov_b32_e32 v19, 0
	v_mov_b32_e32 v21, 0
	;; [unrolled: 1-line block ×4, first 2 shown]
	s_wait_alu 0xfffd
	v_add_co_ci_u32_e64 v45, null, s3, v39, vcc_lo
	s_mov_b64 s[2:3], 0
	s_branch .LBB284_10
.LBB284_9:                              ;   in Loop: Header=BB284_10 Depth=2
	s_wait_alu 0xfffe
	s_or_b32 exec_lo, exec_lo, s21
	ds_store_b128 v35, v[2:5]
	s_wait_dscnt 0x0
	s_barrier_signal -1
	s_barrier_wait -1
	global_inv scope:SCOPE_SE
	ds_load_b128 v[2:5], v41
	ds_load_b128 v[46:49], v40
	ds_load_b128 v[50:53], v40 offset:256
	ds_load_b128 v[54:57], v41 offset:2048
	;; [unrolled: 1-line block ×10, first 2 shown]
	s_add_nc_u64 s[2:3], s[2:3], 8
	s_wait_alu 0xfffe
	v_cmp_gt_i64_e64 s21, s[8:9], s[2:3]
	s_and_b32 vcc_lo, exec_lo, s21
	s_wait_dscnt 0xa
	v_mul_f64_e32 v[90:91], v[4:5], v[48:49]
	v_mul_f64_e32 v[92:93], v[2:3], v[48:49]
	s_wait_dscnt 0x9
	v_mul_f64_e32 v[94:95], v[4:5], v[52:53]
	v_mul_f64_e32 v[96:97], v[2:3], v[52:53]
	;; [unrolled: 3-line block ×3, first 2 shown]
	v_mul_f64_e32 v[100:101], v[56:57], v[52:53]
	v_mul_f64_e32 v[52:53], v[54:55], v[52:53]
	s_wait_dscnt 0x5
	v_mul_f64_e32 v[102:103], v[60:61], v[68:69]
	v_mul_f64_e32 v[104:105], v[58:59], v[68:69]
	s_wait_dscnt 0x4
	v_mul_f64_e32 v[106:107], v[60:61], v[72:73]
	v_mul_f64_e32 v[108:109], v[58:59], v[72:73]
	v_mul_f64_e32 v[110:111], v[64:65], v[68:69]
	v_mul_f64_e32 v[68:69], v[62:63], v[68:69]
	v_mul_f64_e32 v[112:113], v[64:65], v[72:73]
	v_mul_f64_e32 v[72:73], v[62:63], v[72:73]
	s_wait_dscnt 0x2
	v_mul_f64_e32 v[118:119], v[76:77], v[80:81]
	v_mul_f64_e32 v[120:121], v[74:75], v[80:81]
	s_wait_dscnt 0x1
	v_mul_f64_e32 v[122:123], v[76:77], v[84:85]
	v_mul_f64_e32 v[124:125], v[74:75], v[84:85]
	;; [unrolled: 3-line block ×3, first 2 shown]
	v_mul_f64_e32 v[128:129], v[88:89], v[84:85]
	v_mul_f64_e32 v[84:85], v[86:87], v[84:85]
	v_fma_f64 v[90:91], v[2:3], v[46:47], -v[90:91]
	v_fma_f64 v[92:93], v[4:5], v[46:47], v[92:93]
	v_fma_f64 v[94:95], v[2:3], v[50:51], -v[94:95]
	v_fma_f64 v[96:97], v[4:5], v[50:51], v[96:97]
	;; [unrolled: 2-line block ×8, first 2 shown]
	ds_load_b128 v[2:5], v41 offset:48
	ds_load_b128 v[46:49], v40 offset:1536
	;; [unrolled: 1-line block ×4, first 2 shown]
	v_fma_f64 v[118:119], v[74:75], v[78:79], -v[118:119]
	v_fma_f64 v[120:121], v[76:77], v[78:79], v[120:121]
	v_fma_f64 v[74:75], v[74:75], v[82:83], -v[122:123]
	v_fma_f64 v[76:77], v[76:77], v[82:83], v[124:125]
	;; [unrolled: 2-line block ×4, first 2 shown]
	s_wait_dscnt 0x2
	v_mul_f64_e32 v[108:109], v[2:3], v[48:49]
	s_wait_dscnt 0x1
	v_mul_f64_e32 v[110:111], v[4:5], v[52:53]
	v_mul_f64_e32 v[112:113], v[2:3], v[52:53]
	v_add_f64_e32 v[68:69], v[28:29], v[90:91]
	v_add_f64_e32 v[70:71], v[92:93], v[30:31]
	;; [unrolled: 1-line block ×8, first 2 shown]
	v_mul_f64_e32 v[100:101], v[4:5], v[48:49]
	s_wait_dscnt 0x0
	v_mul_f64_e32 v[114:115], v[56:57], v[48:49]
	v_mul_f64_e32 v[48:49], v[54:55], v[48:49]
	;; [unrolled: 1-line block ×4, first 2 shown]
	ds_load_b128 v[16:19], v41 offset:64
	ds_load_b128 v[20:23], v40 offset:2048
	ds_load_b128 v[24:27], v40 offset:2304
	ds_load_b128 v[28:31], v41 offset:2112
	s_wait_dscnt 0x1
	v_mul_f64_e32 v[124:125], v[16:17], v[26:27]
	s_wait_dscnt 0x0
	v_mul_f64_e32 v[126:127], v[30:31], v[22:23]
	v_mul_f64_e32 v[128:129], v[30:31], v[26:27]
	v_fma_f64 v[108:109], v[4:5], v[46:47], v[108:109]
	v_fma_f64 v[110:111], v[2:3], v[50:51], -v[110:111]
	v_fma_f64 v[112:113], v[4:5], v[50:51], v[112:113]
	v_add_f64_e32 v[84:85], v[68:69], v[102:103]
	v_add_f64_e32 v[86:87], v[104:105], v[70:71]
	;; [unrolled: 1-line block ×8, first 2 shown]
	v_mul_f64_e32 v[102:103], v[18:19], v[22:23]
	v_mul_f64_e32 v[104:105], v[16:17], v[22:23]
	;; [unrolled: 1-line block ×5, first 2 shown]
	v_fma_f64 v[100:101], v[2:3], v[46:47], -v[100:101]
	v_fma_f64 v[114:115], v[54:55], v[46:47], -v[114:115]
	v_fma_f64 v[130:131], v[56:57], v[46:47], v[48:49]
	v_fma_f64 v[116:117], v[54:55], v[50:51], -v[116:117]
	v_fma_f64 v[132:133], v[56:57], v[50:51], v[52:53]
	ds_load_b128 v[58:61], v41 offset:80
	ds_load_b128 v[62:65], v40 offset:2560
	;; [unrolled: 1-line block ×8, first 2 shown]
	v_add_f64_e32 v[84:85], v[84:85], v[118:119]
	v_add_f64_e32 v[86:87], v[120:121], v[86:87]
	v_add_f64_e32 v[74:75], v[88:89], v[74:75]
	v_add_f64_e32 v[76:77], v[76:77], v[90:91]
	v_add_f64_e32 v[88:89], v[92:93], v[122:123]
	v_add_f64_e32 v[78:79], v[78:79], v[94:95]
	v_add_f64_e32 v[80:81], v[96:97], v[80:81]
	v_add_f64_e32 v[82:83], v[82:83], v[98:99]
	s_wait_dscnt 0x6
	v_mul_f64_e32 v[90:91], v[60:61], v[64:65]
	v_mul_f64_e32 v[92:93], v[58:59], v[64:65]
	s_wait_dscnt 0x5
	v_mul_f64_e32 v[94:95], v[60:61], v[68:69]
	v_mul_f64_e32 v[96:97], v[58:59], v[68:69]
	;; [unrolled: 3-line block ×3, first 2 shown]
	v_mul_f64_e32 v[118:119], v[72:73], v[68:69]
	v_mul_f64_e32 v[68:69], v[70:71], v[68:69]
	v_fma_f64 v[102:103], v[16:17], v[20:21], -v[102:103]
	v_fma_f64 v[104:105], v[18:19], v[20:21], v[104:105]
	v_fma_f64 v[106:107], v[16:17], v[24:25], -v[106:107]
	v_fma_f64 v[120:121], v[18:19], v[24:25], v[124:125]
	;; [unrolled: 2-line block ×4, first 2 shown]
	ds_load_b128 v[16:19], v41 offset:112
	ds_load_b128 v[20:23], v40 offset:3584
	;; [unrolled: 1-line block ×4, first 2 shown]
	s_wait_loadcnt_dscnt 0x0
	s_barrier_signal -1
	s_barrier_wait -1
	global_inv scope:SCOPE_SE
	v_add_f64_e32 v[84:85], v[84:85], v[100:101]
	v_add_f64_e32 v[86:87], v[108:109], v[86:87]
	;; [unrolled: 1-line block ×8, first 2 shown]
	v_mul_f64_e32 v[100:101], v[4:5], v[48:49]
	v_mul_f64_e32 v[108:109], v[2:3], v[48:49]
	;; [unrolled: 1-line block ×8, first 2 shown]
	v_fma_f64 v[90:91], v[58:59], v[62:63], -v[90:91]
	v_fma_f64 v[92:93], v[60:61], v[62:63], v[92:93]
	v_fma_f64 v[58:59], v[58:59], v[66:67], -v[94:95]
	v_fma_f64 v[60:61], v[60:61], v[66:67], v[96:97]
	;; [unrolled: 2-line block ×4, first 2 shown]
	v_mul_f64_e32 v[96:97], v[16:17], v[26:27]
	v_mul_f64_e32 v[98:99], v[30:31], v[22:23]
	v_add_f64_e32 v[68:69], v[84:85], v[102:103]
	v_add_f64_e32 v[70:71], v[104:105], v[86:87]
	;; [unrolled: 1-line block ×8, first 2 shown]
	v_mul_f64_e32 v[84:85], v[18:19], v[22:23]
	v_mul_f64_e32 v[86:87], v[16:17], v[22:23]
	v_mul_f64_e32 v[88:89], v[18:19], v[26:27]
	v_mul_f64_e32 v[22:23], v[28:29], v[22:23]
	v_mul_f64_e32 v[102:103], v[30:31], v[26:27]
	v_mul_f64_e32 v[26:27], v[28:29], v[26:27]
	v_fma_f64 v[100:101], v[2:3], v[46:47], -v[100:101]
	v_fma_f64 v[104:105], v[4:5], v[46:47], v[108:109]
	v_fma_f64 v[2:3], v[2:3], v[50:51], -v[110:111]
	v_fma_f64 v[4:5], v[4:5], v[50:51], v[112:113]
	;; [unrolled: 2-line block ×4, first 2 shown]
	v_add_f64_e32 v[52:53], v[68:69], v[90:91]
	v_add_f64_e32 v[54:55], v[92:93], v[70:71]
	;; [unrolled: 1-line block ×8, first 2 shown]
	v_fma_f64 v[68:69], v[16:17], v[20:21], -v[84:85]
	v_fma_f64 v[70:71], v[18:19], v[20:21], v[86:87]
	v_fma_f64 v[16:17], v[16:17], v[24:25], -v[88:89]
	v_fma_f64 v[18:19], v[18:19], v[24:25], v[96:97]
	;; [unrolled: 2-line block ×4, first 2 shown]
	v_add_f64_e32 v[20:21], v[52:53], v[100:101]
	v_add_f64_e32 v[24:25], v[104:105], v[54:55]
	;; [unrolled: 1-line block ×16, first 2 shown]
	s_wait_alu 0xfffe
	s_cbranch_vccz .LBB284_19
.LBB284_10:                             ;   Parent Loop BB284_7 Depth=1
                                        ; =>  This Inner Loop Header: Depth=2
	s_mov_b32 s21, 0
	s_mov_b32 s37, s16
	s_and_saveexec_b32 s36, s0
	s_cbranch_execnz .LBB284_16
; %bb.11:                               ;   in Loop: Header=BB284_10 Depth=2
	s_wait_alu 0xfffe
	s_or_b32 exec_lo, exec_lo, s36
	s_and_saveexec_b32 s36, s37
	s_wait_alu 0xfffe
	s_xor_b32 s36, exec_lo, s36
	s_cbranch_execnz .LBB284_17
.LBB284_12:                             ;   in Loop: Header=BB284_10 Depth=2
	s_wait_alu 0xfffe
	s_or_b32 exec_lo, exec_lo, s36
	s_and_saveexec_b32 s36, s21
	s_cbranch_execz .LBB284_14
.LBB284_13:                             ;   in Loop: Header=BB284_10 Depth=2
	v_lshlrev_b64_e32 v[2:3], 4, v[14:15]
	s_delay_alu instid0(VALU_DEP_1) | instskip(SKIP_1) | instid1(VALU_DEP_2)
	v_add_co_u32 v2, vcc_lo, v42, v2
	s_wait_alu 0xfffd
	v_add_co_ci_u32_e64 v3, null, v43, v3, vcc_lo
	global_load_b128 v[2:5], v[2:3], off
	s_wait_loadcnt 0x0
	ds_store_2addr_b64 v34, v[2:3], v[4:5] offset1:1
.LBB284_14:                             ;   in Loop: Header=BB284_10 Depth=2
	s_wait_alu 0xfffe
	s_or_b32 exec_lo, exec_lo, s36
	v_add_nc_u32_e32 v0, s2, v32
	v_mov_b32_e32 v2, 0
	v_dual_mov_b32 v3, 0 :: v_dual_mov_b32 v4, 0
	v_mov_b32_e32 v5, 0
	s_delay_alu instid0(VALU_DEP_4)
	v_cmp_gt_u64_e32 vcc_lo, s[8:9], v[0:1]
	s_and_b32 s36, vcc_lo, s1
	s_wait_alu 0xfffe
	s_and_saveexec_b32 s21, s36
	s_cbranch_execz .LBB284_9
; %bb.15:                               ;   in Loop: Header=BB284_10 Depth=2
	v_mad_co_u64_u32 v[2:3], null, s22, v0, 0
	s_delay_alu instid0(VALU_DEP_1) | instskip(NEXT) | instid1(VALU_DEP_1)
	v_mad_co_u64_u32 v[3:4], null, s23, v0, v[3:4]
	v_lshlrev_b64_e32 v[2:3], 4, v[2:3]
	s_delay_alu instid0(VALU_DEP_1) | instskip(SKIP_1) | instid1(VALU_DEP_2)
	v_add_co_u32 v2, vcc_lo, v44, v2
	s_wait_alu 0xfffd
	v_add_co_ci_u32_e64 v3, null, v45, v3, vcc_lo
	global_load_b128 v[2:5], v[2:3], off
	s_wait_loadcnt 0x0
	v_xor_b32_e32 v5, 0x80000000, v5
	s_branch .LBB284_9
.LBB284_16:                             ;   in Loop: Header=BB284_10 Depth=2
	s_wait_alu 0xfffe
	v_add_nc_u32_e32 v0, s2, v33
	v_mov_b32_e32 v15, v1
	s_and_not1_b32 s37, s16, exec_lo
	s_mov_b32 s21, exec_lo
	s_delay_alu instid0(VALU_DEP_2)
	v_cmp_le_u64_e32 vcc_lo, s[8:9], v[0:1]
	v_mov_b32_e32 v14, v0
	s_and_b32 s38, vcc_lo, exec_lo
	s_wait_alu 0xfffe
	s_or_b32 s37, s37, s38
	s_or_b32 exec_lo, exec_lo, s36
	s_wait_alu 0xfffe
	s_and_saveexec_b32 s36, s37
	s_wait_alu 0xfffe
	s_xor_b32 s36, exec_lo, s36
	s_cbranch_execz .LBB284_12
.LBB284_17:                             ;   in Loop: Header=BB284_10 Depth=2
	v_dual_mov_b32 v0, v1 :: v_dual_mov_b32 v3, v1
	v_mov_b32_e32 v2, v1
	s_and_not1_b32 s21, s21, exec_lo
	ds_store_b128 v34, v[0:3]
	s_wait_alu 0xfffe
	s_or_b32 exec_lo, exec_lo, s36
	s_and_saveexec_b32 s36, s21
	s_cbranch_execnz .LBB284_13
	s_branch .LBB284_14
.LBB284_18:                             ;   in Loop: Header=BB284_7 Depth=1
	v_mov_b32_e32 v30, 0
	v_mov_b32_e32 v26, 0
	v_dual_mov_b32 v22, 0 :: v_dual_mov_b32 v31, 0
	v_dual_mov_b32 v24, 0 :: v_dual_mov_b32 v27, 0
	v_dual_mov_b32 v20, 0 :: v_dual_mov_b32 v23, 0
	v_mov_b32_e32 v18, 0
	v_dual_mov_b32 v16, 0 :: v_dual_mov_b32 v25, 0
	v_mov_b32_e32 v21, 0
	v_mov_b32_e32 v19, 0
	;; [unrolled: 1-line block ×3, first 2 shown]
.LBB284_19:                             ;   in Loop: Header=BB284_7 Depth=1
	s_mul_u64 s[2:3], s[6:7], s[34:35]
	s_wait_alu 0xfffe
	s_lshl_b64 s[2:3], s[2:3], 4
	s_wait_alu 0xfffe
	s_add_nc_u64 s[2:3], s[30:31], s[2:3]
	s_wait_alu 0xfffe
	v_add_co_u32 v0, vcc_lo, s2, v10
	s_wait_alu 0xfffd
	v_add_co_ci_u32_e64 v42, null, s3, v11, vcc_lo
	s_and_saveexec_b32 s21, s14
	s_cbranch_execz .LBB284_24
; %bb.20:                               ;   in Loop: Header=BB284_7 Depth=1
	v_mul_f64_e32 v[2:3], s[12:13], v[30:31]
	v_mul_f64_e32 v[4:5], s[10:11], v[30:31]
	s_and_b32 vcc_lo, exec_lo, s5
	s_mov_b32 s36, -1
	s_delay_alu instid0(VALU_DEP_2) | instskip(NEXT) | instid1(VALU_DEP_2)
	v_fma_f64 v[2:3], s[10:11], v[28:29], -v[2:3]
	v_fma_f64 v[4:5], s[12:13], v[28:29], v[4:5]
	s_wait_alu 0xfffe
	s_cbranch_vccz .LBB284_22
; %bb.21:                               ;   in Loop: Header=BB284_7 Depth=1
	v_lshlrev_b64_e32 v[28:29], 4, v[6:7]
	s_mov_b32 s36, 0
	s_delay_alu instid0(VALU_DEP_1) | instskip(SKIP_1) | instid1(VALU_DEP_2)
	v_add_co_u32 v43, vcc_lo, v0, v28
	s_wait_alu 0xfffd
	v_add_co_ci_u32_e64 v44, null, v42, v29, vcc_lo
	global_load_b128 v[28:31], v[43:44], off
	s_wait_loadcnt 0x0
	v_mul_f64_e32 v[45:46], s[28:29], v[30:31]
	v_mul_f64_e32 v[30:31], s[26:27], v[30:31]
	s_delay_alu instid0(VALU_DEP_2) | instskip(NEXT) | instid1(VALU_DEP_2)
	v_fma_f64 v[45:46], s[26:27], v[28:29], -v[45:46]
	v_fma_f64 v[30:31], s[28:29], v[28:29], v[30:31]
	s_delay_alu instid0(VALU_DEP_2) | instskip(NEXT) | instid1(VALU_DEP_2)
	v_add_f64_e32 v[28:29], v[2:3], v[45:46]
	v_add_f64_e32 v[30:31], v[4:5], v[30:31]
	global_store_b128 v[43:44], v[28:31], off
.LBB284_22:                             ;   in Loop: Header=BB284_7 Depth=1
	s_wait_alu 0xfffe
	s_and_not1_b32 vcc_lo, exec_lo, s36
	s_wait_alu 0xfffe
	s_cbranch_vccnz .LBB284_24
; %bb.23:                               ;   in Loop: Header=BB284_7 Depth=1
	v_lshlrev_b64_e32 v[28:29], 4, v[6:7]
	s_delay_alu instid0(VALU_DEP_1) | instskip(SKIP_1) | instid1(VALU_DEP_2)
	v_add_co_u32 v28, vcc_lo, v0, v28
	s_wait_alu 0xfffd
	v_add_co_ci_u32_e64 v29, null, v42, v29, vcc_lo
	global_store_b128 v[28:29], v[2:5], off
.LBB284_24:                             ;   in Loop: Header=BB284_7 Depth=1
	s_wait_alu 0xfffe
	s_or_b32 exec_lo, exec_lo, s21
	s_and_saveexec_b32 s21, s15
	s_cbranch_execz .LBB284_29
; %bb.25:                               ;   in Loop: Header=BB284_7 Depth=1
	v_mul_f64_e32 v[2:3], s[12:13], v[26:27]
	v_mul_f64_e32 v[4:5], s[10:11], v[26:27]
	s_and_not1_b32 vcc_lo, exec_lo, s5
	s_mov_b32 s36, -1
	s_delay_alu instid0(VALU_DEP_2) | instskip(NEXT) | instid1(VALU_DEP_2)
	v_fma_f64 v[2:3], s[10:11], v[24:25], -v[2:3]
	v_fma_f64 v[4:5], s[12:13], v[24:25], v[4:5]
	s_wait_alu 0xfffe
	s_cbranch_vccnz .LBB284_27
; %bb.26:                               ;   in Loop: Header=BB284_7 Depth=1
	v_lshlrev_b64_e32 v[24:25], 4, v[8:9]
	s_mov_b32 s36, 0
	s_delay_alu instid0(VALU_DEP_1) | instskip(SKIP_1) | instid1(VALU_DEP_2)
	v_add_co_u32 v28, vcc_lo, v0, v24
	s_wait_alu 0xfffd
	v_add_co_ci_u32_e64 v29, null, v42, v25, vcc_lo
	global_load_b128 v[24:27], v[28:29], off
	s_wait_loadcnt 0x0
	v_mul_f64_e32 v[30:31], s[28:29], v[26:27]
	v_mul_f64_e32 v[26:27], s[26:27], v[26:27]
	s_delay_alu instid0(VALU_DEP_2) | instskip(NEXT) | instid1(VALU_DEP_2)
	v_fma_f64 v[30:31], s[26:27], v[24:25], -v[30:31]
	v_fma_f64 v[26:27], s[28:29], v[24:25], v[26:27]
	s_delay_alu instid0(VALU_DEP_2) | instskip(NEXT) | instid1(VALU_DEP_2)
	v_add_f64_e32 v[24:25], v[2:3], v[30:31]
	v_add_f64_e32 v[26:27], v[4:5], v[26:27]
	global_store_b128 v[28:29], v[24:27], off
.LBB284_27:                             ;   in Loop: Header=BB284_7 Depth=1
	s_wait_alu 0xfffe
	s_and_not1_b32 vcc_lo, exec_lo, s36
	s_wait_alu 0xfffe
	s_cbranch_vccnz .LBB284_29
; %bb.28:                               ;   in Loop: Header=BB284_7 Depth=1
	v_lshlrev_b64_e32 v[24:25], 4, v[8:9]
	s_delay_alu instid0(VALU_DEP_1) | instskip(SKIP_1) | instid1(VALU_DEP_2)
	v_add_co_u32 v24, vcc_lo, v0, v24
	s_wait_alu 0xfffd
	v_add_co_ci_u32_e64 v25, null, v42, v25, vcc_lo
	global_store_b128 v[24:25], v[2:5], off
.LBB284_29:                             ;   in Loop: Header=BB284_7 Depth=1
	s_wait_alu 0xfffe
	s_or_b32 exec_lo, exec_lo, s21
	v_add_co_u32 v0, vcc_lo, s2, v12
	s_wait_alu 0xfffd
	v_add_co_ci_u32_e64 v24, null, s3, v13, vcc_lo
	s_and_saveexec_b32 s2, s20
	s_cbranch_execz .LBB284_34
; %bb.30:                               ;   in Loop: Header=BB284_7 Depth=1
	v_mul_f64_e32 v[2:3], s[12:13], v[22:23]
	v_mul_f64_e32 v[4:5], s[10:11], v[22:23]
	s_and_not1_b32 vcc_lo, exec_lo, s5
	s_mov_b32 s3, -1
	s_delay_alu instid0(VALU_DEP_2) | instskip(NEXT) | instid1(VALU_DEP_2)
	v_fma_f64 v[2:3], s[10:11], v[20:21], -v[2:3]
	v_fma_f64 v[4:5], s[12:13], v[20:21], v[4:5]
	v_lshlrev_b64_e32 v[20:21], 4, v[6:7]
	s_wait_alu 0xfffe
	s_cbranch_vccnz .LBB284_32
; %bb.31:                               ;   in Loop: Header=BB284_7 Depth=1
	s_delay_alu instid0(VALU_DEP_1) | instskip(SKIP_1) | instid1(VALU_DEP_2)
	v_add_co_u32 v22, vcc_lo, v0, v20
	s_wait_alu 0xfffd
	v_add_co_ci_u32_e64 v23, null, v24, v21, vcc_lo
	s_mov_b32 s3, 0
	global_load_b128 v[25:28], v[22:23], off
	s_wait_loadcnt 0x0
	v_mul_f64_e32 v[29:30], s[28:29], v[27:28]
	v_mul_f64_e32 v[27:28], s[26:27], v[27:28]
	s_delay_alu instid0(VALU_DEP_2) | instskip(NEXT) | instid1(VALU_DEP_2)
	v_fma_f64 v[29:30], s[26:27], v[25:26], -v[29:30]
	v_fma_f64 v[27:28], s[28:29], v[25:26], v[27:28]
	s_delay_alu instid0(VALU_DEP_2) | instskip(NEXT) | instid1(VALU_DEP_2)
	v_add_f64_e32 v[25:26], v[2:3], v[29:30]
	v_add_f64_e32 v[27:28], v[4:5], v[27:28]
	global_store_b128 v[22:23], v[25:28], off
.LBB284_32:                             ;   in Loop: Header=BB284_7 Depth=1
	s_wait_alu 0xfffe
	s_and_not1_b32 vcc_lo, exec_lo, s3
	s_wait_alu 0xfffe
	s_cbranch_vccnz .LBB284_34
; %bb.33:                               ;   in Loop: Header=BB284_7 Depth=1
	v_add_co_u32 v20, vcc_lo, v0, v20
	s_wait_alu 0xfffd
	v_add_co_ci_u32_e64 v21, null, v24, v21, vcc_lo
	global_store_b128 v[20:21], v[2:5], off
.LBB284_34:                             ;   in Loop: Header=BB284_7 Depth=1
	s_wait_alu 0xfffe
	s_or_b32 exec_lo, exec_lo, s2
	s_and_saveexec_b32 s2, s4
	s_cbranch_execz .LBB284_6
; %bb.35:                               ;   in Loop: Header=BB284_7 Depth=1
	v_mul_f64_e32 v[2:3], s[12:13], v[16:17]
	v_mul_f64_e32 v[4:5], s[10:11], v[16:17]
	v_lshlrev_b64_e32 v[16:17], 4, v[8:9]
	s_and_not1_b32 vcc_lo, exec_lo, s5
	s_mov_b32 s3, -1
	s_delay_alu instid0(VALU_DEP_3) | instskip(NEXT) | instid1(VALU_DEP_3)
	v_fma_f64 v[2:3], s[10:11], v[18:19], -v[2:3]
	v_fma_f64 v[4:5], s[12:13], v[18:19], v[4:5]
	s_wait_alu 0xfffe
	s_cbranch_vccnz .LBB284_37
; %bb.36:                               ;   in Loop: Header=BB284_7 Depth=1
	v_add_co_u32 v22, vcc_lo, v0, v16
	s_wait_alu 0xfffd
	v_add_co_ci_u32_e64 v23, null, v24, v17, vcc_lo
	s_mov_b32 s3, 0
	global_load_b128 v[18:21], v[22:23], off
	s_wait_loadcnt 0x0
	v_mul_f64_e32 v[25:26], s[28:29], v[20:21]
	v_mul_f64_e32 v[20:21], s[26:27], v[20:21]
	s_delay_alu instid0(VALU_DEP_2) | instskip(NEXT) | instid1(VALU_DEP_2)
	v_fma_f64 v[25:26], s[26:27], v[18:19], -v[25:26]
	v_fma_f64 v[20:21], s[28:29], v[18:19], v[20:21]
	s_delay_alu instid0(VALU_DEP_2) | instskip(NEXT) | instid1(VALU_DEP_2)
	v_add_f64_e32 v[18:19], v[2:3], v[25:26]
	v_add_f64_e32 v[20:21], v[4:5], v[20:21]
	global_store_b128 v[22:23], v[18:21], off
.LBB284_37:                             ;   in Loop: Header=BB284_7 Depth=1
	s_wait_alu 0xfffe
	s_and_not1_b32 vcc_lo, exec_lo, s3
	s_wait_alu 0xfffe
	s_cbranch_vccnz .LBB284_6
; %bb.38:                               ;   in Loop: Header=BB284_7 Depth=1
	v_add_co_u32 v16, vcc_lo, v0, v16
	s_wait_alu 0xfffd
	v_add_co_ci_u32_e64 v17, null, v24, v17, vcc_lo
	global_store_b128 v[16:17], v[2:5], off
	s_branch .LBB284_6
.LBB284_39:
.LBB284_40:
	s_nop 0
	s_sendmsg sendmsg(MSG_DEALLOC_VGPRS)
	s_endpgm
	.section	.rodata,"a",@progbits
	.p2align	6, 0x0
	.amdhsa_kernel _ZL29rocblas_internal_gemmt_kernelIlLi16ELi32ELi8ELc84ELc67ELc76ELb0ELb1E19rocblas_complex_numIdES1_PKS1_PS1_EviT_T9_T10_S5_lS7_S5_lS6_T11_S5_li
		.amdhsa_group_segment_fixed_size 8192
		.amdhsa_private_segment_fixed_size 0
		.amdhsa_kernarg_size 124
		.amdhsa_user_sgpr_count 2
		.amdhsa_user_sgpr_dispatch_ptr 0
		.amdhsa_user_sgpr_queue_ptr 0
		.amdhsa_user_sgpr_kernarg_segment_ptr 1
		.amdhsa_user_sgpr_dispatch_id 0
		.amdhsa_user_sgpr_private_segment_size 0
		.amdhsa_wavefront_size32 1
		.amdhsa_uses_dynamic_stack 0
		.amdhsa_enable_private_segment 0
		.amdhsa_system_sgpr_workgroup_id_x 1
		.amdhsa_system_sgpr_workgroup_id_y 1
		.amdhsa_system_sgpr_workgroup_id_z 1
		.amdhsa_system_sgpr_workgroup_info 0
		.amdhsa_system_vgpr_workitem_id 1
		.amdhsa_next_free_vgpr 134
		.amdhsa_next_free_sgpr 40
		.amdhsa_reserve_vcc 1
		.amdhsa_float_round_mode_32 0
		.amdhsa_float_round_mode_16_64 0
		.amdhsa_float_denorm_mode_32 3
		.amdhsa_float_denorm_mode_16_64 3
		.amdhsa_fp16_overflow 0
		.amdhsa_workgroup_processor_mode 1
		.amdhsa_memory_ordered 1
		.amdhsa_forward_progress 1
		.amdhsa_inst_pref_size 28
		.amdhsa_round_robin_scheduling 0
		.amdhsa_exception_fp_ieee_invalid_op 0
		.amdhsa_exception_fp_denorm_src 0
		.amdhsa_exception_fp_ieee_div_zero 0
		.amdhsa_exception_fp_ieee_overflow 0
		.amdhsa_exception_fp_ieee_underflow 0
		.amdhsa_exception_fp_ieee_inexact 0
		.amdhsa_exception_int_div_zero 0
	.end_amdhsa_kernel
	.section	.text._ZL29rocblas_internal_gemmt_kernelIlLi16ELi32ELi8ELc84ELc67ELc76ELb0ELb1E19rocblas_complex_numIdES1_PKS1_PS1_EviT_T9_T10_S5_lS7_S5_lS6_T11_S5_li,"axG",@progbits,_ZL29rocblas_internal_gemmt_kernelIlLi16ELi32ELi8ELc84ELc67ELc76ELb0ELb1E19rocblas_complex_numIdES1_PKS1_PS1_EviT_T9_T10_S5_lS7_S5_lS6_T11_S5_li,comdat
.Lfunc_end284:
	.size	_ZL29rocblas_internal_gemmt_kernelIlLi16ELi32ELi8ELc84ELc67ELc76ELb0ELb1E19rocblas_complex_numIdES1_PKS1_PS1_EviT_T9_T10_S5_lS7_S5_lS6_T11_S5_li, .Lfunc_end284-_ZL29rocblas_internal_gemmt_kernelIlLi16ELi32ELi8ELc84ELc67ELc76ELb0ELb1E19rocblas_complex_numIdES1_PKS1_PS1_EviT_T9_T10_S5_lS7_S5_lS6_T11_S5_li
                                        ; -- End function
	.set _ZL29rocblas_internal_gemmt_kernelIlLi16ELi32ELi8ELc84ELc67ELc76ELb0ELb1E19rocblas_complex_numIdES1_PKS1_PS1_EviT_T9_T10_S5_lS7_S5_lS6_T11_S5_li.num_vgpr, 134
	.set _ZL29rocblas_internal_gemmt_kernelIlLi16ELi32ELi8ELc84ELc67ELc76ELb0ELb1E19rocblas_complex_numIdES1_PKS1_PS1_EviT_T9_T10_S5_lS7_S5_lS6_T11_S5_li.num_agpr, 0
	.set _ZL29rocblas_internal_gemmt_kernelIlLi16ELi32ELi8ELc84ELc67ELc76ELb0ELb1E19rocblas_complex_numIdES1_PKS1_PS1_EviT_T9_T10_S5_lS7_S5_lS6_T11_S5_li.numbered_sgpr, 40
	.set _ZL29rocblas_internal_gemmt_kernelIlLi16ELi32ELi8ELc84ELc67ELc76ELb0ELb1E19rocblas_complex_numIdES1_PKS1_PS1_EviT_T9_T10_S5_lS7_S5_lS6_T11_S5_li.num_named_barrier, 0
	.set _ZL29rocblas_internal_gemmt_kernelIlLi16ELi32ELi8ELc84ELc67ELc76ELb0ELb1E19rocblas_complex_numIdES1_PKS1_PS1_EviT_T9_T10_S5_lS7_S5_lS6_T11_S5_li.private_seg_size, 0
	.set _ZL29rocblas_internal_gemmt_kernelIlLi16ELi32ELi8ELc84ELc67ELc76ELb0ELb1E19rocblas_complex_numIdES1_PKS1_PS1_EviT_T9_T10_S5_lS7_S5_lS6_T11_S5_li.uses_vcc, 1
	.set _ZL29rocblas_internal_gemmt_kernelIlLi16ELi32ELi8ELc84ELc67ELc76ELb0ELb1E19rocblas_complex_numIdES1_PKS1_PS1_EviT_T9_T10_S5_lS7_S5_lS6_T11_S5_li.uses_flat_scratch, 0
	.set _ZL29rocblas_internal_gemmt_kernelIlLi16ELi32ELi8ELc84ELc67ELc76ELb0ELb1E19rocblas_complex_numIdES1_PKS1_PS1_EviT_T9_T10_S5_lS7_S5_lS6_T11_S5_li.has_dyn_sized_stack, 0
	.set _ZL29rocblas_internal_gemmt_kernelIlLi16ELi32ELi8ELc84ELc67ELc76ELb0ELb1E19rocblas_complex_numIdES1_PKS1_PS1_EviT_T9_T10_S5_lS7_S5_lS6_T11_S5_li.has_recursion, 0
	.set _ZL29rocblas_internal_gemmt_kernelIlLi16ELi32ELi8ELc84ELc67ELc76ELb0ELb1E19rocblas_complex_numIdES1_PKS1_PS1_EviT_T9_T10_S5_lS7_S5_lS6_T11_S5_li.has_indirect_call, 0
	.section	.AMDGPU.csdata,"",@progbits
; Kernel info:
; codeLenInByte = 3516
; TotalNumSgprs: 42
; NumVgprs: 134
; ScratchSize: 0
; MemoryBound: 1
; FloatMode: 240
; IeeeMode: 1
; LDSByteSize: 8192 bytes/workgroup (compile time only)
; SGPRBlocks: 0
; VGPRBlocks: 16
; NumSGPRsForWavesPerEU: 42
; NumVGPRsForWavesPerEU: 134
; Occupancy: 10
; WaveLimiterHint : 0
; COMPUTE_PGM_RSRC2:SCRATCH_EN: 0
; COMPUTE_PGM_RSRC2:USER_SGPR: 2
; COMPUTE_PGM_RSRC2:TRAP_HANDLER: 0
; COMPUTE_PGM_RSRC2:TGID_X_EN: 1
; COMPUTE_PGM_RSRC2:TGID_Y_EN: 1
; COMPUTE_PGM_RSRC2:TGID_Z_EN: 1
; COMPUTE_PGM_RSRC2:TIDIG_COMP_CNT: 1
	.section	.text._ZL29rocblas_internal_gemmt_kernelIlLi16ELi32ELi8ELc67ELc78ELc76ELb1ELb0E19rocblas_complex_numIdES1_PKS1_PS1_EviT_T9_T10_S5_lS7_S5_lS6_T11_S5_li,"axG",@progbits,_ZL29rocblas_internal_gemmt_kernelIlLi16ELi32ELi8ELc67ELc78ELc76ELb1ELb0E19rocblas_complex_numIdES1_PKS1_PS1_EviT_T9_T10_S5_lS7_S5_lS6_T11_S5_li,comdat
	.globl	_ZL29rocblas_internal_gemmt_kernelIlLi16ELi32ELi8ELc67ELc78ELc76ELb1ELb0E19rocblas_complex_numIdES1_PKS1_PS1_EviT_T9_T10_S5_lS7_S5_lS6_T11_S5_li ; -- Begin function _ZL29rocblas_internal_gemmt_kernelIlLi16ELi32ELi8ELc67ELc78ELc76ELb1ELb0E19rocblas_complex_numIdES1_PKS1_PS1_EviT_T9_T10_S5_lS7_S5_lS6_T11_S5_li
	.p2align	8
	.type	_ZL29rocblas_internal_gemmt_kernelIlLi16ELi32ELi8ELc67ELc78ELc76ELb1ELb0E19rocblas_complex_numIdES1_PKS1_PS1_EviT_T9_T10_S5_lS7_S5_lS6_T11_S5_li,@function
_ZL29rocblas_internal_gemmt_kernelIlLi16ELi32ELi8ELc67ELc78ELc76ELb1ELb0E19rocblas_complex_numIdES1_PKS1_PS1_EviT_T9_T10_S5_lS7_S5_lS6_T11_S5_li: ; @_ZL29rocblas_internal_gemmt_kernelIlLi16ELi32ELi8ELc67ELc78ELc76ELb1ELb0E19rocblas_complex_numIdES1_PKS1_PS1_EviT_T9_T10_S5_lS7_S5_lS6_T11_S5_li
; %bb.0:
	s_clause 0x1
	s_load_b256 s[24:31], s[0:1], 0x48
	s_load_b512 s[8:23], s[0:1], 0x8
	s_wait_kmcnt 0x0
	v_cmp_eq_f64_e64 s3, s[26:27], 1.0
	v_cmp_eq_f64_e64 s2, s[28:29], 0
	s_and_b32 s3, s3, s2
	s_delay_alu instid0(SALU_CYCLE_1)
	s_and_not1_b32 vcc_lo, exec_lo, s3
	s_mov_b32 s3, -1
	s_cbranch_vccnz .LBB285_3
; %bb.1:
	s_cmp_lg_u64 s[8:9], 0
	s_cbranch_scc0 .LBB285_38
; %bb.2:
	v_cmp_neq_f64_e64 s3, s[10:11], 0
	v_cmp_neq_f64_e64 s4, s[12:13], 0
	s_or_b32 s3, s3, s4
.LBB285_3:
	s_delay_alu instid0(SALU_CYCLE_1)
	s_and_b32 vcc_lo, exec_lo, s3
	s_cbranch_vccz .LBB285_39
; %bb.4:
	s_load_b32 s33, s[0:1], 0x78
	s_lshr_b32 s34, ttmp7, 16
	s_wait_kmcnt 0x0
	s_cmp_ge_u32 s34, s33
	s_cbranch_scc1 .LBB285_39
; %bb.5:
	v_and_b32_e32 v6, 0x3ff, v0
	v_bfe_u32 v7, v0, 10, 10
	s_lshl_b32 s36, ttmp7, 5
	s_clause 0x1
	s_load_b128 s[4:7], s[0:1], 0x68
	s_load_b32 s37, s[0:1], 0x0
	s_and_b32 s0, s36, 0x1fffe0
	s_lshl_b32 s36, ttmp9, 5
	v_lshl_add_u32 v4, v7, 4, v6
	v_and_b32_e32 v30, 7, v0
	s_ashr_i32 s1, s36, 31
	v_add_nc_u32_e32 v12, s0, v7
	s_mul_i32 s1, s16, s1
	v_lshrrev_b32_e32 v8, 3, v4
	v_and_b32_e32 v5, 31, v4
	v_lshlrev_b32_e32 v11, 4, v30
	v_lshrrev_b32_e32 v32, 5, v4
	v_cmp_neq_f64_e64 s39, s[26:27], 0
	v_add_nc_u32_e32 v9, s0, v8
	v_or_b32_e32 v10, s36, v5
	v_lshlrev_b32_e32 v14, 4, v5
	v_cmp_neq_f64_e64 s3, s[10:11], 0
	v_cmp_neq_f64_e64 s35, s[12:13], 0
	v_mad_co_u64_u32 v[0:1], null, s22, v9, 0
	v_mad_co_u64_u32 v[2:3], null, s16, v10, 0
	v_mul_lo_u32 v13, s17, v10
	s_wait_kmcnt 0x0
	v_cmp_gt_i32_e64 s0, s37, v10
	v_cmp_gt_i64_e64 s38, s[8:9], 0
	v_lshl_add_u32 v39, v7, 7, 0x1000
	v_mad_co_u64_u32 v[4:5], null, s23, v9, v[1:2]
	v_lshl_or_b32 v1, v8, 7, v11
	s_wait_alu 0xfffe
	v_add3_u32 v3, v3, s1, v13
	s_delay_alu instid0(VALU_DEP_2) | instskip(NEXT) | instid1(VALU_DEP_2)
	v_dual_mov_b32 v1, v4 :: v_dual_add_nc_u32 v34, 0x1000, v1
	v_lshlrev_b64_e32 v[2:3], 4, v[2:3]
	v_mad_co_u64_u32 v[4:5], null, s4, v12, 0
	v_lshlrev_b32_e32 v31, 4, v6
	s_delay_alu instid0(VALU_DEP_4) | instskip(SKIP_4) | instid1(VALU_DEP_4)
	v_lshlrev_b64_e32 v[0:1], 4, v[0:1]
	v_add_nc_u32_e32 v6, s36, v6
	v_add_co_u32 v35, s1, s14, v2
	s_wait_alu 0xf1ff
	v_add_co_ci_u32_e64 v36, null, s15, v3, s1
	v_add_co_u32 v37, s1, s20, v0
	v_mov_b32_e32 v0, v5
	s_wait_alu 0xf1ff
	v_add_co_ci_u32_e64 v38, null, s21, v1, s1
	s_xor_b32 s1, s2, -1
	v_cmp_gt_i32_e64 s2, s37, v6
	v_mad_co_u64_u32 v[0:1], null, s5, v12, v[0:1]
	s_wait_alu 0xfffe
	s_or_b32 s14, s39, s1
	v_add_nc_u32_e32 v8, 16, v6
	v_cmp_gt_i32_e32 vcc_lo, s37, v9
	s_or_b32 s17, s3, s35
	v_ashrrev_i32_e32 v7, 31, v6
	s_wait_alu 0xfffe
	s_and_b32 s17, s17, s38
	v_mov_b32_e32 v5, v0
	v_add_nc_u32_e32 v15, 16, v12
	v_cmp_le_i32_e64 s1, v12, v6
	v_cmp_le_i32_e64 s3, v12, v8
	v_ashrrev_i32_e32 v9, 31, v8
	s_mov_b32 s35, 0
	v_mad_co_u64_u32 v[2:3], null, s4, v15, 0
	v_cmp_gt_i32_e64 s4, s37, v8
	s_and_b32 s15, s3, s4
	v_mov_b32_e32 v1, v3
	s_delay_alu instid0(VALU_DEP_1)
	v_mad_co_u64_u32 v[10:11], null, s5, v15, v[1:2]
	s_and_b32 s5, s1, s2
	v_cmp_le_i32_e64 s1, v15, v6
	v_mov_b32_e32 v1, 0
	v_mov_b32_e32 v3, v10
	s_and_b32 s16, s1, s2
	v_cmp_le_i32_e64 s1, v15, v8
	v_lshlrev_b64_e32 v[10:11], 4, v[4:5]
	v_lshl_or_b32 v33, v32, 9, v14
	v_lshlrev_b64_e32 v[12:13], 4, v[2:3]
	s_and_b32 s1, s1, s4
	s_xor_b32 s4, vcc_lo, -1
	s_branch .LBB285_7
.LBB285_6:                              ;   in Loop: Header=BB285_7 Depth=1
	s_wait_alu 0xfffe
	s_or_b32 exec_lo, exec_lo, s2
	s_add_co_i32 s34, s34, 0x10000
	s_delay_alu instid0(SALU_CYCLE_1)
	s_cmp_lt_u32 s34, s33
	s_cbranch_scc0 .LBB285_39
.LBB285_7:                              ; =>This Loop Header: Depth=1
                                        ;     Child Loop BB285_10 Depth 2
	v_mov_b32_e32 v26, 0
	v_mov_b32_e32 v22, 0
	;; [unrolled: 1-line block ×3, first 2 shown]
	v_dual_mov_b32 v16, 0 :: v_dual_mov_b32 v27, 0
	v_dual_mov_b32 v28, 0 :: v_dual_mov_b32 v23, 0
	;; [unrolled: 1-line block ×5, first 2 shown]
	v_mov_b32_e32 v25, 0
	v_mov_b32_e32 v21, 0
	;; [unrolled: 1-line block ×3, first 2 shown]
	s_wait_alu 0xfffe
	s_and_not1_b32 vcc_lo, exec_lo, s17
	s_wait_alu 0xfffe
	s_cbranch_vccnz .LBB285_18
; %bb.8:                                ;   in Loop: Header=BB285_7 Depth=1
	s_mul_u64 s[2:3], s[18:19], s[34:35]
	s_mul_u64 s[20:21], s[24:25], s[34:35]
	s_wait_alu 0xfffe
	s_lshl_b64 s[2:3], s[2:3], 4
	v_mov_b32_e32 v14, 0
	s_wait_alu 0xfffe
	v_add_co_u32 v40, vcc_lo, v35, s2
	s_wait_alu 0xfffd
	v_add_co_ci_u32_e64 v41, null, s3, v36, vcc_lo
	s_lshl_b64 s[2:3], s[20:21], 4
	v_mov_b32_e32 v20, 0
	v_mov_b32_e32 v24, 0
	;; [unrolled: 1-line block ×3, first 2 shown]
	s_wait_alu 0xfffe
	v_add_co_u32 v42, vcc_lo, v37, s2
	v_dual_mov_b32 v15, 0 :: v_dual_mov_b32 v16, 0
	v_dual_mov_b32 v21, 0 :: v_dual_mov_b32 v18, 0
	;; [unrolled: 1-line block ×4, first 2 shown]
	v_mov_b32_e32 v17, 0
	v_mov_b32_e32 v19, 0
	;; [unrolled: 1-line block ×4, first 2 shown]
	s_wait_alu 0xfffd
	v_add_co_ci_u32_e64 v43, null, s3, v38, vcc_lo
	s_mov_b64 s[2:3], 0
	s_branch .LBB285_10
.LBB285_9:                              ;   in Loop: Header=BB285_10 Depth=2
	s_wait_alu 0xfffe
	s_or_b32 exec_lo, exec_lo, s20
	s_wait_dscnt 0x0
	s_barrier_signal -1
	s_barrier_wait -1
	global_inv scope:SCOPE_SE
	ds_load_b128 v[2:5], v39
	ds_load_b128 v[44:47], v31
	ds_load_b128 v[48:51], v31 offset:256
	ds_load_b128 v[52:55], v39 offset:2048
	;; [unrolled: 1-line block ×10, first 2 shown]
	s_add_nc_u64 s[2:3], s[2:3], 8
	s_wait_alu 0xfffe
	v_cmp_gt_i64_e64 s20, s[8:9], s[2:3]
	s_and_b32 vcc_lo, exec_lo, s20
	s_wait_dscnt 0xa
	v_mul_f64_e32 v[88:89], v[4:5], v[46:47]
	v_mul_f64_e32 v[90:91], v[2:3], v[46:47]
	s_wait_dscnt 0x9
	v_mul_f64_e32 v[92:93], v[4:5], v[50:51]
	v_mul_f64_e32 v[94:95], v[2:3], v[50:51]
	;; [unrolled: 3-line block ×3, first 2 shown]
	v_mul_f64_e32 v[98:99], v[54:55], v[50:51]
	v_mul_f64_e32 v[50:51], v[52:53], v[50:51]
	s_wait_dscnt 0x5
	v_mul_f64_e32 v[100:101], v[58:59], v[66:67]
	v_mul_f64_e32 v[102:103], v[56:57], v[66:67]
	s_wait_dscnt 0x4
	v_mul_f64_e32 v[104:105], v[58:59], v[70:71]
	v_mul_f64_e32 v[106:107], v[56:57], v[70:71]
	;; [unrolled: 1-line block ×6, first 2 shown]
	s_wait_dscnt 0x2
	v_mul_f64_e32 v[116:117], v[74:75], v[78:79]
	v_mul_f64_e32 v[118:119], v[72:73], v[78:79]
	s_wait_dscnt 0x1
	v_mul_f64_e32 v[120:121], v[74:75], v[82:83]
	v_mul_f64_e32 v[122:123], v[72:73], v[82:83]
	;; [unrolled: 3-line block ×3, first 2 shown]
	v_mul_f64_e32 v[126:127], v[86:87], v[82:83]
	v_mul_f64_e32 v[82:83], v[84:85], v[82:83]
	v_fma_f64 v[88:89], v[2:3], v[44:45], -v[88:89]
	v_fma_f64 v[90:91], v[4:5], v[44:45], v[90:91]
	v_fma_f64 v[92:93], v[2:3], v[48:49], -v[92:93]
	v_fma_f64 v[94:95], v[4:5], v[48:49], v[94:95]
	;; [unrolled: 2-line block ×8, first 2 shown]
	ds_load_b128 v[2:5], v39 offset:48
	ds_load_b128 v[44:47], v31 offset:1536
	;; [unrolled: 1-line block ×4, first 2 shown]
	v_fma_f64 v[116:117], v[72:73], v[76:77], -v[116:117]
	v_fma_f64 v[118:119], v[74:75], v[76:77], v[118:119]
	v_fma_f64 v[72:73], v[72:73], v[80:81], -v[120:121]
	v_fma_f64 v[74:75], v[74:75], v[80:81], v[122:123]
	v_fma_f64 v[120:121], v[84:85], v[76:77], -v[124:125]
	v_fma_f64 v[76:77], v[86:87], v[76:77], v[78:79]
	v_fma_f64 v[78:79], v[84:85], v[80:81], -v[126:127]
	v_fma_f64 v[80:81], v[86:87], v[80:81], v[82:83]
	s_wait_dscnt 0x2
	v_mul_f64_e32 v[106:107], v[2:3], v[46:47]
	s_wait_dscnt 0x1
	v_mul_f64_e32 v[108:109], v[4:5], v[50:51]
	v_mul_f64_e32 v[110:111], v[2:3], v[50:51]
	v_add_f64_e32 v[66:67], v[26:27], v[88:89]
	v_add_f64_e32 v[68:69], v[90:91], v[28:29]
	;; [unrolled: 1-line block ×8, first 2 shown]
	v_mul_f64_e32 v[98:99], v[4:5], v[46:47]
	s_wait_dscnt 0x0
	v_mul_f64_e32 v[112:113], v[54:55], v[46:47]
	v_mul_f64_e32 v[46:47], v[52:53], v[46:47]
	;; [unrolled: 1-line block ×4, first 2 shown]
	ds_load_b128 v[14:17], v39 offset:64
	ds_load_b128 v[18:21], v31 offset:2048
	;; [unrolled: 1-line block ×4, first 2 shown]
	s_wait_dscnt 0x1
	v_mul_f64_e32 v[122:123], v[14:15], v[24:25]
	s_wait_dscnt 0x0
	v_mul_f64_e32 v[124:125], v[28:29], v[20:21]
	v_mul_f64_e32 v[126:127], v[28:29], v[24:25]
	v_fma_f64 v[106:107], v[4:5], v[44:45], v[106:107]
	v_fma_f64 v[108:109], v[2:3], v[48:49], -v[108:109]
	v_fma_f64 v[110:111], v[4:5], v[48:49], v[110:111]
	v_add_f64_e32 v[82:83], v[66:67], v[100:101]
	v_add_f64_e32 v[84:85], v[102:103], v[68:69]
	;; [unrolled: 1-line block ×8, first 2 shown]
	v_mul_f64_e32 v[100:101], v[16:17], v[20:21]
	v_mul_f64_e32 v[102:103], v[14:15], v[20:21]
	;; [unrolled: 1-line block ×5, first 2 shown]
	v_fma_f64 v[98:99], v[2:3], v[44:45], -v[98:99]
	v_fma_f64 v[112:113], v[52:53], v[44:45], -v[112:113]
	v_fma_f64 v[128:129], v[54:55], v[44:45], v[46:47]
	v_fma_f64 v[114:115], v[52:53], v[48:49], -v[114:115]
	v_fma_f64 v[130:131], v[54:55], v[48:49], v[50:51]
	ds_load_b128 v[56:59], v39 offset:80
	ds_load_b128 v[60:63], v31 offset:2560
	;; [unrolled: 1-line block ×8, first 2 shown]
	v_add_f64_e32 v[82:83], v[82:83], v[116:117]
	v_add_f64_e32 v[84:85], v[118:119], v[84:85]
	;; [unrolled: 1-line block ×8, first 2 shown]
	s_wait_dscnt 0x6
	v_mul_f64_e32 v[88:89], v[58:59], v[62:63]
	v_mul_f64_e32 v[90:91], v[56:57], v[62:63]
	s_wait_dscnt 0x5
	v_mul_f64_e32 v[92:93], v[58:59], v[66:67]
	v_mul_f64_e32 v[94:95], v[56:57], v[66:67]
	;; [unrolled: 3-line block ×3, first 2 shown]
	v_mul_f64_e32 v[116:117], v[70:71], v[66:67]
	v_mul_f64_e32 v[66:67], v[68:69], v[66:67]
	v_fma_f64 v[100:101], v[14:15], v[18:19], -v[100:101]
	v_fma_f64 v[102:103], v[16:17], v[18:19], v[102:103]
	v_fma_f64 v[104:105], v[14:15], v[22:23], -v[104:105]
	v_fma_f64 v[118:119], v[16:17], v[22:23], v[122:123]
	;; [unrolled: 2-line block ×4, first 2 shown]
	ds_load_b128 v[14:17], v39 offset:112
	ds_load_b128 v[18:21], v31 offset:3584
	;; [unrolled: 1-line block ×4, first 2 shown]
	s_wait_loadcnt_dscnt 0x0
	s_barrier_signal -1
	s_barrier_wait -1
	global_inv scope:SCOPE_SE
	v_add_f64_e32 v[82:83], v[82:83], v[98:99]
	v_add_f64_e32 v[84:85], v[106:107], v[84:85]
	;; [unrolled: 1-line block ×8, first 2 shown]
	v_mul_f64_e32 v[98:99], v[4:5], v[46:47]
	v_mul_f64_e32 v[106:107], v[2:3], v[46:47]
	;; [unrolled: 1-line block ×8, first 2 shown]
	v_fma_f64 v[88:89], v[56:57], v[60:61], -v[88:89]
	v_fma_f64 v[90:91], v[58:59], v[60:61], v[90:91]
	v_fma_f64 v[56:57], v[56:57], v[64:65], -v[92:93]
	v_fma_f64 v[58:59], v[58:59], v[64:65], v[94:95]
	;; [unrolled: 2-line block ×4, first 2 shown]
	v_mul_f64_e32 v[94:95], v[14:15], v[24:25]
	v_mul_f64_e32 v[96:97], v[28:29], v[20:21]
	v_add_f64_e32 v[66:67], v[82:83], v[100:101]
	v_add_f64_e32 v[68:69], v[102:103], v[84:85]
	;; [unrolled: 1-line block ×8, first 2 shown]
	v_mul_f64_e32 v[82:83], v[16:17], v[20:21]
	v_mul_f64_e32 v[84:85], v[14:15], v[20:21]
	;; [unrolled: 1-line block ×6, first 2 shown]
	v_fma_f64 v[98:99], v[2:3], v[44:45], -v[98:99]
	v_fma_f64 v[102:103], v[4:5], v[44:45], v[106:107]
	v_fma_f64 v[2:3], v[2:3], v[48:49], -v[108:109]
	v_fma_f64 v[4:5], v[4:5], v[48:49], v[110:111]
	;; [unrolled: 2-line block ×4, first 2 shown]
	v_add_f64_e32 v[50:51], v[66:67], v[88:89]
	v_add_f64_e32 v[52:53], v[90:91], v[68:69]
	;; [unrolled: 1-line block ×8, first 2 shown]
	v_fma_f64 v[66:67], v[14:15], v[18:19], -v[82:83]
	v_fma_f64 v[68:69], v[16:17], v[18:19], v[84:85]
	v_fma_f64 v[14:15], v[14:15], v[22:23], -v[86:87]
	v_fma_f64 v[16:17], v[16:17], v[22:23], v[94:95]
	;; [unrolled: 2-line block ×4, first 2 shown]
	v_add_f64_e32 v[18:19], v[50:51], v[98:99]
	v_add_f64_e32 v[22:23], v[102:103], v[52:53]
	;; [unrolled: 1-line block ×16, first 2 shown]
	s_wait_alu 0xfffe
	s_cbranch_vccz .LBB285_18
.LBB285_10:                             ;   Parent Loop BB285_7 Depth=1
                                        ; =>  This Inner Loop Header: Depth=2
	v_mov_b32_e32 v2, 0
	v_dual_mov_b32 v3, 0 :: v_dual_mov_b32 v4, 0
	v_mov_b32_e32 v5, 0
	s_and_saveexec_b32 s20, s0
	s_cbranch_execz .LBB285_14
; %bb.11:                               ;   in Loop: Header=BB285_10 Depth=2
	v_mov_b32_e32 v4, 0
	v_mov_b32_e32 v2, 0
	s_wait_alu 0xfffe
	v_dual_mov_b32 v5, 0 :: v_dual_add_nc_u32 v0, s2, v32
	v_mov_b32_e32 v3, 0
	s_mov_b32 s21, exec_lo
	s_delay_alu instid0(VALU_DEP_2)
	v_cmpx_gt_u64_e64 s[8:9], v[0:1]
	s_cbranch_execz .LBB285_13
; %bb.12:                               ;   in Loop: Header=BB285_10 Depth=2
	v_lshlrev_b64_e32 v[2:3], 4, v[0:1]
	s_delay_alu instid0(VALU_DEP_1) | instskip(SKIP_1) | instid1(VALU_DEP_2)
	v_add_co_u32 v2, vcc_lo, v40, v2
	s_wait_alu 0xfffd
	v_add_co_ci_u32_e64 v3, null, v41, v3, vcc_lo
	global_load_b128 v[2:5], v[2:3], off
	s_wait_loadcnt 0x0
	v_xor_b32_e32 v5, 0x80000000, v5
.LBB285_13:                             ;   in Loop: Header=BB285_10 Depth=2
	s_wait_alu 0xfffe
	s_or_b32 exec_lo, exec_lo, s21
.LBB285_14:                             ;   in Loop: Header=BB285_10 Depth=2
	s_wait_alu 0xfffe
	s_or_b32 exec_lo, exec_lo, s20
	v_add_nc_u32_e32 v0, s2, v30
	ds_store_b128 v33, v[2:5]
	v_cmp_le_u64_e32 vcc_lo, s[8:9], v[0:1]
	s_or_b32 s20, vcc_lo, s4
	s_wait_alu 0xfffe
	s_and_saveexec_b32 s21, s20
	s_wait_alu 0xfffe
	s_xor_b32 s20, exec_lo, s21
; %bb.15:                               ;   in Loop: Header=BB285_10 Depth=2
	v_dual_mov_b32 v0, v1 :: v_dual_mov_b32 v3, v1
	v_mov_b32_e32 v2, v1
	ds_store_b128 v34, v[0:3]
; %bb.16:                               ;   in Loop: Header=BB285_10 Depth=2
	s_wait_alu 0xfffe
	s_and_not1_saveexec_b32 s20, s20
	s_cbranch_execz .LBB285_9
; %bb.17:                               ;   in Loop: Header=BB285_10 Depth=2
	v_lshlrev_b64_e32 v[2:3], 4, v[0:1]
	s_delay_alu instid0(VALU_DEP_1) | instskip(SKIP_1) | instid1(VALU_DEP_2)
	v_add_co_u32 v2, vcc_lo, v42, v2
	s_wait_alu 0xfffd
	v_add_co_ci_u32_e64 v3, null, v43, v3, vcc_lo
	global_load_b128 v[2:5], v[2:3], off
	s_wait_loadcnt 0x0
	ds_store_2addr_b64 v34, v[2:3], v[4:5] offset1:1
	s_branch .LBB285_9
.LBB285_18:                             ;   in Loop: Header=BB285_7 Depth=1
	s_mul_u64 s[2:3], s[6:7], s[34:35]
	s_wait_alu 0xfffe
	s_lshl_b64 s[2:3], s[2:3], 4
	s_wait_alu 0xfffe
	s_add_nc_u64 s[2:3], s[30:31], s[2:3]
	s_wait_alu 0xfffe
	v_add_co_u32 v0, vcc_lo, s2, v10
	s_wait_alu 0xfffd
	v_add_co_ci_u32_e64 v40, null, s3, v11, vcc_lo
	s_and_saveexec_b32 s20, s5
	s_cbranch_execz .LBB285_23
; %bb.19:                               ;   in Loop: Header=BB285_7 Depth=1
	v_mul_f64_e32 v[2:3], s[12:13], v[28:29]
	v_mul_f64_e32 v[4:5], s[10:11], v[28:29]
	s_and_b32 vcc_lo, exec_lo, s14
	s_mov_b32 s21, -1
	s_delay_alu instid0(VALU_DEP_2) | instskip(NEXT) | instid1(VALU_DEP_2)
	v_fma_f64 v[2:3], s[10:11], v[26:27], -v[2:3]
	v_fma_f64 v[4:5], s[12:13], v[26:27], v[4:5]
	s_wait_alu 0xfffe
	s_cbranch_vccz .LBB285_21
; %bb.20:                               ;   in Loop: Header=BB285_7 Depth=1
	v_lshlrev_b64_e32 v[26:27], 4, v[6:7]
	s_mov_b32 s21, 0
	s_delay_alu instid0(VALU_DEP_1) | instskip(SKIP_1) | instid1(VALU_DEP_2)
	v_add_co_u32 v41, vcc_lo, v0, v26
	s_wait_alu 0xfffd
	v_add_co_ci_u32_e64 v42, null, v40, v27, vcc_lo
	global_load_b128 v[26:29], v[41:42], off
	s_wait_loadcnt 0x0
	v_mul_f64_e32 v[43:44], s[28:29], v[28:29]
	v_mul_f64_e32 v[28:29], s[26:27], v[28:29]
	s_delay_alu instid0(VALU_DEP_2) | instskip(NEXT) | instid1(VALU_DEP_2)
	v_fma_f64 v[43:44], s[26:27], v[26:27], -v[43:44]
	v_fma_f64 v[28:29], s[28:29], v[26:27], v[28:29]
	s_delay_alu instid0(VALU_DEP_2) | instskip(NEXT) | instid1(VALU_DEP_2)
	v_add_f64_e32 v[26:27], v[2:3], v[43:44]
	v_add_f64_e32 v[28:29], v[4:5], v[28:29]
	global_store_b128 v[41:42], v[26:29], off
.LBB285_21:                             ;   in Loop: Header=BB285_7 Depth=1
	s_wait_alu 0xfffe
	s_and_not1_b32 vcc_lo, exec_lo, s21
	s_wait_alu 0xfffe
	s_cbranch_vccnz .LBB285_23
; %bb.22:                               ;   in Loop: Header=BB285_7 Depth=1
	v_lshlrev_b64_e32 v[26:27], 4, v[6:7]
	s_delay_alu instid0(VALU_DEP_1) | instskip(SKIP_1) | instid1(VALU_DEP_2)
	v_add_co_u32 v26, vcc_lo, v0, v26
	s_wait_alu 0xfffd
	v_add_co_ci_u32_e64 v27, null, v40, v27, vcc_lo
	global_store_b128 v[26:27], v[2:5], off
.LBB285_23:                             ;   in Loop: Header=BB285_7 Depth=1
	s_wait_alu 0xfffe
	s_or_b32 exec_lo, exec_lo, s20
	s_and_saveexec_b32 s20, s15
	s_cbranch_execz .LBB285_28
; %bb.24:                               ;   in Loop: Header=BB285_7 Depth=1
	v_mul_f64_e32 v[2:3], s[12:13], v[24:25]
	v_mul_f64_e32 v[4:5], s[10:11], v[24:25]
	s_and_not1_b32 vcc_lo, exec_lo, s14
	s_mov_b32 s21, -1
	s_delay_alu instid0(VALU_DEP_2) | instskip(NEXT) | instid1(VALU_DEP_2)
	v_fma_f64 v[2:3], s[10:11], v[22:23], -v[2:3]
	v_fma_f64 v[4:5], s[12:13], v[22:23], v[4:5]
	s_wait_alu 0xfffe
	s_cbranch_vccnz .LBB285_26
; %bb.25:                               ;   in Loop: Header=BB285_7 Depth=1
	v_lshlrev_b64_e32 v[22:23], 4, v[8:9]
	s_mov_b32 s21, 0
	s_delay_alu instid0(VALU_DEP_1) | instskip(SKIP_1) | instid1(VALU_DEP_2)
	v_add_co_u32 v26, vcc_lo, v0, v22
	s_wait_alu 0xfffd
	v_add_co_ci_u32_e64 v27, null, v40, v23, vcc_lo
	global_load_b128 v[22:25], v[26:27], off
	s_wait_loadcnt 0x0
	v_mul_f64_e32 v[28:29], s[28:29], v[24:25]
	v_mul_f64_e32 v[24:25], s[26:27], v[24:25]
	s_delay_alu instid0(VALU_DEP_2) | instskip(NEXT) | instid1(VALU_DEP_2)
	v_fma_f64 v[28:29], s[26:27], v[22:23], -v[28:29]
	v_fma_f64 v[24:25], s[28:29], v[22:23], v[24:25]
	s_delay_alu instid0(VALU_DEP_2) | instskip(NEXT) | instid1(VALU_DEP_2)
	v_add_f64_e32 v[22:23], v[2:3], v[28:29]
	v_add_f64_e32 v[24:25], v[4:5], v[24:25]
	global_store_b128 v[26:27], v[22:25], off
.LBB285_26:                             ;   in Loop: Header=BB285_7 Depth=1
	s_wait_alu 0xfffe
	s_and_not1_b32 vcc_lo, exec_lo, s21
	s_wait_alu 0xfffe
	s_cbranch_vccnz .LBB285_28
; %bb.27:                               ;   in Loop: Header=BB285_7 Depth=1
	v_lshlrev_b64_e32 v[22:23], 4, v[8:9]
	s_delay_alu instid0(VALU_DEP_1) | instskip(SKIP_1) | instid1(VALU_DEP_2)
	v_add_co_u32 v22, vcc_lo, v0, v22
	s_wait_alu 0xfffd
	v_add_co_ci_u32_e64 v23, null, v40, v23, vcc_lo
	global_store_b128 v[22:23], v[2:5], off
.LBB285_28:                             ;   in Loop: Header=BB285_7 Depth=1
	s_wait_alu 0xfffe
	s_or_b32 exec_lo, exec_lo, s20
	v_add_co_u32 v0, vcc_lo, s2, v12
	s_wait_alu 0xfffd
	v_add_co_ci_u32_e64 v22, null, s3, v13, vcc_lo
	s_and_saveexec_b32 s2, s16
	s_cbranch_execz .LBB285_33
; %bb.29:                               ;   in Loop: Header=BB285_7 Depth=1
	v_mul_f64_e32 v[2:3], s[12:13], v[20:21]
	v_mul_f64_e32 v[4:5], s[10:11], v[20:21]
	s_and_not1_b32 vcc_lo, exec_lo, s14
	s_mov_b32 s3, -1
	s_delay_alu instid0(VALU_DEP_2) | instskip(NEXT) | instid1(VALU_DEP_2)
	v_fma_f64 v[2:3], s[10:11], v[18:19], -v[2:3]
	v_fma_f64 v[4:5], s[12:13], v[18:19], v[4:5]
	v_lshlrev_b64_e32 v[18:19], 4, v[6:7]
	s_wait_alu 0xfffe
	s_cbranch_vccnz .LBB285_31
; %bb.30:                               ;   in Loop: Header=BB285_7 Depth=1
	s_delay_alu instid0(VALU_DEP_1) | instskip(SKIP_1) | instid1(VALU_DEP_2)
	v_add_co_u32 v20, vcc_lo, v0, v18
	s_wait_alu 0xfffd
	v_add_co_ci_u32_e64 v21, null, v22, v19, vcc_lo
	s_mov_b32 s3, 0
	global_load_b128 v[23:26], v[20:21], off
	s_wait_loadcnt 0x0
	v_mul_f64_e32 v[27:28], s[28:29], v[25:26]
	v_mul_f64_e32 v[25:26], s[26:27], v[25:26]
	s_delay_alu instid0(VALU_DEP_2) | instskip(NEXT) | instid1(VALU_DEP_2)
	v_fma_f64 v[27:28], s[26:27], v[23:24], -v[27:28]
	v_fma_f64 v[25:26], s[28:29], v[23:24], v[25:26]
	s_delay_alu instid0(VALU_DEP_2) | instskip(NEXT) | instid1(VALU_DEP_2)
	v_add_f64_e32 v[23:24], v[2:3], v[27:28]
	v_add_f64_e32 v[25:26], v[4:5], v[25:26]
	global_store_b128 v[20:21], v[23:26], off
.LBB285_31:                             ;   in Loop: Header=BB285_7 Depth=1
	s_wait_alu 0xfffe
	s_and_not1_b32 vcc_lo, exec_lo, s3
	s_wait_alu 0xfffe
	s_cbranch_vccnz .LBB285_33
; %bb.32:                               ;   in Loop: Header=BB285_7 Depth=1
	v_add_co_u32 v18, vcc_lo, v0, v18
	s_wait_alu 0xfffd
	v_add_co_ci_u32_e64 v19, null, v22, v19, vcc_lo
	global_store_b128 v[18:19], v[2:5], off
.LBB285_33:                             ;   in Loop: Header=BB285_7 Depth=1
	s_wait_alu 0xfffe
	s_or_b32 exec_lo, exec_lo, s2
	s_and_saveexec_b32 s2, s1
	s_cbranch_execz .LBB285_6
; %bb.34:                               ;   in Loop: Header=BB285_7 Depth=1
	v_mul_f64_e32 v[2:3], s[12:13], v[14:15]
	v_mul_f64_e32 v[4:5], s[10:11], v[14:15]
	v_lshlrev_b64_e32 v[14:15], 4, v[8:9]
	s_and_not1_b32 vcc_lo, exec_lo, s14
	s_mov_b32 s3, -1
	s_delay_alu instid0(VALU_DEP_3) | instskip(NEXT) | instid1(VALU_DEP_3)
	v_fma_f64 v[2:3], s[10:11], v[16:17], -v[2:3]
	v_fma_f64 v[4:5], s[12:13], v[16:17], v[4:5]
	s_wait_alu 0xfffe
	s_cbranch_vccnz .LBB285_36
; %bb.35:                               ;   in Loop: Header=BB285_7 Depth=1
	v_add_co_u32 v20, vcc_lo, v0, v14
	s_wait_alu 0xfffd
	v_add_co_ci_u32_e64 v21, null, v22, v15, vcc_lo
	s_mov_b32 s3, 0
	global_load_b128 v[16:19], v[20:21], off
	s_wait_loadcnt 0x0
	v_mul_f64_e32 v[23:24], s[28:29], v[18:19]
	v_mul_f64_e32 v[18:19], s[26:27], v[18:19]
	s_delay_alu instid0(VALU_DEP_2) | instskip(NEXT) | instid1(VALU_DEP_2)
	v_fma_f64 v[23:24], s[26:27], v[16:17], -v[23:24]
	v_fma_f64 v[18:19], s[28:29], v[16:17], v[18:19]
	s_delay_alu instid0(VALU_DEP_2) | instskip(NEXT) | instid1(VALU_DEP_2)
	v_add_f64_e32 v[16:17], v[2:3], v[23:24]
	v_add_f64_e32 v[18:19], v[4:5], v[18:19]
	global_store_b128 v[20:21], v[16:19], off
.LBB285_36:                             ;   in Loop: Header=BB285_7 Depth=1
	s_wait_alu 0xfffe
	s_and_not1_b32 vcc_lo, exec_lo, s3
	s_wait_alu 0xfffe
	s_cbranch_vccnz .LBB285_6
; %bb.37:                               ;   in Loop: Header=BB285_7 Depth=1
	v_add_co_u32 v14, vcc_lo, v0, v14
	s_wait_alu 0xfffd
	v_add_co_ci_u32_e64 v15, null, v22, v15, vcc_lo
	global_store_b128 v[14:15], v[2:5], off
	s_branch .LBB285_6
.LBB285_38:
.LBB285_39:
	s_nop 0
	s_sendmsg sendmsg(MSG_DEALLOC_VGPRS)
	s_endpgm
	.section	.rodata,"a",@progbits
	.p2align	6, 0x0
	.amdhsa_kernel _ZL29rocblas_internal_gemmt_kernelIlLi16ELi32ELi8ELc67ELc78ELc76ELb1ELb0E19rocblas_complex_numIdES1_PKS1_PS1_EviT_T9_T10_S5_lS7_S5_lS6_T11_S5_li
		.amdhsa_group_segment_fixed_size 8192
		.amdhsa_private_segment_fixed_size 0
		.amdhsa_kernarg_size 124
		.amdhsa_user_sgpr_count 2
		.amdhsa_user_sgpr_dispatch_ptr 0
		.amdhsa_user_sgpr_queue_ptr 0
		.amdhsa_user_sgpr_kernarg_segment_ptr 1
		.amdhsa_user_sgpr_dispatch_id 0
		.amdhsa_user_sgpr_private_segment_size 0
		.amdhsa_wavefront_size32 1
		.amdhsa_uses_dynamic_stack 0
		.amdhsa_enable_private_segment 0
		.amdhsa_system_sgpr_workgroup_id_x 1
		.amdhsa_system_sgpr_workgroup_id_y 1
		.amdhsa_system_sgpr_workgroup_id_z 1
		.amdhsa_system_sgpr_workgroup_info 0
		.amdhsa_system_vgpr_workitem_id 1
		.amdhsa_next_free_vgpr 132
		.amdhsa_next_free_sgpr 40
		.amdhsa_reserve_vcc 1
		.amdhsa_float_round_mode_32 0
		.amdhsa_float_round_mode_16_64 0
		.amdhsa_float_denorm_mode_32 3
		.amdhsa_float_denorm_mode_16_64 3
		.amdhsa_fp16_overflow 0
		.amdhsa_workgroup_processor_mode 1
		.amdhsa_memory_ordered 1
		.amdhsa_forward_progress 1
		.amdhsa_inst_pref_size 27
		.amdhsa_round_robin_scheduling 0
		.amdhsa_exception_fp_ieee_invalid_op 0
		.amdhsa_exception_fp_denorm_src 0
		.amdhsa_exception_fp_ieee_div_zero 0
		.amdhsa_exception_fp_ieee_overflow 0
		.amdhsa_exception_fp_ieee_underflow 0
		.amdhsa_exception_fp_ieee_inexact 0
		.amdhsa_exception_int_div_zero 0
	.end_amdhsa_kernel
	.section	.text._ZL29rocblas_internal_gemmt_kernelIlLi16ELi32ELi8ELc67ELc78ELc76ELb1ELb0E19rocblas_complex_numIdES1_PKS1_PS1_EviT_T9_T10_S5_lS7_S5_lS6_T11_S5_li,"axG",@progbits,_ZL29rocblas_internal_gemmt_kernelIlLi16ELi32ELi8ELc67ELc78ELc76ELb1ELb0E19rocblas_complex_numIdES1_PKS1_PS1_EviT_T9_T10_S5_lS7_S5_lS6_T11_S5_li,comdat
.Lfunc_end285:
	.size	_ZL29rocblas_internal_gemmt_kernelIlLi16ELi32ELi8ELc67ELc78ELc76ELb1ELb0E19rocblas_complex_numIdES1_PKS1_PS1_EviT_T9_T10_S5_lS7_S5_lS6_T11_S5_li, .Lfunc_end285-_ZL29rocblas_internal_gemmt_kernelIlLi16ELi32ELi8ELc67ELc78ELc76ELb1ELb0E19rocblas_complex_numIdES1_PKS1_PS1_EviT_T9_T10_S5_lS7_S5_lS6_T11_S5_li
                                        ; -- End function
	.set _ZL29rocblas_internal_gemmt_kernelIlLi16ELi32ELi8ELc67ELc78ELc76ELb1ELb0E19rocblas_complex_numIdES1_PKS1_PS1_EviT_T9_T10_S5_lS7_S5_lS6_T11_S5_li.num_vgpr, 132
	.set _ZL29rocblas_internal_gemmt_kernelIlLi16ELi32ELi8ELc67ELc78ELc76ELb1ELb0E19rocblas_complex_numIdES1_PKS1_PS1_EviT_T9_T10_S5_lS7_S5_lS6_T11_S5_li.num_agpr, 0
	.set _ZL29rocblas_internal_gemmt_kernelIlLi16ELi32ELi8ELc67ELc78ELc76ELb1ELb0E19rocblas_complex_numIdES1_PKS1_PS1_EviT_T9_T10_S5_lS7_S5_lS6_T11_S5_li.numbered_sgpr, 40
	.set _ZL29rocblas_internal_gemmt_kernelIlLi16ELi32ELi8ELc67ELc78ELc76ELb1ELb0E19rocblas_complex_numIdES1_PKS1_PS1_EviT_T9_T10_S5_lS7_S5_lS6_T11_S5_li.num_named_barrier, 0
	.set _ZL29rocblas_internal_gemmt_kernelIlLi16ELi32ELi8ELc67ELc78ELc76ELb1ELb0E19rocblas_complex_numIdES1_PKS1_PS1_EviT_T9_T10_S5_lS7_S5_lS6_T11_S5_li.private_seg_size, 0
	.set _ZL29rocblas_internal_gemmt_kernelIlLi16ELi32ELi8ELc67ELc78ELc76ELb1ELb0E19rocblas_complex_numIdES1_PKS1_PS1_EviT_T9_T10_S5_lS7_S5_lS6_T11_S5_li.uses_vcc, 1
	.set _ZL29rocblas_internal_gemmt_kernelIlLi16ELi32ELi8ELc67ELc78ELc76ELb1ELb0E19rocblas_complex_numIdES1_PKS1_PS1_EviT_T9_T10_S5_lS7_S5_lS6_T11_S5_li.uses_flat_scratch, 0
	.set _ZL29rocblas_internal_gemmt_kernelIlLi16ELi32ELi8ELc67ELc78ELc76ELb1ELb0E19rocblas_complex_numIdES1_PKS1_PS1_EviT_T9_T10_S5_lS7_S5_lS6_T11_S5_li.has_dyn_sized_stack, 0
	.set _ZL29rocblas_internal_gemmt_kernelIlLi16ELi32ELi8ELc67ELc78ELc76ELb1ELb0E19rocblas_complex_numIdES1_PKS1_PS1_EviT_T9_T10_S5_lS7_S5_lS6_T11_S5_li.has_recursion, 0
	.set _ZL29rocblas_internal_gemmt_kernelIlLi16ELi32ELi8ELc67ELc78ELc76ELb1ELb0E19rocblas_complex_numIdES1_PKS1_PS1_EviT_T9_T10_S5_lS7_S5_lS6_T11_S5_li.has_indirect_call, 0
	.section	.AMDGPU.csdata,"",@progbits
; Kernel info:
; codeLenInByte = 3456
; TotalNumSgprs: 42
; NumVgprs: 132
; ScratchSize: 0
; MemoryBound: 1
; FloatMode: 240
; IeeeMode: 1
; LDSByteSize: 8192 bytes/workgroup (compile time only)
; SGPRBlocks: 0
; VGPRBlocks: 16
; NumSGPRsForWavesPerEU: 42
; NumVGPRsForWavesPerEU: 132
; Occupancy: 10
; WaveLimiterHint : 0
; COMPUTE_PGM_RSRC2:SCRATCH_EN: 0
; COMPUTE_PGM_RSRC2:USER_SGPR: 2
; COMPUTE_PGM_RSRC2:TRAP_HANDLER: 0
; COMPUTE_PGM_RSRC2:TGID_X_EN: 1
; COMPUTE_PGM_RSRC2:TGID_Y_EN: 1
; COMPUTE_PGM_RSRC2:TGID_Z_EN: 1
; COMPUTE_PGM_RSRC2:TIDIG_COMP_CNT: 1
	.section	.text._ZL29rocblas_internal_gemmt_kernelIlLi16ELi32ELi8ELc67ELc84ELc76ELb1ELb0E19rocblas_complex_numIdES1_PKS1_PS1_EviT_T9_T10_S5_lS7_S5_lS6_T11_S5_li,"axG",@progbits,_ZL29rocblas_internal_gemmt_kernelIlLi16ELi32ELi8ELc67ELc84ELc76ELb1ELb0E19rocblas_complex_numIdES1_PKS1_PS1_EviT_T9_T10_S5_lS7_S5_lS6_T11_S5_li,comdat
	.globl	_ZL29rocblas_internal_gemmt_kernelIlLi16ELi32ELi8ELc67ELc84ELc76ELb1ELb0E19rocblas_complex_numIdES1_PKS1_PS1_EviT_T9_T10_S5_lS7_S5_lS6_T11_S5_li ; -- Begin function _ZL29rocblas_internal_gemmt_kernelIlLi16ELi32ELi8ELc67ELc84ELc76ELb1ELb0E19rocblas_complex_numIdES1_PKS1_PS1_EviT_T9_T10_S5_lS7_S5_lS6_T11_S5_li
	.p2align	8
	.type	_ZL29rocblas_internal_gemmt_kernelIlLi16ELi32ELi8ELc67ELc84ELc76ELb1ELb0E19rocblas_complex_numIdES1_PKS1_PS1_EviT_T9_T10_S5_lS7_S5_lS6_T11_S5_li,@function
_ZL29rocblas_internal_gemmt_kernelIlLi16ELi32ELi8ELc67ELc84ELc76ELb1ELb0E19rocblas_complex_numIdES1_PKS1_PS1_EviT_T9_T10_S5_lS7_S5_lS6_T11_S5_li: ; @_ZL29rocblas_internal_gemmt_kernelIlLi16ELi32ELi8ELc67ELc84ELc76ELb1ELb0E19rocblas_complex_numIdES1_PKS1_PS1_EviT_T9_T10_S5_lS7_S5_lS6_T11_S5_li
; %bb.0:
	s_clause 0x1
	s_load_b256 s[24:31], s[0:1], 0x48
	s_load_b512 s[8:23], s[0:1], 0x8
	s_wait_kmcnt 0x0
	v_cmp_eq_f64_e64 s3, s[26:27], 1.0
	v_cmp_eq_f64_e64 s2, s[28:29], 0
	s_and_b32 s3, s3, s2
	s_delay_alu instid0(SALU_CYCLE_1)
	s_and_not1_b32 vcc_lo, exec_lo, s3
	s_mov_b32 s3, -1
	s_cbranch_vccnz .LBB286_3
; %bb.1:
	s_cmp_lg_u64 s[8:9], 0
	s_cbranch_scc0 .LBB286_38
; %bb.2:
	v_cmp_neq_f64_e64 s3, s[10:11], 0
	v_cmp_neq_f64_e64 s4, s[12:13], 0
	s_or_b32 s3, s3, s4
.LBB286_3:
	s_delay_alu instid0(SALU_CYCLE_1)
	s_and_b32 vcc_lo, exec_lo, s3
	s_cbranch_vccz .LBB286_39
; %bb.4:
	s_load_b32 s33, s[0:1], 0x78
	s_lshr_b32 s34, ttmp7, 16
	s_wait_kmcnt 0x0
	s_cmp_ge_u32 s34, s33
	s_cbranch_scc1 .LBB286_39
; %bb.5:
	v_dual_mov_b32 v1, 0 :: v_dual_and_b32 v6, 0x3ff, v0
	v_bfe_u32 v7, v0, 10, 10
	v_and_b32_e32 v30, 7, v0
	s_lshl_b32 s37, ttmp9, 5
	s_clause 0x1
	s_load_b128 s[4:7], s[0:1], 0x68
	s_load_b32 s36, s[0:1], 0x0
	v_cmp_neq_f64_e64 s39, s[26:27], 0
	v_lshl_add_u32 v4, v7, 4, v6
	s_ashr_i32 s1, s37, 31
	s_lshl_b32 s0, ttmp7, 5
	s_mul_i32 s1, s16, s1
	v_cmp_neq_f64_e64 s3, s[10:11], 0
	v_and_b32_e32 v0, 31, v4
	v_cmp_neq_f64_e64 s35, s[12:13], 0
	s_and_b32 s0, s0, 0x1fffe0
	v_lshrrev_b32_e32 v10, 3, v4
	v_add_nc_u32_e32 v11, s0, v7
	v_or_b32_e32 v5, s37, v0
	v_lshrrev_b32_e32 v31, 5, v4
	v_lshlrev_b32_e32 v0, 4, v0
	v_add_nc_u32_e32 v4, s0, v10
	v_add_nc_u32_e32 v12, 16, v11
	v_mul_lo_u32 v8, s17, v5
	v_mad_co_u64_u32 v[2:3], null, s16, v5, 0
	v_lshl_or_b32 v32, v31, 9, v0
	v_lshlrev_b32_e32 v0, 4, v4
	s_wait_kmcnt 0x0
	v_cmp_gt_i32_e64 s0, s36, v5
	v_cmp_gt_i32_e32 vcc_lo, s36, v4
	v_mad_co_u64_u32 v[4:5], null, s4, v12, 0
	v_add3_u32 v3, v3, s1, v8
	v_lshl_add_u32 v39, v7, 7, 0x1000
	v_lshlrev_b32_e32 v38, 4, v6
	v_add_nc_u32_e32 v6, s37, v6
	v_cmp_gt_i64_e64 s38, s[8:9], 0
	v_lshlrev_b64_e32 v[2:3], 4, v[2:3]
	s_delay_alu instid0(VALU_DEP_1) | instskip(SKIP_1) | instid1(VALU_DEP_2)
	v_add_co_u32 v34, s1, s14, v2
	s_wait_alu 0xf1ff
	v_add_co_ci_u32_e64 v35, null, s15, v3, s1
	v_mad_co_u64_u32 v[2:3], null, s4, v11, 0
	v_lshlrev_b32_e32 v9, 4, v30
	v_add_co_u32 v36, s1, s20, v0
	s_wait_alu 0xf1ff
	v_add_co_ci_u32_e64 v37, null, s21, 0, s1
	s_xor_b32 s1, s2, -1
	v_mov_b32_e32 v0, v3
	v_lshl_or_b32 v8, v10, 7, v9
	s_wait_alu 0xfffe
	s_or_b32 s14, s39, s1
	v_cmp_gt_i32_e64 s2, s36, v6
	s_or_b32 s17, s3, s35
	s_mov_b32 s35, 0
	v_add_nc_u32_e32 v33, 0x1000, v8
	v_mad_co_u64_u32 v[7:8], null, s5, v11, v[0:1]
	v_mov_b32_e32 v0, v5
	v_cmp_le_i32_e64 s1, v11, v6
	v_add_nc_u32_e32 v8, 16, v6
	s_wait_alu 0xfffe
	s_and_b32 s17, s17, s38
	v_mad_co_u64_u32 v[9:10], null, s5, v12, v[0:1]
	s_and_b32 s5, s1, s2
	v_cmp_le_i32_e64 s1, v12, v6
	v_mov_b32_e32 v3, v7
	v_cmp_le_i32_e64 s3, v11, v8
	v_cmp_gt_i32_e64 s4, s36, v8
	v_ashrrev_i32_e32 v7, 31, v6
	v_mov_b32_e32 v5, v9
	s_and_b32 s16, s1, s2
	v_cmp_le_i32_e64 s1, v12, v8
	v_lshlrev_b64_e32 v[10:11], 4, v[2:3]
	v_ashrrev_i32_e32 v9, 31, v8
	v_lshlrev_b64_e32 v[12:13], 4, v[4:5]
	s_and_b32 s15, s3, s4
	s_and_b32 s1, s1, s4
	s_xor_b32 s4, vcc_lo, -1
	s_branch .LBB286_7
.LBB286_6:                              ;   in Loop: Header=BB286_7 Depth=1
	s_wait_alu 0xfffe
	s_or_b32 exec_lo, exec_lo, s2
	s_add_co_i32 s34, s34, 0x10000
	s_delay_alu instid0(SALU_CYCLE_1)
	s_cmp_lt_u32 s34, s33
	s_cbranch_scc0 .LBB286_39
.LBB286_7:                              ; =>This Loop Header: Depth=1
                                        ;     Child Loop BB286_10 Depth 2
	v_mov_b32_e32 v26, 0
	v_mov_b32_e32 v22, 0
	;; [unrolled: 1-line block ×3, first 2 shown]
	v_dual_mov_b32 v16, 0 :: v_dual_mov_b32 v27, 0
	v_dual_mov_b32 v28, 0 :: v_dual_mov_b32 v23, 0
	;; [unrolled: 1-line block ×5, first 2 shown]
	v_mov_b32_e32 v25, 0
	v_mov_b32_e32 v21, 0
	;; [unrolled: 1-line block ×3, first 2 shown]
	s_wait_alu 0xfffe
	s_and_not1_b32 vcc_lo, exec_lo, s17
	s_wait_alu 0xfffe
	s_cbranch_vccnz .LBB286_18
; %bb.8:                                ;   in Loop: Header=BB286_7 Depth=1
	s_mul_u64 s[2:3], s[18:19], s[34:35]
	s_mul_u64 s[20:21], s[24:25], s[34:35]
	s_wait_alu 0xfffe
	s_lshl_b64 s[2:3], s[2:3], 4
	v_mov_b32_e32 v14, 0
	s_wait_alu 0xfffe
	v_add_co_u32 v40, vcc_lo, v34, s2
	s_wait_alu 0xfffd
	v_add_co_ci_u32_e64 v41, null, s3, v35, vcc_lo
	s_lshl_b64 s[2:3], s[20:21], 4
	v_mov_b32_e32 v20, 0
	v_mov_b32_e32 v24, 0
	;; [unrolled: 1-line block ×3, first 2 shown]
	s_wait_alu 0xfffe
	v_add_co_u32 v42, vcc_lo, v36, s2
	v_dual_mov_b32 v15, 0 :: v_dual_mov_b32 v16, 0
	v_dual_mov_b32 v21, 0 :: v_dual_mov_b32 v18, 0
	;; [unrolled: 1-line block ×4, first 2 shown]
	v_mov_b32_e32 v17, 0
	v_mov_b32_e32 v19, 0
	;; [unrolled: 1-line block ×4, first 2 shown]
	s_wait_alu 0xfffd
	v_add_co_ci_u32_e64 v43, null, s3, v37, vcc_lo
	s_mov_b64 s[2:3], 0
	s_branch .LBB286_10
.LBB286_9:                              ;   in Loop: Header=BB286_10 Depth=2
	s_wait_alu 0xfffe
	s_or_b32 exec_lo, exec_lo, s20
	s_wait_dscnt 0x0
	s_barrier_signal -1
	s_barrier_wait -1
	global_inv scope:SCOPE_SE
	ds_load_b128 v[2:5], v39
	ds_load_b128 v[44:47], v38
	ds_load_b128 v[48:51], v38 offset:256
	ds_load_b128 v[52:55], v39 offset:2048
	;; [unrolled: 1-line block ×10, first 2 shown]
	s_add_nc_u64 s[2:3], s[2:3], 8
	s_wait_alu 0xfffe
	v_cmp_gt_i64_e64 s20, s[8:9], s[2:3]
	s_and_b32 vcc_lo, exec_lo, s20
	s_wait_dscnt 0xa
	v_mul_f64_e32 v[88:89], v[4:5], v[46:47]
	v_mul_f64_e32 v[90:91], v[2:3], v[46:47]
	s_wait_dscnt 0x9
	v_mul_f64_e32 v[92:93], v[4:5], v[50:51]
	v_mul_f64_e32 v[94:95], v[2:3], v[50:51]
	;; [unrolled: 3-line block ×3, first 2 shown]
	v_mul_f64_e32 v[98:99], v[54:55], v[50:51]
	v_mul_f64_e32 v[50:51], v[52:53], v[50:51]
	s_wait_dscnt 0x5
	v_mul_f64_e32 v[100:101], v[58:59], v[66:67]
	v_mul_f64_e32 v[102:103], v[56:57], v[66:67]
	s_wait_dscnt 0x4
	v_mul_f64_e32 v[104:105], v[58:59], v[70:71]
	v_mul_f64_e32 v[106:107], v[56:57], v[70:71]
	;; [unrolled: 1-line block ×6, first 2 shown]
	s_wait_dscnt 0x2
	v_mul_f64_e32 v[116:117], v[74:75], v[78:79]
	v_mul_f64_e32 v[118:119], v[72:73], v[78:79]
	s_wait_dscnt 0x1
	v_mul_f64_e32 v[120:121], v[74:75], v[82:83]
	v_mul_f64_e32 v[122:123], v[72:73], v[82:83]
	s_wait_dscnt 0x0
	v_mul_f64_e32 v[124:125], v[86:87], v[78:79]
	v_mul_f64_e32 v[78:79], v[84:85], v[78:79]
	v_mul_f64_e32 v[126:127], v[86:87], v[82:83]
	v_mul_f64_e32 v[82:83], v[84:85], v[82:83]
	v_fma_f64 v[88:89], v[2:3], v[44:45], -v[88:89]
	v_fma_f64 v[90:91], v[4:5], v[44:45], v[90:91]
	v_fma_f64 v[92:93], v[2:3], v[48:49], -v[92:93]
	v_fma_f64 v[94:95], v[4:5], v[48:49], v[94:95]
	;; [unrolled: 2-line block ×8, first 2 shown]
	ds_load_b128 v[2:5], v39 offset:48
	ds_load_b128 v[44:47], v38 offset:1536
	;; [unrolled: 1-line block ×4, first 2 shown]
	v_fma_f64 v[116:117], v[72:73], v[76:77], -v[116:117]
	v_fma_f64 v[118:119], v[74:75], v[76:77], v[118:119]
	v_fma_f64 v[72:73], v[72:73], v[80:81], -v[120:121]
	v_fma_f64 v[74:75], v[74:75], v[80:81], v[122:123]
	v_fma_f64 v[120:121], v[84:85], v[76:77], -v[124:125]
	v_fma_f64 v[76:77], v[86:87], v[76:77], v[78:79]
	v_fma_f64 v[78:79], v[84:85], v[80:81], -v[126:127]
	v_fma_f64 v[80:81], v[86:87], v[80:81], v[82:83]
	s_wait_dscnt 0x2
	v_mul_f64_e32 v[106:107], v[2:3], v[46:47]
	s_wait_dscnt 0x1
	v_mul_f64_e32 v[108:109], v[4:5], v[50:51]
	v_mul_f64_e32 v[110:111], v[2:3], v[50:51]
	v_add_f64_e32 v[66:67], v[26:27], v[88:89]
	v_add_f64_e32 v[68:69], v[90:91], v[28:29]
	v_add_f64_e32 v[70:71], v[22:23], v[92:93]
	v_add_f64_e32 v[88:89], v[94:95], v[24:25]
	v_add_f64_e32 v[90:91], v[18:19], v[96:97]
	v_add_f64_e32 v[92:93], v[112:113], v[20:21]
	v_add_f64_e32 v[94:95], v[16:17], v[98:99]
	v_add_f64_e32 v[96:97], v[114:115], v[14:15]
	v_mul_f64_e32 v[98:99], v[4:5], v[46:47]
	s_wait_dscnt 0x0
	v_mul_f64_e32 v[112:113], v[54:55], v[46:47]
	v_mul_f64_e32 v[46:47], v[52:53], v[46:47]
	;; [unrolled: 1-line block ×4, first 2 shown]
	ds_load_b128 v[14:17], v39 offset:64
	ds_load_b128 v[18:21], v38 offset:2048
	;; [unrolled: 1-line block ×4, first 2 shown]
	s_wait_dscnt 0x1
	v_mul_f64_e32 v[122:123], v[14:15], v[24:25]
	s_wait_dscnt 0x0
	v_mul_f64_e32 v[124:125], v[28:29], v[20:21]
	v_mul_f64_e32 v[126:127], v[28:29], v[24:25]
	v_fma_f64 v[106:107], v[4:5], v[44:45], v[106:107]
	v_fma_f64 v[108:109], v[2:3], v[48:49], -v[108:109]
	v_fma_f64 v[110:111], v[4:5], v[48:49], v[110:111]
	v_add_f64_e32 v[82:83], v[66:67], v[100:101]
	v_add_f64_e32 v[84:85], v[102:103], v[68:69]
	;; [unrolled: 1-line block ×8, first 2 shown]
	v_mul_f64_e32 v[100:101], v[16:17], v[20:21]
	v_mul_f64_e32 v[102:103], v[14:15], v[20:21]
	;; [unrolled: 1-line block ×5, first 2 shown]
	v_fma_f64 v[98:99], v[2:3], v[44:45], -v[98:99]
	v_fma_f64 v[112:113], v[52:53], v[44:45], -v[112:113]
	v_fma_f64 v[128:129], v[54:55], v[44:45], v[46:47]
	v_fma_f64 v[114:115], v[52:53], v[48:49], -v[114:115]
	v_fma_f64 v[130:131], v[54:55], v[48:49], v[50:51]
	ds_load_b128 v[56:59], v39 offset:80
	ds_load_b128 v[60:63], v38 offset:2560
	;; [unrolled: 1-line block ×8, first 2 shown]
	v_add_f64_e32 v[82:83], v[82:83], v[116:117]
	v_add_f64_e32 v[84:85], v[118:119], v[84:85]
	;; [unrolled: 1-line block ×8, first 2 shown]
	s_wait_dscnt 0x6
	v_mul_f64_e32 v[88:89], v[58:59], v[62:63]
	v_mul_f64_e32 v[90:91], v[56:57], v[62:63]
	s_wait_dscnt 0x5
	v_mul_f64_e32 v[92:93], v[58:59], v[66:67]
	v_mul_f64_e32 v[94:95], v[56:57], v[66:67]
	;; [unrolled: 3-line block ×3, first 2 shown]
	v_mul_f64_e32 v[116:117], v[70:71], v[66:67]
	v_mul_f64_e32 v[66:67], v[68:69], v[66:67]
	v_fma_f64 v[100:101], v[14:15], v[18:19], -v[100:101]
	v_fma_f64 v[102:103], v[16:17], v[18:19], v[102:103]
	v_fma_f64 v[104:105], v[14:15], v[22:23], -v[104:105]
	v_fma_f64 v[118:119], v[16:17], v[22:23], v[122:123]
	;; [unrolled: 2-line block ×4, first 2 shown]
	ds_load_b128 v[14:17], v39 offset:112
	ds_load_b128 v[18:21], v38 offset:3584
	;; [unrolled: 1-line block ×4, first 2 shown]
	s_wait_loadcnt_dscnt 0x0
	s_barrier_signal -1
	s_barrier_wait -1
	global_inv scope:SCOPE_SE
	v_add_f64_e32 v[82:83], v[82:83], v[98:99]
	v_add_f64_e32 v[84:85], v[106:107], v[84:85]
	;; [unrolled: 1-line block ×8, first 2 shown]
	v_mul_f64_e32 v[98:99], v[4:5], v[46:47]
	v_mul_f64_e32 v[106:107], v[2:3], v[46:47]
	;; [unrolled: 1-line block ×8, first 2 shown]
	v_fma_f64 v[88:89], v[56:57], v[60:61], -v[88:89]
	v_fma_f64 v[90:91], v[58:59], v[60:61], v[90:91]
	v_fma_f64 v[56:57], v[56:57], v[64:65], -v[92:93]
	v_fma_f64 v[58:59], v[58:59], v[64:65], v[94:95]
	;; [unrolled: 2-line block ×4, first 2 shown]
	v_mul_f64_e32 v[94:95], v[14:15], v[24:25]
	v_mul_f64_e32 v[96:97], v[28:29], v[20:21]
	v_add_f64_e32 v[66:67], v[82:83], v[100:101]
	v_add_f64_e32 v[68:69], v[102:103], v[84:85]
	;; [unrolled: 1-line block ×8, first 2 shown]
	v_mul_f64_e32 v[82:83], v[16:17], v[20:21]
	v_mul_f64_e32 v[84:85], v[14:15], v[20:21]
	;; [unrolled: 1-line block ×6, first 2 shown]
	v_fma_f64 v[98:99], v[2:3], v[44:45], -v[98:99]
	v_fma_f64 v[102:103], v[4:5], v[44:45], v[106:107]
	v_fma_f64 v[2:3], v[2:3], v[48:49], -v[108:109]
	v_fma_f64 v[4:5], v[4:5], v[48:49], v[110:111]
	;; [unrolled: 2-line block ×4, first 2 shown]
	v_add_f64_e32 v[50:51], v[66:67], v[88:89]
	v_add_f64_e32 v[52:53], v[90:91], v[68:69]
	v_add_f64_e32 v[54:55], v[70:71], v[56:57]
	v_add_f64_e32 v[56:57], v[58:59], v[72:73]
	v_add_f64_e32 v[58:59], v[74:75], v[92:93]
	v_add_f64_e32 v[60:61], v[60:61], v[76:77]
	v_add_f64_e32 v[62:63], v[78:79], v[62:63]
	v_add_f64_e32 v[64:65], v[64:65], v[80:81]
	v_fma_f64 v[66:67], v[14:15], v[18:19], -v[82:83]
	v_fma_f64 v[68:69], v[16:17], v[18:19], v[84:85]
	v_fma_f64 v[14:15], v[14:15], v[22:23], -v[86:87]
	v_fma_f64 v[16:17], v[16:17], v[22:23], v[94:95]
	;; [unrolled: 2-line block ×4, first 2 shown]
	v_add_f64_e32 v[18:19], v[50:51], v[98:99]
	v_add_f64_e32 v[22:23], v[102:103], v[52:53]
	v_add_f64_e32 v[2:3], v[54:55], v[2:3]
	v_add_f64_e32 v[4:5], v[4:5], v[56:57]
	v_add_f64_e32 v[50:51], v[58:59], v[104:105]
	v_add_f64_e32 v[44:45], v[44:45], v[60:61]
	v_add_f64_e32 v[46:47], v[62:63], v[46:47]
	v_add_f64_e32 v[48:49], v[48:49], v[64:65]
	v_add_f64_e32 v[26:27], v[18:19], v[66:67]
	v_add_f64_e32 v[28:29], v[68:69], v[22:23]
	v_add_f64_e32 v[22:23], v[2:3], v[14:15]
	v_add_f64_e32 v[24:25], v[16:17], v[4:5]
	v_add_f64_e32 v[18:19], v[50:51], v[70:71]
	v_add_f64_e32 v[20:21], v[20:21], v[44:45]
	v_add_f64_e32 v[16:17], v[46:47], v[72:73]
	v_add_f64_e32 v[14:15], v[74:75], v[48:49]
	s_wait_alu 0xfffe
	s_cbranch_vccz .LBB286_18
.LBB286_10:                             ;   Parent Loop BB286_7 Depth=1
                                        ; =>  This Inner Loop Header: Depth=2
	v_mov_b32_e32 v2, 0
	v_dual_mov_b32 v3, 0 :: v_dual_mov_b32 v4, 0
	v_mov_b32_e32 v5, 0
	s_and_saveexec_b32 s20, s0
	s_cbranch_execz .LBB286_14
; %bb.11:                               ;   in Loop: Header=BB286_10 Depth=2
	v_mov_b32_e32 v4, 0
	v_mov_b32_e32 v2, 0
	s_wait_alu 0xfffe
	v_dual_mov_b32 v5, 0 :: v_dual_add_nc_u32 v0, s2, v31
	v_mov_b32_e32 v3, 0
	s_mov_b32 s21, exec_lo
	s_delay_alu instid0(VALU_DEP_2)
	v_cmpx_gt_u64_e64 s[8:9], v[0:1]
	s_cbranch_execz .LBB286_13
; %bb.12:                               ;   in Loop: Header=BB286_10 Depth=2
	v_lshlrev_b64_e32 v[2:3], 4, v[0:1]
	s_delay_alu instid0(VALU_DEP_1) | instskip(SKIP_1) | instid1(VALU_DEP_2)
	v_add_co_u32 v2, vcc_lo, v40, v2
	s_wait_alu 0xfffd
	v_add_co_ci_u32_e64 v3, null, v41, v3, vcc_lo
	global_load_b128 v[2:5], v[2:3], off
	s_wait_loadcnt 0x0
	v_xor_b32_e32 v5, 0x80000000, v5
.LBB286_13:                             ;   in Loop: Header=BB286_10 Depth=2
	s_wait_alu 0xfffe
	s_or_b32 exec_lo, exec_lo, s21
.LBB286_14:                             ;   in Loop: Header=BB286_10 Depth=2
	s_wait_alu 0xfffe
	s_or_b32 exec_lo, exec_lo, s20
	v_add_nc_u32_e32 v0, s2, v30
	ds_store_b128 v32, v[2:5]
	v_cmp_le_u64_e32 vcc_lo, s[8:9], v[0:1]
	s_or_b32 s20, vcc_lo, s4
	s_wait_alu 0xfffe
	s_and_saveexec_b32 s21, s20
	s_wait_alu 0xfffe
	s_xor_b32 s20, exec_lo, s21
; %bb.15:                               ;   in Loop: Header=BB286_10 Depth=2
	v_dual_mov_b32 v0, v1 :: v_dual_mov_b32 v3, v1
	v_mov_b32_e32 v2, v1
	ds_store_b128 v33, v[0:3]
; %bb.16:                               ;   in Loop: Header=BB286_10 Depth=2
	s_wait_alu 0xfffe
	s_and_not1_saveexec_b32 s20, s20
	s_cbranch_execz .LBB286_9
; %bb.17:                               ;   in Loop: Header=BB286_10 Depth=2
	v_mad_co_u64_u32 v[2:3], null, s22, v0, 0
	s_delay_alu instid0(VALU_DEP_1) | instskip(NEXT) | instid1(VALU_DEP_1)
	v_mad_co_u64_u32 v[3:4], null, s23, v0, v[3:4]
	v_lshlrev_b64_e32 v[2:3], 4, v[2:3]
	s_delay_alu instid0(VALU_DEP_1) | instskip(SKIP_1) | instid1(VALU_DEP_2)
	v_add_co_u32 v2, vcc_lo, v42, v2
	s_wait_alu 0xfffd
	v_add_co_ci_u32_e64 v3, null, v43, v3, vcc_lo
	global_load_b128 v[2:5], v[2:3], off
	s_wait_loadcnt 0x0
	ds_store_2addr_b64 v33, v[2:3], v[4:5] offset1:1
	s_branch .LBB286_9
.LBB286_18:                             ;   in Loop: Header=BB286_7 Depth=1
	s_mul_u64 s[2:3], s[6:7], s[34:35]
	s_wait_alu 0xfffe
	s_lshl_b64 s[2:3], s[2:3], 4
	s_wait_alu 0xfffe
	s_add_nc_u64 s[2:3], s[30:31], s[2:3]
	s_wait_alu 0xfffe
	v_add_co_u32 v0, vcc_lo, s2, v10
	s_wait_alu 0xfffd
	v_add_co_ci_u32_e64 v40, null, s3, v11, vcc_lo
	s_and_saveexec_b32 s20, s5
	s_cbranch_execz .LBB286_23
; %bb.19:                               ;   in Loop: Header=BB286_7 Depth=1
	v_mul_f64_e32 v[2:3], s[12:13], v[28:29]
	v_mul_f64_e32 v[4:5], s[10:11], v[28:29]
	s_and_b32 vcc_lo, exec_lo, s14
	s_mov_b32 s21, -1
	s_delay_alu instid0(VALU_DEP_2) | instskip(NEXT) | instid1(VALU_DEP_2)
	v_fma_f64 v[2:3], s[10:11], v[26:27], -v[2:3]
	v_fma_f64 v[4:5], s[12:13], v[26:27], v[4:5]
	s_wait_alu 0xfffe
	s_cbranch_vccz .LBB286_21
; %bb.20:                               ;   in Loop: Header=BB286_7 Depth=1
	v_lshlrev_b64_e32 v[26:27], 4, v[6:7]
	s_mov_b32 s21, 0
	s_delay_alu instid0(VALU_DEP_1) | instskip(SKIP_1) | instid1(VALU_DEP_2)
	v_add_co_u32 v41, vcc_lo, v0, v26
	s_wait_alu 0xfffd
	v_add_co_ci_u32_e64 v42, null, v40, v27, vcc_lo
	global_load_b128 v[26:29], v[41:42], off
	s_wait_loadcnt 0x0
	v_mul_f64_e32 v[43:44], s[28:29], v[28:29]
	v_mul_f64_e32 v[28:29], s[26:27], v[28:29]
	s_delay_alu instid0(VALU_DEP_2) | instskip(NEXT) | instid1(VALU_DEP_2)
	v_fma_f64 v[43:44], s[26:27], v[26:27], -v[43:44]
	v_fma_f64 v[28:29], s[28:29], v[26:27], v[28:29]
	s_delay_alu instid0(VALU_DEP_2) | instskip(NEXT) | instid1(VALU_DEP_2)
	v_add_f64_e32 v[26:27], v[2:3], v[43:44]
	v_add_f64_e32 v[28:29], v[4:5], v[28:29]
	global_store_b128 v[41:42], v[26:29], off
.LBB286_21:                             ;   in Loop: Header=BB286_7 Depth=1
	s_wait_alu 0xfffe
	s_and_not1_b32 vcc_lo, exec_lo, s21
	s_wait_alu 0xfffe
	s_cbranch_vccnz .LBB286_23
; %bb.22:                               ;   in Loop: Header=BB286_7 Depth=1
	v_lshlrev_b64_e32 v[26:27], 4, v[6:7]
	s_delay_alu instid0(VALU_DEP_1) | instskip(SKIP_1) | instid1(VALU_DEP_2)
	v_add_co_u32 v26, vcc_lo, v0, v26
	s_wait_alu 0xfffd
	v_add_co_ci_u32_e64 v27, null, v40, v27, vcc_lo
	global_store_b128 v[26:27], v[2:5], off
.LBB286_23:                             ;   in Loop: Header=BB286_7 Depth=1
	s_wait_alu 0xfffe
	s_or_b32 exec_lo, exec_lo, s20
	s_and_saveexec_b32 s20, s15
	s_cbranch_execz .LBB286_28
; %bb.24:                               ;   in Loop: Header=BB286_7 Depth=1
	v_mul_f64_e32 v[2:3], s[12:13], v[24:25]
	v_mul_f64_e32 v[4:5], s[10:11], v[24:25]
	s_and_not1_b32 vcc_lo, exec_lo, s14
	s_mov_b32 s21, -1
	s_delay_alu instid0(VALU_DEP_2) | instskip(NEXT) | instid1(VALU_DEP_2)
	v_fma_f64 v[2:3], s[10:11], v[22:23], -v[2:3]
	v_fma_f64 v[4:5], s[12:13], v[22:23], v[4:5]
	s_wait_alu 0xfffe
	s_cbranch_vccnz .LBB286_26
; %bb.25:                               ;   in Loop: Header=BB286_7 Depth=1
	v_lshlrev_b64_e32 v[22:23], 4, v[8:9]
	s_mov_b32 s21, 0
	s_delay_alu instid0(VALU_DEP_1) | instskip(SKIP_1) | instid1(VALU_DEP_2)
	v_add_co_u32 v26, vcc_lo, v0, v22
	s_wait_alu 0xfffd
	v_add_co_ci_u32_e64 v27, null, v40, v23, vcc_lo
	global_load_b128 v[22:25], v[26:27], off
	s_wait_loadcnt 0x0
	v_mul_f64_e32 v[28:29], s[28:29], v[24:25]
	v_mul_f64_e32 v[24:25], s[26:27], v[24:25]
	s_delay_alu instid0(VALU_DEP_2) | instskip(NEXT) | instid1(VALU_DEP_2)
	v_fma_f64 v[28:29], s[26:27], v[22:23], -v[28:29]
	v_fma_f64 v[24:25], s[28:29], v[22:23], v[24:25]
	s_delay_alu instid0(VALU_DEP_2) | instskip(NEXT) | instid1(VALU_DEP_2)
	v_add_f64_e32 v[22:23], v[2:3], v[28:29]
	v_add_f64_e32 v[24:25], v[4:5], v[24:25]
	global_store_b128 v[26:27], v[22:25], off
.LBB286_26:                             ;   in Loop: Header=BB286_7 Depth=1
	s_wait_alu 0xfffe
	s_and_not1_b32 vcc_lo, exec_lo, s21
	s_wait_alu 0xfffe
	s_cbranch_vccnz .LBB286_28
; %bb.27:                               ;   in Loop: Header=BB286_7 Depth=1
	v_lshlrev_b64_e32 v[22:23], 4, v[8:9]
	s_delay_alu instid0(VALU_DEP_1) | instskip(SKIP_1) | instid1(VALU_DEP_2)
	v_add_co_u32 v22, vcc_lo, v0, v22
	s_wait_alu 0xfffd
	v_add_co_ci_u32_e64 v23, null, v40, v23, vcc_lo
	global_store_b128 v[22:23], v[2:5], off
.LBB286_28:                             ;   in Loop: Header=BB286_7 Depth=1
	s_wait_alu 0xfffe
	s_or_b32 exec_lo, exec_lo, s20
	v_add_co_u32 v0, vcc_lo, s2, v12
	s_wait_alu 0xfffd
	v_add_co_ci_u32_e64 v22, null, s3, v13, vcc_lo
	s_and_saveexec_b32 s2, s16
	s_cbranch_execz .LBB286_33
; %bb.29:                               ;   in Loop: Header=BB286_7 Depth=1
	v_mul_f64_e32 v[2:3], s[12:13], v[20:21]
	v_mul_f64_e32 v[4:5], s[10:11], v[20:21]
	s_and_not1_b32 vcc_lo, exec_lo, s14
	s_mov_b32 s3, -1
	s_delay_alu instid0(VALU_DEP_2) | instskip(NEXT) | instid1(VALU_DEP_2)
	v_fma_f64 v[2:3], s[10:11], v[18:19], -v[2:3]
	v_fma_f64 v[4:5], s[12:13], v[18:19], v[4:5]
	v_lshlrev_b64_e32 v[18:19], 4, v[6:7]
	s_wait_alu 0xfffe
	s_cbranch_vccnz .LBB286_31
; %bb.30:                               ;   in Loop: Header=BB286_7 Depth=1
	s_delay_alu instid0(VALU_DEP_1) | instskip(SKIP_1) | instid1(VALU_DEP_2)
	v_add_co_u32 v20, vcc_lo, v0, v18
	s_wait_alu 0xfffd
	v_add_co_ci_u32_e64 v21, null, v22, v19, vcc_lo
	s_mov_b32 s3, 0
	global_load_b128 v[23:26], v[20:21], off
	s_wait_loadcnt 0x0
	v_mul_f64_e32 v[27:28], s[28:29], v[25:26]
	v_mul_f64_e32 v[25:26], s[26:27], v[25:26]
	s_delay_alu instid0(VALU_DEP_2) | instskip(NEXT) | instid1(VALU_DEP_2)
	v_fma_f64 v[27:28], s[26:27], v[23:24], -v[27:28]
	v_fma_f64 v[25:26], s[28:29], v[23:24], v[25:26]
	s_delay_alu instid0(VALU_DEP_2) | instskip(NEXT) | instid1(VALU_DEP_2)
	v_add_f64_e32 v[23:24], v[2:3], v[27:28]
	v_add_f64_e32 v[25:26], v[4:5], v[25:26]
	global_store_b128 v[20:21], v[23:26], off
.LBB286_31:                             ;   in Loop: Header=BB286_7 Depth=1
	s_wait_alu 0xfffe
	s_and_not1_b32 vcc_lo, exec_lo, s3
	s_wait_alu 0xfffe
	s_cbranch_vccnz .LBB286_33
; %bb.32:                               ;   in Loop: Header=BB286_7 Depth=1
	v_add_co_u32 v18, vcc_lo, v0, v18
	s_wait_alu 0xfffd
	v_add_co_ci_u32_e64 v19, null, v22, v19, vcc_lo
	global_store_b128 v[18:19], v[2:5], off
.LBB286_33:                             ;   in Loop: Header=BB286_7 Depth=1
	s_wait_alu 0xfffe
	s_or_b32 exec_lo, exec_lo, s2
	s_and_saveexec_b32 s2, s1
	s_cbranch_execz .LBB286_6
; %bb.34:                               ;   in Loop: Header=BB286_7 Depth=1
	v_mul_f64_e32 v[2:3], s[12:13], v[14:15]
	v_mul_f64_e32 v[4:5], s[10:11], v[14:15]
	v_lshlrev_b64_e32 v[14:15], 4, v[8:9]
	s_and_not1_b32 vcc_lo, exec_lo, s14
	s_mov_b32 s3, -1
	s_delay_alu instid0(VALU_DEP_3) | instskip(NEXT) | instid1(VALU_DEP_3)
	v_fma_f64 v[2:3], s[10:11], v[16:17], -v[2:3]
	v_fma_f64 v[4:5], s[12:13], v[16:17], v[4:5]
	s_wait_alu 0xfffe
	s_cbranch_vccnz .LBB286_36
; %bb.35:                               ;   in Loop: Header=BB286_7 Depth=1
	v_add_co_u32 v20, vcc_lo, v0, v14
	s_wait_alu 0xfffd
	v_add_co_ci_u32_e64 v21, null, v22, v15, vcc_lo
	s_mov_b32 s3, 0
	global_load_b128 v[16:19], v[20:21], off
	s_wait_loadcnt 0x0
	v_mul_f64_e32 v[23:24], s[28:29], v[18:19]
	v_mul_f64_e32 v[18:19], s[26:27], v[18:19]
	s_delay_alu instid0(VALU_DEP_2) | instskip(NEXT) | instid1(VALU_DEP_2)
	v_fma_f64 v[23:24], s[26:27], v[16:17], -v[23:24]
	v_fma_f64 v[18:19], s[28:29], v[16:17], v[18:19]
	s_delay_alu instid0(VALU_DEP_2) | instskip(NEXT) | instid1(VALU_DEP_2)
	v_add_f64_e32 v[16:17], v[2:3], v[23:24]
	v_add_f64_e32 v[18:19], v[4:5], v[18:19]
	global_store_b128 v[20:21], v[16:19], off
.LBB286_36:                             ;   in Loop: Header=BB286_7 Depth=1
	s_wait_alu 0xfffe
	s_and_not1_b32 vcc_lo, exec_lo, s3
	s_wait_alu 0xfffe
	s_cbranch_vccnz .LBB286_6
; %bb.37:                               ;   in Loop: Header=BB286_7 Depth=1
	v_add_co_u32 v14, vcc_lo, v0, v14
	s_wait_alu 0xfffd
	v_add_co_ci_u32_e64 v15, null, v22, v15, vcc_lo
	global_store_b128 v[14:15], v[2:5], off
	s_branch .LBB286_6
.LBB286_38:
.LBB286_39:
	s_nop 0
	s_sendmsg sendmsg(MSG_DEALLOC_VGPRS)
	s_endpgm
	.section	.rodata,"a",@progbits
	.p2align	6, 0x0
	.amdhsa_kernel _ZL29rocblas_internal_gemmt_kernelIlLi16ELi32ELi8ELc67ELc84ELc76ELb1ELb0E19rocblas_complex_numIdES1_PKS1_PS1_EviT_T9_T10_S5_lS7_S5_lS6_T11_S5_li
		.amdhsa_group_segment_fixed_size 8192
		.amdhsa_private_segment_fixed_size 0
		.amdhsa_kernarg_size 124
		.amdhsa_user_sgpr_count 2
		.amdhsa_user_sgpr_dispatch_ptr 0
		.amdhsa_user_sgpr_queue_ptr 0
		.amdhsa_user_sgpr_kernarg_segment_ptr 1
		.amdhsa_user_sgpr_dispatch_id 0
		.amdhsa_user_sgpr_private_segment_size 0
		.amdhsa_wavefront_size32 1
		.amdhsa_uses_dynamic_stack 0
		.amdhsa_enable_private_segment 0
		.amdhsa_system_sgpr_workgroup_id_x 1
		.amdhsa_system_sgpr_workgroup_id_y 1
		.amdhsa_system_sgpr_workgroup_id_z 1
		.amdhsa_system_sgpr_workgroup_info 0
		.amdhsa_system_vgpr_workitem_id 1
		.amdhsa_next_free_vgpr 132
		.amdhsa_next_free_sgpr 40
		.amdhsa_reserve_vcc 1
		.amdhsa_float_round_mode_32 0
		.amdhsa_float_round_mode_16_64 0
		.amdhsa_float_denorm_mode_32 3
		.amdhsa_float_denorm_mode_16_64 3
		.amdhsa_fp16_overflow 0
		.amdhsa_workgroup_processor_mode 1
		.amdhsa_memory_ordered 1
		.amdhsa_forward_progress 1
		.amdhsa_inst_pref_size 27
		.amdhsa_round_robin_scheduling 0
		.amdhsa_exception_fp_ieee_invalid_op 0
		.amdhsa_exception_fp_denorm_src 0
		.amdhsa_exception_fp_ieee_div_zero 0
		.amdhsa_exception_fp_ieee_overflow 0
		.amdhsa_exception_fp_ieee_underflow 0
		.amdhsa_exception_fp_ieee_inexact 0
		.amdhsa_exception_int_div_zero 0
	.end_amdhsa_kernel
	.section	.text._ZL29rocblas_internal_gemmt_kernelIlLi16ELi32ELi8ELc67ELc84ELc76ELb1ELb0E19rocblas_complex_numIdES1_PKS1_PS1_EviT_T9_T10_S5_lS7_S5_lS6_T11_S5_li,"axG",@progbits,_ZL29rocblas_internal_gemmt_kernelIlLi16ELi32ELi8ELc67ELc84ELc76ELb1ELb0E19rocblas_complex_numIdES1_PKS1_PS1_EviT_T9_T10_S5_lS7_S5_lS6_T11_S5_li,comdat
.Lfunc_end286:
	.size	_ZL29rocblas_internal_gemmt_kernelIlLi16ELi32ELi8ELc67ELc84ELc76ELb1ELb0E19rocblas_complex_numIdES1_PKS1_PS1_EviT_T9_T10_S5_lS7_S5_lS6_T11_S5_li, .Lfunc_end286-_ZL29rocblas_internal_gemmt_kernelIlLi16ELi32ELi8ELc67ELc84ELc76ELb1ELb0E19rocblas_complex_numIdES1_PKS1_PS1_EviT_T9_T10_S5_lS7_S5_lS6_T11_S5_li
                                        ; -- End function
	.set _ZL29rocblas_internal_gemmt_kernelIlLi16ELi32ELi8ELc67ELc84ELc76ELb1ELb0E19rocblas_complex_numIdES1_PKS1_PS1_EviT_T9_T10_S5_lS7_S5_lS6_T11_S5_li.num_vgpr, 132
	.set _ZL29rocblas_internal_gemmt_kernelIlLi16ELi32ELi8ELc67ELc84ELc76ELb1ELb0E19rocblas_complex_numIdES1_PKS1_PS1_EviT_T9_T10_S5_lS7_S5_lS6_T11_S5_li.num_agpr, 0
	.set _ZL29rocblas_internal_gemmt_kernelIlLi16ELi32ELi8ELc67ELc84ELc76ELb1ELb0E19rocblas_complex_numIdES1_PKS1_PS1_EviT_T9_T10_S5_lS7_S5_lS6_T11_S5_li.numbered_sgpr, 40
	.set _ZL29rocblas_internal_gemmt_kernelIlLi16ELi32ELi8ELc67ELc84ELc76ELb1ELb0E19rocblas_complex_numIdES1_PKS1_PS1_EviT_T9_T10_S5_lS7_S5_lS6_T11_S5_li.num_named_barrier, 0
	.set _ZL29rocblas_internal_gemmt_kernelIlLi16ELi32ELi8ELc67ELc84ELc76ELb1ELb0E19rocblas_complex_numIdES1_PKS1_PS1_EviT_T9_T10_S5_lS7_S5_lS6_T11_S5_li.private_seg_size, 0
	.set _ZL29rocblas_internal_gemmt_kernelIlLi16ELi32ELi8ELc67ELc84ELc76ELb1ELb0E19rocblas_complex_numIdES1_PKS1_PS1_EviT_T9_T10_S5_lS7_S5_lS6_T11_S5_li.uses_vcc, 1
	.set _ZL29rocblas_internal_gemmt_kernelIlLi16ELi32ELi8ELc67ELc84ELc76ELb1ELb0E19rocblas_complex_numIdES1_PKS1_PS1_EviT_T9_T10_S5_lS7_S5_lS6_T11_S5_li.uses_flat_scratch, 0
	.set _ZL29rocblas_internal_gemmt_kernelIlLi16ELi32ELi8ELc67ELc84ELc76ELb1ELb0E19rocblas_complex_numIdES1_PKS1_PS1_EviT_T9_T10_S5_lS7_S5_lS6_T11_S5_li.has_dyn_sized_stack, 0
	.set _ZL29rocblas_internal_gemmt_kernelIlLi16ELi32ELi8ELc67ELc84ELc76ELb1ELb0E19rocblas_complex_numIdES1_PKS1_PS1_EviT_T9_T10_S5_lS7_S5_lS6_T11_S5_li.has_recursion, 0
	.set _ZL29rocblas_internal_gemmt_kernelIlLi16ELi32ELi8ELc67ELc84ELc76ELb1ELb0E19rocblas_complex_numIdES1_PKS1_PS1_EviT_T9_T10_S5_lS7_S5_lS6_T11_S5_li.has_indirect_call, 0
	.section	.AMDGPU.csdata,"",@progbits
; Kernel info:
; codeLenInByte = 3444
; TotalNumSgprs: 42
; NumVgprs: 132
; ScratchSize: 0
; MemoryBound: 1
; FloatMode: 240
; IeeeMode: 1
; LDSByteSize: 8192 bytes/workgroup (compile time only)
; SGPRBlocks: 0
; VGPRBlocks: 16
; NumSGPRsForWavesPerEU: 42
; NumVGPRsForWavesPerEU: 132
; Occupancy: 10
; WaveLimiterHint : 0
; COMPUTE_PGM_RSRC2:SCRATCH_EN: 0
; COMPUTE_PGM_RSRC2:USER_SGPR: 2
; COMPUTE_PGM_RSRC2:TRAP_HANDLER: 0
; COMPUTE_PGM_RSRC2:TGID_X_EN: 1
; COMPUTE_PGM_RSRC2:TGID_Y_EN: 1
; COMPUTE_PGM_RSRC2:TGID_Z_EN: 1
; COMPUTE_PGM_RSRC2:TIDIG_COMP_CNT: 1
	.section	.text._ZL29rocblas_internal_gemmt_kernelIlLi16ELi32ELi8ELc67ELc67ELc76ELb1ELb1E19rocblas_complex_numIdES1_PKS1_PS1_EviT_T9_T10_S5_lS7_S5_lS6_T11_S5_li,"axG",@progbits,_ZL29rocblas_internal_gemmt_kernelIlLi16ELi32ELi8ELc67ELc67ELc76ELb1ELb1E19rocblas_complex_numIdES1_PKS1_PS1_EviT_T9_T10_S5_lS7_S5_lS6_T11_S5_li,comdat
	.globl	_ZL29rocblas_internal_gemmt_kernelIlLi16ELi32ELi8ELc67ELc67ELc76ELb1ELb1E19rocblas_complex_numIdES1_PKS1_PS1_EviT_T9_T10_S5_lS7_S5_lS6_T11_S5_li ; -- Begin function _ZL29rocblas_internal_gemmt_kernelIlLi16ELi32ELi8ELc67ELc67ELc76ELb1ELb1E19rocblas_complex_numIdES1_PKS1_PS1_EviT_T9_T10_S5_lS7_S5_lS6_T11_S5_li
	.p2align	8
	.type	_ZL29rocblas_internal_gemmt_kernelIlLi16ELi32ELi8ELc67ELc67ELc76ELb1ELb1E19rocblas_complex_numIdES1_PKS1_PS1_EviT_T9_T10_S5_lS7_S5_lS6_T11_S5_li,@function
_ZL29rocblas_internal_gemmt_kernelIlLi16ELi32ELi8ELc67ELc67ELc76ELb1ELb1E19rocblas_complex_numIdES1_PKS1_PS1_EviT_T9_T10_S5_lS7_S5_lS6_T11_S5_li: ; @_ZL29rocblas_internal_gemmt_kernelIlLi16ELi32ELi8ELc67ELc67ELc76ELb1ELb1E19rocblas_complex_numIdES1_PKS1_PS1_EviT_T9_T10_S5_lS7_S5_lS6_T11_S5_li
; %bb.0:
	s_clause 0x1
	s_load_b256 s[24:31], s[0:1], 0x48
	s_load_b512 s[8:23], s[0:1], 0x8
	s_wait_kmcnt 0x0
	v_cmp_eq_f64_e64 s3, s[26:27], 1.0
	v_cmp_eq_f64_e64 s2, s[28:29], 0
	s_and_b32 s3, s3, s2
	s_delay_alu instid0(SALU_CYCLE_1)
	s_and_not1_b32 vcc_lo, exec_lo, s3
	s_mov_b32 s3, -1
	s_cbranch_vccnz .LBB287_3
; %bb.1:
	s_cmp_lg_u64 s[8:9], 0
	s_cbranch_scc0 .LBB287_36
; %bb.2:
	v_cmp_neq_f64_e64 s3, s[10:11], 0
	v_cmp_neq_f64_e64 s4, s[12:13], 0
	s_or_b32 s3, s3, s4
.LBB287_3:
	s_delay_alu instid0(SALU_CYCLE_1)
	s_and_b32 vcc_lo, exec_lo, s3
	s_cbranch_vccz .LBB287_37
; %bb.4:
	s_load_b32 s33, s[0:1], 0x78
	s_lshr_b32 s34, ttmp7, 16
	s_wait_kmcnt 0x0
	s_cmp_ge_u32 s34, s33
	s_cbranch_scc1 .LBB287_37
; %bb.5:
	v_dual_mov_b32 v9, 0 :: v_dual_and_b32 v4, 0x3ff, v0
	v_bfe_u32 v5, v0, 10, 10
	v_cmp_neq_f64_e64 s3, s[10:11], 0
	v_cmp_neq_f64_e64 s35, s[12:13], 0
	s_lshl_b32 s37, ttmp9, 5
	v_and_b32_e32 v34, 7, v0
	v_lshl_add_u32 v2, v5, 4, v4
	s_clause 0x1
	s_load_b128 s[4:7], s[0:1], 0x68
	s_load_b32 s36, s[0:1], 0x0
	s_ashr_i32 s1, s37, 31
	s_lshl_b32 s0, ttmp7, 5
	s_mul_i32 s1, s16, s1
	v_and_b32_e32 v3, 31, v2
	v_lshlrev_b32_e32 v8, 4, v34
	v_lshrrev_b32_e32 v10, 3, v2
	v_cmp_neq_f64_e64 s39, s[26:27], 0
	s_and_b32 s0, s0, 0x1fffe0
	v_or_b32_e32 v6, s37, v3
	v_add_nc_u32_e32 v11, s0, v5
	v_lshrrev_b32_e32 v35, 5, v2
	v_lshlrev_b32_e32 v2, 4, v3
	v_add_nc_u32_e32 v3, s0, v10
	v_mul_lo_u32 v7, s17, v6
	v_mad_co_u64_u32 v[0:1], null, s16, v6, 0
	s_delay_alu instid0(VALU_DEP_4) | instskip(NEXT) | instid1(VALU_DEP_4)
	v_lshl_or_b32 v36, v35, 9, v2
	v_lshlrev_b32_e32 v2, 4, v3
	v_lshlrev_b32_e32 v42, 4, v4
	v_lshl_add_u32 v43, v5, 7, 0x1000
	s_wait_kmcnt 0x0
	v_cmp_gt_i32_e64 s0, s36, v6
	v_cmp_gt_i64_e64 s38, s[8:9], 0
	v_add3_u32 v1, v1, s1, v7
	v_lshl_or_b32 v7, v10, 7, v8
	v_cmp_gt_i32_e64 s1, s36, v3
	v_add_nc_u32_e32 v10, s37, v4
	s_delay_alu instid0(VALU_DEP_4) | instskip(NEXT) | instid1(VALU_DEP_4)
	v_lshlrev_b64_e32 v[0:1], 4, v[0:1]
	v_add_nc_u32_e32 v37, 0x1000, v7
	v_add_nc_u32_e32 v7, 16, v11
	s_delay_alu instid0(VALU_DEP_4) | instskip(NEXT) | instid1(VALU_DEP_4)
	v_add_nc_u32_e32 v12, 16, v10
	v_add_co_u32 v38, vcc_lo, s14, v0
	s_or_b32 s16, s3, s35
	v_add_co_ci_u32_e64 v39, null, s15, v1, vcc_lo
	v_mad_co_u64_u32 v[0:1], null, s4, v11, 0
	v_add_co_u32 v40, s3, s20, v2
	v_mad_co_u64_u32 v[2:3], null, s4, v7, 0
	v_add_co_ci_u32_e64 v41, null, s21, 0, s3
	s_xor_b32 s14, s2, -1
	v_cmp_le_i32_e32 vcc_lo, v11, v10
	v_cmp_gt_i32_e64 s2, s36, v10
	v_cmp_le_i32_e64 s3, v11, v12
	v_mad_co_u64_u32 v[4:5], null, s5, v11, v[1:2]
	v_mov_b32_e32 v1, v3
	v_cmp_gt_i32_e64 s4, s36, v12
	v_ashrrev_i32_e32 v11, 31, v10
	v_ashrrev_i32_e32 v13, 31, v12
	s_wait_alu 0xfffe
	s_and_b32 s16, s16, s38
	v_mad_co_u64_u32 v[5:6], null, s5, v7, v[1:2]
	v_mov_b32_e32 v1, v4
	s_or_b32 s5, s39, s14
	s_and_b32 s14, vcc_lo, s2
	s_and_b32 s15, s3, s4
	v_cmp_le_i32_e32 vcc_lo, v7, v10
	v_cmp_le_i32_e64 s3, v7, v12
	s_delay_alu instid0(VALU_DEP_4)
	v_mov_b32_e32 v3, v5
	v_lshlrev_b64_e32 v[14:15], 4, v[0:1]
	s_mov_b32 s35, 0
	s_and_b32 s17, vcc_lo, s2
	s_and_b32 s4, s3, s4
	v_lshlrev_b64_e32 v[16:17], 4, v[2:3]
	s_branch .LBB287_7
.LBB287_6:                              ;   in Loop: Header=BB287_7 Depth=1
	s_wait_alu 0xfffe
	s_or_b32 exec_lo, exec_lo, s2
	s_add_co_i32 s34, s34, 0x10000
	s_delay_alu instid0(SALU_CYCLE_1)
	s_cmp_lt_u32 s34, s33
	s_cbranch_scc0 .LBB287_37
.LBB287_7:                              ; =>This Loop Header: Depth=1
                                        ;     Child Loop BB287_10 Depth 2
	v_mov_b32_e32 v30, 0
	v_mov_b32_e32 v26, 0
	;; [unrolled: 1-line block ×3, first 2 shown]
	v_dual_mov_b32 v20, 0 :: v_dual_mov_b32 v31, 0
	v_dual_mov_b32 v32, 0 :: v_dual_mov_b32 v27, 0
	;; [unrolled: 1-line block ×5, first 2 shown]
	v_mov_b32_e32 v29, 0
	v_mov_b32_e32 v25, 0
	;; [unrolled: 1-line block ×3, first 2 shown]
	s_wait_alu 0xfffe
	s_and_not1_b32 vcc_lo, exec_lo, s16
	s_wait_alu 0xfffe
	s_cbranch_vccnz .LBB287_16
; %bb.8:                                ;   in Loop: Header=BB287_7 Depth=1
	s_mul_u64 s[2:3], s[18:19], s[34:35]
	s_mul_u64 s[20:21], s[24:25], s[34:35]
	s_wait_alu 0xfffe
	s_lshl_b64 s[2:3], s[2:3], 4
	v_mov_b32_e32 v18, 0
	s_wait_alu 0xfffe
	v_add_co_u32 v44, vcc_lo, v38, s2
	s_wait_alu 0xfffd
	v_add_co_ci_u32_e64 v45, null, s3, v39, vcc_lo
	s_lshl_b64 s[2:3], s[20:21], 4
	v_mov_b32_e32 v24, 0
	v_mov_b32_e32 v28, 0
	;; [unrolled: 1-line block ×3, first 2 shown]
	s_wait_alu 0xfffe
	v_add_co_u32 v46, vcc_lo, v40, s2
	v_dual_mov_b32 v19, 0 :: v_dual_mov_b32 v20, 0
	v_dual_mov_b32 v25, 0 :: v_dual_mov_b32 v22, 0
	;; [unrolled: 1-line block ×4, first 2 shown]
	v_mov_b32_e32 v21, 0
	v_mov_b32_e32 v23, 0
	;; [unrolled: 1-line block ×4, first 2 shown]
	s_wait_alu 0xfffd
	v_add_co_ci_u32_e64 v47, null, s3, v41, vcc_lo
	s_mov_b64 s[2:3], 0
	s_branch .LBB287_10
.LBB287_9:                              ;   in Loop: Header=BB287_10 Depth=2
	s_wait_alu 0xfffe
	s_or_b32 exec_lo, exec_lo, s20
	ds_store_b128 v37, v[4:7]
	s_wait_dscnt 0x0
	s_barrier_signal -1
	s_barrier_wait -1
	global_inv scope:SCOPE_SE
	ds_load_b128 v[0:3], v43
	ds_load_b128 v[4:7], v42
	ds_load_b128 v[48:51], v42 offset:256
	ds_load_b128 v[52:55], v43 offset:2048
	;; [unrolled: 1-line block ×10, first 2 shown]
	s_add_nc_u64 s[2:3], s[2:3], 8
	s_wait_alu 0xfffe
	v_cmp_gt_i64_e64 s20, s[8:9], s[2:3]
	s_and_b32 vcc_lo, exec_lo, s20
	s_wait_dscnt 0xa
	v_mul_f64_e32 v[88:89], v[2:3], v[6:7]
	v_mul_f64_e32 v[90:91], v[0:1], v[6:7]
	s_wait_dscnt 0x9
	v_mul_f64_e32 v[92:93], v[2:3], v[50:51]
	v_mul_f64_e32 v[94:95], v[0:1], v[50:51]
	;; [unrolled: 3-line block ×3, first 2 shown]
	v_mul_f64_e32 v[98:99], v[54:55], v[50:51]
	v_mul_f64_e32 v[50:51], v[52:53], v[50:51]
	s_wait_dscnt 0x5
	v_mul_f64_e32 v[100:101], v[58:59], v[66:67]
	v_mul_f64_e32 v[102:103], v[56:57], v[66:67]
	s_wait_dscnt 0x4
	v_mul_f64_e32 v[104:105], v[58:59], v[70:71]
	v_mul_f64_e32 v[106:107], v[56:57], v[70:71]
	;; [unrolled: 1-line block ×6, first 2 shown]
	s_wait_dscnt 0x2
	v_mul_f64_e32 v[116:117], v[74:75], v[78:79]
	v_mul_f64_e32 v[118:119], v[72:73], v[78:79]
	s_wait_dscnt 0x1
	v_mul_f64_e32 v[120:121], v[74:75], v[82:83]
	v_mul_f64_e32 v[122:123], v[72:73], v[82:83]
	;; [unrolled: 3-line block ×3, first 2 shown]
	v_mul_f64_e32 v[126:127], v[86:87], v[82:83]
	v_mul_f64_e32 v[82:83], v[84:85], v[82:83]
	v_fma_f64 v[88:89], v[0:1], v[4:5], -v[88:89]
	v_fma_f64 v[90:91], v[2:3], v[4:5], v[90:91]
	v_fma_f64 v[92:93], v[0:1], v[48:49], -v[92:93]
	v_fma_f64 v[94:95], v[2:3], v[48:49], v[94:95]
	;; [unrolled: 2-line block ×8, first 2 shown]
	ds_load_b128 v[0:3], v43 offset:48
	ds_load_b128 v[4:7], v42 offset:1536
	;; [unrolled: 1-line block ×4, first 2 shown]
	v_fma_f64 v[116:117], v[72:73], v[76:77], -v[116:117]
	v_fma_f64 v[118:119], v[74:75], v[76:77], v[118:119]
	v_fma_f64 v[72:73], v[72:73], v[80:81], -v[120:121]
	v_fma_f64 v[74:75], v[74:75], v[80:81], v[122:123]
	;; [unrolled: 2-line block ×4, first 2 shown]
	s_wait_dscnt 0x2
	v_mul_f64_e32 v[106:107], v[0:1], v[6:7]
	s_wait_dscnt 0x1
	v_mul_f64_e32 v[108:109], v[2:3], v[50:51]
	v_mul_f64_e32 v[110:111], v[0:1], v[50:51]
	v_add_f64_e32 v[66:67], v[30:31], v[88:89]
	v_add_f64_e32 v[68:69], v[90:91], v[32:33]
	;; [unrolled: 1-line block ×8, first 2 shown]
	v_mul_f64_e32 v[98:99], v[2:3], v[6:7]
	s_wait_dscnt 0x0
	v_mul_f64_e32 v[112:113], v[54:55], v[6:7]
	v_mul_f64_e32 v[6:7], v[52:53], v[6:7]
	;; [unrolled: 1-line block ×4, first 2 shown]
	ds_load_b128 v[18:21], v43 offset:64
	ds_load_b128 v[22:25], v42 offset:2048
	;; [unrolled: 1-line block ×4, first 2 shown]
	s_wait_dscnt 0x1
	v_mul_f64_e32 v[122:123], v[18:19], v[28:29]
	s_wait_dscnt 0x0
	v_mul_f64_e32 v[124:125], v[32:33], v[24:25]
	v_mul_f64_e32 v[126:127], v[32:33], v[28:29]
	v_fma_f64 v[106:107], v[2:3], v[4:5], v[106:107]
	v_fma_f64 v[108:109], v[0:1], v[48:49], -v[108:109]
	v_fma_f64 v[110:111], v[2:3], v[48:49], v[110:111]
	v_add_f64_e32 v[82:83], v[66:67], v[100:101]
	v_add_f64_e32 v[84:85], v[102:103], v[68:69]
	;; [unrolled: 1-line block ×8, first 2 shown]
	v_mul_f64_e32 v[100:101], v[20:21], v[24:25]
	v_mul_f64_e32 v[102:103], v[18:19], v[24:25]
	;; [unrolled: 1-line block ×5, first 2 shown]
	v_fma_f64 v[98:99], v[0:1], v[4:5], -v[98:99]
	v_fma_f64 v[112:113], v[52:53], v[4:5], -v[112:113]
	v_fma_f64 v[128:129], v[54:55], v[4:5], v[6:7]
	v_fma_f64 v[114:115], v[52:53], v[48:49], -v[114:115]
	v_fma_f64 v[130:131], v[54:55], v[48:49], v[50:51]
	ds_load_b128 v[56:59], v43 offset:80
	ds_load_b128 v[60:63], v42 offset:2560
	;; [unrolled: 1-line block ×8, first 2 shown]
	v_add_f64_e32 v[82:83], v[82:83], v[116:117]
	v_add_f64_e32 v[84:85], v[118:119], v[84:85]
	;; [unrolled: 1-line block ×8, first 2 shown]
	s_wait_dscnt 0x6
	v_mul_f64_e32 v[88:89], v[58:59], v[62:63]
	v_mul_f64_e32 v[90:91], v[56:57], v[62:63]
	s_wait_dscnt 0x5
	v_mul_f64_e32 v[92:93], v[58:59], v[66:67]
	v_mul_f64_e32 v[94:95], v[56:57], v[66:67]
	;; [unrolled: 3-line block ×3, first 2 shown]
	v_mul_f64_e32 v[116:117], v[70:71], v[66:67]
	v_mul_f64_e32 v[66:67], v[68:69], v[66:67]
	v_fma_f64 v[100:101], v[18:19], v[22:23], -v[100:101]
	v_fma_f64 v[102:103], v[20:21], v[22:23], v[102:103]
	v_fma_f64 v[104:105], v[18:19], v[26:27], -v[104:105]
	v_fma_f64 v[118:119], v[20:21], v[26:27], v[122:123]
	;; [unrolled: 2-line block ×4, first 2 shown]
	ds_load_b128 v[18:21], v43 offset:112
	ds_load_b128 v[22:25], v42 offset:3584
	;; [unrolled: 1-line block ×4, first 2 shown]
	s_wait_loadcnt_dscnt 0x0
	s_barrier_signal -1
	s_barrier_wait -1
	global_inv scope:SCOPE_SE
	v_add_f64_e32 v[82:83], v[82:83], v[98:99]
	v_add_f64_e32 v[84:85], v[106:107], v[84:85]
	;; [unrolled: 1-line block ×8, first 2 shown]
	v_mul_f64_e32 v[98:99], v[2:3], v[6:7]
	v_mul_f64_e32 v[106:107], v[0:1], v[6:7]
	v_mul_f64_e32 v[108:109], v[2:3], v[50:51]
	v_mul_f64_e32 v[110:111], v[0:1], v[50:51]
	v_mul_f64_e32 v[112:113], v[54:55], v[6:7]
	v_mul_f64_e32 v[6:7], v[52:53], v[6:7]
	v_mul_f64_e32 v[114:115], v[54:55], v[50:51]
	v_mul_f64_e32 v[50:51], v[52:53], v[50:51]
	v_fma_f64 v[88:89], v[56:57], v[60:61], -v[88:89]
	v_fma_f64 v[90:91], v[58:59], v[60:61], v[90:91]
	v_fma_f64 v[56:57], v[56:57], v[64:65], -v[92:93]
	v_fma_f64 v[58:59], v[58:59], v[64:65], v[94:95]
	;; [unrolled: 2-line block ×4, first 2 shown]
	v_mul_f64_e32 v[94:95], v[18:19], v[28:29]
	v_mul_f64_e32 v[96:97], v[32:33], v[24:25]
	v_add_f64_e32 v[66:67], v[82:83], v[100:101]
	v_add_f64_e32 v[68:69], v[102:103], v[84:85]
	;; [unrolled: 1-line block ×8, first 2 shown]
	v_mul_f64_e32 v[82:83], v[20:21], v[24:25]
	v_mul_f64_e32 v[84:85], v[18:19], v[24:25]
	;; [unrolled: 1-line block ×6, first 2 shown]
	v_fma_f64 v[98:99], v[0:1], v[4:5], -v[98:99]
	v_fma_f64 v[102:103], v[2:3], v[4:5], v[106:107]
	v_fma_f64 v[0:1], v[0:1], v[48:49], -v[108:109]
	v_fma_f64 v[2:3], v[2:3], v[48:49], v[110:111]
	;; [unrolled: 2-line block ×4, first 2 shown]
	v_add_f64_e32 v[50:51], v[66:67], v[88:89]
	v_add_f64_e32 v[52:53], v[90:91], v[68:69]
	;; [unrolled: 1-line block ×8, first 2 shown]
	v_fma_f64 v[66:67], v[18:19], v[22:23], -v[82:83]
	v_fma_f64 v[68:69], v[20:21], v[22:23], v[84:85]
	v_fma_f64 v[18:19], v[18:19], v[26:27], -v[86:87]
	v_fma_f64 v[20:21], v[20:21], v[26:27], v[94:95]
	;; [unrolled: 2-line block ×4, first 2 shown]
	v_add_f64_e32 v[22:23], v[50:51], v[98:99]
	v_add_f64_e32 v[26:27], v[102:103], v[52:53]
	;; [unrolled: 1-line block ×16, first 2 shown]
	s_wait_alu 0xfffe
	s_cbranch_vccz .LBB287_16
.LBB287_10:                             ;   Parent Loop BB287_7 Depth=1
                                        ; =>  This Inner Loop Header: Depth=2
	v_mov_b32_e32 v0, 0
	v_dual_mov_b32 v1, 0 :: v_dual_mov_b32 v2, 0
	v_mov_b32_e32 v3, 0
	s_and_saveexec_b32 s20, s0
	s_cbranch_execz .LBB287_14
; %bb.11:                               ;   in Loop: Header=BB287_10 Depth=2
	v_mov_b32_e32 v2, 0
	v_mov_b32_e32 v0, 0
	s_wait_alu 0xfffe
	v_dual_mov_b32 v3, 0 :: v_dual_add_nc_u32 v8, s2, v35
	v_mov_b32_e32 v1, 0
	s_mov_b32 s21, exec_lo
	s_delay_alu instid0(VALU_DEP_2)
	v_cmpx_gt_u64_e64 s[8:9], v[8:9]
	s_cbranch_execz .LBB287_13
; %bb.12:                               ;   in Loop: Header=BB287_10 Depth=2
	v_lshlrev_b64_e32 v[0:1], 4, v[8:9]
	s_delay_alu instid0(VALU_DEP_1) | instskip(SKIP_1) | instid1(VALU_DEP_2)
	v_add_co_u32 v0, vcc_lo, v44, v0
	s_wait_alu 0xfffd
	v_add_co_ci_u32_e64 v1, null, v45, v1, vcc_lo
	global_load_b128 v[0:3], v[0:1], off
	s_wait_loadcnt 0x0
	v_xor_b32_e32 v3, 0x80000000, v3
.LBB287_13:                             ;   in Loop: Header=BB287_10 Depth=2
	s_wait_alu 0xfffe
	s_or_b32 exec_lo, exec_lo, s21
.LBB287_14:                             ;   in Loop: Header=BB287_10 Depth=2
	s_wait_alu 0xfffe
	s_or_b32 exec_lo, exec_lo, s20
	v_add_nc_u32_e32 v8, s2, v34
	v_mov_b32_e32 v4, 0
	v_dual_mov_b32 v5, 0 :: v_dual_mov_b32 v6, 0
	v_mov_b32_e32 v7, 0
	s_delay_alu instid0(VALU_DEP_4)
	v_cmp_gt_u64_e32 vcc_lo, s[8:9], v[8:9]
	ds_store_b128 v36, v[0:3]
	s_and_b32 s21, vcc_lo, s1
	s_wait_alu 0xfffe
	s_and_saveexec_b32 s20, s21
	s_cbranch_execz .LBB287_9
; %bb.15:                               ;   in Loop: Header=BB287_10 Depth=2
	v_mad_co_u64_u32 v[0:1], null, s22, v8, 0
	s_delay_alu instid0(VALU_DEP_1) | instskip(NEXT) | instid1(VALU_DEP_1)
	v_mad_co_u64_u32 v[1:2], null, s23, v8, v[1:2]
	v_lshlrev_b64_e32 v[0:1], 4, v[0:1]
	s_delay_alu instid0(VALU_DEP_1) | instskip(SKIP_1) | instid1(VALU_DEP_2)
	v_add_co_u32 v0, vcc_lo, v46, v0
	s_wait_alu 0xfffd
	v_add_co_ci_u32_e64 v1, null, v47, v1, vcc_lo
	global_load_b128 v[4:7], v[0:1], off
	s_wait_loadcnt 0x0
	v_xor_b32_e32 v7, 0x80000000, v7
	s_branch .LBB287_9
.LBB287_16:                             ;   in Loop: Header=BB287_7 Depth=1
	s_mul_u64 s[2:3], s[6:7], s[34:35]
	s_wait_alu 0xfffe
	s_lshl_b64 s[2:3], s[2:3], 4
	s_wait_alu 0xfffe
	s_add_nc_u64 s[2:3], s[30:31], s[2:3]
	s_wait_alu 0xfffe
	v_add_co_u32 v4, vcc_lo, s2, v14
	s_wait_alu 0xfffd
	v_add_co_ci_u32_e64 v5, null, s3, v15, vcc_lo
	s_and_saveexec_b32 s20, s14
	s_cbranch_execz .LBB287_21
; %bb.17:                               ;   in Loop: Header=BB287_7 Depth=1
	v_mul_f64_e32 v[0:1], s[12:13], v[32:33]
	v_mul_f64_e32 v[2:3], s[10:11], v[32:33]
	s_and_b32 vcc_lo, exec_lo, s5
	s_mov_b32 s21, -1
	s_delay_alu instid0(VALU_DEP_2) | instskip(NEXT) | instid1(VALU_DEP_2)
	v_fma_f64 v[0:1], s[10:11], v[30:31], -v[0:1]
	v_fma_f64 v[2:3], s[12:13], v[30:31], v[2:3]
	s_wait_alu 0xfffe
	s_cbranch_vccz .LBB287_19
; %bb.18:                               ;   in Loop: Header=BB287_7 Depth=1
	v_lshlrev_b64_e32 v[6:7], 4, v[10:11]
	s_mov_b32 s21, 0
	s_delay_alu instid0(VALU_DEP_1) | instskip(SKIP_1) | instid1(VALU_DEP_2)
	v_add_co_u32 v6, vcc_lo, v4, v6
	s_wait_alu 0xfffd
	v_add_co_ci_u32_e64 v7, null, v5, v7, vcc_lo
	global_load_b128 v[30:33], v[6:7], off
	s_wait_loadcnt 0x0
	v_mul_f64_e32 v[44:45], s[28:29], v[32:33]
	v_mul_f64_e32 v[32:33], s[26:27], v[32:33]
	s_delay_alu instid0(VALU_DEP_2) | instskip(NEXT) | instid1(VALU_DEP_2)
	v_fma_f64 v[44:45], s[26:27], v[30:31], -v[44:45]
	v_fma_f64 v[32:33], s[28:29], v[30:31], v[32:33]
	s_delay_alu instid0(VALU_DEP_2) | instskip(NEXT) | instid1(VALU_DEP_2)
	v_add_f64_e32 v[30:31], v[0:1], v[44:45]
	v_add_f64_e32 v[32:33], v[2:3], v[32:33]
	global_store_b128 v[6:7], v[30:33], off
.LBB287_19:                             ;   in Loop: Header=BB287_7 Depth=1
	s_wait_alu 0xfffe
	s_and_not1_b32 vcc_lo, exec_lo, s21
	s_wait_alu 0xfffe
	s_cbranch_vccnz .LBB287_21
; %bb.20:                               ;   in Loop: Header=BB287_7 Depth=1
	v_lshlrev_b64_e32 v[6:7], 4, v[10:11]
	s_delay_alu instid0(VALU_DEP_1) | instskip(SKIP_1) | instid1(VALU_DEP_2)
	v_add_co_u32 v6, vcc_lo, v4, v6
	s_wait_alu 0xfffd
	v_add_co_ci_u32_e64 v7, null, v5, v7, vcc_lo
	global_store_b128 v[6:7], v[0:3], off
.LBB287_21:                             ;   in Loop: Header=BB287_7 Depth=1
	s_wait_alu 0xfffe
	s_or_b32 exec_lo, exec_lo, s20
	s_and_saveexec_b32 s20, s15
	s_cbranch_execz .LBB287_26
; %bb.22:                               ;   in Loop: Header=BB287_7 Depth=1
	v_mul_f64_e32 v[0:1], s[12:13], v[28:29]
	v_mul_f64_e32 v[2:3], s[10:11], v[28:29]
	s_and_not1_b32 vcc_lo, exec_lo, s5
	s_mov_b32 s21, -1
	s_delay_alu instid0(VALU_DEP_2) | instskip(NEXT) | instid1(VALU_DEP_2)
	v_fma_f64 v[0:1], s[10:11], v[26:27], -v[0:1]
	v_fma_f64 v[2:3], s[12:13], v[26:27], v[2:3]
	s_wait_alu 0xfffe
	s_cbranch_vccnz .LBB287_24
; %bb.23:                               ;   in Loop: Header=BB287_7 Depth=1
	v_lshlrev_b64_e32 v[6:7], 4, v[12:13]
	s_mov_b32 s21, 0
	s_delay_alu instid0(VALU_DEP_1) | instskip(SKIP_1) | instid1(VALU_DEP_2)
	v_add_co_u32 v6, vcc_lo, v4, v6
	s_wait_alu 0xfffd
	v_add_co_ci_u32_e64 v7, null, v5, v7, vcc_lo
	global_load_b128 v[26:29], v[6:7], off
	s_wait_loadcnt 0x0
	v_mul_f64_e32 v[30:31], s[28:29], v[28:29]
	v_mul_f64_e32 v[28:29], s[26:27], v[28:29]
	s_delay_alu instid0(VALU_DEP_2) | instskip(NEXT) | instid1(VALU_DEP_2)
	v_fma_f64 v[30:31], s[26:27], v[26:27], -v[30:31]
	v_fma_f64 v[28:29], s[28:29], v[26:27], v[28:29]
	s_delay_alu instid0(VALU_DEP_2) | instskip(NEXT) | instid1(VALU_DEP_2)
	v_add_f64_e32 v[26:27], v[0:1], v[30:31]
	v_add_f64_e32 v[28:29], v[2:3], v[28:29]
	global_store_b128 v[6:7], v[26:29], off
.LBB287_24:                             ;   in Loop: Header=BB287_7 Depth=1
	s_wait_alu 0xfffe
	s_and_not1_b32 vcc_lo, exec_lo, s21
	s_wait_alu 0xfffe
	s_cbranch_vccnz .LBB287_26
; %bb.25:                               ;   in Loop: Header=BB287_7 Depth=1
	v_lshlrev_b64_e32 v[6:7], 4, v[12:13]
	s_delay_alu instid0(VALU_DEP_1) | instskip(SKIP_1) | instid1(VALU_DEP_2)
	v_add_co_u32 v4, vcc_lo, v4, v6
	s_wait_alu 0xfffd
	v_add_co_ci_u32_e64 v5, null, v5, v7, vcc_lo
	global_store_b128 v[4:5], v[0:3], off
.LBB287_26:                             ;   in Loop: Header=BB287_7 Depth=1
	s_wait_alu 0xfffe
	s_or_b32 exec_lo, exec_lo, s20
	v_add_co_u32 v6, vcc_lo, s2, v16
	s_wait_alu 0xfffd
	v_add_co_ci_u32_e64 v7, null, s3, v17, vcc_lo
	s_and_saveexec_b32 s2, s17
	s_cbranch_execz .LBB287_31
; %bb.27:                               ;   in Loop: Header=BB287_7 Depth=1
	v_mul_f64_e32 v[0:1], s[12:13], v[24:25]
	v_mul_f64_e32 v[2:3], s[10:11], v[24:25]
	v_lshlrev_b64_e32 v[4:5], 4, v[10:11]
	s_and_not1_b32 vcc_lo, exec_lo, s5
	s_mov_b32 s3, -1
	s_delay_alu instid0(VALU_DEP_3) | instskip(NEXT) | instid1(VALU_DEP_3)
	v_fma_f64 v[0:1], s[10:11], v[22:23], -v[0:1]
	v_fma_f64 v[2:3], s[12:13], v[22:23], v[2:3]
	s_wait_alu 0xfffe
	s_cbranch_vccnz .LBB287_29
; %bb.28:                               ;   in Loop: Header=BB287_7 Depth=1
	v_add_co_u32 v26, vcc_lo, v6, v4
	s_wait_alu 0xfffd
	v_add_co_ci_u32_e64 v27, null, v7, v5, vcc_lo
	s_mov_b32 s3, 0
	global_load_b128 v[22:25], v[26:27], off
	s_wait_loadcnt 0x0
	v_mul_f64_e32 v[28:29], s[28:29], v[24:25]
	v_mul_f64_e32 v[24:25], s[26:27], v[24:25]
	s_delay_alu instid0(VALU_DEP_2) | instskip(NEXT) | instid1(VALU_DEP_2)
	v_fma_f64 v[28:29], s[26:27], v[22:23], -v[28:29]
	v_fma_f64 v[24:25], s[28:29], v[22:23], v[24:25]
	s_delay_alu instid0(VALU_DEP_2) | instskip(NEXT) | instid1(VALU_DEP_2)
	v_add_f64_e32 v[22:23], v[0:1], v[28:29]
	v_add_f64_e32 v[24:25], v[2:3], v[24:25]
	global_store_b128 v[26:27], v[22:25], off
.LBB287_29:                             ;   in Loop: Header=BB287_7 Depth=1
	s_wait_alu 0xfffe
	s_and_not1_b32 vcc_lo, exec_lo, s3
	s_wait_alu 0xfffe
	s_cbranch_vccnz .LBB287_31
; %bb.30:                               ;   in Loop: Header=BB287_7 Depth=1
	v_add_co_u32 v4, vcc_lo, v6, v4
	s_wait_alu 0xfffd
	v_add_co_ci_u32_e64 v5, null, v7, v5, vcc_lo
	global_store_b128 v[4:5], v[0:3], off
.LBB287_31:                             ;   in Loop: Header=BB287_7 Depth=1
	s_wait_alu 0xfffe
	s_or_b32 exec_lo, exec_lo, s2
	s_and_saveexec_b32 s2, s4
	s_cbranch_execz .LBB287_6
; %bb.32:                               ;   in Loop: Header=BB287_7 Depth=1
	v_mul_f64_e32 v[0:1], s[12:13], v[18:19]
	v_mul_f64_e32 v[2:3], s[10:11], v[18:19]
	v_lshlrev_b64_e32 v[4:5], 4, v[12:13]
	s_and_not1_b32 vcc_lo, exec_lo, s5
	s_mov_b32 s3, -1
	s_delay_alu instid0(VALU_DEP_3) | instskip(NEXT) | instid1(VALU_DEP_3)
	v_fma_f64 v[0:1], s[10:11], v[20:21], -v[0:1]
	v_fma_f64 v[2:3], s[12:13], v[20:21], v[2:3]
	s_wait_alu 0xfffe
	s_cbranch_vccnz .LBB287_34
; %bb.33:                               ;   in Loop: Header=BB287_7 Depth=1
	v_add_co_u32 v22, vcc_lo, v6, v4
	s_wait_alu 0xfffd
	v_add_co_ci_u32_e64 v23, null, v7, v5, vcc_lo
	s_mov_b32 s3, 0
	global_load_b128 v[18:21], v[22:23], off
	s_wait_loadcnt 0x0
	v_mul_f64_e32 v[24:25], s[28:29], v[20:21]
	v_mul_f64_e32 v[20:21], s[26:27], v[20:21]
	s_delay_alu instid0(VALU_DEP_2) | instskip(NEXT) | instid1(VALU_DEP_2)
	v_fma_f64 v[24:25], s[26:27], v[18:19], -v[24:25]
	v_fma_f64 v[20:21], s[28:29], v[18:19], v[20:21]
	s_delay_alu instid0(VALU_DEP_2) | instskip(NEXT) | instid1(VALU_DEP_2)
	v_add_f64_e32 v[18:19], v[0:1], v[24:25]
	v_add_f64_e32 v[20:21], v[2:3], v[20:21]
	global_store_b128 v[22:23], v[18:21], off
.LBB287_34:                             ;   in Loop: Header=BB287_7 Depth=1
	s_wait_alu 0xfffe
	s_and_not1_b32 vcc_lo, exec_lo, s3
	s_wait_alu 0xfffe
	s_cbranch_vccnz .LBB287_6
; %bb.35:                               ;   in Loop: Header=BB287_7 Depth=1
	v_add_co_u32 v4, vcc_lo, v6, v4
	s_wait_alu 0xfffd
	v_add_co_ci_u32_e64 v5, null, v7, v5, vcc_lo
	global_store_b128 v[4:5], v[0:3], off
	s_branch .LBB287_6
.LBB287_36:
.LBB287_37:
	s_nop 0
	s_sendmsg sendmsg(MSG_DEALLOC_VGPRS)
	s_endpgm
	.section	.rodata,"a",@progbits
	.p2align	6, 0x0
	.amdhsa_kernel _ZL29rocblas_internal_gemmt_kernelIlLi16ELi32ELi8ELc67ELc67ELc76ELb1ELb1E19rocblas_complex_numIdES1_PKS1_PS1_EviT_T9_T10_S5_lS7_S5_lS6_T11_S5_li
		.amdhsa_group_segment_fixed_size 8192
		.amdhsa_private_segment_fixed_size 0
		.amdhsa_kernarg_size 124
		.amdhsa_user_sgpr_count 2
		.amdhsa_user_sgpr_dispatch_ptr 0
		.amdhsa_user_sgpr_queue_ptr 0
		.amdhsa_user_sgpr_kernarg_segment_ptr 1
		.amdhsa_user_sgpr_dispatch_id 0
		.amdhsa_user_sgpr_private_segment_size 0
		.amdhsa_wavefront_size32 1
		.amdhsa_uses_dynamic_stack 0
		.amdhsa_enable_private_segment 0
		.amdhsa_system_sgpr_workgroup_id_x 1
		.amdhsa_system_sgpr_workgroup_id_y 1
		.amdhsa_system_sgpr_workgroup_id_z 1
		.amdhsa_system_sgpr_workgroup_info 0
		.amdhsa_system_vgpr_workitem_id 1
		.amdhsa_next_free_vgpr 132
		.amdhsa_next_free_sgpr 40
		.amdhsa_reserve_vcc 1
		.amdhsa_float_round_mode_32 0
		.amdhsa_float_round_mode_16_64 0
		.amdhsa_float_denorm_mode_32 3
		.amdhsa_float_denorm_mode_16_64 3
		.amdhsa_fp16_overflow 0
		.amdhsa_workgroup_processor_mode 1
		.amdhsa_memory_ordered 1
		.amdhsa_forward_progress 1
		.amdhsa_inst_pref_size 27
		.amdhsa_round_robin_scheduling 0
		.amdhsa_exception_fp_ieee_invalid_op 0
		.amdhsa_exception_fp_denorm_src 0
		.amdhsa_exception_fp_ieee_div_zero 0
		.amdhsa_exception_fp_ieee_overflow 0
		.amdhsa_exception_fp_ieee_underflow 0
		.amdhsa_exception_fp_ieee_inexact 0
		.amdhsa_exception_int_div_zero 0
	.end_amdhsa_kernel
	.section	.text._ZL29rocblas_internal_gemmt_kernelIlLi16ELi32ELi8ELc67ELc67ELc76ELb1ELb1E19rocblas_complex_numIdES1_PKS1_PS1_EviT_T9_T10_S5_lS7_S5_lS6_T11_S5_li,"axG",@progbits,_ZL29rocblas_internal_gemmt_kernelIlLi16ELi32ELi8ELc67ELc67ELc76ELb1ELb1E19rocblas_complex_numIdES1_PKS1_PS1_EviT_T9_T10_S5_lS7_S5_lS6_T11_S5_li,comdat
.Lfunc_end287:
	.size	_ZL29rocblas_internal_gemmt_kernelIlLi16ELi32ELi8ELc67ELc67ELc76ELb1ELb1E19rocblas_complex_numIdES1_PKS1_PS1_EviT_T9_T10_S5_lS7_S5_lS6_T11_S5_li, .Lfunc_end287-_ZL29rocblas_internal_gemmt_kernelIlLi16ELi32ELi8ELc67ELc67ELc76ELb1ELb1E19rocblas_complex_numIdES1_PKS1_PS1_EviT_T9_T10_S5_lS7_S5_lS6_T11_S5_li
                                        ; -- End function
	.set _ZL29rocblas_internal_gemmt_kernelIlLi16ELi32ELi8ELc67ELc67ELc76ELb1ELb1E19rocblas_complex_numIdES1_PKS1_PS1_EviT_T9_T10_S5_lS7_S5_lS6_T11_S5_li.num_vgpr, 132
	.set _ZL29rocblas_internal_gemmt_kernelIlLi16ELi32ELi8ELc67ELc67ELc76ELb1ELb1E19rocblas_complex_numIdES1_PKS1_PS1_EviT_T9_T10_S5_lS7_S5_lS6_T11_S5_li.num_agpr, 0
	.set _ZL29rocblas_internal_gemmt_kernelIlLi16ELi32ELi8ELc67ELc67ELc76ELb1ELb1E19rocblas_complex_numIdES1_PKS1_PS1_EviT_T9_T10_S5_lS7_S5_lS6_T11_S5_li.numbered_sgpr, 40
	.set _ZL29rocblas_internal_gemmt_kernelIlLi16ELi32ELi8ELc67ELc67ELc76ELb1ELb1E19rocblas_complex_numIdES1_PKS1_PS1_EviT_T9_T10_S5_lS7_S5_lS6_T11_S5_li.num_named_barrier, 0
	.set _ZL29rocblas_internal_gemmt_kernelIlLi16ELi32ELi8ELc67ELc67ELc76ELb1ELb1E19rocblas_complex_numIdES1_PKS1_PS1_EviT_T9_T10_S5_lS7_S5_lS6_T11_S5_li.private_seg_size, 0
	.set _ZL29rocblas_internal_gemmt_kernelIlLi16ELi32ELi8ELc67ELc67ELc76ELb1ELb1E19rocblas_complex_numIdES1_PKS1_PS1_EviT_T9_T10_S5_lS7_S5_lS6_T11_S5_li.uses_vcc, 1
	.set _ZL29rocblas_internal_gemmt_kernelIlLi16ELi32ELi8ELc67ELc67ELc76ELb1ELb1E19rocblas_complex_numIdES1_PKS1_PS1_EviT_T9_T10_S5_lS7_S5_lS6_T11_S5_li.uses_flat_scratch, 0
	.set _ZL29rocblas_internal_gemmt_kernelIlLi16ELi32ELi8ELc67ELc67ELc76ELb1ELb1E19rocblas_complex_numIdES1_PKS1_PS1_EviT_T9_T10_S5_lS7_S5_lS6_T11_S5_li.has_dyn_sized_stack, 0
	.set _ZL29rocblas_internal_gemmt_kernelIlLi16ELi32ELi8ELc67ELc67ELc76ELb1ELb1E19rocblas_complex_numIdES1_PKS1_PS1_EviT_T9_T10_S5_lS7_S5_lS6_T11_S5_li.has_recursion, 0
	.set _ZL29rocblas_internal_gemmt_kernelIlLi16ELi32ELi8ELc67ELc67ELc76ELb1ELb1E19rocblas_complex_numIdES1_PKS1_PS1_EviT_T9_T10_S5_lS7_S5_lS6_T11_S5_li.has_indirect_call, 0
	.section	.AMDGPU.csdata,"",@progbits
; Kernel info:
; codeLenInByte = 3420
; TotalNumSgprs: 42
; NumVgprs: 132
; ScratchSize: 0
; MemoryBound: 1
; FloatMode: 240
; IeeeMode: 1
; LDSByteSize: 8192 bytes/workgroup (compile time only)
; SGPRBlocks: 0
; VGPRBlocks: 16
; NumSGPRsForWavesPerEU: 42
; NumVGPRsForWavesPerEU: 132
; Occupancy: 10
; WaveLimiterHint : 0
; COMPUTE_PGM_RSRC2:SCRATCH_EN: 0
; COMPUTE_PGM_RSRC2:USER_SGPR: 2
; COMPUTE_PGM_RSRC2:TRAP_HANDLER: 0
; COMPUTE_PGM_RSRC2:TGID_X_EN: 1
; COMPUTE_PGM_RSRC2:TGID_Y_EN: 1
; COMPUTE_PGM_RSRC2:TGID_Z_EN: 1
; COMPUTE_PGM_RSRC2:TIDIG_COMP_CNT: 1
	.section	.text._ZL29rocblas_internal_gemmt_kernelIiLi16ELi32ELi8ELc78ELc78ELc85ELb0ELb0EfPKfPKS1_PKPfEviT_T9_T10_S7_lS9_S7_lS8_T11_S7_li,"axG",@progbits,_ZL29rocblas_internal_gemmt_kernelIiLi16ELi32ELi8ELc78ELc78ELc85ELb0ELb0EfPKfPKS1_PKPfEviT_T9_T10_S7_lS9_S7_lS8_T11_S7_li,comdat
	.globl	_ZL29rocblas_internal_gemmt_kernelIiLi16ELi32ELi8ELc78ELc78ELc85ELb0ELb0EfPKfPKS1_PKPfEviT_T9_T10_S7_lS9_S7_lS8_T11_S7_li ; -- Begin function _ZL29rocblas_internal_gemmt_kernelIiLi16ELi32ELi8ELc78ELc78ELc85ELb0ELb0EfPKfPKS1_PKPfEviT_T9_T10_S7_lS9_S7_lS8_T11_S7_li
	.p2align	8
	.type	_ZL29rocblas_internal_gemmt_kernelIiLi16ELi32ELi8ELc78ELc78ELc85ELb0ELb0EfPKfPKS1_PKPfEviT_T9_T10_S7_lS9_S7_lS8_T11_S7_li,@function
_ZL29rocblas_internal_gemmt_kernelIiLi16ELi32ELi8ELc78ELc78ELc85ELb0ELb0EfPKfPKS1_PKPfEviT_T9_T10_S7_lS9_S7_lS8_T11_S7_li: ; @_ZL29rocblas_internal_gemmt_kernelIiLi16ELi32ELi8ELc78ELc78ELc85ELb0ELb0EfPKfPKS1_PKPfEviT_T9_T10_S7_lS9_S7_lS8_T11_S7_li
; %bb.0:
	s_clause 0x1
	s_load_b128 s[12:15], s[0:1], 0x38
	s_load_b128 s[4:7], s[0:1], 0x8
	s_wait_kmcnt 0x0
	s_load_b32 s19, s[14:15], 0x0
	s_load_b64 s[14:15], s[0:1], 0x0
	s_load_b32 s26, s[4:5], 0x0
	s_wait_kmcnt 0x0
	s_cmp_neq_f32 s19, 1.0
	s_cselect_b32 s2, -1, 0
	s_delay_alu instid0(SALU_CYCLE_1)
	s_and_b32 vcc_lo, exec_lo, s2
	s_cbranch_vccnz .LBB288_2
; %bb.1:
	s_cmp_lg_u32 s15, 0
	s_cselect_b32 s2, -1, 0
	s_cmp_neq_f32 s26, 0
	s_cselect_b32 s3, -1, 0
	s_delay_alu instid0(SALU_CYCLE_1)
	s_and_b32 s2, s2, s3
.LBB288_2:
	s_delay_alu instid0(SALU_CYCLE_1)
	s_and_not1_b32 vcc_lo, exec_lo, s2
	s_cbranch_vccnz .LBB288_33
; %bb.3:
	s_load_b32 s27, s[0:1], 0x60
	s_lshr_b32 s20, ttmp7, 16
	s_wait_kmcnt 0x0
	s_cmp_ge_u32 s20, s27
	s_cbranch_scc1 .LBB288_33
; %bb.4:
	v_dual_mov_b32 v22, 0 :: v_dual_and_b32 v1, 0x3ff, v0
	v_bfe_u32 v2, v0, 10, 10
	s_load_b32 s22, s[0:1], 0x18
	v_and_b32_e32 v14, 7, v0
	s_clause 0x1
	s_load_b128 s[8:11], s[0:1], 0x20
	s_load_b32 s5, s[0:1], 0x30
	s_lshl_b32 s2, ttmp9, 5
	v_lshl_add_u32 v0, v2, 4, v1
	s_clause 0x1
	s_load_b96 s[16:18], s[0:1], 0x48
	s_load_b64 s[24:25], s[0:1], 0x58
	v_lshlrev_b32_e32 v23, 2, v14
	s_lshl_b32 s0, ttmp7, 5
	v_lshl_add_u32 v19, v2, 5, 0x400
	v_and_b32_e32 v3, 31, v0
	v_lshrrev_b32_e32 v5, 3, v0
	v_lshrrev_b32_e32 v15, 5, v0
	s_and_b32 s3, s0, 0x1fffe0
	v_lshlrev_b32_e32 v18, 2, v1
	v_or_b32_e32 v4, s2, v3
	v_lshlrev_b32_e32 v0, 2, v3
	v_lshl_or_b32 v3, v5, 5, v23
	v_add_nc_u32_e32 v12, s3, v5
	s_mov_b32 s21, 0
	v_ashrrev_i32_e32 v5, 31, v4
	s_wait_kmcnt 0x0
	s_ashr_i32 s23, s22, 31
	v_add_nc_u32_e32 v17, 0x400, v3
	v_add_nc_u32_e32 v3, s3, v2
	s_cmp_neq_f32 s26, 0
	v_lshl_or_b32 v16, v15, 7, v0
	v_add_nc_u32_e32 v0, s2, v1
	v_mad_co_i64_i32 v[8:9], null, v15, s22, 0
	v_add_nc_u32_e32 v20, 16, v3
	s_cselect_b32 s30, -1, 0
	s_cmp_gt_i32 s15, 0
	v_cmp_gt_i32_e32 vcc_lo, s14, v3
	v_cmp_le_i32_e64 s2, v0, v3
	v_add_nc_u32_e32 v2, 16, v0
	s_cselect_b32 s31, -1, 0
	s_cmp_neq_f32 s19, 0
	v_cmp_gt_i32_e64 s3, s14, v20
	v_cmp_le_i32_e64 s4, v0, v20
	v_cmp_gt_i32_e64 s1, s14, v12
	v_lshlrev_b64_e32 v[8:9], 2, v[8:9]
	v_mad_co_i64_i32 v[12:13], null, s5, v12, 0
	s_cselect_b32 s28, -1, 0
	s_and_b32 s29, vcc_lo, s2
	v_cmp_le_i32_e64 s2, v2, v3
	v_mad_co_i64_i32 v[6:7], null, v3, s18, 0
	v_mad_co_i64_i32 v[10:11], null, v20, s18, 0
	s_and_b32 s18, s3, s4
	s_lshl_b64 s[4:5], s[8:9], 2
	v_cmp_gt_i32_e64 s0, s14, v4
	s_and_b32 s14, vcc_lo, s2
	v_cmp_le_i32_e32 vcc_lo, v2, v20
	v_lshlrev_b64_e32 v[4:5], 2, v[4:5]
	s_wait_alu 0xfffe
	v_add_co_u32 v20, s2, v8, s4
	s_wait_alu 0xf1ff
	v_add_co_ci_u32_e64 v21, null, s5, v9, s2
	v_lshlrev_b64_e32 v[8:9], 2, v[12:13]
	s_delay_alu instid0(VALU_DEP_3)
	v_add_co_u32 v20, s2, v20, v4
	s_lshl_b64 s[4:5], s[12:13], 2
	s_wait_alu 0xf1ff
	v_add_co_ci_u32_e64 v21, null, v21, v5, s2
	s_wait_alu 0xfffe
	v_add_co_u32 v4, s2, v8, s4
	s_wait_alu 0xf1ff
	v_add_co_ci_u32_e64 v5, null, s5, v9, s2
	v_ashrrev_i32_e32 v1, 31, v0
	s_delay_alu instid0(VALU_DEP_3) | instskip(SKIP_1) | instid1(VALU_DEP_3)
	v_add_co_u32 v23, s2, v4, v23
	s_wait_alu 0xf1ff
	v_add_co_ci_u32_e64 v24, null, 0, v5, s2
	v_lshlrev_b64_e32 v[4:5], 2, v[6:7]
	v_lshlrev_b64_e32 v[6:7], 2, v[10:11]
	v_ashrrev_i32_e32 v3, 31, v2
	s_and_b32 s12, s30, s31
	s_and_b32 s13, s3, vcc_lo
	s_lshl_b64 s[2:3], s[22:23], 5
	s_lshl_b64 s[4:5], s[24:25], 2
	s_branch .LBB288_6
.LBB288_5:                              ;   in Loop: Header=BB288_6 Depth=1
	s_wait_alu 0xfffe
	s_or_b32 exec_lo, exec_lo, s8
	s_add_co_i32 s20, s20, 0x10000
	s_delay_alu instid0(SALU_CYCLE_1)
	s_cmp_lt_u32 s20, s27
	s_cbranch_scc0 .LBB288_33
.LBB288_6:                              ; =>This Loop Header: Depth=1
                                        ;     Child Loop BB288_9 Depth 2
	s_lshl_b64 s[8:9], s[20:21], 3
	v_dual_mov_b32 v28, 0 :: v_dual_mov_b32 v27, 0
	s_wait_alu 0xfffe
	s_add_nc_u64 s[22:23], s[16:17], s[8:9]
	v_dual_mov_b32 v26, 0 :: v_dual_mov_b32 v25, 0
	global_load_b64 v[8:9], v22, s[22:23]
	s_and_not1_b32 vcc_lo, exec_lo, s12
	s_wait_alu 0xfffe
	s_cbranch_vccnz .LBB288_13
; %bb.7:                                ;   in Loop: Header=BB288_6 Depth=1
	s_add_nc_u64 s[22:23], s[6:7], s[8:9]
	s_add_nc_u64 s[8:9], s[10:11], s[8:9]
	s_clause 0x1
	global_load_b64 v[10:11], v22, s[22:23]
	global_load_b64 v[12:13], v22, s[8:9]
	v_dual_mov_b32 v25, 0 :: v_dual_mov_b32 v26, 0
	v_dual_mov_b32 v27, 0 :: v_dual_mov_b32 v28, 0
	s_mov_b32 s8, 0
	s_wait_loadcnt 0x1
	v_add_co_u32 v10, vcc_lo, v10, v20
	s_wait_alu 0xfffd
	v_add_co_ci_u32_e64 v11, null, v11, v21, vcc_lo
	s_wait_loadcnt 0x0
	v_add_co_u32 v12, vcc_lo, v12, v23
	s_wait_alu 0xfffd
	v_add_co_ci_u32_e64 v13, null, v13, v24, vcc_lo
	s_branch .LBB288_9
.LBB288_8:                              ;   in Loop: Header=BB288_9 Depth=2
	s_wait_alu 0xfffe
	s_or_b32 exec_lo, exec_lo, s9
	s_wait_loadcnt_dscnt 0x0
	ds_store_b32 v17, v30
	s_wait_dscnt 0x0
	s_barrier_signal -1
	s_barrier_wait -1
	global_inv scope:SCOPE_SE
	ds_load_b128 v[29:32], v19
	ds_load_2addr_b32 v[45:46], v18 offset1:16
	ds_load_b128 v[33:36], v19 offset:512
	ds_load_2addr_b32 v[47:48], v18 offset0:32 offset1:48
	ds_load_2addr_b32 v[49:50], v18 offset0:64 offset1:80
	ds_load_2addr_b32 v[51:52], v18 offset0:96 offset1:112
	ds_load_b128 v[37:40], v19 offset:16
	ds_load_2addr_b32 v[53:54], v18 offset0:128 offset1:144
	ds_load_b128 v[41:44], v19 offset:528
	v_add_co_u32 v10, vcc_lo, v10, s2
	s_wait_alu 0xfffd
	v_add_co_ci_u32_e64 v11, null, s3, v11, vcc_lo
	v_add_co_u32 v12, vcc_lo, v12, 32
	s_wait_alu 0xfffd
	v_add_co_ci_u32_e64 v13, null, 0, v13, vcc_lo
	s_add_co_i32 s8, s8, 8
	s_wait_alu 0xfffe
	s_cmp_lt_i32 s8, s15
	s_wait_dscnt 0x7
	v_fmac_f32_e32 v27, v46, v29
	v_fmac_f32_e32 v28, v45, v29
	s_wait_dscnt 0x6
	v_fmac_f32_e32 v25, v46, v33
	v_fmac_f32_e32 v26, v45, v33
	ds_load_2addr_b32 v[45:46], v18 offset0:160 offset1:176
	s_wait_dscnt 0x6
	v_fmac_f32_e32 v27, v48, v30
	v_fmac_f32_e32 v28, v47, v30
	v_fmac_f32_e32 v25, v48, v34
	v_fmac_f32_e32 v26, v47, v34
	ds_load_2addr_b32 v[29:30], v18 offset0:192 offset1:208
	s_wait_dscnt 0x6
	v_fmac_f32_e32 v27, v50, v31
	v_fmac_f32_e32 v28, v49, v31
	;; [unrolled: 6-line block ×3, first 2 shown]
	v_fmac_f32_e32 v25, v52, v36
	v_fmac_f32_e32 v26, v51, v36
	s_wait_loadcnt_dscnt 0x0
	v_fmac_f32_e32 v27, v54, v37
	v_fmac_f32_e32 v28, v53, v37
	;; [unrolled: 1-line block ×4, first 2 shown]
	s_barrier_signal -1
	v_fmac_f32_e32 v27, v46, v38
	v_fmac_f32_e32 v28, v45, v38
	;; [unrolled: 1-line block ×4, first 2 shown]
	s_barrier_wait -1
	v_fmac_f32_e32 v27, v30, v39
	v_fmac_f32_e32 v28, v29, v39
	;; [unrolled: 1-line block ×4, first 2 shown]
	global_inv scope:SCOPE_SE
	v_fmac_f32_e32 v27, v34, v40
	v_fmac_f32_e32 v28, v33, v40
	;; [unrolled: 1-line block ×4, first 2 shown]
	s_cbranch_scc0 .LBB288_13
.LBB288_9:                              ;   Parent Loop BB288_6 Depth=1
                                        ; =>  This Inner Loop Header: Depth=2
	s_wait_alu 0xfffe
	v_add_nc_u32_e32 v29, s8, v15
	s_delay_alu instid0(VALU_DEP_1)
	v_cmp_gt_i32_e32 vcc_lo, s15, v29
	v_mov_b32_e32 v29, 0
	s_and_b32 s22, s0, vcc_lo
	s_wait_alu 0xfffe
	s_and_saveexec_b32 s9, s22
	s_cbranch_execz .LBB288_11
; %bb.10:                               ;   in Loop: Header=BB288_9 Depth=2
	flat_load_b32 v29, v[10:11]
.LBB288_11:                             ;   in Loop: Header=BB288_9 Depth=2
	s_wait_alu 0xfffe
	s_or_b32 exec_lo, exec_lo, s9
	v_add_nc_u32_e32 v30, s8, v14
	s_wait_loadcnt_dscnt 0x0
	ds_store_b32 v16, v29
	v_cmp_gt_i32_e32 vcc_lo, s15, v30
	v_mov_b32_e32 v30, 0
	s_and_b32 s22, vcc_lo, s1
	s_wait_alu 0xfffe
	s_and_saveexec_b32 s9, s22
	s_cbranch_execz .LBB288_8
; %bb.12:                               ;   in Loop: Header=BB288_9 Depth=2
	flat_load_b32 v30, v[12:13]
	s_branch .LBB288_8
.LBB288_13:                             ;   in Loop: Header=BB288_6 Depth=1
	s_wait_loadcnt 0x0
	s_wait_alu 0xfffe
	v_add_co_u32 v8, vcc_lo, v8, s4
	s_wait_alu 0xfffd
	v_add_co_ci_u32_e64 v9, null, s5, v9, vcc_lo
	s_delay_alu instid0(VALU_DEP_2) | instskip(SKIP_1) | instid1(VALU_DEP_2)
	v_add_co_u32 v10, vcc_lo, v8, v4
	s_wait_alu 0xfffd
	v_add_co_ci_u32_e64 v11, null, v9, v5, vcc_lo
	s_and_saveexec_b32 s8, s29
	s_cbranch_execz .LBB288_17
; %bb.14:                               ;   in Loop: Header=BB288_6 Depth=1
	v_mul_f32_e32 v12, s26, v28
	s_and_b32 vcc_lo, exec_lo, s28
	s_wait_alu 0xfffe
	s_cbranch_vccz .LBB288_28
; %bb.15:                               ;   in Loop: Header=BB288_6 Depth=1
	v_lshlrev_b64_e32 v[28:29], 2, v[0:1]
	s_delay_alu instid0(VALU_DEP_1) | instskip(SKIP_1) | instid1(VALU_DEP_2)
	v_add_co_u32 v28, vcc_lo, v10, v28
	s_wait_alu 0xfffd
	v_add_co_ci_u32_e64 v29, null, v11, v29, vcc_lo
	flat_load_b32 v13, v[28:29]
	s_wait_loadcnt_dscnt 0x0
	v_fma_f32 v13, s19, v13, v12
	flat_store_b32 v[28:29], v13
	s_cbranch_execnz .LBB288_17
.LBB288_16:                             ;   in Loop: Header=BB288_6 Depth=1
	v_lshlrev_b64_e32 v[28:29], 2, v[0:1]
	s_delay_alu instid0(VALU_DEP_1) | instskip(SKIP_1) | instid1(VALU_DEP_2)
	v_add_co_u32 v28, vcc_lo, v10, v28
	s_wait_alu 0xfffd
	v_add_co_ci_u32_e64 v29, null, v11, v29, vcc_lo
	flat_store_b32 v[28:29], v12
.LBB288_17:                             ;   in Loop: Header=BB288_6 Depth=1
	s_wait_alu 0xfffe
	s_or_b32 exec_lo, exec_lo, s8
	s_and_saveexec_b32 s8, s14
	s_cbranch_execz .LBB288_21
; %bb.18:                               ;   in Loop: Header=BB288_6 Depth=1
	v_mul_f32_e32 v12, s26, v27
	s_and_not1_b32 vcc_lo, exec_lo, s28
	s_wait_alu 0xfffe
	s_cbranch_vccnz .LBB288_29
; %bb.19:                               ;   in Loop: Header=BB288_6 Depth=1
	v_lshlrev_b64_e32 v[27:28], 2, v[2:3]
	s_delay_alu instid0(VALU_DEP_1) | instskip(SKIP_1) | instid1(VALU_DEP_2)
	v_add_co_u32 v27, vcc_lo, v10, v27
	s_wait_alu 0xfffd
	v_add_co_ci_u32_e64 v28, null, v11, v28, vcc_lo
	flat_load_b32 v13, v[27:28]
	s_wait_loadcnt_dscnt 0x0
	v_fma_f32 v13, s19, v13, v12
	flat_store_b32 v[27:28], v13
	s_cbranch_execnz .LBB288_21
.LBB288_20:                             ;   in Loop: Header=BB288_6 Depth=1
	v_lshlrev_b64_e32 v[27:28], 2, v[2:3]
	s_delay_alu instid0(VALU_DEP_1) | instskip(SKIP_1) | instid1(VALU_DEP_2)
	v_add_co_u32 v10, vcc_lo, v10, v27
	s_wait_alu 0xfffd
	v_add_co_ci_u32_e64 v11, null, v11, v28, vcc_lo
	flat_store_b32 v[10:11], v12
.LBB288_21:                             ;   in Loop: Header=BB288_6 Depth=1
	s_wait_alu 0xfffe
	s_or_b32 exec_lo, exec_lo, s8
	v_add_co_u32 v10, vcc_lo, v8, v6
	s_wait_alu 0xfffd
	v_add_co_ci_u32_e64 v11, null, v9, v7, vcc_lo
	s_and_saveexec_b32 s8, s18
	s_cbranch_execz .LBB288_25
; %bb.22:                               ;   in Loop: Header=BB288_6 Depth=1
	v_lshlrev_b64_e32 v[8:9], 2, v[0:1]
	v_mul_f32_e32 v12, s26, v26
	s_and_not1_b32 vcc_lo, exec_lo, s28
	s_wait_alu 0xfffe
	s_cbranch_vccnz .LBB288_30
; %bb.23:                               ;   in Loop: Header=BB288_6 Depth=1
	s_delay_alu instid0(VALU_DEP_2)
	v_add_co_u32 v26, vcc_lo, v10, v8
	s_wait_alu 0xfffd
	v_add_co_ci_u32_e64 v27, null, v11, v9, vcc_lo
	flat_load_b32 v13, v[26:27]
	s_wait_loadcnt_dscnt 0x0
	v_fma_f32 v13, s19, v13, v12
	flat_store_b32 v[26:27], v13
	s_cbranch_execnz .LBB288_25
.LBB288_24:                             ;   in Loop: Header=BB288_6 Depth=1
	v_add_co_u32 v8, vcc_lo, v10, v8
	s_wait_alu 0xfffd
	v_add_co_ci_u32_e64 v9, null, v11, v9, vcc_lo
	flat_store_b32 v[8:9], v12
.LBB288_25:                             ;   in Loop: Header=BB288_6 Depth=1
	s_wait_alu 0xfffe
	s_or_b32 exec_lo, exec_lo, s8
	s_and_saveexec_b32 s8, s13
	s_cbranch_execz .LBB288_5
; %bb.26:                               ;   in Loop: Header=BB288_6 Depth=1
	v_lshlrev_b64_e32 v[8:9], 2, v[2:3]
	v_mul_f32_e32 v12, s26, v25
	s_and_not1_b32 vcc_lo, exec_lo, s28
	s_wait_alu 0xfffe
	s_cbranch_vccnz .LBB288_31
; %bb.27:                               ;   in Loop: Header=BB288_6 Depth=1
	s_delay_alu instid0(VALU_DEP_2)
	v_add_co_u32 v25, vcc_lo, v10, v8
	s_wait_alu 0xfffd
	v_add_co_ci_u32_e64 v26, null, v11, v9, vcc_lo
	flat_load_b32 v13, v[25:26]
	s_wait_loadcnt_dscnt 0x0
	v_fma_f32 v13, s19, v13, v12
	flat_store_b32 v[25:26], v13
	s_cbranch_execnz .LBB288_5
	s_branch .LBB288_32
.LBB288_28:                             ;   in Loop: Header=BB288_6 Depth=1
	s_branch .LBB288_16
.LBB288_29:                             ;   in Loop: Header=BB288_6 Depth=1
	s_branch .LBB288_20
.LBB288_30:                             ;   in Loop: Header=BB288_6 Depth=1
	s_branch .LBB288_24
.LBB288_31:                             ;   in Loop: Header=BB288_6 Depth=1
.LBB288_32:                             ;   in Loop: Header=BB288_6 Depth=1
	s_delay_alu instid0(VALU_DEP_2)
	v_add_co_u32 v8, vcc_lo, v10, v8
	s_wait_alu 0xfffd
	v_add_co_ci_u32_e64 v9, null, v11, v9, vcc_lo
	flat_store_b32 v[8:9], v12
	s_branch .LBB288_5
.LBB288_33:
	s_endpgm
	.section	.rodata,"a",@progbits
	.p2align	6, 0x0
	.amdhsa_kernel _ZL29rocblas_internal_gemmt_kernelIiLi16ELi32ELi8ELc78ELc78ELc85ELb0ELb0EfPKfPKS1_PKPfEviT_T9_T10_S7_lS9_S7_lS8_T11_S7_li
		.amdhsa_group_segment_fixed_size 2048
		.amdhsa_private_segment_fixed_size 0
		.amdhsa_kernarg_size 100
		.amdhsa_user_sgpr_count 2
		.amdhsa_user_sgpr_dispatch_ptr 0
		.amdhsa_user_sgpr_queue_ptr 0
		.amdhsa_user_sgpr_kernarg_segment_ptr 1
		.amdhsa_user_sgpr_dispatch_id 0
		.amdhsa_user_sgpr_private_segment_size 0
		.amdhsa_wavefront_size32 1
		.amdhsa_uses_dynamic_stack 0
		.amdhsa_enable_private_segment 0
		.amdhsa_system_sgpr_workgroup_id_x 1
		.amdhsa_system_sgpr_workgroup_id_y 1
		.amdhsa_system_sgpr_workgroup_id_z 1
		.amdhsa_system_sgpr_workgroup_info 0
		.amdhsa_system_vgpr_workitem_id 1
		.amdhsa_next_free_vgpr 55
		.amdhsa_next_free_sgpr 32
		.amdhsa_reserve_vcc 1
		.amdhsa_float_round_mode_32 0
		.amdhsa_float_round_mode_16_64 0
		.amdhsa_float_denorm_mode_32 3
		.amdhsa_float_denorm_mode_16_64 3
		.amdhsa_fp16_overflow 0
		.amdhsa_workgroup_processor_mode 1
		.amdhsa_memory_ordered 1
		.amdhsa_forward_progress 1
		.amdhsa_inst_pref_size 15
		.amdhsa_round_robin_scheduling 0
		.amdhsa_exception_fp_ieee_invalid_op 0
		.amdhsa_exception_fp_denorm_src 0
		.amdhsa_exception_fp_ieee_div_zero 0
		.amdhsa_exception_fp_ieee_overflow 0
		.amdhsa_exception_fp_ieee_underflow 0
		.amdhsa_exception_fp_ieee_inexact 0
		.amdhsa_exception_int_div_zero 0
	.end_amdhsa_kernel
	.section	.text._ZL29rocblas_internal_gemmt_kernelIiLi16ELi32ELi8ELc78ELc78ELc85ELb0ELb0EfPKfPKS1_PKPfEviT_T9_T10_S7_lS9_S7_lS8_T11_S7_li,"axG",@progbits,_ZL29rocblas_internal_gemmt_kernelIiLi16ELi32ELi8ELc78ELc78ELc85ELb0ELb0EfPKfPKS1_PKPfEviT_T9_T10_S7_lS9_S7_lS8_T11_S7_li,comdat
.Lfunc_end288:
	.size	_ZL29rocblas_internal_gemmt_kernelIiLi16ELi32ELi8ELc78ELc78ELc85ELb0ELb0EfPKfPKS1_PKPfEviT_T9_T10_S7_lS9_S7_lS8_T11_S7_li, .Lfunc_end288-_ZL29rocblas_internal_gemmt_kernelIiLi16ELi32ELi8ELc78ELc78ELc85ELb0ELb0EfPKfPKS1_PKPfEviT_T9_T10_S7_lS9_S7_lS8_T11_S7_li
                                        ; -- End function
	.set _ZL29rocblas_internal_gemmt_kernelIiLi16ELi32ELi8ELc78ELc78ELc85ELb0ELb0EfPKfPKS1_PKPfEviT_T9_T10_S7_lS9_S7_lS8_T11_S7_li.num_vgpr, 55
	.set _ZL29rocblas_internal_gemmt_kernelIiLi16ELi32ELi8ELc78ELc78ELc85ELb0ELb0EfPKfPKS1_PKPfEviT_T9_T10_S7_lS9_S7_lS8_T11_S7_li.num_agpr, 0
	.set _ZL29rocblas_internal_gemmt_kernelIiLi16ELi32ELi8ELc78ELc78ELc85ELb0ELb0EfPKfPKS1_PKPfEviT_T9_T10_S7_lS9_S7_lS8_T11_S7_li.numbered_sgpr, 32
	.set _ZL29rocblas_internal_gemmt_kernelIiLi16ELi32ELi8ELc78ELc78ELc85ELb0ELb0EfPKfPKS1_PKPfEviT_T9_T10_S7_lS9_S7_lS8_T11_S7_li.num_named_barrier, 0
	.set _ZL29rocblas_internal_gemmt_kernelIiLi16ELi32ELi8ELc78ELc78ELc85ELb0ELb0EfPKfPKS1_PKPfEviT_T9_T10_S7_lS9_S7_lS8_T11_S7_li.private_seg_size, 0
	.set _ZL29rocblas_internal_gemmt_kernelIiLi16ELi32ELi8ELc78ELc78ELc85ELb0ELb0EfPKfPKS1_PKPfEviT_T9_T10_S7_lS9_S7_lS8_T11_S7_li.uses_vcc, 1
	.set _ZL29rocblas_internal_gemmt_kernelIiLi16ELi32ELi8ELc78ELc78ELc85ELb0ELb0EfPKfPKS1_PKPfEviT_T9_T10_S7_lS9_S7_lS8_T11_S7_li.uses_flat_scratch, 0
	.set _ZL29rocblas_internal_gemmt_kernelIiLi16ELi32ELi8ELc78ELc78ELc85ELb0ELb0EfPKfPKS1_PKPfEviT_T9_T10_S7_lS9_S7_lS8_T11_S7_li.has_dyn_sized_stack, 0
	.set _ZL29rocblas_internal_gemmt_kernelIiLi16ELi32ELi8ELc78ELc78ELc85ELb0ELb0EfPKfPKS1_PKPfEviT_T9_T10_S7_lS9_S7_lS8_T11_S7_li.has_recursion, 0
	.set _ZL29rocblas_internal_gemmt_kernelIiLi16ELi32ELi8ELc78ELc78ELc85ELb0ELb0EfPKfPKS1_PKPfEviT_T9_T10_S7_lS9_S7_lS8_T11_S7_li.has_indirect_call, 0
	.section	.AMDGPU.csdata,"",@progbits
; Kernel info:
; codeLenInByte = 1908
; TotalNumSgprs: 34
; NumVgprs: 55
; ScratchSize: 0
; MemoryBound: 0
; FloatMode: 240
; IeeeMode: 1
; LDSByteSize: 2048 bytes/workgroup (compile time only)
; SGPRBlocks: 0
; VGPRBlocks: 6
; NumSGPRsForWavesPerEU: 34
; NumVGPRsForWavesPerEU: 55
; Occupancy: 16
; WaveLimiterHint : 1
; COMPUTE_PGM_RSRC2:SCRATCH_EN: 0
; COMPUTE_PGM_RSRC2:USER_SGPR: 2
; COMPUTE_PGM_RSRC2:TRAP_HANDLER: 0
; COMPUTE_PGM_RSRC2:TGID_X_EN: 1
; COMPUTE_PGM_RSRC2:TGID_Y_EN: 1
; COMPUTE_PGM_RSRC2:TGID_Z_EN: 1
; COMPUTE_PGM_RSRC2:TIDIG_COMP_CNT: 1
	.section	.text._ZL29rocblas_internal_gemmt_kernelIiLi16ELi32ELi8ELc78ELc84ELc85ELb0ELb0EfPKfPKS1_PKPfEviT_T9_T10_S7_lS9_S7_lS8_T11_S7_li,"axG",@progbits,_ZL29rocblas_internal_gemmt_kernelIiLi16ELi32ELi8ELc78ELc84ELc85ELb0ELb0EfPKfPKS1_PKPfEviT_T9_T10_S7_lS9_S7_lS8_T11_S7_li,comdat
	.globl	_ZL29rocblas_internal_gemmt_kernelIiLi16ELi32ELi8ELc78ELc84ELc85ELb0ELb0EfPKfPKS1_PKPfEviT_T9_T10_S7_lS9_S7_lS8_T11_S7_li ; -- Begin function _ZL29rocblas_internal_gemmt_kernelIiLi16ELi32ELi8ELc78ELc84ELc85ELb0ELb0EfPKfPKS1_PKPfEviT_T9_T10_S7_lS9_S7_lS8_T11_S7_li
	.p2align	8
	.type	_ZL29rocblas_internal_gemmt_kernelIiLi16ELi32ELi8ELc78ELc84ELc85ELb0ELb0EfPKfPKS1_PKPfEviT_T9_T10_S7_lS9_S7_lS8_T11_S7_li,@function
_ZL29rocblas_internal_gemmt_kernelIiLi16ELi32ELi8ELc78ELc84ELc85ELb0ELb0EfPKfPKS1_PKPfEviT_T9_T10_S7_lS9_S7_lS8_T11_S7_li: ; @_ZL29rocblas_internal_gemmt_kernelIiLi16ELi32ELi8ELc78ELc84ELc85ELb0ELb0EfPKfPKS1_PKPfEviT_T9_T10_S7_lS9_S7_lS8_T11_S7_li
; %bb.0:
	s_clause 0x1
	s_load_b128 s[12:15], s[0:1], 0x38
	s_load_b128 s[4:7], s[0:1], 0x8
	s_wait_kmcnt 0x0
	s_load_b32 s19, s[14:15], 0x0
	s_load_b64 s[14:15], s[0:1], 0x0
	s_load_b32 s28, s[4:5], 0x0
	s_wait_kmcnt 0x0
	s_cmp_neq_f32 s19, 1.0
	s_cselect_b32 s2, -1, 0
	s_delay_alu instid0(SALU_CYCLE_1)
	s_and_b32 vcc_lo, exec_lo, s2
	s_cbranch_vccnz .LBB289_2
; %bb.1:
	s_cmp_lg_u32 s15, 0
	s_cselect_b32 s2, -1, 0
	s_cmp_neq_f32 s28, 0
	s_cselect_b32 s3, -1, 0
	s_delay_alu instid0(SALU_CYCLE_1)
	s_and_b32 s2, s2, s3
.LBB289_2:
	s_delay_alu instid0(SALU_CYCLE_1)
	s_and_not1_b32 vcc_lo, exec_lo, s2
	s_cbranch_vccnz .LBB289_33
; %bb.3:
	s_load_b32 s29, s[0:1], 0x60
	s_lshr_b32 s20, ttmp7, 16
	s_wait_kmcnt 0x0
	s_cmp_ge_u32 s20, s29
	s_cbranch_scc1 .LBB289_33
; %bb.4:
	s_clause 0x1
	s_load_b32 s22, s[0:1], 0x18
	s_load_b32 s24, s[0:1], 0x30
	v_and_b32_e32 v1, 0x3ff, v0
	v_bfe_u32 v2, v0, 10, 10
	v_and_b32_e32 v14, 7, v0
	s_clause 0x2
	s_load_b128 s[8:11], s[0:1], 0x20
	s_load_b96 s[16:18], s[0:1], 0x48
	s_load_b64 s[26:27], s[0:1], 0x58
	s_lshl_b32 s0, ttmp7, 5
	v_lshl_add_u32 v0, v2, 4, v1
	v_lshlrev_b32_e32 v5, 2, v14
	s_lshl_b32 s2, ttmp9, 5
	s_and_b32 s3, s0, 0x1fffe0
	v_lshl_add_u32 v19, v2, 5, 0x400
	v_and_b32_e32 v3, 31, v0
	v_lshrrev_b32_e32 v15, 5, v0
	v_lshrrev_b32_e32 v0, 3, v0
	s_mov_b32 s21, 0
	s_delay_alu instid0(VALU_DEP_3) | instskip(SKIP_1) | instid1(VALU_DEP_3)
	v_or_b32_e32 v4, s2, v3
	v_lshlrev_b32_e32 v3, 2, v3
	v_add_nc_u32_e32 v22, s3, v0
	v_lshl_or_b32 v0, v0, 5, v5
	s_wait_kmcnt 0x0
	s_ashr_i32 s23, s22, 31
	s_ashr_i32 s25, s24, 31
	s_cmp_neq_f32 s28, 0
	v_lshl_or_b32 v16, v15, 7, v3
	v_add_nc_u32_e32 v17, 0x400, v0
	v_add_nc_u32_e32 v3, s3, v2
	;; [unrolled: 1-line block ×3, first 2 shown]
	s_cselect_b32 s5, -1, 0
	s_cmp_gt_i32 s15, 0
	v_mad_co_i64_i32 v[8:9], null, v15, s22, 0
	v_cmp_gt_i32_e32 vcc_lo, s14, v3
	v_cmp_le_i32_e64 s2, v0, v3
	v_add_nc_u32_e32 v2, 16, v0
	s_cselect_b32 s34, -1, 0
	s_cmp_neq_f32 s19, 0
	v_add_nc_u32_e32 v5, 16, v3
	v_cmp_gt_i32_e64 s0, s14, v4
	v_cmp_gt_i32_e64 s1, s14, v22
	s_cselect_b32 s30, -1, 0
	s_and_b32 s31, vcc_lo, s2
	v_cmp_le_i32_e64 s2, v2, v3
	v_cmp_gt_i32_e64 s3, s14, v5
	v_cmp_le_i32_e64 s4, v0, v5
	v_lshlrev_b64_e32 v[8:9], 2, v[8:9]
	v_mad_co_i64_i32 v[12:13], null, s24, v14, 0
	s_and_b32 s14, vcc_lo, s2
	v_cmp_le_i32_e32 vcc_lo, v2, v5
	v_mad_co_i64_i32 v[10:11], null, v5, s18, 0
	v_ashrrev_i32_e32 v5, 31, v4
	v_mad_co_i64_i32 v[6:7], null, v3, s18, 0
	s_and_b32 s18, s3, s4
	s_and_b32 s33, s3, vcc_lo
	s_lshl_b64 s[2:3], s[8:9], 2
	v_lshlrev_b64_e32 v[4:5], 2, v[4:5]
	s_wait_alu 0xfffe
	v_add_co_u32 v20, vcc_lo, v8, s2
	s_delay_alu instid0(VALU_DEP_1) | instskip(SKIP_1) | instid1(VALU_DEP_3)
	v_add_co_ci_u32_e64 v21, null, s3, v9, vcc_lo
	v_lshlrev_b64_e32 v[8:9], 2, v[12:13]
	v_add_co_u32 v20, vcc_lo, v20, v4
	s_lshl_b64 s[2:3], s[12:13], 2
	s_wait_alu 0xfffd
	v_add_co_ci_u32_e64 v21, null, v21, v5, vcc_lo
	v_lshlrev_b32_e32 v4, 2, v22
	s_wait_alu 0xfffe
	v_add_co_u32 v5, vcc_lo, v8, s2
	s_wait_alu 0xfffd
	v_add_co_ci_u32_e64 v8, null, s3, v9, vcc_lo
	v_ashrrev_i32_e32 v3, 31, v2
	s_delay_alu instid0(VALU_DEP_3)
	v_add_co_u32 v23, vcc_lo, v5, v4
	v_lshlrev_b64_e32 v[4:5], 2, v[6:7]
	v_lshlrev_b64_e32 v[6:7], 2, v[10:11]
	v_mov_b32_e32 v22, 0
	v_lshlrev_b32_e32 v18, 2, v1
	v_ashrrev_i32_e32 v1, 31, v0
	s_wait_alu 0xfffd
	v_add_co_ci_u32_e64 v24, null, 0, v8, vcc_lo
	s_and_b32 s34, s5, s34
	s_lshl_b64 s[2:3], s[22:23], 5
	s_lshl_b64 s[4:5], s[24:25], 5
	;; [unrolled: 1-line block ×3, first 2 shown]
	s_branch .LBB289_6
.LBB289_5:                              ;   in Loop: Header=BB289_6 Depth=1
	s_wait_alu 0xfffe
	s_or_b32 exec_lo, exec_lo, s12
	s_add_co_i32 s20, s20, 0x10000
	s_delay_alu instid0(SALU_CYCLE_1)
	s_cmp_lt_u32 s20, s29
	s_cbranch_scc0 .LBB289_33
.LBB289_6:                              ; =>This Loop Header: Depth=1
                                        ;     Child Loop BB289_9 Depth 2
	s_lshl_b64 s[12:13], s[20:21], 3
	v_dual_mov_b32 v28, 0 :: v_dual_mov_b32 v27, 0
	s_wait_alu 0xfffe
	s_add_nc_u64 s[22:23], s[16:17], s[12:13]
	v_dual_mov_b32 v26, 0 :: v_dual_mov_b32 v25, 0
	global_load_b64 v[8:9], v22, s[22:23]
	s_and_not1_b32 vcc_lo, exec_lo, s34
	s_wait_alu 0xfffe
	s_cbranch_vccnz .LBB289_13
; %bb.7:                                ;   in Loop: Header=BB289_6 Depth=1
	s_add_nc_u64 s[22:23], s[6:7], s[12:13]
	s_add_nc_u64 s[12:13], s[10:11], s[12:13]
	s_clause 0x1
	global_load_b64 v[10:11], v22, s[22:23]
	global_load_b64 v[12:13], v22, s[12:13]
	v_dual_mov_b32 v25, 0 :: v_dual_mov_b32 v26, 0
	v_dual_mov_b32 v27, 0 :: v_dual_mov_b32 v28, 0
	s_mov_b32 s12, 0
	s_wait_loadcnt 0x1
	v_add_co_u32 v10, vcc_lo, v10, v20
	s_wait_alu 0xfffd
	v_add_co_ci_u32_e64 v11, null, v11, v21, vcc_lo
	s_wait_loadcnt 0x0
	v_add_co_u32 v12, vcc_lo, v12, v23
	s_wait_alu 0xfffd
	v_add_co_ci_u32_e64 v13, null, v13, v24, vcc_lo
	s_branch .LBB289_9
.LBB289_8:                              ;   in Loop: Header=BB289_9 Depth=2
	s_wait_alu 0xfffe
	s_or_b32 exec_lo, exec_lo, s13
	s_wait_loadcnt_dscnt 0x0
	ds_store_b32 v17, v30
	s_wait_dscnt 0x0
	s_barrier_signal -1
	s_barrier_wait -1
	global_inv scope:SCOPE_SE
	ds_load_b128 v[29:32], v19
	ds_load_2addr_b32 v[45:46], v18 offset1:16
	ds_load_b128 v[33:36], v19 offset:512
	ds_load_2addr_b32 v[47:48], v18 offset0:32 offset1:48
	ds_load_2addr_b32 v[49:50], v18 offset0:64 offset1:80
	;; [unrolled: 1-line block ×3, first 2 shown]
	ds_load_b128 v[37:40], v19 offset:16
	ds_load_2addr_b32 v[53:54], v18 offset0:128 offset1:144
	ds_load_b128 v[41:44], v19 offset:528
	v_add_co_u32 v10, vcc_lo, v10, s2
	s_wait_alu 0xfffd
	v_add_co_ci_u32_e64 v11, null, s3, v11, vcc_lo
	v_add_co_u32 v12, vcc_lo, v12, s4
	s_wait_alu 0xfffd
	v_add_co_ci_u32_e64 v13, null, s5, v13, vcc_lo
	s_add_co_i32 s12, s12, 8
	s_wait_alu 0xfffe
	s_cmp_lt_i32 s12, s15
	s_wait_dscnt 0x7
	v_fmac_f32_e32 v27, v46, v29
	v_fmac_f32_e32 v28, v45, v29
	s_wait_dscnt 0x6
	v_fmac_f32_e32 v25, v46, v33
	v_fmac_f32_e32 v26, v45, v33
	ds_load_2addr_b32 v[45:46], v18 offset0:160 offset1:176
	s_wait_dscnt 0x6
	v_fmac_f32_e32 v27, v48, v30
	v_fmac_f32_e32 v28, v47, v30
	v_fmac_f32_e32 v25, v48, v34
	v_fmac_f32_e32 v26, v47, v34
	ds_load_2addr_b32 v[29:30], v18 offset0:192 offset1:208
	s_wait_dscnt 0x6
	v_fmac_f32_e32 v27, v50, v31
	v_fmac_f32_e32 v28, v49, v31
	;; [unrolled: 6-line block ×3, first 2 shown]
	v_fmac_f32_e32 v25, v52, v36
	v_fmac_f32_e32 v26, v51, v36
	s_wait_loadcnt_dscnt 0x0
	v_fmac_f32_e32 v27, v54, v37
	v_fmac_f32_e32 v28, v53, v37
	;; [unrolled: 1-line block ×4, first 2 shown]
	s_barrier_signal -1
	v_fmac_f32_e32 v27, v46, v38
	v_fmac_f32_e32 v28, v45, v38
	;; [unrolled: 1-line block ×4, first 2 shown]
	s_barrier_wait -1
	v_fmac_f32_e32 v27, v30, v39
	v_fmac_f32_e32 v28, v29, v39
	;; [unrolled: 1-line block ×4, first 2 shown]
	global_inv scope:SCOPE_SE
	v_fmac_f32_e32 v27, v34, v40
	v_fmac_f32_e32 v28, v33, v40
	;; [unrolled: 1-line block ×4, first 2 shown]
	s_cbranch_scc0 .LBB289_13
.LBB289_9:                              ;   Parent Loop BB289_6 Depth=1
                                        ; =>  This Inner Loop Header: Depth=2
	s_wait_alu 0xfffe
	v_add_nc_u32_e32 v29, s12, v15
	s_delay_alu instid0(VALU_DEP_1)
	v_cmp_gt_i32_e32 vcc_lo, s15, v29
	v_mov_b32_e32 v29, 0
	s_and_b32 s22, s0, vcc_lo
	s_wait_alu 0xfffe
	s_and_saveexec_b32 s13, s22
	s_cbranch_execz .LBB289_11
; %bb.10:                               ;   in Loop: Header=BB289_9 Depth=2
	flat_load_b32 v29, v[10:11]
.LBB289_11:                             ;   in Loop: Header=BB289_9 Depth=2
	s_wait_alu 0xfffe
	s_or_b32 exec_lo, exec_lo, s13
	v_add_nc_u32_e32 v30, s12, v14
	s_wait_loadcnt_dscnt 0x0
	ds_store_b32 v16, v29
	v_cmp_gt_i32_e32 vcc_lo, s15, v30
	v_mov_b32_e32 v30, 0
	s_and_b32 s22, vcc_lo, s1
	s_wait_alu 0xfffe
	s_and_saveexec_b32 s13, s22
	s_cbranch_execz .LBB289_8
; %bb.12:                               ;   in Loop: Header=BB289_9 Depth=2
	flat_load_b32 v30, v[12:13]
	s_branch .LBB289_8
.LBB289_13:                             ;   in Loop: Header=BB289_6 Depth=1
	s_wait_loadcnt 0x0
	v_add_co_u32 v8, vcc_lo, v8, s8
	s_wait_alu 0xfffd
	v_add_co_ci_u32_e64 v9, null, s9, v9, vcc_lo
	s_delay_alu instid0(VALU_DEP_2) | instskip(SKIP_1) | instid1(VALU_DEP_2)
	v_add_co_u32 v10, vcc_lo, v8, v4
	s_wait_alu 0xfffd
	v_add_co_ci_u32_e64 v11, null, v9, v5, vcc_lo
	s_and_saveexec_b32 s12, s31
	s_cbranch_execz .LBB289_17
; %bb.14:                               ;   in Loop: Header=BB289_6 Depth=1
	v_mul_f32_e32 v12, s28, v28
	s_and_b32 vcc_lo, exec_lo, s30
	s_wait_alu 0xfffe
	s_cbranch_vccz .LBB289_28
; %bb.15:                               ;   in Loop: Header=BB289_6 Depth=1
	v_lshlrev_b64_e32 v[28:29], 2, v[0:1]
	s_delay_alu instid0(VALU_DEP_1) | instskip(SKIP_1) | instid1(VALU_DEP_2)
	v_add_co_u32 v28, vcc_lo, v10, v28
	s_wait_alu 0xfffd
	v_add_co_ci_u32_e64 v29, null, v11, v29, vcc_lo
	flat_load_b32 v13, v[28:29]
	s_wait_loadcnt_dscnt 0x0
	v_fma_f32 v13, s19, v13, v12
	flat_store_b32 v[28:29], v13
	s_cbranch_execnz .LBB289_17
.LBB289_16:                             ;   in Loop: Header=BB289_6 Depth=1
	v_lshlrev_b64_e32 v[28:29], 2, v[0:1]
	s_delay_alu instid0(VALU_DEP_1) | instskip(SKIP_1) | instid1(VALU_DEP_2)
	v_add_co_u32 v28, vcc_lo, v10, v28
	s_wait_alu 0xfffd
	v_add_co_ci_u32_e64 v29, null, v11, v29, vcc_lo
	flat_store_b32 v[28:29], v12
.LBB289_17:                             ;   in Loop: Header=BB289_6 Depth=1
	s_wait_alu 0xfffe
	s_or_b32 exec_lo, exec_lo, s12
	s_and_saveexec_b32 s12, s14
	s_cbranch_execz .LBB289_21
; %bb.18:                               ;   in Loop: Header=BB289_6 Depth=1
	v_mul_f32_e32 v12, s28, v27
	s_and_not1_b32 vcc_lo, exec_lo, s30
	s_wait_alu 0xfffe
	s_cbranch_vccnz .LBB289_29
; %bb.19:                               ;   in Loop: Header=BB289_6 Depth=1
	v_lshlrev_b64_e32 v[27:28], 2, v[2:3]
	s_delay_alu instid0(VALU_DEP_1) | instskip(SKIP_1) | instid1(VALU_DEP_2)
	v_add_co_u32 v27, vcc_lo, v10, v27
	s_wait_alu 0xfffd
	v_add_co_ci_u32_e64 v28, null, v11, v28, vcc_lo
	flat_load_b32 v13, v[27:28]
	s_wait_loadcnt_dscnt 0x0
	v_fma_f32 v13, s19, v13, v12
	flat_store_b32 v[27:28], v13
	s_cbranch_execnz .LBB289_21
.LBB289_20:                             ;   in Loop: Header=BB289_6 Depth=1
	v_lshlrev_b64_e32 v[27:28], 2, v[2:3]
	s_delay_alu instid0(VALU_DEP_1) | instskip(SKIP_1) | instid1(VALU_DEP_2)
	v_add_co_u32 v10, vcc_lo, v10, v27
	s_wait_alu 0xfffd
	v_add_co_ci_u32_e64 v11, null, v11, v28, vcc_lo
	flat_store_b32 v[10:11], v12
.LBB289_21:                             ;   in Loop: Header=BB289_6 Depth=1
	s_wait_alu 0xfffe
	s_or_b32 exec_lo, exec_lo, s12
	v_add_co_u32 v10, vcc_lo, v8, v6
	s_wait_alu 0xfffd
	v_add_co_ci_u32_e64 v11, null, v9, v7, vcc_lo
	s_and_saveexec_b32 s12, s18
	s_cbranch_execz .LBB289_25
; %bb.22:                               ;   in Loop: Header=BB289_6 Depth=1
	v_lshlrev_b64_e32 v[8:9], 2, v[0:1]
	v_mul_f32_e32 v12, s28, v26
	s_and_not1_b32 vcc_lo, exec_lo, s30
	s_wait_alu 0xfffe
	s_cbranch_vccnz .LBB289_30
; %bb.23:                               ;   in Loop: Header=BB289_6 Depth=1
	s_delay_alu instid0(VALU_DEP_2)
	v_add_co_u32 v26, vcc_lo, v10, v8
	s_wait_alu 0xfffd
	v_add_co_ci_u32_e64 v27, null, v11, v9, vcc_lo
	flat_load_b32 v13, v[26:27]
	s_wait_loadcnt_dscnt 0x0
	v_fma_f32 v13, s19, v13, v12
	flat_store_b32 v[26:27], v13
	s_cbranch_execnz .LBB289_25
.LBB289_24:                             ;   in Loop: Header=BB289_6 Depth=1
	v_add_co_u32 v8, vcc_lo, v10, v8
	s_wait_alu 0xfffd
	v_add_co_ci_u32_e64 v9, null, v11, v9, vcc_lo
	flat_store_b32 v[8:9], v12
.LBB289_25:                             ;   in Loop: Header=BB289_6 Depth=1
	s_wait_alu 0xfffe
	s_or_b32 exec_lo, exec_lo, s12
	s_and_saveexec_b32 s12, s33
	s_cbranch_execz .LBB289_5
; %bb.26:                               ;   in Loop: Header=BB289_6 Depth=1
	v_lshlrev_b64_e32 v[8:9], 2, v[2:3]
	v_mul_f32_e32 v12, s28, v25
	s_and_not1_b32 vcc_lo, exec_lo, s30
	s_wait_alu 0xfffe
	s_cbranch_vccnz .LBB289_31
; %bb.27:                               ;   in Loop: Header=BB289_6 Depth=1
	s_delay_alu instid0(VALU_DEP_2)
	v_add_co_u32 v25, vcc_lo, v10, v8
	s_wait_alu 0xfffd
	v_add_co_ci_u32_e64 v26, null, v11, v9, vcc_lo
	flat_load_b32 v13, v[25:26]
	s_wait_loadcnt_dscnt 0x0
	v_fma_f32 v13, s19, v13, v12
	flat_store_b32 v[25:26], v13
	s_cbranch_execnz .LBB289_5
	s_branch .LBB289_32
.LBB289_28:                             ;   in Loop: Header=BB289_6 Depth=1
	s_branch .LBB289_16
.LBB289_29:                             ;   in Loop: Header=BB289_6 Depth=1
	s_branch .LBB289_20
.LBB289_30:                             ;   in Loop: Header=BB289_6 Depth=1
	s_branch .LBB289_24
.LBB289_31:                             ;   in Loop: Header=BB289_6 Depth=1
.LBB289_32:                             ;   in Loop: Header=BB289_6 Depth=1
	s_delay_alu instid0(VALU_DEP_2)
	v_add_co_u32 v8, vcc_lo, v10, v8
	s_wait_alu 0xfffd
	v_add_co_ci_u32_e64 v9, null, v11, v9, vcc_lo
	flat_store_b32 v[8:9], v12
	s_branch .LBB289_5
.LBB289_33:
	s_endpgm
	.section	.rodata,"a",@progbits
	.p2align	6, 0x0
	.amdhsa_kernel _ZL29rocblas_internal_gemmt_kernelIiLi16ELi32ELi8ELc78ELc84ELc85ELb0ELb0EfPKfPKS1_PKPfEviT_T9_T10_S7_lS9_S7_lS8_T11_S7_li
		.amdhsa_group_segment_fixed_size 2048
		.amdhsa_private_segment_fixed_size 0
		.amdhsa_kernarg_size 100
		.amdhsa_user_sgpr_count 2
		.amdhsa_user_sgpr_dispatch_ptr 0
		.amdhsa_user_sgpr_queue_ptr 0
		.amdhsa_user_sgpr_kernarg_segment_ptr 1
		.amdhsa_user_sgpr_dispatch_id 0
		.amdhsa_user_sgpr_private_segment_size 0
		.amdhsa_wavefront_size32 1
		.amdhsa_uses_dynamic_stack 0
		.amdhsa_enable_private_segment 0
		.amdhsa_system_sgpr_workgroup_id_x 1
		.amdhsa_system_sgpr_workgroup_id_y 1
		.amdhsa_system_sgpr_workgroup_id_z 1
		.amdhsa_system_sgpr_workgroup_info 0
		.amdhsa_system_vgpr_workitem_id 1
		.amdhsa_next_free_vgpr 55
		.amdhsa_next_free_sgpr 35
		.amdhsa_reserve_vcc 1
		.amdhsa_float_round_mode_32 0
		.amdhsa_float_round_mode_16_64 0
		.amdhsa_float_denorm_mode_32 3
		.amdhsa_float_denorm_mode_16_64 3
		.amdhsa_fp16_overflow 0
		.amdhsa_workgroup_processor_mode 1
		.amdhsa_memory_ordered 1
		.amdhsa_forward_progress 1
		.amdhsa_inst_pref_size 15
		.amdhsa_round_robin_scheduling 0
		.amdhsa_exception_fp_ieee_invalid_op 0
		.amdhsa_exception_fp_denorm_src 0
		.amdhsa_exception_fp_ieee_div_zero 0
		.amdhsa_exception_fp_ieee_overflow 0
		.amdhsa_exception_fp_ieee_underflow 0
		.amdhsa_exception_fp_ieee_inexact 0
		.amdhsa_exception_int_div_zero 0
	.end_amdhsa_kernel
	.section	.text._ZL29rocblas_internal_gemmt_kernelIiLi16ELi32ELi8ELc78ELc84ELc85ELb0ELb0EfPKfPKS1_PKPfEviT_T9_T10_S7_lS9_S7_lS8_T11_S7_li,"axG",@progbits,_ZL29rocblas_internal_gemmt_kernelIiLi16ELi32ELi8ELc78ELc84ELc85ELb0ELb0EfPKfPKS1_PKPfEviT_T9_T10_S7_lS9_S7_lS8_T11_S7_li,comdat
.Lfunc_end289:
	.size	_ZL29rocblas_internal_gemmt_kernelIiLi16ELi32ELi8ELc78ELc84ELc85ELb0ELb0EfPKfPKS1_PKPfEviT_T9_T10_S7_lS9_S7_lS8_T11_S7_li, .Lfunc_end289-_ZL29rocblas_internal_gemmt_kernelIiLi16ELi32ELi8ELc78ELc84ELc85ELb0ELb0EfPKfPKS1_PKPfEviT_T9_T10_S7_lS9_S7_lS8_T11_S7_li
                                        ; -- End function
	.set _ZL29rocblas_internal_gemmt_kernelIiLi16ELi32ELi8ELc78ELc84ELc85ELb0ELb0EfPKfPKS1_PKPfEviT_T9_T10_S7_lS9_S7_lS8_T11_S7_li.num_vgpr, 55
	.set _ZL29rocblas_internal_gemmt_kernelIiLi16ELi32ELi8ELc78ELc84ELc85ELb0ELb0EfPKfPKS1_PKPfEviT_T9_T10_S7_lS9_S7_lS8_T11_S7_li.num_agpr, 0
	.set _ZL29rocblas_internal_gemmt_kernelIiLi16ELi32ELi8ELc78ELc84ELc85ELb0ELb0EfPKfPKS1_PKPfEviT_T9_T10_S7_lS9_S7_lS8_T11_S7_li.numbered_sgpr, 35
	.set _ZL29rocblas_internal_gemmt_kernelIiLi16ELi32ELi8ELc78ELc84ELc85ELb0ELb0EfPKfPKS1_PKPfEviT_T9_T10_S7_lS9_S7_lS8_T11_S7_li.num_named_barrier, 0
	.set _ZL29rocblas_internal_gemmt_kernelIiLi16ELi32ELi8ELc78ELc84ELc85ELb0ELb0EfPKfPKS1_PKPfEviT_T9_T10_S7_lS9_S7_lS8_T11_S7_li.private_seg_size, 0
	.set _ZL29rocblas_internal_gemmt_kernelIiLi16ELi32ELi8ELc78ELc84ELc85ELb0ELb0EfPKfPKS1_PKPfEviT_T9_T10_S7_lS9_S7_lS8_T11_S7_li.uses_vcc, 1
	.set _ZL29rocblas_internal_gemmt_kernelIiLi16ELi32ELi8ELc78ELc84ELc85ELb0ELb0EfPKfPKS1_PKPfEviT_T9_T10_S7_lS9_S7_lS8_T11_S7_li.uses_flat_scratch, 0
	.set _ZL29rocblas_internal_gemmt_kernelIiLi16ELi32ELi8ELc78ELc84ELc85ELb0ELb0EfPKfPKS1_PKPfEviT_T9_T10_S7_lS9_S7_lS8_T11_S7_li.has_dyn_sized_stack, 0
	.set _ZL29rocblas_internal_gemmt_kernelIiLi16ELi32ELi8ELc78ELc84ELc85ELb0ELb0EfPKfPKS1_PKPfEviT_T9_T10_S7_lS9_S7_lS8_T11_S7_li.has_recursion, 0
	.set _ZL29rocblas_internal_gemmt_kernelIiLi16ELi32ELi8ELc78ELc84ELc85ELb0ELb0EfPKfPKS1_PKPfEviT_T9_T10_S7_lS9_S7_lS8_T11_S7_li.has_indirect_call, 0
	.section	.AMDGPU.csdata,"",@progbits
; Kernel info:
; codeLenInByte = 1916
; TotalNumSgprs: 37
; NumVgprs: 55
; ScratchSize: 0
; MemoryBound: 0
; FloatMode: 240
; IeeeMode: 1
; LDSByteSize: 2048 bytes/workgroup (compile time only)
; SGPRBlocks: 0
; VGPRBlocks: 6
; NumSGPRsForWavesPerEU: 37
; NumVGPRsForWavesPerEU: 55
; Occupancy: 16
; WaveLimiterHint : 1
; COMPUTE_PGM_RSRC2:SCRATCH_EN: 0
; COMPUTE_PGM_RSRC2:USER_SGPR: 2
; COMPUTE_PGM_RSRC2:TRAP_HANDLER: 0
; COMPUTE_PGM_RSRC2:TGID_X_EN: 1
; COMPUTE_PGM_RSRC2:TGID_Y_EN: 1
; COMPUTE_PGM_RSRC2:TGID_Z_EN: 1
; COMPUTE_PGM_RSRC2:TIDIG_COMP_CNT: 1
	.section	.text._ZL29rocblas_internal_gemmt_kernelIiLi16ELi32ELi8ELc78ELc67ELc85ELb0ELb0EfPKfPKS1_PKPfEviT_T9_T10_S7_lS9_S7_lS8_T11_S7_li,"axG",@progbits,_ZL29rocblas_internal_gemmt_kernelIiLi16ELi32ELi8ELc78ELc67ELc85ELb0ELb0EfPKfPKS1_PKPfEviT_T9_T10_S7_lS9_S7_lS8_T11_S7_li,comdat
	.globl	_ZL29rocblas_internal_gemmt_kernelIiLi16ELi32ELi8ELc78ELc67ELc85ELb0ELb0EfPKfPKS1_PKPfEviT_T9_T10_S7_lS9_S7_lS8_T11_S7_li ; -- Begin function _ZL29rocblas_internal_gemmt_kernelIiLi16ELi32ELi8ELc78ELc67ELc85ELb0ELb0EfPKfPKS1_PKPfEviT_T9_T10_S7_lS9_S7_lS8_T11_S7_li
	.p2align	8
	.type	_ZL29rocblas_internal_gemmt_kernelIiLi16ELi32ELi8ELc78ELc67ELc85ELb0ELb0EfPKfPKS1_PKPfEviT_T9_T10_S7_lS9_S7_lS8_T11_S7_li,@function
_ZL29rocblas_internal_gemmt_kernelIiLi16ELi32ELi8ELc78ELc67ELc85ELb0ELb0EfPKfPKS1_PKPfEviT_T9_T10_S7_lS9_S7_lS8_T11_S7_li: ; @_ZL29rocblas_internal_gemmt_kernelIiLi16ELi32ELi8ELc78ELc67ELc85ELb0ELb0EfPKfPKS1_PKPfEviT_T9_T10_S7_lS9_S7_lS8_T11_S7_li
; %bb.0:
	s_clause 0x1
	s_load_b128 s[12:15], s[0:1], 0x38
	s_load_b128 s[4:7], s[0:1], 0x8
	s_wait_kmcnt 0x0
	s_load_b32 s19, s[14:15], 0x0
	s_load_b64 s[14:15], s[0:1], 0x0
	s_load_b32 s28, s[4:5], 0x0
	s_wait_kmcnt 0x0
	s_cmp_neq_f32 s19, 1.0
	s_cselect_b32 s2, -1, 0
	s_delay_alu instid0(SALU_CYCLE_1)
	s_and_b32 vcc_lo, exec_lo, s2
	s_cbranch_vccnz .LBB290_2
; %bb.1:
	s_cmp_lg_u32 s15, 0
	s_cselect_b32 s2, -1, 0
	s_cmp_neq_f32 s28, 0
	s_cselect_b32 s3, -1, 0
	s_delay_alu instid0(SALU_CYCLE_1)
	s_and_b32 s2, s2, s3
.LBB290_2:
	s_delay_alu instid0(SALU_CYCLE_1)
	s_and_not1_b32 vcc_lo, exec_lo, s2
	s_cbranch_vccnz .LBB290_33
; %bb.3:
	s_load_b32 s29, s[0:1], 0x60
	s_lshr_b32 s20, ttmp7, 16
	s_wait_kmcnt 0x0
	s_cmp_ge_u32 s20, s29
	s_cbranch_scc1 .LBB290_33
; %bb.4:
	s_clause 0x1
	s_load_b32 s22, s[0:1], 0x18
	s_load_b32 s24, s[0:1], 0x30
	v_and_b32_e32 v1, 0x3ff, v0
	v_bfe_u32 v2, v0, 10, 10
	v_and_b32_e32 v14, 7, v0
	s_clause 0x2
	s_load_b128 s[8:11], s[0:1], 0x20
	s_load_b96 s[16:18], s[0:1], 0x48
	s_load_b64 s[26:27], s[0:1], 0x58
	s_lshl_b32 s0, ttmp7, 5
	v_lshl_add_u32 v0, v2, 4, v1
	v_lshlrev_b32_e32 v5, 2, v14
	s_lshl_b32 s2, ttmp9, 5
	s_and_b32 s3, s0, 0x1fffe0
	v_lshl_add_u32 v19, v2, 5, 0x400
	v_and_b32_e32 v3, 31, v0
	v_lshrrev_b32_e32 v15, 5, v0
	v_lshrrev_b32_e32 v0, 3, v0
	s_mov_b32 s21, 0
	s_delay_alu instid0(VALU_DEP_3) | instskip(SKIP_1) | instid1(VALU_DEP_3)
	v_or_b32_e32 v4, s2, v3
	v_lshlrev_b32_e32 v3, 2, v3
	v_add_nc_u32_e32 v22, s3, v0
	v_lshl_or_b32 v0, v0, 5, v5
	s_wait_kmcnt 0x0
	s_ashr_i32 s23, s22, 31
	s_ashr_i32 s25, s24, 31
	s_cmp_neq_f32 s28, 0
	v_lshl_or_b32 v16, v15, 7, v3
	v_add_nc_u32_e32 v17, 0x400, v0
	v_add_nc_u32_e32 v3, s3, v2
	;; [unrolled: 1-line block ×3, first 2 shown]
	s_cselect_b32 s5, -1, 0
	s_cmp_gt_i32 s15, 0
	v_mad_co_i64_i32 v[8:9], null, v15, s22, 0
	v_cmp_gt_i32_e32 vcc_lo, s14, v3
	v_cmp_le_i32_e64 s2, v0, v3
	v_add_nc_u32_e32 v2, 16, v0
	s_cselect_b32 s34, -1, 0
	s_cmp_neq_f32 s19, 0
	v_add_nc_u32_e32 v5, 16, v3
	v_cmp_gt_i32_e64 s0, s14, v4
	v_cmp_gt_i32_e64 s1, s14, v22
	s_cselect_b32 s30, -1, 0
	s_and_b32 s31, vcc_lo, s2
	v_cmp_le_i32_e64 s2, v2, v3
	v_cmp_gt_i32_e64 s3, s14, v5
	v_cmp_le_i32_e64 s4, v0, v5
	v_lshlrev_b64_e32 v[8:9], 2, v[8:9]
	v_mad_co_i64_i32 v[12:13], null, s24, v14, 0
	s_and_b32 s14, vcc_lo, s2
	v_cmp_le_i32_e32 vcc_lo, v2, v5
	v_mad_co_i64_i32 v[10:11], null, v5, s18, 0
	v_ashrrev_i32_e32 v5, 31, v4
	v_mad_co_i64_i32 v[6:7], null, v3, s18, 0
	s_and_b32 s18, s3, s4
	s_and_b32 s33, s3, vcc_lo
	s_lshl_b64 s[2:3], s[8:9], 2
	v_lshlrev_b64_e32 v[4:5], 2, v[4:5]
	s_wait_alu 0xfffe
	v_add_co_u32 v20, vcc_lo, v8, s2
	s_delay_alu instid0(VALU_DEP_1) | instskip(SKIP_1) | instid1(VALU_DEP_3)
	v_add_co_ci_u32_e64 v21, null, s3, v9, vcc_lo
	v_lshlrev_b64_e32 v[8:9], 2, v[12:13]
	v_add_co_u32 v20, vcc_lo, v20, v4
	s_lshl_b64 s[2:3], s[12:13], 2
	s_wait_alu 0xfffd
	v_add_co_ci_u32_e64 v21, null, v21, v5, vcc_lo
	v_lshlrev_b32_e32 v4, 2, v22
	s_wait_alu 0xfffe
	v_add_co_u32 v5, vcc_lo, v8, s2
	s_wait_alu 0xfffd
	v_add_co_ci_u32_e64 v8, null, s3, v9, vcc_lo
	v_ashrrev_i32_e32 v3, 31, v2
	s_delay_alu instid0(VALU_DEP_3)
	v_add_co_u32 v23, vcc_lo, v5, v4
	v_lshlrev_b64_e32 v[4:5], 2, v[6:7]
	v_lshlrev_b64_e32 v[6:7], 2, v[10:11]
	v_mov_b32_e32 v22, 0
	v_lshlrev_b32_e32 v18, 2, v1
	v_ashrrev_i32_e32 v1, 31, v0
	s_wait_alu 0xfffd
	v_add_co_ci_u32_e64 v24, null, 0, v8, vcc_lo
	s_and_b32 s34, s5, s34
	s_lshl_b64 s[2:3], s[22:23], 5
	s_lshl_b64 s[4:5], s[24:25], 5
	;; [unrolled: 1-line block ×3, first 2 shown]
	s_branch .LBB290_6
.LBB290_5:                              ;   in Loop: Header=BB290_6 Depth=1
	s_wait_alu 0xfffe
	s_or_b32 exec_lo, exec_lo, s12
	s_add_co_i32 s20, s20, 0x10000
	s_delay_alu instid0(SALU_CYCLE_1)
	s_cmp_lt_u32 s20, s29
	s_cbranch_scc0 .LBB290_33
.LBB290_6:                              ; =>This Loop Header: Depth=1
                                        ;     Child Loop BB290_9 Depth 2
	s_lshl_b64 s[12:13], s[20:21], 3
	v_dual_mov_b32 v28, 0 :: v_dual_mov_b32 v27, 0
	s_wait_alu 0xfffe
	s_add_nc_u64 s[22:23], s[16:17], s[12:13]
	v_dual_mov_b32 v26, 0 :: v_dual_mov_b32 v25, 0
	global_load_b64 v[8:9], v22, s[22:23]
	s_and_not1_b32 vcc_lo, exec_lo, s34
	s_wait_alu 0xfffe
	s_cbranch_vccnz .LBB290_13
; %bb.7:                                ;   in Loop: Header=BB290_6 Depth=1
	s_add_nc_u64 s[22:23], s[6:7], s[12:13]
	s_add_nc_u64 s[12:13], s[10:11], s[12:13]
	s_clause 0x1
	global_load_b64 v[10:11], v22, s[22:23]
	global_load_b64 v[12:13], v22, s[12:13]
	v_dual_mov_b32 v25, 0 :: v_dual_mov_b32 v26, 0
	v_dual_mov_b32 v27, 0 :: v_dual_mov_b32 v28, 0
	s_mov_b32 s12, 0
	s_wait_loadcnt 0x1
	v_add_co_u32 v10, vcc_lo, v10, v20
	s_wait_alu 0xfffd
	v_add_co_ci_u32_e64 v11, null, v11, v21, vcc_lo
	s_wait_loadcnt 0x0
	v_add_co_u32 v12, vcc_lo, v12, v23
	s_wait_alu 0xfffd
	v_add_co_ci_u32_e64 v13, null, v13, v24, vcc_lo
	s_branch .LBB290_9
.LBB290_8:                              ;   in Loop: Header=BB290_9 Depth=2
	s_wait_alu 0xfffe
	s_or_b32 exec_lo, exec_lo, s13
	s_wait_loadcnt_dscnt 0x0
	ds_store_b32 v17, v30
	s_wait_dscnt 0x0
	s_barrier_signal -1
	s_barrier_wait -1
	global_inv scope:SCOPE_SE
	ds_load_b128 v[29:32], v19
	ds_load_2addr_b32 v[45:46], v18 offset1:16
	ds_load_b128 v[33:36], v19 offset:512
	ds_load_2addr_b32 v[47:48], v18 offset0:32 offset1:48
	ds_load_2addr_b32 v[49:50], v18 offset0:64 offset1:80
	;; [unrolled: 1-line block ×3, first 2 shown]
	ds_load_b128 v[37:40], v19 offset:16
	ds_load_2addr_b32 v[53:54], v18 offset0:128 offset1:144
	ds_load_b128 v[41:44], v19 offset:528
	v_add_co_u32 v10, vcc_lo, v10, s2
	s_wait_alu 0xfffd
	v_add_co_ci_u32_e64 v11, null, s3, v11, vcc_lo
	v_add_co_u32 v12, vcc_lo, v12, s4
	s_wait_alu 0xfffd
	v_add_co_ci_u32_e64 v13, null, s5, v13, vcc_lo
	s_add_co_i32 s12, s12, 8
	s_wait_alu 0xfffe
	s_cmp_lt_i32 s12, s15
	s_wait_dscnt 0x7
	v_fmac_f32_e32 v27, v46, v29
	v_fmac_f32_e32 v28, v45, v29
	s_wait_dscnt 0x6
	v_fmac_f32_e32 v25, v46, v33
	v_fmac_f32_e32 v26, v45, v33
	ds_load_2addr_b32 v[45:46], v18 offset0:160 offset1:176
	s_wait_dscnt 0x6
	v_fmac_f32_e32 v27, v48, v30
	v_fmac_f32_e32 v28, v47, v30
	v_fmac_f32_e32 v25, v48, v34
	v_fmac_f32_e32 v26, v47, v34
	ds_load_2addr_b32 v[29:30], v18 offset0:192 offset1:208
	s_wait_dscnt 0x6
	v_fmac_f32_e32 v27, v50, v31
	v_fmac_f32_e32 v28, v49, v31
	;; [unrolled: 6-line block ×3, first 2 shown]
	v_fmac_f32_e32 v25, v52, v36
	v_fmac_f32_e32 v26, v51, v36
	s_wait_loadcnt_dscnt 0x0
	v_fmac_f32_e32 v27, v54, v37
	v_fmac_f32_e32 v28, v53, v37
	;; [unrolled: 1-line block ×4, first 2 shown]
	s_barrier_signal -1
	v_fmac_f32_e32 v27, v46, v38
	v_fmac_f32_e32 v28, v45, v38
	;; [unrolled: 1-line block ×4, first 2 shown]
	s_barrier_wait -1
	v_fmac_f32_e32 v27, v30, v39
	v_fmac_f32_e32 v28, v29, v39
	;; [unrolled: 1-line block ×4, first 2 shown]
	global_inv scope:SCOPE_SE
	v_fmac_f32_e32 v27, v34, v40
	v_fmac_f32_e32 v28, v33, v40
	;; [unrolled: 1-line block ×4, first 2 shown]
	s_cbranch_scc0 .LBB290_13
.LBB290_9:                              ;   Parent Loop BB290_6 Depth=1
                                        ; =>  This Inner Loop Header: Depth=2
	s_wait_alu 0xfffe
	v_add_nc_u32_e32 v29, s12, v15
	s_delay_alu instid0(VALU_DEP_1)
	v_cmp_gt_i32_e32 vcc_lo, s15, v29
	v_mov_b32_e32 v29, 0
	s_and_b32 s22, s0, vcc_lo
	s_wait_alu 0xfffe
	s_and_saveexec_b32 s13, s22
	s_cbranch_execz .LBB290_11
; %bb.10:                               ;   in Loop: Header=BB290_9 Depth=2
	flat_load_b32 v29, v[10:11]
.LBB290_11:                             ;   in Loop: Header=BB290_9 Depth=2
	s_wait_alu 0xfffe
	s_or_b32 exec_lo, exec_lo, s13
	v_add_nc_u32_e32 v30, s12, v14
	s_wait_loadcnt_dscnt 0x0
	ds_store_b32 v16, v29
	v_cmp_gt_i32_e32 vcc_lo, s15, v30
	v_mov_b32_e32 v30, 0
	s_and_b32 s22, vcc_lo, s1
	s_wait_alu 0xfffe
	s_and_saveexec_b32 s13, s22
	s_cbranch_execz .LBB290_8
; %bb.12:                               ;   in Loop: Header=BB290_9 Depth=2
	flat_load_b32 v30, v[12:13]
	s_branch .LBB290_8
.LBB290_13:                             ;   in Loop: Header=BB290_6 Depth=1
	s_wait_loadcnt 0x0
	v_add_co_u32 v8, vcc_lo, v8, s8
	s_wait_alu 0xfffd
	v_add_co_ci_u32_e64 v9, null, s9, v9, vcc_lo
	s_delay_alu instid0(VALU_DEP_2) | instskip(SKIP_1) | instid1(VALU_DEP_2)
	v_add_co_u32 v10, vcc_lo, v8, v4
	s_wait_alu 0xfffd
	v_add_co_ci_u32_e64 v11, null, v9, v5, vcc_lo
	s_and_saveexec_b32 s12, s31
	s_cbranch_execz .LBB290_17
; %bb.14:                               ;   in Loop: Header=BB290_6 Depth=1
	v_mul_f32_e32 v12, s28, v28
	s_and_b32 vcc_lo, exec_lo, s30
	s_wait_alu 0xfffe
	s_cbranch_vccz .LBB290_28
; %bb.15:                               ;   in Loop: Header=BB290_6 Depth=1
	v_lshlrev_b64_e32 v[28:29], 2, v[0:1]
	s_delay_alu instid0(VALU_DEP_1) | instskip(SKIP_1) | instid1(VALU_DEP_2)
	v_add_co_u32 v28, vcc_lo, v10, v28
	s_wait_alu 0xfffd
	v_add_co_ci_u32_e64 v29, null, v11, v29, vcc_lo
	flat_load_b32 v13, v[28:29]
	s_wait_loadcnt_dscnt 0x0
	v_fma_f32 v13, s19, v13, v12
	flat_store_b32 v[28:29], v13
	s_cbranch_execnz .LBB290_17
.LBB290_16:                             ;   in Loop: Header=BB290_6 Depth=1
	v_lshlrev_b64_e32 v[28:29], 2, v[0:1]
	s_delay_alu instid0(VALU_DEP_1) | instskip(SKIP_1) | instid1(VALU_DEP_2)
	v_add_co_u32 v28, vcc_lo, v10, v28
	s_wait_alu 0xfffd
	v_add_co_ci_u32_e64 v29, null, v11, v29, vcc_lo
	flat_store_b32 v[28:29], v12
.LBB290_17:                             ;   in Loop: Header=BB290_6 Depth=1
	s_wait_alu 0xfffe
	s_or_b32 exec_lo, exec_lo, s12
	s_and_saveexec_b32 s12, s14
	s_cbranch_execz .LBB290_21
; %bb.18:                               ;   in Loop: Header=BB290_6 Depth=1
	v_mul_f32_e32 v12, s28, v27
	s_and_not1_b32 vcc_lo, exec_lo, s30
	s_wait_alu 0xfffe
	s_cbranch_vccnz .LBB290_29
; %bb.19:                               ;   in Loop: Header=BB290_6 Depth=1
	v_lshlrev_b64_e32 v[27:28], 2, v[2:3]
	s_delay_alu instid0(VALU_DEP_1) | instskip(SKIP_1) | instid1(VALU_DEP_2)
	v_add_co_u32 v27, vcc_lo, v10, v27
	s_wait_alu 0xfffd
	v_add_co_ci_u32_e64 v28, null, v11, v28, vcc_lo
	flat_load_b32 v13, v[27:28]
	s_wait_loadcnt_dscnt 0x0
	v_fma_f32 v13, s19, v13, v12
	flat_store_b32 v[27:28], v13
	s_cbranch_execnz .LBB290_21
.LBB290_20:                             ;   in Loop: Header=BB290_6 Depth=1
	v_lshlrev_b64_e32 v[27:28], 2, v[2:3]
	s_delay_alu instid0(VALU_DEP_1) | instskip(SKIP_1) | instid1(VALU_DEP_2)
	v_add_co_u32 v10, vcc_lo, v10, v27
	s_wait_alu 0xfffd
	v_add_co_ci_u32_e64 v11, null, v11, v28, vcc_lo
	flat_store_b32 v[10:11], v12
.LBB290_21:                             ;   in Loop: Header=BB290_6 Depth=1
	s_wait_alu 0xfffe
	s_or_b32 exec_lo, exec_lo, s12
	v_add_co_u32 v10, vcc_lo, v8, v6
	s_wait_alu 0xfffd
	v_add_co_ci_u32_e64 v11, null, v9, v7, vcc_lo
	s_and_saveexec_b32 s12, s18
	s_cbranch_execz .LBB290_25
; %bb.22:                               ;   in Loop: Header=BB290_6 Depth=1
	v_lshlrev_b64_e32 v[8:9], 2, v[0:1]
	v_mul_f32_e32 v12, s28, v26
	s_and_not1_b32 vcc_lo, exec_lo, s30
	s_wait_alu 0xfffe
	s_cbranch_vccnz .LBB290_30
; %bb.23:                               ;   in Loop: Header=BB290_6 Depth=1
	s_delay_alu instid0(VALU_DEP_2)
	v_add_co_u32 v26, vcc_lo, v10, v8
	s_wait_alu 0xfffd
	v_add_co_ci_u32_e64 v27, null, v11, v9, vcc_lo
	flat_load_b32 v13, v[26:27]
	s_wait_loadcnt_dscnt 0x0
	v_fma_f32 v13, s19, v13, v12
	flat_store_b32 v[26:27], v13
	s_cbranch_execnz .LBB290_25
.LBB290_24:                             ;   in Loop: Header=BB290_6 Depth=1
	v_add_co_u32 v8, vcc_lo, v10, v8
	s_wait_alu 0xfffd
	v_add_co_ci_u32_e64 v9, null, v11, v9, vcc_lo
	flat_store_b32 v[8:9], v12
.LBB290_25:                             ;   in Loop: Header=BB290_6 Depth=1
	s_wait_alu 0xfffe
	s_or_b32 exec_lo, exec_lo, s12
	s_and_saveexec_b32 s12, s33
	s_cbranch_execz .LBB290_5
; %bb.26:                               ;   in Loop: Header=BB290_6 Depth=1
	v_lshlrev_b64_e32 v[8:9], 2, v[2:3]
	v_mul_f32_e32 v12, s28, v25
	s_and_not1_b32 vcc_lo, exec_lo, s30
	s_wait_alu 0xfffe
	s_cbranch_vccnz .LBB290_31
; %bb.27:                               ;   in Loop: Header=BB290_6 Depth=1
	s_delay_alu instid0(VALU_DEP_2)
	v_add_co_u32 v25, vcc_lo, v10, v8
	s_wait_alu 0xfffd
	v_add_co_ci_u32_e64 v26, null, v11, v9, vcc_lo
	flat_load_b32 v13, v[25:26]
	s_wait_loadcnt_dscnt 0x0
	v_fma_f32 v13, s19, v13, v12
	flat_store_b32 v[25:26], v13
	s_cbranch_execnz .LBB290_5
	s_branch .LBB290_32
.LBB290_28:                             ;   in Loop: Header=BB290_6 Depth=1
	s_branch .LBB290_16
.LBB290_29:                             ;   in Loop: Header=BB290_6 Depth=1
	s_branch .LBB290_20
.LBB290_30:                             ;   in Loop: Header=BB290_6 Depth=1
	s_branch .LBB290_24
.LBB290_31:                             ;   in Loop: Header=BB290_6 Depth=1
.LBB290_32:                             ;   in Loop: Header=BB290_6 Depth=1
	s_delay_alu instid0(VALU_DEP_2)
	v_add_co_u32 v8, vcc_lo, v10, v8
	s_wait_alu 0xfffd
	v_add_co_ci_u32_e64 v9, null, v11, v9, vcc_lo
	flat_store_b32 v[8:9], v12
	s_branch .LBB290_5
.LBB290_33:
	s_endpgm
	.section	.rodata,"a",@progbits
	.p2align	6, 0x0
	.amdhsa_kernel _ZL29rocblas_internal_gemmt_kernelIiLi16ELi32ELi8ELc78ELc67ELc85ELb0ELb0EfPKfPKS1_PKPfEviT_T9_T10_S7_lS9_S7_lS8_T11_S7_li
		.amdhsa_group_segment_fixed_size 2048
		.amdhsa_private_segment_fixed_size 0
		.amdhsa_kernarg_size 100
		.amdhsa_user_sgpr_count 2
		.amdhsa_user_sgpr_dispatch_ptr 0
		.amdhsa_user_sgpr_queue_ptr 0
		.amdhsa_user_sgpr_kernarg_segment_ptr 1
		.amdhsa_user_sgpr_dispatch_id 0
		.amdhsa_user_sgpr_private_segment_size 0
		.amdhsa_wavefront_size32 1
		.amdhsa_uses_dynamic_stack 0
		.amdhsa_enable_private_segment 0
		.amdhsa_system_sgpr_workgroup_id_x 1
		.amdhsa_system_sgpr_workgroup_id_y 1
		.amdhsa_system_sgpr_workgroup_id_z 1
		.amdhsa_system_sgpr_workgroup_info 0
		.amdhsa_system_vgpr_workitem_id 1
		.amdhsa_next_free_vgpr 55
		.amdhsa_next_free_sgpr 35
		.amdhsa_reserve_vcc 1
		.amdhsa_float_round_mode_32 0
		.amdhsa_float_round_mode_16_64 0
		.amdhsa_float_denorm_mode_32 3
		.amdhsa_float_denorm_mode_16_64 3
		.amdhsa_fp16_overflow 0
		.amdhsa_workgroup_processor_mode 1
		.amdhsa_memory_ordered 1
		.amdhsa_forward_progress 1
		.amdhsa_inst_pref_size 15
		.amdhsa_round_robin_scheduling 0
		.amdhsa_exception_fp_ieee_invalid_op 0
		.amdhsa_exception_fp_denorm_src 0
		.amdhsa_exception_fp_ieee_div_zero 0
		.amdhsa_exception_fp_ieee_overflow 0
		.amdhsa_exception_fp_ieee_underflow 0
		.amdhsa_exception_fp_ieee_inexact 0
		.amdhsa_exception_int_div_zero 0
	.end_amdhsa_kernel
	.section	.text._ZL29rocblas_internal_gemmt_kernelIiLi16ELi32ELi8ELc78ELc67ELc85ELb0ELb0EfPKfPKS1_PKPfEviT_T9_T10_S7_lS9_S7_lS8_T11_S7_li,"axG",@progbits,_ZL29rocblas_internal_gemmt_kernelIiLi16ELi32ELi8ELc78ELc67ELc85ELb0ELb0EfPKfPKS1_PKPfEviT_T9_T10_S7_lS9_S7_lS8_T11_S7_li,comdat
.Lfunc_end290:
	.size	_ZL29rocblas_internal_gemmt_kernelIiLi16ELi32ELi8ELc78ELc67ELc85ELb0ELb0EfPKfPKS1_PKPfEviT_T9_T10_S7_lS9_S7_lS8_T11_S7_li, .Lfunc_end290-_ZL29rocblas_internal_gemmt_kernelIiLi16ELi32ELi8ELc78ELc67ELc85ELb0ELb0EfPKfPKS1_PKPfEviT_T9_T10_S7_lS9_S7_lS8_T11_S7_li
                                        ; -- End function
	.set _ZL29rocblas_internal_gemmt_kernelIiLi16ELi32ELi8ELc78ELc67ELc85ELb0ELb0EfPKfPKS1_PKPfEviT_T9_T10_S7_lS9_S7_lS8_T11_S7_li.num_vgpr, 55
	.set _ZL29rocblas_internal_gemmt_kernelIiLi16ELi32ELi8ELc78ELc67ELc85ELb0ELb0EfPKfPKS1_PKPfEviT_T9_T10_S7_lS9_S7_lS8_T11_S7_li.num_agpr, 0
	.set _ZL29rocblas_internal_gemmt_kernelIiLi16ELi32ELi8ELc78ELc67ELc85ELb0ELb0EfPKfPKS1_PKPfEviT_T9_T10_S7_lS9_S7_lS8_T11_S7_li.numbered_sgpr, 35
	.set _ZL29rocblas_internal_gemmt_kernelIiLi16ELi32ELi8ELc78ELc67ELc85ELb0ELb0EfPKfPKS1_PKPfEviT_T9_T10_S7_lS9_S7_lS8_T11_S7_li.num_named_barrier, 0
	.set _ZL29rocblas_internal_gemmt_kernelIiLi16ELi32ELi8ELc78ELc67ELc85ELb0ELb0EfPKfPKS1_PKPfEviT_T9_T10_S7_lS9_S7_lS8_T11_S7_li.private_seg_size, 0
	.set _ZL29rocblas_internal_gemmt_kernelIiLi16ELi32ELi8ELc78ELc67ELc85ELb0ELb0EfPKfPKS1_PKPfEviT_T9_T10_S7_lS9_S7_lS8_T11_S7_li.uses_vcc, 1
	.set _ZL29rocblas_internal_gemmt_kernelIiLi16ELi32ELi8ELc78ELc67ELc85ELb0ELb0EfPKfPKS1_PKPfEviT_T9_T10_S7_lS9_S7_lS8_T11_S7_li.uses_flat_scratch, 0
	.set _ZL29rocblas_internal_gemmt_kernelIiLi16ELi32ELi8ELc78ELc67ELc85ELb0ELb0EfPKfPKS1_PKPfEviT_T9_T10_S7_lS9_S7_lS8_T11_S7_li.has_dyn_sized_stack, 0
	.set _ZL29rocblas_internal_gemmt_kernelIiLi16ELi32ELi8ELc78ELc67ELc85ELb0ELb0EfPKfPKS1_PKPfEviT_T9_T10_S7_lS9_S7_lS8_T11_S7_li.has_recursion, 0
	.set _ZL29rocblas_internal_gemmt_kernelIiLi16ELi32ELi8ELc78ELc67ELc85ELb0ELb0EfPKfPKS1_PKPfEviT_T9_T10_S7_lS9_S7_lS8_T11_S7_li.has_indirect_call, 0
	.section	.AMDGPU.csdata,"",@progbits
; Kernel info:
; codeLenInByte = 1916
; TotalNumSgprs: 37
; NumVgprs: 55
; ScratchSize: 0
; MemoryBound: 0
; FloatMode: 240
; IeeeMode: 1
; LDSByteSize: 2048 bytes/workgroup (compile time only)
; SGPRBlocks: 0
; VGPRBlocks: 6
; NumSGPRsForWavesPerEU: 37
; NumVGPRsForWavesPerEU: 55
; Occupancy: 16
; WaveLimiterHint : 1
; COMPUTE_PGM_RSRC2:SCRATCH_EN: 0
; COMPUTE_PGM_RSRC2:USER_SGPR: 2
; COMPUTE_PGM_RSRC2:TRAP_HANDLER: 0
; COMPUTE_PGM_RSRC2:TGID_X_EN: 1
; COMPUTE_PGM_RSRC2:TGID_Y_EN: 1
; COMPUTE_PGM_RSRC2:TGID_Z_EN: 1
; COMPUTE_PGM_RSRC2:TIDIG_COMP_CNT: 1
	.section	.text._ZL29rocblas_internal_gemmt_kernelIiLi16ELi32ELi8ELc84ELc78ELc85ELb0ELb0EfPKfPKS1_PKPfEviT_T9_T10_S7_lS9_S7_lS8_T11_S7_li,"axG",@progbits,_ZL29rocblas_internal_gemmt_kernelIiLi16ELi32ELi8ELc84ELc78ELc85ELb0ELb0EfPKfPKS1_PKPfEviT_T9_T10_S7_lS9_S7_lS8_T11_S7_li,comdat
	.globl	_ZL29rocblas_internal_gemmt_kernelIiLi16ELi32ELi8ELc84ELc78ELc85ELb0ELb0EfPKfPKS1_PKPfEviT_T9_T10_S7_lS9_S7_lS8_T11_S7_li ; -- Begin function _ZL29rocblas_internal_gemmt_kernelIiLi16ELi32ELi8ELc84ELc78ELc85ELb0ELb0EfPKfPKS1_PKPfEviT_T9_T10_S7_lS9_S7_lS8_T11_S7_li
	.p2align	8
	.type	_ZL29rocblas_internal_gemmt_kernelIiLi16ELi32ELi8ELc84ELc78ELc85ELb0ELb0EfPKfPKS1_PKPfEviT_T9_T10_S7_lS9_S7_lS8_T11_S7_li,@function
_ZL29rocblas_internal_gemmt_kernelIiLi16ELi32ELi8ELc84ELc78ELc85ELb0ELb0EfPKfPKS1_PKPfEviT_T9_T10_S7_lS9_S7_lS8_T11_S7_li: ; @_ZL29rocblas_internal_gemmt_kernelIiLi16ELi32ELi8ELc84ELc78ELc85ELb0ELb0EfPKfPKS1_PKPfEviT_T9_T10_S7_lS9_S7_lS8_T11_S7_li
; %bb.0:
	s_clause 0x1
	s_load_b128 s[12:15], s[0:1], 0x38
	s_load_b128 s[4:7], s[0:1], 0x8
	s_wait_kmcnt 0x0
	s_load_b32 s19, s[14:15], 0x0
	s_load_b64 s[14:15], s[0:1], 0x0
	s_load_b32 s24, s[4:5], 0x0
	s_wait_kmcnt 0x0
	s_cmp_neq_f32 s19, 1.0
	s_cselect_b32 s2, -1, 0
	s_delay_alu instid0(SALU_CYCLE_1)
	s_and_b32 vcc_lo, exec_lo, s2
	s_cbranch_vccnz .LBB291_2
; %bb.1:
	s_cmp_lg_u32 s15, 0
	s_cselect_b32 s2, -1, 0
	s_cmp_neq_f32 s24, 0
	s_cselect_b32 s3, -1, 0
	s_delay_alu instid0(SALU_CYCLE_1)
	s_and_b32 s2, s2, s3
.LBB291_2:
	s_delay_alu instid0(SALU_CYCLE_1)
	s_and_not1_b32 vcc_lo, exec_lo, s2
	s_cbranch_vccnz .LBB291_33
; %bb.3:
	s_load_b32 s25, s[0:1], 0x60
	s_lshr_b32 s20, ttmp7, 16
	s_wait_kmcnt 0x0
	s_cmp_ge_u32 s20, s25
	s_cbranch_scc1 .LBB291_33
; %bb.4:
	v_dual_mov_b32 v20, 0 :: v_dual_and_b32 v1, 0x3ff, v0
	v_bfe_u32 v2, v0, 10, 10
	s_clause 0x4
	s_load_b32 s3, s[0:1], 0x18
	s_load_b128 s[8:11], s[0:1], 0x20
	s_load_b32 s4, s[0:1], 0x30
	s_load_b96 s[16:18], s[0:1], 0x48
	s_load_b64 s[22:23], s[0:1], 0x58
	v_and_b32_e32 v14, 7, v0
	s_lshl_b32 s2, ttmp9, 5
	s_lshl_b32 s0, ttmp7, 5
	v_lshl_add_u32 v0, v2, 4, v1
	s_and_b32 s5, s0, 0x1fffe0
	v_lshlrev_b32_e32 v12, 2, v14
	s_cmp_neq_f32 s24, 0
	v_lshl_add_u32 v19, v2, 5, 0x400
	v_and_b32_e32 v3, 31, v0
	v_lshrrev_b32_e32 v4, 3, v0
	v_lshrrev_b32_e32 v15, 5, v0
	s_cselect_b32 s29, -1, 0
	s_cmp_gt_i32 s15, 0
	v_or_b32_e32 v6, s2, v3
	v_lshlrev_b32_e32 v0, 2, v3
	v_lshl_or_b32 v3, v4, 5, v12
	v_add_nc_u32_e32 v8, s5, v4
	s_cselect_b32 s30, -1, 0
	v_cmp_gt_i32_e64 s0, s14, v6
	s_wait_kmcnt 0x0
	v_mad_co_i64_i32 v[6:7], null, s3, v6, 0
	v_lshl_or_b32 v16, v15, 7, v0
	v_add_nc_u32_e32 v17, 0x400, v3
	v_add_nc_u32_e32 v3, s5, v2
	v_add_nc_u32_e32 v0, s2, v1
	v_cmp_gt_i32_e64 s1, s14, v8
	v_mad_co_i64_i32 v[8:9], null, s4, v8, 0
	s_delay_alu instid0(VALU_DEP_4) | instskip(NEXT) | instid1(VALU_DEP_4)
	v_cmp_gt_i32_e32 vcc_lo, s14, v3
	v_cmp_le_i32_e64 s2, v0, v3
	v_add_nc_u32_e32 v2, 16, v0
	s_cmp_neq_f32 s19, 0
	v_lshlrev_b64_e32 v[6:7], 2, v[6:7]
	v_add_nc_u32_e32 v13, 16, v3
	v_lshlrev_b64_e32 v[8:9], 2, v[8:9]
	s_cselect_b32 s26, -1, 0
	s_and_b32 s27, vcc_lo, s2
	v_cmp_le_i32_e64 s2, v2, v3
	s_lshl_b64 s[4:5], s[8:9], 2
	v_mad_co_i64_i32 v[4:5], null, v3, s18, 0
	s_wait_alu 0xfffe
	v_add_co_u32 v6, s4, v6, s4
	s_and_b32 s28, vcc_lo, s2
	v_cmp_gt_i32_e32 vcc_lo, s14, v13
	v_mad_co_i64_i32 v[10:11], null, v13, s18, 0
	v_cmp_le_i32_e64 s2, v0, v13
	v_cmp_le_i32_e64 s3, v2, v13
	v_add_co_ci_u32_e64 v7, null, s5, v7, s4
	v_lshlrev_b32_e32 v13, 2, v15
	s_lshl_b64 s[4:5], s[12:13], 2
	v_lshlrev_b64_e32 v[4:5], 2, v[4:5]
	s_wait_alu 0xfffe
	v_add_co_u32 v8, s4, v8, s4
	s_wait_alu 0xf1ff
	v_add_co_ci_u32_e64 v9, null, s5, v9, s4
	v_add_co_u32 v21, s4, v6, v13
	s_wait_alu 0xf1ff
	v_add_co_ci_u32_e64 v22, null, 0, v7, s4
	v_add_co_u32 v23, s4, v8, v12
	v_lshlrev_b64_e32 v[6:7], 2, v[10:11]
	v_lshlrev_b32_e32 v18, 2, v1
	v_ashrrev_i32_e32 v1, 31, v0
	v_ashrrev_i32_e32 v3, 31, v2
	s_wait_alu 0xf1ff
	v_add_co_ci_u32_e64 v24, null, 0, v9, s4
	s_mov_b32 s21, 0
	s_and_b32 s8, s29, s30
	s_and_b32 s9, vcc_lo, s2
	s_and_b32 s12, vcc_lo, s3
	s_lshl_b64 s[2:3], s[22:23], 2
	s_branch .LBB291_6
.LBB291_5:                              ;   in Loop: Header=BB291_6 Depth=1
	s_wait_alu 0xfffe
	s_or_b32 exec_lo, exec_lo, s4
	s_add_co_i32 s20, s20, 0x10000
	s_delay_alu instid0(SALU_CYCLE_1)
	s_cmp_lt_u32 s20, s25
	s_cbranch_scc0 .LBB291_33
.LBB291_6:                              ; =>This Loop Header: Depth=1
                                        ;     Child Loop BB291_9 Depth 2
	s_lshl_b64 s[4:5], s[20:21], 3
	v_dual_mov_b32 v28, 0 :: v_dual_mov_b32 v27, 0
	s_wait_alu 0xfffe
	s_add_nc_u64 s[22:23], s[16:17], s[4:5]
	v_dual_mov_b32 v26, 0 :: v_dual_mov_b32 v25, 0
	global_load_b64 v[8:9], v20, s[22:23]
	s_and_not1_b32 vcc_lo, exec_lo, s8
	s_wait_alu 0xfffe
	s_cbranch_vccnz .LBB291_13
; %bb.7:                                ;   in Loop: Header=BB291_6 Depth=1
	s_add_nc_u64 s[22:23], s[6:7], s[4:5]
	s_add_nc_u64 s[4:5], s[10:11], s[4:5]
	s_clause 0x1
	global_load_b64 v[10:11], v20, s[22:23]
	global_load_b64 v[12:13], v20, s[4:5]
	v_dual_mov_b32 v25, 0 :: v_dual_mov_b32 v26, 0
	v_dual_mov_b32 v27, 0 :: v_dual_mov_b32 v28, 0
	s_mov_b32 s4, 0
	s_wait_loadcnt 0x1
	v_add_co_u32 v10, vcc_lo, v10, v21
	s_wait_alu 0xfffd
	v_add_co_ci_u32_e64 v11, null, v11, v22, vcc_lo
	s_wait_loadcnt 0x0
	v_add_co_u32 v12, vcc_lo, v12, v23
	s_wait_alu 0xfffd
	v_add_co_ci_u32_e64 v13, null, v13, v24, vcc_lo
	s_branch .LBB291_9
.LBB291_8:                              ;   in Loop: Header=BB291_9 Depth=2
	s_wait_alu 0xfffe
	s_or_b32 exec_lo, exec_lo, s5
	s_wait_loadcnt_dscnt 0x0
	ds_store_b32 v17, v30
	s_wait_dscnt 0x0
	s_barrier_signal -1
	s_barrier_wait -1
	global_inv scope:SCOPE_SE
	ds_load_b128 v[29:32], v19
	ds_load_2addr_b32 v[45:46], v18 offset1:16
	ds_load_b128 v[33:36], v19 offset:512
	ds_load_2addr_b32 v[47:48], v18 offset0:32 offset1:48
	ds_load_2addr_b32 v[49:50], v18 offset0:64 offset1:80
	;; [unrolled: 1-line block ×3, first 2 shown]
	ds_load_b128 v[37:40], v19 offset:16
	ds_load_2addr_b32 v[53:54], v18 offset0:128 offset1:144
	ds_load_b128 v[41:44], v19 offset:528
	v_add_co_u32 v10, vcc_lo, v10, 32
	s_wait_alu 0xfffd
	v_add_co_ci_u32_e64 v11, null, 0, v11, vcc_lo
	v_add_co_u32 v12, vcc_lo, v12, 32
	s_wait_alu 0xfffd
	v_add_co_ci_u32_e64 v13, null, 0, v13, vcc_lo
	s_add_co_i32 s4, s4, 8
	s_wait_alu 0xfffe
	s_cmp_lt_i32 s4, s15
	s_wait_dscnt 0x7
	v_fmac_f32_e32 v27, v46, v29
	v_fmac_f32_e32 v28, v45, v29
	s_wait_dscnt 0x6
	v_fmac_f32_e32 v25, v46, v33
	v_fmac_f32_e32 v26, v45, v33
	ds_load_2addr_b32 v[45:46], v18 offset0:160 offset1:176
	s_wait_dscnt 0x6
	v_fmac_f32_e32 v27, v48, v30
	v_fmac_f32_e32 v28, v47, v30
	v_fmac_f32_e32 v25, v48, v34
	v_fmac_f32_e32 v26, v47, v34
	ds_load_2addr_b32 v[29:30], v18 offset0:192 offset1:208
	s_wait_dscnt 0x6
	v_fmac_f32_e32 v27, v50, v31
	v_fmac_f32_e32 v28, v49, v31
	;; [unrolled: 6-line block ×3, first 2 shown]
	v_fmac_f32_e32 v25, v52, v36
	v_fmac_f32_e32 v26, v51, v36
	s_wait_loadcnt_dscnt 0x0
	v_fmac_f32_e32 v27, v54, v37
	v_fmac_f32_e32 v28, v53, v37
	;; [unrolled: 1-line block ×4, first 2 shown]
	s_barrier_signal -1
	v_fmac_f32_e32 v27, v46, v38
	v_fmac_f32_e32 v28, v45, v38
	;; [unrolled: 1-line block ×4, first 2 shown]
	s_barrier_wait -1
	v_fmac_f32_e32 v27, v30, v39
	v_fmac_f32_e32 v28, v29, v39
	;; [unrolled: 1-line block ×4, first 2 shown]
	global_inv scope:SCOPE_SE
	v_fmac_f32_e32 v27, v34, v40
	v_fmac_f32_e32 v28, v33, v40
	;; [unrolled: 1-line block ×4, first 2 shown]
	s_cbranch_scc0 .LBB291_13
.LBB291_9:                              ;   Parent Loop BB291_6 Depth=1
                                        ; =>  This Inner Loop Header: Depth=2
	s_wait_alu 0xfffe
	v_add_nc_u32_e32 v29, s4, v15
	s_delay_alu instid0(VALU_DEP_1) | instskip(SKIP_2) | instid1(SALU_CYCLE_1)
	v_cmp_gt_i32_e32 vcc_lo, s15, v29
	v_mov_b32_e32 v29, 0
	s_and_b32 s13, s0, vcc_lo
	s_and_saveexec_b32 s5, s13
	s_cbranch_execz .LBB291_11
; %bb.10:                               ;   in Loop: Header=BB291_9 Depth=2
	flat_load_b32 v29, v[10:11]
.LBB291_11:                             ;   in Loop: Header=BB291_9 Depth=2
	s_wait_alu 0xfffe
	s_or_b32 exec_lo, exec_lo, s5
	v_add_nc_u32_e32 v30, s4, v14
	s_wait_loadcnt_dscnt 0x0
	ds_store_b32 v16, v29
	v_cmp_gt_i32_e32 vcc_lo, s15, v30
	v_mov_b32_e32 v30, 0
	s_and_b32 s13, vcc_lo, s1
	s_delay_alu instid0(SALU_CYCLE_1)
	s_and_saveexec_b32 s5, s13
	s_cbranch_execz .LBB291_8
; %bb.12:                               ;   in Loop: Header=BB291_9 Depth=2
	flat_load_b32 v30, v[12:13]
	s_branch .LBB291_8
.LBB291_13:                             ;   in Loop: Header=BB291_6 Depth=1
	s_wait_loadcnt 0x0
	v_add_co_u32 v8, vcc_lo, v8, s2
	s_wait_alu 0xfffd
	v_add_co_ci_u32_e64 v9, null, s3, v9, vcc_lo
	s_delay_alu instid0(VALU_DEP_2) | instskip(SKIP_1) | instid1(VALU_DEP_2)
	v_add_co_u32 v10, vcc_lo, v8, v4
	s_wait_alu 0xfffd
	v_add_co_ci_u32_e64 v11, null, v9, v5, vcc_lo
	s_and_saveexec_b32 s4, s27
	s_cbranch_execz .LBB291_17
; %bb.14:                               ;   in Loop: Header=BB291_6 Depth=1
	v_mul_f32_e32 v12, s24, v28
	s_and_b32 vcc_lo, exec_lo, s26
	s_wait_alu 0xfffe
	s_cbranch_vccz .LBB291_28
; %bb.15:                               ;   in Loop: Header=BB291_6 Depth=1
	v_lshlrev_b64_e32 v[28:29], 2, v[0:1]
	s_delay_alu instid0(VALU_DEP_1) | instskip(SKIP_1) | instid1(VALU_DEP_2)
	v_add_co_u32 v28, vcc_lo, v10, v28
	s_wait_alu 0xfffd
	v_add_co_ci_u32_e64 v29, null, v11, v29, vcc_lo
	flat_load_b32 v13, v[28:29]
	s_wait_loadcnt_dscnt 0x0
	v_fma_f32 v13, s19, v13, v12
	flat_store_b32 v[28:29], v13
	s_cbranch_execnz .LBB291_17
.LBB291_16:                             ;   in Loop: Header=BB291_6 Depth=1
	v_lshlrev_b64_e32 v[28:29], 2, v[0:1]
	s_delay_alu instid0(VALU_DEP_1) | instskip(SKIP_1) | instid1(VALU_DEP_2)
	v_add_co_u32 v28, vcc_lo, v10, v28
	s_wait_alu 0xfffd
	v_add_co_ci_u32_e64 v29, null, v11, v29, vcc_lo
	flat_store_b32 v[28:29], v12
.LBB291_17:                             ;   in Loop: Header=BB291_6 Depth=1
	s_wait_alu 0xfffe
	s_or_b32 exec_lo, exec_lo, s4
	s_and_saveexec_b32 s4, s28
	s_cbranch_execz .LBB291_21
; %bb.18:                               ;   in Loop: Header=BB291_6 Depth=1
	v_mul_f32_e32 v12, s24, v27
	s_and_not1_b32 vcc_lo, exec_lo, s26
	s_wait_alu 0xfffe
	s_cbranch_vccnz .LBB291_29
; %bb.19:                               ;   in Loop: Header=BB291_6 Depth=1
	v_lshlrev_b64_e32 v[27:28], 2, v[2:3]
	s_delay_alu instid0(VALU_DEP_1) | instskip(SKIP_1) | instid1(VALU_DEP_2)
	v_add_co_u32 v27, vcc_lo, v10, v27
	s_wait_alu 0xfffd
	v_add_co_ci_u32_e64 v28, null, v11, v28, vcc_lo
	flat_load_b32 v13, v[27:28]
	s_wait_loadcnt_dscnt 0x0
	v_fma_f32 v13, s19, v13, v12
	flat_store_b32 v[27:28], v13
	s_cbranch_execnz .LBB291_21
.LBB291_20:                             ;   in Loop: Header=BB291_6 Depth=1
	v_lshlrev_b64_e32 v[27:28], 2, v[2:3]
	s_delay_alu instid0(VALU_DEP_1) | instskip(SKIP_1) | instid1(VALU_DEP_2)
	v_add_co_u32 v10, vcc_lo, v10, v27
	s_wait_alu 0xfffd
	v_add_co_ci_u32_e64 v11, null, v11, v28, vcc_lo
	flat_store_b32 v[10:11], v12
.LBB291_21:                             ;   in Loop: Header=BB291_6 Depth=1
	s_wait_alu 0xfffe
	s_or_b32 exec_lo, exec_lo, s4
	v_add_co_u32 v10, vcc_lo, v8, v6
	s_wait_alu 0xfffd
	v_add_co_ci_u32_e64 v11, null, v9, v7, vcc_lo
	s_and_saveexec_b32 s4, s9
	s_cbranch_execz .LBB291_25
; %bb.22:                               ;   in Loop: Header=BB291_6 Depth=1
	v_lshlrev_b64_e32 v[8:9], 2, v[0:1]
	v_mul_f32_e32 v12, s24, v26
	s_and_not1_b32 vcc_lo, exec_lo, s26
	s_wait_alu 0xfffe
	s_cbranch_vccnz .LBB291_30
; %bb.23:                               ;   in Loop: Header=BB291_6 Depth=1
	s_delay_alu instid0(VALU_DEP_2)
	v_add_co_u32 v26, vcc_lo, v10, v8
	s_wait_alu 0xfffd
	v_add_co_ci_u32_e64 v27, null, v11, v9, vcc_lo
	flat_load_b32 v13, v[26:27]
	s_wait_loadcnt_dscnt 0x0
	v_fma_f32 v13, s19, v13, v12
	flat_store_b32 v[26:27], v13
	s_cbranch_execnz .LBB291_25
.LBB291_24:                             ;   in Loop: Header=BB291_6 Depth=1
	v_add_co_u32 v8, vcc_lo, v10, v8
	s_wait_alu 0xfffd
	v_add_co_ci_u32_e64 v9, null, v11, v9, vcc_lo
	flat_store_b32 v[8:9], v12
.LBB291_25:                             ;   in Loop: Header=BB291_6 Depth=1
	s_wait_alu 0xfffe
	s_or_b32 exec_lo, exec_lo, s4
	s_and_saveexec_b32 s4, s12
	s_cbranch_execz .LBB291_5
; %bb.26:                               ;   in Loop: Header=BB291_6 Depth=1
	v_lshlrev_b64_e32 v[8:9], 2, v[2:3]
	v_mul_f32_e32 v12, s24, v25
	s_and_not1_b32 vcc_lo, exec_lo, s26
	s_wait_alu 0xfffe
	s_cbranch_vccnz .LBB291_31
; %bb.27:                               ;   in Loop: Header=BB291_6 Depth=1
	s_delay_alu instid0(VALU_DEP_2)
	v_add_co_u32 v25, vcc_lo, v10, v8
	s_wait_alu 0xfffd
	v_add_co_ci_u32_e64 v26, null, v11, v9, vcc_lo
	flat_load_b32 v13, v[25:26]
	s_wait_loadcnt_dscnt 0x0
	v_fma_f32 v13, s19, v13, v12
	flat_store_b32 v[25:26], v13
	s_cbranch_execnz .LBB291_5
	s_branch .LBB291_32
.LBB291_28:                             ;   in Loop: Header=BB291_6 Depth=1
	s_branch .LBB291_16
.LBB291_29:                             ;   in Loop: Header=BB291_6 Depth=1
	s_branch .LBB291_20
.LBB291_30:                             ;   in Loop: Header=BB291_6 Depth=1
	s_branch .LBB291_24
.LBB291_31:                             ;   in Loop: Header=BB291_6 Depth=1
.LBB291_32:                             ;   in Loop: Header=BB291_6 Depth=1
	s_delay_alu instid0(VALU_DEP_2)
	v_add_co_u32 v8, vcc_lo, v10, v8
	s_wait_alu 0xfffd
	v_add_co_ci_u32_e64 v9, null, v11, v9, vcc_lo
	flat_store_b32 v[8:9], v12
	s_branch .LBB291_5
.LBB291_33:
	s_endpgm
	.section	.rodata,"a",@progbits
	.p2align	6, 0x0
	.amdhsa_kernel _ZL29rocblas_internal_gemmt_kernelIiLi16ELi32ELi8ELc84ELc78ELc85ELb0ELb0EfPKfPKS1_PKPfEviT_T9_T10_S7_lS9_S7_lS8_T11_S7_li
		.amdhsa_group_segment_fixed_size 2048
		.amdhsa_private_segment_fixed_size 0
		.amdhsa_kernarg_size 100
		.amdhsa_user_sgpr_count 2
		.amdhsa_user_sgpr_dispatch_ptr 0
		.amdhsa_user_sgpr_queue_ptr 0
		.amdhsa_user_sgpr_kernarg_segment_ptr 1
		.amdhsa_user_sgpr_dispatch_id 0
		.amdhsa_user_sgpr_private_segment_size 0
		.amdhsa_wavefront_size32 1
		.amdhsa_uses_dynamic_stack 0
		.amdhsa_enable_private_segment 0
		.amdhsa_system_sgpr_workgroup_id_x 1
		.amdhsa_system_sgpr_workgroup_id_y 1
		.amdhsa_system_sgpr_workgroup_id_z 1
		.amdhsa_system_sgpr_workgroup_info 0
		.amdhsa_system_vgpr_workitem_id 1
		.amdhsa_next_free_vgpr 55
		.amdhsa_next_free_sgpr 31
		.amdhsa_reserve_vcc 1
		.amdhsa_float_round_mode_32 0
		.amdhsa_float_round_mode_16_64 0
		.amdhsa_float_denorm_mode_32 3
		.amdhsa_float_denorm_mode_16_64 3
		.amdhsa_fp16_overflow 0
		.amdhsa_workgroup_processor_mode 1
		.amdhsa_memory_ordered 1
		.amdhsa_forward_progress 1
		.amdhsa_inst_pref_size 15
		.amdhsa_round_robin_scheduling 0
		.amdhsa_exception_fp_ieee_invalid_op 0
		.amdhsa_exception_fp_denorm_src 0
		.amdhsa_exception_fp_ieee_div_zero 0
		.amdhsa_exception_fp_ieee_overflow 0
		.amdhsa_exception_fp_ieee_underflow 0
		.amdhsa_exception_fp_ieee_inexact 0
		.amdhsa_exception_int_div_zero 0
	.end_amdhsa_kernel
	.section	.text._ZL29rocblas_internal_gemmt_kernelIiLi16ELi32ELi8ELc84ELc78ELc85ELb0ELb0EfPKfPKS1_PKPfEviT_T9_T10_S7_lS9_S7_lS8_T11_S7_li,"axG",@progbits,_ZL29rocblas_internal_gemmt_kernelIiLi16ELi32ELi8ELc84ELc78ELc85ELb0ELb0EfPKfPKS1_PKPfEviT_T9_T10_S7_lS9_S7_lS8_T11_S7_li,comdat
.Lfunc_end291:
	.size	_ZL29rocblas_internal_gemmt_kernelIiLi16ELi32ELi8ELc84ELc78ELc85ELb0ELb0EfPKfPKS1_PKPfEviT_T9_T10_S7_lS9_S7_lS8_T11_S7_li, .Lfunc_end291-_ZL29rocblas_internal_gemmt_kernelIiLi16ELi32ELi8ELc84ELc78ELc85ELb0ELb0EfPKfPKS1_PKPfEviT_T9_T10_S7_lS9_S7_lS8_T11_S7_li
                                        ; -- End function
	.set _ZL29rocblas_internal_gemmt_kernelIiLi16ELi32ELi8ELc84ELc78ELc85ELb0ELb0EfPKfPKS1_PKPfEviT_T9_T10_S7_lS9_S7_lS8_T11_S7_li.num_vgpr, 55
	.set _ZL29rocblas_internal_gemmt_kernelIiLi16ELi32ELi8ELc84ELc78ELc85ELb0ELb0EfPKfPKS1_PKPfEviT_T9_T10_S7_lS9_S7_lS8_T11_S7_li.num_agpr, 0
	.set _ZL29rocblas_internal_gemmt_kernelIiLi16ELi32ELi8ELc84ELc78ELc85ELb0ELb0EfPKfPKS1_PKPfEviT_T9_T10_S7_lS9_S7_lS8_T11_S7_li.numbered_sgpr, 31
	.set _ZL29rocblas_internal_gemmt_kernelIiLi16ELi32ELi8ELc84ELc78ELc85ELb0ELb0EfPKfPKS1_PKPfEviT_T9_T10_S7_lS9_S7_lS8_T11_S7_li.num_named_barrier, 0
	.set _ZL29rocblas_internal_gemmt_kernelIiLi16ELi32ELi8ELc84ELc78ELc85ELb0ELb0EfPKfPKS1_PKPfEviT_T9_T10_S7_lS9_S7_lS8_T11_S7_li.private_seg_size, 0
	.set _ZL29rocblas_internal_gemmt_kernelIiLi16ELi32ELi8ELc84ELc78ELc85ELb0ELb0EfPKfPKS1_PKPfEviT_T9_T10_S7_lS9_S7_lS8_T11_S7_li.uses_vcc, 1
	.set _ZL29rocblas_internal_gemmt_kernelIiLi16ELi32ELi8ELc84ELc78ELc85ELb0ELb0EfPKfPKS1_PKPfEviT_T9_T10_S7_lS9_S7_lS8_T11_S7_li.uses_flat_scratch, 0
	.set _ZL29rocblas_internal_gemmt_kernelIiLi16ELi32ELi8ELc84ELc78ELc85ELb0ELb0EfPKfPKS1_PKPfEviT_T9_T10_S7_lS9_S7_lS8_T11_S7_li.has_dyn_sized_stack, 0
	.set _ZL29rocblas_internal_gemmt_kernelIiLi16ELi32ELi8ELc84ELc78ELc85ELb0ELb0EfPKfPKS1_PKPfEviT_T9_T10_S7_lS9_S7_lS8_T11_S7_li.has_recursion, 0
	.set _ZL29rocblas_internal_gemmt_kernelIiLi16ELi32ELi8ELc84ELc78ELc85ELb0ELb0EfPKfPKS1_PKPfEviT_T9_T10_S7_lS9_S7_lS8_T11_S7_li.has_indirect_call, 0
	.section	.AMDGPU.csdata,"",@progbits
; Kernel info:
; codeLenInByte = 1876
; TotalNumSgprs: 33
; NumVgprs: 55
; ScratchSize: 0
; MemoryBound: 0
; FloatMode: 240
; IeeeMode: 1
; LDSByteSize: 2048 bytes/workgroup (compile time only)
; SGPRBlocks: 0
; VGPRBlocks: 6
; NumSGPRsForWavesPerEU: 33
; NumVGPRsForWavesPerEU: 55
; Occupancy: 16
; WaveLimiterHint : 1
; COMPUTE_PGM_RSRC2:SCRATCH_EN: 0
; COMPUTE_PGM_RSRC2:USER_SGPR: 2
; COMPUTE_PGM_RSRC2:TRAP_HANDLER: 0
; COMPUTE_PGM_RSRC2:TGID_X_EN: 1
; COMPUTE_PGM_RSRC2:TGID_Y_EN: 1
; COMPUTE_PGM_RSRC2:TGID_Z_EN: 1
; COMPUTE_PGM_RSRC2:TIDIG_COMP_CNT: 1
	.section	.text._ZL29rocblas_internal_gemmt_kernelIiLi16ELi32ELi8ELc84ELc84ELc85ELb0ELb0EfPKfPKS1_PKPfEviT_T9_T10_S7_lS9_S7_lS8_T11_S7_li,"axG",@progbits,_ZL29rocblas_internal_gemmt_kernelIiLi16ELi32ELi8ELc84ELc84ELc85ELb0ELb0EfPKfPKS1_PKPfEviT_T9_T10_S7_lS9_S7_lS8_T11_S7_li,comdat
	.globl	_ZL29rocblas_internal_gemmt_kernelIiLi16ELi32ELi8ELc84ELc84ELc85ELb0ELb0EfPKfPKS1_PKPfEviT_T9_T10_S7_lS9_S7_lS8_T11_S7_li ; -- Begin function _ZL29rocblas_internal_gemmt_kernelIiLi16ELi32ELi8ELc84ELc84ELc85ELb0ELb0EfPKfPKS1_PKPfEviT_T9_T10_S7_lS9_S7_lS8_T11_S7_li
	.p2align	8
	.type	_ZL29rocblas_internal_gemmt_kernelIiLi16ELi32ELi8ELc84ELc84ELc85ELb0ELb0EfPKfPKS1_PKPfEviT_T9_T10_S7_lS9_S7_lS8_T11_S7_li,@function
_ZL29rocblas_internal_gemmt_kernelIiLi16ELi32ELi8ELc84ELc84ELc85ELb0ELb0EfPKfPKS1_PKPfEviT_T9_T10_S7_lS9_S7_lS8_T11_S7_li: ; @_ZL29rocblas_internal_gemmt_kernelIiLi16ELi32ELi8ELc84ELc84ELc85ELb0ELb0EfPKfPKS1_PKPfEviT_T9_T10_S7_lS9_S7_lS8_T11_S7_li
; %bb.0:
	s_clause 0x1
	s_load_b128 s[12:15], s[0:1], 0x38
	s_load_b128 s[4:7], s[0:1], 0x8
	s_wait_kmcnt 0x0
	s_load_b32 s19, s[14:15], 0x0
	s_load_b64 s[14:15], s[0:1], 0x0
	s_load_b32 s24, s[4:5], 0x0
	s_wait_kmcnt 0x0
	s_cmp_neq_f32 s19, 1.0
	s_cselect_b32 s2, -1, 0
	s_delay_alu instid0(SALU_CYCLE_1)
	s_and_b32 vcc_lo, exec_lo, s2
	s_cbranch_vccnz .LBB292_2
; %bb.1:
	s_cmp_lg_u32 s15, 0
	s_cselect_b32 s2, -1, 0
	s_cmp_neq_f32 s24, 0
	s_cselect_b32 s3, -1, 0
	s_delay_alu instid0(SALU_CYCLE_1)
	s_and_b32 s2, s2, s3
.LBB292_2:
	s_delay_alu instid0(SALU_CYCLE_1)
	s_and_not1_b32 vcc_lo, exec_lo, s2
	s_cbranch_vccnz .LBB292_33
; %bb.3:
	s_load_b32 s25, s[0:1], 0x60
	s_lshr_b32 s4, ttmp7, 16
	s_wait_kmcnt 0x0
	s_cmp_ge_u32 s4, s25
	s_cbranch_scc1 .LBB292_33
; %bb.4:
	v_dual_mov_b32 v20, 0 :: v_dual_and_b32 v1, 0x3ff, v0
	v_bfe_u32 v3, v0, 10, 10
	v_and_b32_e32 v14, 7, v0
	s_clause 0x4
	s_load_b32 s20, s[0:1], 0x30
	s_load_b32 s29, s[0:1], 0x18
	s_load_b128 s[8:11], s[0:1], 0x20
	s_load_b96 s[16:18], s[0:1], 0x48
	s_load_b64 s[22:23], s[0:1], 0x58
	v_lshl_add_u32 v0, v3, 4, v1
	v_lshlrev_b32_e32 v5, 2, v14
	s_lshl_b32 s2, ttmp9, 5
	s_lshl_b32 s0, ttmp7, 5
	v_lshlrev_b32_e32 v18, 2, v1
	v_and_b32_e32 v2, 31, v0
	v_lshrrev_b32_e32 v4, 3, v0
	v_lshrrev_b32_e32 v15, 5, v0
	s_and_b32 s3, s0, 0x1fffe0
	v_lshl_add_u32 v19, v3, 5, 0x400
	v_lshlrev_b32_e32 v0, 2, v2
	v_or_b32_e32 v6, s2, v2
	v_lshl_or_b32 v2, v4, 5, v5
	v_add_nc_u32_e32 v7, s3, v3
	v_add_nc_u32_e32 v12, s3, v4
	v_lshl_or_b32 v16, v15, 7, v0
	v_add_nc_u32_e32 v0, s2, v1
	v_add_nc_u32_e32 v17, 0x400, v2
	s_wait_kmcnt 0x0
	s_ashr_i32 s21, s20, 31
	v_cmp_gt_i32_e64 s0, s14, v6
	v_cmp_gt_i32_e32 vcc_lo, s14, v7
	v_add_nc_u32_e32 v2, 16, v0
	v_cmp_le_i32_e64 s2, v0, v7
	v_mad_co_i64_i32 v[4:5], null, v7, s18, 0
	v_add_nc_u32_e32 v13, 16, v7
	s_delay_alu instid0(VALU_DEP_4)
	v_cmp_le_i32_e64 s3, v2, v7
	v_mad_co_i64_i32 v[6:7], null, s29, v6, 0
	s_cmp_neq_f32 s24, 0
	v_mad_co_i64_i32 v[8:9], null, s20, v14, 0
	v_cmp_gt_i32_e64 s1, s14, v12
	s_cselect_b32 s30, -1, 0
	s_cmp_gt_i32 s15, 0
	v_lshlrev_b64_e32 v[6:7], 2, v[6:7]
	s_cselect_b32 s31, -1, 0
	s_cmp_neq_f32 s19, 0
	v_lshlrev_b64_e32 v[8:9], 2, v[8:9]
	v_mad_co_i64_i32 v[10:11], null, v13, s18, 0
	s_cselect_b32 s26, -1, 0
	s_and_b32 s27, vcc_lo, s2
	s_and_b32 s28, vcc_lo, s3
	v_cmp_gt_i32_e32 vcc_lo, s14, v13
	v_cmp_le_i32_e64 s2, v0, v13
	s_lshl_b64 s[8:9], s[8:9], 2
	v_lshlrev_b32_e32 v12, 2, v12
	v_add_co_u32 v6, s3, v6, s8
	s_and_b32 s14, vcc_lo, s2
	v_cmp_le_i32_e64 s2, v2, v13
	v_add_co_ci_u32_e64 v7, null, s9, v7, s3
	v_lshlrev_b32_e32 v13, 2, v15
	s_lshl_b64 s[8:9], s[12:13], 2
	v_lshlrev_b64_e32 v[4:5], 2, v[4:5]
	s_wait_alu 0xfffe
	v_add_co_u32 v8, s3, v8, s8
	s_wait_alu 0xf1ff
	v_add_co_ci_u32_e64 v9, null, s9, v9, s3
	v_add_co_u32 v21, s3, v6, v13
	s_wait_alu 0xf1ff
	v_add_co_ci_u32_e64 v22, null, 0, v7, s3
	v_add_co_u32 v23, s3, v8, v12
	v_lshlrev_b64_e32 v[6:7], 2, v[10:11]
	v_ashrrev_i32_e32 v1, 31, v0
	v_ashrrev_i32_e32 v3, 31, v2
	s_wait_alu 0xf1ff
	v_add_co_ci_u32_e64 v24, null, 0, v9, s3
	s_mov_b32 s5, 0
	s_and_b32 s18, s30, s31
	s_and_b32 s29, vcc_lo, s2
	s_lshl_b64 s[2:3], s[20:21], 5
	s_lshl_b64 s[8:9], s[22:23], 2
	s_branch .LBB292_6
.LBB292_5:                              ;   in Loop: Header=BB292_6 Depth=1
	s_wait_alu 0xfffe
	s_or_b32 exec_lo, exec_lo, s12
	s_add_co_i32 s4, s4, 0x10000
	s_delay_alu instid0(SALU_CYCLE_1)
	s_cmp_lt_u32 s4, s25
	s_cbranch_scc0 .LBB292_33
.LBB292_6:                              ; =>This Loop Header: Depth=1
                                        ;     Child Loop BB292_9 Depth 2
	s_lshl_b64 s[12:13], s[4:5], 3
	v_dual_mov_b32 v28, 0 :: v_dual_mov_b32 v27, 0
	s_wait_alu 0xfffe
	s_add_nc_u64 s[20:21], s[16:17], s[12:13]
	v_dual_mov_b32 v26, 0 :: v_dual_mov_b32 v25, 0
	global_load_b64 v[8:9], v20, s[20:21]
	s_and_not1_b32 vcc_lo, exec_lo, s18
	s_wait_alu 0xfffe
	s_cbranch_vccnz .LBB292_13
; %bb.7:                                ;   in Loop: Header=BB292_6 Depth=1
	s_add_nc_u64 s[20:21], s[6:7], s[12:13]
	s_add_nc_u64 s[12:13], s[10:11], s[12:13]
	s_clause 0x1
	global_load_b64 v[10:11], v20, s[20:21]
	global_load_b64 v[12:13], v20, s[12:13]
	v_dual_mov_b32 v25, 0 :: v_dual_mov_b32 v26, 0
	v_dual_mov_b32 v27, 0 :: v_dual_mov_b32 v28, 0
	s_mov_b32 s12, 0
	s_wait_loadcnt 0x1
	v_add_co_u32 v10, vcc_lo, v10, v21
	s_wait_alu 0xfffd
	v_add_co_ci_u32_e64 v11, null, v11, v22, vcc_lo
	s_wait_loadcnt 0x0
	v_add_co_u32 v12, vcc_lo, v12, v23
	s_wait_alu 0xfffd
	v_add_co_ci_u32_e64 v13, null, v13, v24, vcc_lo
	s_branch .LBB292_9
.LBB292_8:                              ;   in Loop: Header=BB292_9 Depth=2
	s_wait_alu 0xfffe
	s_or_b32 exec_lo, exec_lo, s13
	s_wait_loadcnt_dscnt 0x0
	ds_store_b32 v17, v30
	s_wait_dscnt 0x0
	s_barrier_signal -1
	s_barrier_wait -1
	global_inv scope:SCOPE_SE
	ds_load_b128 v[29:32], v19
	ds_load_2addr_b32 v[45:46], v18 offset1:16
	ds_load_b128 v[33:36], v19 offset:512
	ds_load_2addr_b32 v[47:48], v18 offset0:32 offset1:48
	ds_load_2addr_b32 v[49:50], v18 offset0:64 offset1:80
	;; [unrolled: 1-line block ×3, first 2 shown]
	ds_load_b128 v[37:40], v19 offset:16
	ds_load_2addr_b32 v[53:54], v18 offset0:128 offset1:144
	ds_load_b128 v[41:44], v19 offset:528
	v_add_co_u32 v10, vcc_lo, v10, 32
	s_wait_alu 0xfffd
	v_add_co_ci_u32_e64 v11, null, 0, v11, vcc_lo
	v_add_co_u32 v12, vcc_lo, v12, s2
	s_wait_alu 0xfffd
	v_add_co_ci_u32_e64 v13, null, s3, v13, vcc_lo
	s_add_co_i32 s12, s12, 8
	s_wait_alu 0xfffe
	s_cmp_lt_i32 s12, s15
	s_wait_dscnt 0x7
	v_fmac_f32_e32 v27, v46, v29
	v_fmac_f32_e32 v28, v45, v29
	s_wait_dscnt 0x6
	v_fmac_f32_e32 v25, v46, v33
	v_fmac_f32_e32 v26, v45, v33
	ds_load_2addr_b32 v[45:46], v18 offset0:160 offset1:176
	s_wait_dscnt 0x6
	v_fmac_f32_e32 v27, v48, v30
	v_fmac_f32_e32 v28, v47, v30
	v_fmac_f32_e32 v25, v48, v34
	v_fmac_f32_e32 v26, v47, v34
	ds_load_2addr_b32 v[29:30], v18 offset0:192 offset1:208
	s_wait_dscnt 0x6
	v_fmac_f32_e32 v27, v50, v31
	v_fmac_f32_e32 v28, v49, v31
	;; [unrolled: 6-line block ×3, first 2 shown]
	v_fmac_f32_e32 v25, v52, v36
	v_fmac_f32_e32 v26, v51, v36
	s_wait_loadcnt_dscnt 0x0
	v_fmac_f32_e32 v27, v54, v37
	v_fmac_f32_e32 v28, v53, v37
	;; [unrolled: 1-line block ×4, first 2 shown]
	s_barrier_signal -1
	v_fmac_f32_e32 v27, v46, v38
	v_fmac_f32_e32 v28, v45, v38
	;; [unrolled: 1-line block ×4, first 2 shown]
	s_barrier_wait -1
	v_fmac_f32_e32 v27, v30, v39
	v_fmac_f32_e32 v28, v29, v39
	;; [unrolled: 1-line block ×4, first 2 shown]
	global_inv scope:SCOPE_SE
	v_fmac_f32_e32 v27, v34, v40
	v_fmac_f32_e32 v28, v33, v40
	;; [unrolled: 1-line block ×4, first 2 shown]
	s_cbranch_scc0 .LBB292_13
.LBB292_9:                              ;   Parent Loop BB292_6 Depth=1
                                        ; =>  This Inner Loop Header: Depth=2
	s_wait_alu 0xfffe
	v_add_nc_u32_e32 v29, s12, v15
	s_delay_alu instid0(VALU_DEP_1)
	v_cmp_gt_i32_e32 vcc_lo, s15, v29
	v_mov_b32_e32 v29, 0
	s_and_b32 s20, s0, vcc_lo
	s_wait_alu 0xfffe
	s_and_saveexec_b32 s13, s20
	s_cbranch_execz .LBB292_11
; %bb.10:                               ;   in Loop: Header=BB292_9 Depth=2
	flat_load_b32 v29, v[10:11]
.LBB292_11:                             ;   in Loop: Header=BB292_9 Depth=2
	s_wait_alu 0xfffe
	s_or_b32 exec_lo, exec_lo, s13
	v_add_nc_u32_e32 v30, s12, v14
	s_wait_loadcnt_dscnt 0x0
	ds_store_b32 v16, v29
	v_cmp_gt_i32_e32 vcc_lo, s15, v30
	v_mov_b32_e32 v30, 0
	s_and_b32 s20, vcc_lo, s1
	s_wait_alu 0xfffe
	s_and_saveexec_b32 s13, s20
	s_cbranch_execz .LBB292_8
; %bb.12:                               ;   in Loop: Header=BB292_9 Depth=2
	flat_load_b32 v30, v[12:13]
	s_branch .LBB292_8
.LBB292_13:                             ;   in Loop: Header=BB292_6 Depth=1
	s_wait_loadcnt 0x0
	v_add_co_u32 v8, vcc_lo, v8, s8
	s_wait_alu 0xfffd
	v_add_co_ci_u32_e64 v9, null, s9, v9, vcc_lo
	s_delay_alu instid0(VALU_DEP_2) | instskip(SKIP_1) | instid1(VALU_DEP_2)
	v_add_co_u32 v10, vcc_lo, v8, v4
	s_wait_alu 0xfffd
	v_add_co_ci_u32_e64 v11, null, v9, v5, vcc_lo
	s_and_saveexec_b32 s12, s27
	s_cbranch_execz .LBB292_17
; %bb.14:                               ;   in Loop: Header=BB292_6 Depth=1
	v_mul_f32_e32 v12, s24, v28
	s_and_b32 vcc_lo, exec_lo, s26
	s_wait_alu 0xfffe
	s_cbranch_vccz .LBB292_28
; %bb.15:                               ;   in Loop: Header=BB292_6 Depth=1
	v_lshlrev_b64_e32 v[28:29], 2, v[0:1]
	s_delay_alu instid0(VALU_DEP_1) | instskip(SKIP_1) | instid1(VALU_DEP_2)
	v_add_co_u32 v28, vcc_lo, v10, v28
	s_wait_alu 0xfffd
	v_add_co_ci_u32_e64 v29, null, v11, v29, vcc_lo
	flat_load_b32 v13, v[28:29]
	s_wait_loadcnt_dscnt 0x0
	v_fma_f32 v13, s19, v13, v12
	flat_store_b32 v[28:29], v13
	s_cbranch_execnz .LBB292_17
.LBB292_16:                             ;   in Loop: Header=BB292_6 Depth=1
	v_lshlrev_b64_e32 v[28:29], 2, v[0:1]
	s_delay_alu instid0(VALU_DEP_1) | instskip(SKIP_1) | instid1(VALU_DEP_2)
	v_add_co_u32 v28, vcc_lo, v10, v28
	s_wait_alu 0xfffd
	v_add_co_ci_u32_e64 v29, null, v11, v29, vcc_lo
	flat_store_b32 v[28:29], v12
.LBB292_17:                             ;   in Loop: Header=BB292_6 Depth=1
	s_wait_alu 0xfffe
	s_or_b32 exec_lo, exec_lo, s12
	s_and_saveexec_b32 s12, s28
	s_cbranch_execz .LBB292_21
; %bb.18:                               ;   in Loop: Header=BB292_6 Depth=1
	v_mul_f32_e32 v12, s24, v27
	s_and_not1_b32 vcc_lo, exec_lo, s26
	s_wait_alu 0xfffe
	s_cbranch_vccnz .LBB292_29
; %bb.19:                               ;   in Loop: Header=BB292_6 Depth=1
	v_lshlrev_b64_e32 v[27:28], 2, v[2:3]
	s_delay_alu instid0(VALU_DEP_1) | instskip(SKIP_1) | instid1(VALU_DEP_2)
	v_add_co_u32 v27, vcc_lo, v10, v27
	s_wait_alu 0xfffd
	v_add_co_ci_u32_e64 v28, null, v11, v28, vcc_lo
	flat_load_b32 v13, v[27:28]
	s_wait_loadcnt_dscnt 0x0
	v_fma_f32 v13, s19, v13, v12
	flat_store_b32 v[27:28], v13
	s_cbranch_execnz .LBB292_21
.LBB292_20:                             ;   in Loop: Header=BB292_6 Depth=1
	v_lshlrev_b64_e32 v[27:28], 2, v[2:3]
	s_delay_alu instid0(VALU_DEP_1) | instskip(SKIP_1) | instid1(VALU_DEP_2)
	v_add_co_u32 v10, vcc_lo, v10, v27
	s_wait_alu 0xfffd
	v_add_co_ci_u32_e64 v11, null, v11, v28, vcc_lo
	flat_store_b32 v[10:11], v12
.LBB292_21:                             ;   in Loop: Header=BB292_6 Depth=1
	s_wait_alu 0xfffe
	s_or_b32 exec_lo, exec_lo, s12
	v_add_co_u32 v10, vcc_lo, v8, v6
	s_wait_alu 0xfffd
	v_add_co_ci_u32_e64 v11, null, v9, v7, vcc_lo
	s_and_saveexec_b32 s12, s14
	s_cbranch_execz .LBB292_25
; %bb.22:                               ;   in Loop: Header=BB292_6 Depth=1
	v_lshlrev_b64_e32 v[8:9], 2, v[0:1]
	v_mul_f32_e32 v12, s24, v26
	s_and_not1_b32 vcc_lo, exec_lo, s26
	s_wait_alu 0xfffe
	s_cbranch_vccnz .LBB292_30
; %bb.23:                               ;   in Loop: Header=BB292_6 Depth=1
	s_delay_alu instid0(VALU_DEP_2)
	v_add_co_u32 v26, vcc_lo, v10, v8
	s_wait_alu 0xfffd
	v_add_co_ci_u32_e64 v27, null, v11, v9, vcc_lo
	flat_load_b32 v13, v[26:27]
	s_wait_loadcnt_dscnt 0x0
	v_fma_f32 v13, s19, v13, v12
	flat_store_b32 v[26:27], v13
	s_cbranch_execnz .LBB292_25
.LBB292_24:                             ;   in Loop: Header=BB292_6 Depth=1
	v_add_co_u32 v8, vcc_lo, v10, v8
	s_wait_alu 0xfffd
	v_add_co_ci_u32_e64 v9, null, v11, v9, vcc_lo
	flat_store_b32 v[8:9], v12
.LBB292_25:                             ;   in Loop: Header=BB292_6 Depth=1
	s_wait_alu 0xfffe
	s_or_b32 exec_lo, exec_lo, s12
	s_and_saveexec_b32 s12, s29
	s_cbranch_execz .LBB292_5
; %bb.26:                               ;   in Loop: Header=BB292_6 Depth=1
	v_lshlrev_b64_e32 v[8:9], 2, v[2:3]
	v_mul_f32_e32 v12, s24, v25
	s_and_not1_b32 vcc_lo, exec_lo, s26
	s_wait_alu 0xfffe
	s_cbranch_vccnz .LBB292_31
; %bb.27:                               ;   in Loop: Header=BB292_6 Depth=1
	s_delay_alu instid0(VALU_DEP_2)
	v_add_co_u32 v25, vcc_lo, v10, v8
	s_wait_alu 0xfffd
	v_add_co_ci_u32_e64 v26, null, v11, v9, vcc_lo
	flat_load_b32 v13, v[25:26]
	s_wait_loadcnt_dscnt 0x0
	v_fma_f32 v13, s19, v13, v12
	flat_store_b32 v[25:26], v13
	s_cbranch_execnz .LBB292_5
	s_branch .LBB292_32
.LBB292_28:                             ;   in Loop: Header=BB292_6 Depth=1
	s_branch .LBB292_16
.LBB292_29:                             ;   in Loop: Header=BB292_6 Depth=1
	s_branch .LBB292_20
.LBB292_30:                             ;   in Loop: Header=BB292_6 Depth=1
	s_branch .LBB292_24
.LBB292_31:                             ;   in Loop: Header=BB292_6 Depth=1
.LBB292_32:                             ;   in Loop: Header=BB292_6 Depth=1
	s_delay_alu instid0(VALU_DEP_2)
	v_add_co_u32 v8, vcc_lo, v10, v8
	s_wait_alu 0xfffd
	v_add_co_ci_u32_e64 v9, null, v11, v9, vcc_lo
	flat_store_b32 v[8:9], v12
	s_branch .LBB292_5
.LBB292_33:
	s_endpgm
	.section	.rodata,"a",@progbits
	.p2align	6, 0x0
	.amdhsa_kernel _ZL29rocblas_internal_gemmt_kernelIiLi16ELi32ELi8ELc84ELc84ELc85ELb0ELb0EfPKfPKS1_PKPfEviT_T9_T10_S7_lS9_S7_lS8_T11_S7_li
		.amdhsa_group_segment_fixed_size 2048
		.amdhsa_private_segment_fixed_size 0
		.amdhsa_kernarg_size 100
		.amdhsa_user_sgpr_count 2
		.amdhsa_user_sgpr_dispatch_ptr 0
		.amdhsa_user_sgpr_queue_ptr 0
		.amdhsa_user_sgpr_kernarg_segment_ptr 1
		.amdhsa_user_sgpr_dispatch_id 0
		.amdhsa_user_sgpr_private_segment_size 0
		.amdhsa_wavefront_size32 1
		.amdhsa_uses_dynamic_stack 0
		.amdhsa_enable_private_segment 0
		.amdhsa_system_sgpr_workgroup_id_x 1
		.amdhsa_system_sgpr_workgroup_id_y 1
		.amdhsa_system_sgpr_workgroup_id_z 1
		.amdhsa_system_sgpr_workgroup_info 0
		.amdhsa_system_vgpr_workitem_id 1
		.amdhsa_next_free_vgpr 55
		.amdhsa_next_free_sgpr 32
		.amdhsa_reserve_vcc 1
		.amdhsa_float_round_mode_32 0
		.amdhsa_float_round_mode_16_64 0
		.amdhsa_float_denorm_mode_32 3
		.amdhsa_float_denorm_mode_16_64 3
		.amdhsa_fp16_overflow 0
		.amdhsa_workgroup_processor_mode 1
		.amdhsa_memory_ordered 1
		.amdhsa_forward_progress 1
		.amdhsa_inst_pref_size 15
		.amdhsa_round_robin_scheduling 0
		.amdhsa_exception_fp_ieee_invalid_op 0
		.amdhsa_exception_fp_denorm_src 0
		.amdhsa_exception_fp_ieee_div_zero 0
		.amdhsa_exception_fp_ieee_overflow 0
		.amdhsa_exception_fp_ieee_underflow 0
		.amdhsa_exception_fp_ieee_inexact 0
		.amdhsa_exception_int_div_zero 0
	.end_amdhsa_kernel
	.section	.text._ZL29rocblas_internal_gemmt_kernelIiLi16ELi32ELi8ELc84ELc84ELc85ELb0ELb0EfPKfPKS1_PKPfEviT_T9_T10_S7_lS9_S7_lS8_T11_S7_li,"axG",@progbits,_ZL29rocblas_internal_gemmt_kernelIiLi16ELi32ELi8ELc84ELc84ELc85ELb0ELb0EfPKfPKS1_PKPfEviT_T9_T10_S7_lS9_S7_lS8_T11_S7_li,comdat
.Lfunc_end292:
	.size	_ZL29rocblas_internal_gemmt_kernelIiLi16ELi32ELi8ELc84ELc84ELc85ELb0ELb0EfPKfPKS1_PKPfEviT_T9_T10_S7_lS9_S7_lS8_T11_S7_li, .Lfunc_end292-_ZL29rocblas_internal_gemmt_kernelIiLi16ELi32ELi8ELc84ELc84ELc85ELb0ELb0EfPKfPKS1_PKPfEviT_T9_T10_S7_lS9_S7_lS8_T11_S7_li
                                        ; -- End function
	.set _ZL29rocblas_internal_gemmt_kernelIiLi16ELi32ELi8ELc84ELc84ELc85ELb0ELb0EfPKfPKS1_PKPfEviT_T9_T10_S7_lS9_S7_lS8_T11_S7_li.num_vgpr, 55
	.set _ZL29rocblas_internal_gemmt_kernelIiLi16ELi32ELi8ELc84ELc84ELc85ELb0ELb0EfPKfPKS1_PKPfEviT_T9_T10_S7_lS9_S7_lS8_T11_S7_li.num_agpr, 0
	.set _ZL29rocblas_internal_gemmt_kernelIiLi16ELi32ELi8ELc84ELc84ELc85ELb0ELb0EfPKfPKS1_PKPfEviT_T9_T10_S7_lS9_S7_lS8_T11_S7_li.numbered_sgpr, 32
	.set _ZL29rocblas_internal_gemmt_kernelIiLi16ELi32ELi8ELc84ELc84ELc85ELb0ELb0EfPKfPKS1_PKPfEviT_T9_T10_S7_lS9_S7_lS8_T11_S7_li.num_named_barrier, 0
	.set _ZL29rocblas_internal_gemmt_kernelIiLi16ELi32ELi8ELc84ELc84ELc85ELb0ELb0EfPKfPKS1_PKPfEviT_T9_T10_S7_lS9_S7_lS8_T11_S7_li.private_seg_size, 0
	.set _ZL29rocblas_internal_gemmt_kernelIiLi16ELi32ELi8ELc84ELc84ELc85ELb0ELb0EfPKfPKS1_PKPfEviT_T9_T10_S7_lS9_S7_lS8_T11_S7_li.uses_vcc, 1
	.set _ZL29rocblas_internal_gemmt_kernelIiLi16ELi32ELi8ELc84ELc84ELc85ELb0ELb0EfPKfPKS1_PKPfEviT_T9_T10_S7_lS9_S7_lS8_T11_S7_li.uses_flat_scratch, 0
	.set _ZL29rocblas_internal_gemmt_kernelIiLi16ELi32ELi8ELc84ELc84ELc85ELb0ELb0EfPKfPKS1_PKPfEviT_T9_T10_S7_lS9_S7_lS8_T11_S7_li.has_dyn_sized_stack, 0
	.set _ZL29rocblas_internal_gemmt_kernelIiLi16ELi32ELi8ELc84ELc84ELc85ELb0ELb0EfPKfPKS1_PKPfEviT_T9_T10_S7_lS9_S7_lS8_T11_S7_li.has_recursion, 0
	.set _ZL29rocblas_internal_gemmt_kernelIiLi16ELi32ELi8ELc84ELc84ELc85ELb0ELb0EfPKfPKS1_PKPfEviT_T9_T10_S7_lS9_S7_lS8_T11_S7_li.has_indirect_call, 0
	.section	.AMDGPU.csdata,"",@progbits
; Kernel info:
; codeLenInByte = 1888
; TotalNumSgprs: 34
; NumVgprs: 55
; ScratchSize: 0
; MemoryBound: 0
; FloatMode: 240
; IeeeMode: 1
; LDSByteSize: 2048 bytes/workgroup (compile time only)
; SGPRBlocks: 0
; VGPRBlocks: 6
; NumSGPRsForWavesPerEU: 34
; NumVGPRsForWavesPerEU: 55
; Occupancy: 16
; WaveLimiterHint : 1
; COMPUTE_PGM_RSRC2:SCRATCH_EN: 0
; COMPUTE_PGM_RSRC2:USER_SGPR: 2
; COMPUTE_PGM_RSRC2:TRAP_HANDLER: 0
; COMPUTE_PGM_RSRC2:TGID_X_EN: 1
; COMPUTE_PGM_RSRC2:TGID_Y_EN: 1
; COMPUTE_PGM_RSRC2:TGID_Z_EN: 1
; COMPUTE_PGM_RSRC2:TIDIG_COMP_CNT: 1
	.section	.text._ZL29rocblas_internal_gemmt_kernelIiLi16ELi32ELi8ELc84ELc67ELc85ELb0ELb0EfPKfPKS1_PKPfEviT_T9_T10_S7_lS9_S7_lS8_T11_S7_li,"axG",@progbits,_ZL29rocblas_internal_gemmt_kernelIiLi16ELi32ELi8ELc84ELc67ELc85ELb0ELb0EfPKfPKS1_PKPfEviT_T9_T10_S7_lS9_S7_lS8_T11_S7_li,comdat
	.globl	_ZL29rocblas_internal_gemmt_kernelIiLi16ELi32ELi8ELc84ELc67ELc85ELb0ELb0EfPKfPKS1_PKPfEviT_T9_T10_S7_lS9_S7_lS8_T11_S7_li ; -- Begin function _ZL29rocblas_internal_gemmt_kernelIiLi16ELi32ELi8ELc84ELc67ELc85ELb0ELb0EfPKfPKS1_PKPfEviT_T9_T10_S7_lS9_S7_lS8_T11_S7_li
	.p2align	8
	.type	_ZL29rocblas_internal_gemmt_kernelIiLi16ELi32ELi8ELc84ELc67ELc85ELb0ELb0EfPKfPKS1_PKPfEviT_T9_T10_S7_lS9_S7_lS8_T11_S7_li,@function
_ZL29rocblas_internal_gemmt_kernelIiLi16ELi32ELi8ELc84ELc67ELc85ELb0ELb0EfPKfPKS1_PKPfEviT_T9_T10_S7_lS9_S7_lS8_T11_S7_li: ; @_ZL29rocblas_internal_gemmt_kernelIiLi16ELi32ELi8ELc84ELc67ELc85ELb0ELb0EfPKfPKS1_PKPfEviT_T9_T10_S7_lS9_S7_lS8_T11_S7_li
; %bb.0:
	s_clause 0x1
	s_load_b128 s[12:15], s[0:1], 0x38
	s_load_b128 s[4:7], s[0:1], 0x8
	s_wait_kmcnt 0x0
	s_load_b32 s19, s[14:15], 0x0
	s_load_b64 s[14:15], s[0:1], 0x0
	s_load_b32 s24, s[4:5], 0x0
	s_wait_kmcnt 0x0
	s_cmp_neq_f32 s19, 1.0
	s_cselect_b32 s2, -1, 0
	s_delay_alu instid0(SALU_CYCLE_1)
	s_and_b32 vcc_lo, exec_lo, s2
	s_cbranch_vccnz .LBB293_2
; %bb.1:
	s_cmp_lg_u32 s15, 0
	s_cselect_b32 s2, -1, 0
	s_cmp_neq_f32 s24, 0
	s_cselect_b32 s3, -1, 0
	s_delay_alu instid0(SALU_CYCLE_1)
	s_and_b32 s2, s2, s3
.LBB293_2:
	s_delay_alu instid0(SALU_CYCLE_1)
	s_and_not1_b32 vcc_lo, exec_lo, s2
	s_cbranch_vccnz .LBB293_33
; %bb.3:
	s_load_b32 s25, s[0:1], 0x60
	s_lshr_b32 s4, ttmp7, 16
	s_wait_kmcnt 0x0
	s_cmp_ge_u32 s4, s25
	s_cbranch_scc1 .LBB293_33
; %bb.4:
	v_dual_mov_b32 v20, 0 :: v_dual_and_b32 v1, 0x3ff, v0
	v_bfe_u32 v3, v0, 10, 10
	v_and_b32_e32 v14, 7, v0
	s_clause 0x4
	s_load_b32 s20, s[0:1], 0x30
	s_load_b32 s29, s[0:1], 0x18
	s_load_b128 s[8:11], s[0:1], 0x20
	s_load_b96 s[16:18], s[0:1], 0x48
	s_load_b64 s[22:23], s[0:1], 0x58
	v_lshl_add_u32 v0, v3, 4, v1
	v_lshlrev_b32_e32 v5, 2, v14
	s_lshl_b32 s2, ttmp9, 5
	s_lshl_b32 s0, ttmp7, 5
	v_lshlrev_b32_e32 v18, 2, v1
	v_and_b32_e32 v2, 31, v0
	v_lshrrev_b32_e32 v4, 3, v0
	v_lshrrev_b32_e32 v15, 5, v0
	s_and_b32 s3, s0, 0x1fffe0
	v_lshl_add_u32 v19, v3, 5, 0x400
	v_lshlrev_b32_e32 v0, 2, v2
	v_or_b32_e32 v6, s2, v2
	v_lshl_or_b32 v2, v4, 5, v5
	v_add_nc_u32_e32 v7, s3, v3
	v_add_nc_u32_e32 v12, s3, v4
	v_lshl_or_b32 v16, v15, 7, v0
	v_add_nc_u32_e32 v0, s2, v1
	v_add_nc_u32_e32 v17, 0x400, v2
	s_wait_kmcnt 0x0
	s_ashr_i32 s21, s20, 31
	v_cmp_gt_i32_e64 s0, s14, v6
	v_cmp_gt_i32_e32 vcc_lo, s14, v7
	v_add_nc_u32_e32 v2, 16, v0
	v_cmp_le_i32_e64 s2, v0, v7
	v_mad_co_i64_i32 v[4:5], null, v7, s18, 0
	v_add_nc_u32_e32 v13, 16, v7
	s_delay_alu instid0(VALU_DEP_4)
	v_cmp_le_i32_e64 s3, v2, v7
	v_mad_co_i64_i32 v[6:7], null, s29, v6, 0
	s_cmp_neq_f32 s24, 0
	v_mad_co_i64_i32 v[8:9], null, s20, v14, 0
	v_cmp_gt_i32_e64 s1, s14, v12
	s_cselect_b32 s30, -1, 0
	s_cmp_gt_i32 s15, 0
	v_lshlrev_b64_e32 v[6:7], 2, v[6:7]
	s_cselect_b32 s31, -1, 0
	s_cmp_neq_f32 s19, 0
	v_lshlrev_b64_e32 v[8:9], 2, v[8:9]
	v_mad_co_i64_i32 v[10:11], null, v13, s18, 0
	s_cselect_b32 s26, -1, 0
	s_and_b32 s27, vcc_lo, s2
	s_and_b32 s28, vcc_lo, s3
	v_cmp_gt_i32_e32 vcc_lo, s14, v13
	v_cmp_le_i32_e64 s2, v0, v13
	s_lshl_b64 s[8:9], s[8:9], 2
	v_lshlrev_b32_e32 v12, 2, v12
	v_add_co_u32 v6, s3, v6, s8
	s_and_b32 s14, vcc_lo, s2
	v_cmp_le_i32_e64 s2, v2, v13
	v_add_co_ci_u32_e64 v7, null, s9, v7, s3
	v_lshlrev_b32_e32 v13, 2, v15
	s_lshl_b64 s[8:9], s[12:13], 2
	v_lshlrev_b64_e32 v[4:5], 2, v[4:5]
	s_wait_alu 0xfffe
	v_add_co_u32 v8, s3, v8, s8
	s_wait_alu 0xf1ff
	v_add_co_ci_u32_e64 v9, null, s9, v9, s3
	v_add_co_u32 v21, s3, v6, v13
	s_wait_alu 0xf1ff
	v_add_co_ci_u32_e64 v22, null, 0, v7, s3
	v_add_co_u32 v23, s3, v8, v12
	v_lshlrev_b64_e32 v[6:7], 2, v[10:11]
	v_ashrrev_i32_e32 v1, 31, v0
	v_ashrrev_i32_e32 v3, 31, v2
	s_wait_alu 0xf1ff
	v_add_co_ci_u32_e64 v24, null, 0, v9, s3
	s_mov_b32 s5, 0
	s_and_b32 s18, s30, s31
	s_and_b32 s29, vcc_lo, s2
	s_lshl_b64 s[2:3], s[20:21], 5
	s_lshl_b64 s[8:9], s[22:23], 2
	s_branch .LBB293_6
.LBB293_5:                              ;   in Loop: Header=BB293_6 Depth=1
	s_wait_alu 0xfffe
	s_or_b32 exec_lo, exec_lo, s12
	s_add_co_i32 s4, s4, 0x10000
	s_delay_alu instid0(SALU_CYCLE_1)
	s_cmp_lt_u32 s4, s25
	s_cbranch_scc0 .LBB293_33
.LBB293_6:                              ; =>This Loop Header: Depth=1
                                        ;     Child Loop BB293_9 Depth 2
	s_lshl_b64 s[12:13], s[4:5], 3
	v_dual_mov_b32 v28, 0 :: v_dual_mov_b32 v27, 0
	s_wait_alu 0xfffe
	s_add_nc_u64 s[20:21], s[16:17], s[12:13]
	v_dual_mov_b32 v26, 0 :: v_dual_mov_b32 v25, 0
	global_load_b64 v[8:9], v20, s[20:21]
	s_and_not1_b32 vcc_lo, exec_lo, s18
	s_wait_alu 0xfffe
	s_cbranch_vccnz .LBB293_13
; %bb.7:                                ;   in Loop: Header=BB293_6 Depth=1
	s_add_nc_u64 s[20:21], s[6:7], s[12:13]
	s_add_nc_u64 s[12:13], s[10:11], s[12:13]
	s_clause 0x1
	global_load_b64 v[10:11], v20, s[20:21]
	global_load_b64 v[12:13], v20, s[12:13]
	v_dual_mov_b32 v25, 0 :: v_dual_mov_b32 v26, 0
	v_dual_mov_b32 v27, 0 :: v_dual_mov_b32 v28, 0
	s_mov_b32 s12, 0
	s_wait_loadcnt 0x1
	v_add_co_u32 v10, vcc_lo, v10, v21
	s_wait_alu 0xfffd
	v_add_co_ci_u32_e64 v11, null, v11, v22, vcc_lo
	s_wait_loadcnt 0x0
	v_add_co_u32 v12, vcc_lo, v12, v23
	s_wait_alu 0xfffd
	v_add_co_ci_u32_e64 v13, null, v13, v24, vcc_lo
	s_branch .LBB293_9
.LBB293_8:                              ;   in Loop: Header=BB293_9 Depth=2
	s_wait_alu 0xfffe
	s_or_b32 exec_lo, exec_lo, s13
	s_wait_loadcnt_dscnt 0x0
	ds_store_b32 v17, v30
	s_wait_dscnt 0x0
	s_barrier_signal -1
	s_barrier_wait -1
	global_inv scope:SCOPE_SE
	ds_load_b128 v[29:32], v19
	ds_load_2addr_b32 v[45:46], v18 offset1:16
	ds_load_b128 v[33:36], v19 offset:512
	ds_load_2addr_b32 v[47:48], v18 offset0:32 offset1:48
	ds_load_2addr_b32 v[49:50], v18 offset0:64 offset1:80
	;; [unrolled: 1-line block ×3, first 2 shown]
	ds_load_b128 v[37:40], v19 offset:16
	ds_load_2addr_b32 v[53:54], v18 offset0:128 offset1:144
	ds_load_b128 v[41:44], v19 offset:528
	v_add_co_u32 v10, vcc_lo, v10, 32
	s_wait_alu 0xfffd
	v_add_co_ci_u32_e64 v11, null, 0, v11, vcc_lo
	v_add_co_u32 v12, vcc_lo, v12, s2
	s_wait_alu 0xfffd
	v_add_co_ci_u32_e64 v13, null, s3, v13, vcc_lo
	s_add_co_i32 s12, s12, 8
	s_wait_alu 0xfffe
	s_cmp_lt_i32 s12, s15
	s_wait_dscnt 0x7
	v_fmac_f32_e32 v27, v46, v29
	v_fmac_f32_e32 v28, v45, v29
	s_wait_dscnt 0x6
	v_fmac_f32_e32 v25, v46, v33
	v_fmac_f32_e32 v26, v45, v33
	ds_load_2addr_b32 v[45:46], v18 offset0:160 offset1:176
	s_wait_dscnt 0x6
	v_fmac_f32_e32 v27, v48, v30
	v_fmac_f32_e32 v28, v47, v30
	v_fmac_f32_e32 v25, v48, v34
	v_fmac_f32_e32 v26, v47, v34
	ds_load_2addr_b32 v[29:30], v18 offset0:192 offset1:208
	s_wait_dscnt 0x6
	v_fmac_f32_e32 v27, v50, v31
	v_fmac_f32_e32 v28, v49, v31
	;; [unrolled: 6-line block ×3, first 2 shown]
	v_fmac_f32_e32 v25, v52, v36
	v_fmac_f32_e32 v26, v51, v36
	s_wait_loadcnt_dscnt 0x0
	v_fmac_f32_e32 v27, v54, v37
	v_fmac_f32_e32 v28, v53, v37
	v_fmac_f32_e32 v25, v54, v41
	v_fmac_f32_e32 v26, v53, v41
	s_barrier_signal -1
	v_fmac_f32_e32 v27, v46, v38
	v_fmac_f32_e32 v28, v45, v38
	;; [unrolled: 1-line block ×4, first 2 shown]
	s_barrier_wait -1
	v_fmac_f32_e32 v27, v30, v39
	v_fmac_f32_e32 v28, v29, v39
	;; [unrolled: 1-line block ×4, first 2 shown]
	global_inv scope:SCOPE_SE
	v_fmac_f32_e32 v27, v34, v40
	v_fmac_f32_e32 v28, v33, v40
	;; [unrolled: 1-line block ×4, first 2 shown]
	s_cbranch_scc0 .LBB293_13
.LBB293_9:                              ;   Parent Loop BB293_6 Depth=1
                                        ; =>  This Inner Loop Header: Depth=2
	s_wait_alu 0xfffe
	v_add_nc_u32_e32 v29, s12, v15
	s_delay_alu instid0(VALU_DEP_1)
	v_cmp_gt_i32_e32 vcc_lo, s15, v29
	v_mov_b32_e32 v29, 0
	s_and_b32 s20, s0, vcc_lo
	s_wait_alu 0xfffe
	s_and_saveexec_b32 s13, s20
	s_cbranch_execz .LBB293_11
; %bb.10:                               ;   in Loop: Header=BB293_9 Depth=2
	flat_load_b32 v29, v[10:11]
.LBB293_11:                             ;   in Loop: Header=BB293_9 Depth=2
	s_wait_alu 0xfffe
	s_or_b32 exec_lo, exec_lo, s13
	v_add_nc_u32_e32 v30, s12, v14
	s_wait_loadcnt_dscnt 0x0
	ds_store_b32 v16, v29
	v_cmp_gt_i32_e32 vcc_lo, s15, v30
	v_mov_b32_e32 v30, 0
	s_and_b32 s20, vcc_lo, s1
	s_wait_alu 0xfffe
	s_and_saveexec_b32 s13, s20
	s_cbranch_execz .LBB293_8
; %bb.12:                               ;   in Loop: Header=BB293_9 Depth=2
	flat_load_b32 v30, v[12:13]
	s_branch .LBB293_8
.LBB293_13:                             ;   in Loop: Header=BB293_6 Depth=1
	s_wait_loadcnt 0x0
	v_add_co_u32 v8, vcc_lo, v8, s8
	s_wait_alu 0xfffd
	v_add_co_ci_u32_e64 v9, null, s9, v9, vcc_lo
	s_delay_alu instid0(VALU_DEP_2) | instskip(SKIP_1) | instid1(VALU_DEP_2)
	v_add_co_u32 v10, vcc_lo, v8, v4
	s_wait_alu 0xfffd
	v_add_co_ci_u32_e64 v11, null, v9, v5, vcc_lo
	s_and_saveexec_b32 s12, s27
	s_cbranch_execz .LBB293_17
; %bb.14:                               ;   in Loop: Header=BB293_6 Depth=1
	v_mul_f32_e32 v12, s24, v28
	s_and_b32 vcc_lo, exec_lo, s26
	s_wait_alu 0xfffe
	s_cbranch_vccz .LBB293_28
; %bb.15:                               ;   in Loop: Header=BB293_6 Depth=1
	v_lshlrev_b64_e32 v[28:29], 2, v[0:1]
	s_delay_alu instid0(VALU_DEP_1) | instskip(SKIP_1) | instid1(VALU_DEP_2)
	v_add_co_u32 v28, vcc_lo, v10, v28
	s_wait_alu 0xfffd
	v_add_co_ci_u32_e64 v29, null, v11, v29, vcc_lo
	flat_load_b32 v13, v[28:29]
	s_wait_loadcnt_dscnt 0x0
	v_fma_f32 v13, s19, v13, v12
	flat_store_b32 v[28:29], v13
	s_cbranch_execnz .LBB293_17
.LBB293_16:                             ;   in Loop: Header=BB293_6 Depth=1
	v_lshlrev_b64_e32 v[28:29], 2, v[0:1]
	s_delay_alu instid0(VALU_DEP_1) | instskip(SKIP_1) | instid1(VALU_DEP_2)
	v_add_co_u32 v28, vcc_lo, v10, v28
	s_wait_alu 0xfffd
	v_add_co_ci_u32_e64 v29, null, v11, v29, vcc_lo
	flat_store_b32 v[28:29], v12
.LBB293_17:                             ;   in Loop: Header=BB293_6 Depth=1
	s_wait_alu 0xfffe
	s_or_b32 exec_lo, exec_lo, s12
	s_and_saveexec_b32 s12, s28
	s_cbranch_execz .LBB293_21
; %bb.18:                               ;   in Loop: Header=BB293_6 Depth=1
	v_mul_f32_e32 v12, s24, v27
	s_and_not1_b32 vcc_lo, exec_lo, s26
	s_wait_alu 0xfffe
	s_cbranch_vccnz .LBB293_29
; %bb.19:                               ;   in Loop: Header=BB293_6 Depth=1
	v_lshlrev_b64_e32 v[27:28], 2, v[2:3]
	s_delay_alu instid0(VALU_DEP_1) | instskip(SKIP_1) | instid1(VALU_DEP_2)
	v_add_co_u32 v27, vcc_lo, v10, v27
	s_wait_alu 0xfffd
	v_add_co_ci_u32_e64 v28, null, v11, v28, vcc_lo
	flat_load_b32 v13, v[27:28]
	s_wait_loadcnt_dscnt 0x0
	v_fma_f32 v13, s19, v13, v12
	flat_store_b32 v[27:28], v13
	s_cbranch_execnz .LBB293_21
.LBB293_20:                             ;   in Loop: Header=BB293_6 Depth=1
	v_lshlrev_b64_e32 v[27:28], 2, v[2:3]
	s_delay_alu instid0(VALU_DEP_1) | instskip(SKIP_1) | instid1(VALU_DEP_2)
	v_add_co_u32 v10, vcc_lo, v10, v27
	s_wait_alu 0xfffd
	v_add_co_ci_u32_e64 v11, null, v11, v28, vcc_lo
	flat_store_b32 v[10:11], v12
.LBB293_21:                             ;   in Loop: Header=BB293_6 Depth=1
	s_wait_alu 0xfffe
	s_or_b32 exec_lo, exec_lo, s12
	v_add_co_u32 v10, vcc_lo, v8, v6
	s_wait_alu 0xfffd
	v_add_co_ci_u32_e64 v11, null, v9, v7, vcc_lo
	s_and_saveexec_b32 s12, s14
	s_cbranch_execz .LBB293_25
; %bb.22:                               ;   in Loop: Header=BB293_6 Depth=1
	v_lshlrev_b64_e32 v[8:9], 2, v[0:1]
	v_mul_f32_e32 v12, s24, v26
	s_and_not1_b32 vcc_lo, exec_lo, s26
	s_wait_alu 0xfffe
	s_cbranch_vccnz .LBB293_30
; %bb.23:                               ;   in Loop: Header=BB293_6 Depth=1
	s_delay_alu instid0(VALU_DEP_2)
	v_add_co_u32 v26, vcc_lo, v10, v8
	s_wait_alu 0xfffd
	v_add_co_ci_u32_e64 v27, null, v11, v9, vcc_lo
	flat_load_b32 v13, v[26:27]
	s_wait_loadcnt_dscnt 0x0
	v_fma_f32 v13, s19, v13, v12
	flat_store_b32 v[26:27], v13
	s_cbranch_execnz .LBB293_25
.LBB293_24:                             ;   in Loop: Header=BB293_6 Depth=1
	v_add_co_u32 v8, vcc_lo, v10, v8
	s_wait_alu 0xfffd
	v_add_co_ci_u32_e64 v9, null, v11, v9, vcc_lo
	flat_store_b32 v[8:9], v12
.LBB293_25:                             ;   in Loop: Header=BB293_6 Depth=1
	s_wait_alu 0xfffe
	s_or_b32 exec_lo, exec_lo, s12
	s_and_saveexec_b32 s12, s29
	s_cbranch_execz .LBB293_5
; %bb.26:                               ;   in Loop: Header=BB293_6 Depth=1
	v_lshlrev_b64_e32 v[8:9], 2, v[2:3]
	v_mul_f32_e32 v12, s24, v25
	s_and_not1_b32 vcc_lo, exec_lo, s26
	s_wait_alu 0xfffe
	s_cbranch_vccnz .LBB293_31
; %bb.27:                               ;   in Loop: Header=BB293_6 Depth=1
	s_delay_alu instid0(VALU_DEP_2)
	v_add_co_u32 v25, vcc_lo, v10, v8
	s_wait_alu 0xfffd
	v_add_co_ci_u32_e64 v26, null, v11, v9, vcc_lo
	flat_load_b32 v13, v[25:26]
	s_wait_loadcnt_dscnt 0x0
	v_fma_f32 v13, s19, v13, v12
	flat_store_b32 v[25:26], v13
	s_cbranch_execnz .LBB293_5
	s_branch .LBB293_32
.LBB293_28:                             ;   in Loop: Header=BB293_6 Depth=1
	s_branch .LBB293_16
.LBB293_29:                             ;   in Loop: Header=BB293_6 Depth=1
	s_branch .LBB293_20
.LBB293_30:                             ;   in Loop: Header=BB293_6 Depth=1
	s_branch .LBB293_24
.LBB293_31:                             ;   in Loop: Header=BB293_6 Depth=1
.LBB293_32:                             ;   in Loop: Header=BB293_6 Depth=1
	s_delay_alu instid0(VALU_DEP_2)
	v_add_co_u32 v8, vcc_lo, v10, v8
	s_wait_alu 0xfffd
	v_add_co_ci_u32_e64 v9, null, v11, v9, vcc_lo
	flat_store_b32 v[8:9], v12
	s_branch .LBB293_5
.LBB293_33:
	s_endpgm
	.section	.rodata,"a",@progbits
	.p2align	6, 0x0
	.amdhsa_kernel _ZL29rocblas_internal_gemmt_kernelIiLi16ELi32ELi8ELc84ELc67ELc85ELb0ELb0EfPKfPKS1_PKPfEviT_T9_T10_S7_lS9_S7_lS8_T11_S7_li
		.amdhsa_group_segment_fixed_size 2048
		.amdhsa_private_segment_fixed_size 0
		.amdhsa_kernarg_size 100
		.amdhsa_user_sgpr_count 2
		.amdhsa_user_sgpr_dispatch_ptr 0
		.amdhsa_user_sgpr_queue_ptr 0
		.amdhsa_user_sgpr_kernarg_segment_ptr 1
		.amdhsa_user_sgpr_dispatch_id 0
		.amdhsa_user_sgpr_private_segment_size 0
		.amdhsa_wavefront_size32 1
		.amdhsa_uses_dynamic_stack 0
		.amdhsa_enable_private_segment 0
		.amdhsa_system_sgpr_workgroup_id_x 1
		.amdhsa_system_sgpr_workgroup_id_y 1
		.amdhsa_system_sgpr_workgroup_id_z 1
		.amdhsa_system_sgpr_workgroup_info 0
		.amdhsa_system_vgpr_workitem_id 1
		.amdhsa_next_free_vgpr 55
		.amdhsa_next_free_sgpr 32
		.amdhsa_reserve_vcc 1
		.amdhsa_float_round_mode_32 0
		.amdhsa_float_round_mode_16_64 0
		.amdhsa_float_denorm_mode_32 3
		.amdhsa_float_denorm_mode_16_64 3
		.amdhsa_fp16_overflow 0
		.amdhsa_workgroup_processor_mode 1
		.amdhsa_memory_ordered 1
		.amdhsa_forward_progress 1
		.amdhsa_inst_pref_size 15
		.amdhsa_round_robin_scheduling 0
		.amdhsa_exception_fp_ieee_invalid_op 0
		.amdhsa_exception_fp_denorm_src 0
		.amdhsa_exception_fp_ieee_div_zero 0
		.amdhsa_exception_fp_ieee_overflow 0
		.amdhsa_exception_fp_ieee_underflow 0
		.amdhsa_exception_fp_ieee_inexact 0
		.amdhsa_exception_int_div_zero 0
	.end_amdhsa_kernel
	.section	.text._ZL29rocblas_internal_gemmt_kernelIiLi16ELi32ELi8ELc84ELc67ELc85ELb0ELb0EfPKfPKS1_PKPfEviT_T9_T10_S7_lS9_S7_lS8_T11_S7_li,"axG",@progbits,_ZL29rocblas_internal_gemmt_kernelIiLi16ELi32ELi8ELc84ELc67ELc85ELb0ELb0EfPKfPKS1_PKPfEviT_T9_T10_S7_lS9_S7_lS8_T11_S7_li,comdat
.Lfunc_end293:
	.size	_ZL29rocblas_internal_gemmt_kernelIiLi16ELi32ELi8ELc84ELc67ELc85ELb0ELb0EfPKfPKS1_PKPfEviT_T9_T10_S7_lS9_S7_lS8_T11_S7_li, .Lfunc_end293-_ZL29rocblas_internal_gemmt_kernelIiLi16ELi32ELi8ELc84ELc67ELc85ELb0ELb0EfPKfPKS1_PKPfEviT_T9_T10_S7_lS9_S7_lS8_T11_S7_li
                                        ; -- End function
	.set _ZL29rocblas_internal_gemmt_kernelIiLi16ELi32ELi8ELc84ELc67ELc85ELb0ELb0EfPKfPKS1_PKPfEviT_T9_T10_S7_lS9_S7_lS8_T11_S7_li.num_vgpr, 55
	.set _ZL29rocblas_internal_gemmt_kernelIiLi16ELi32ELi8ELc84ELc67ELc85ELb0ELb0EfPKfPKS1_PKPfEviT_T9_T10_S7_lS9_S7_lS8_T11_S7_li.num_agpr, 0
	.set _ZL29rocblas_internal_gemmt_kernelIiLi16ELi32ELi8ELc84ELc67ELc85ELb0ELb0EfPKfPKS1_PKPfEviT_T9_T10_S7_lS9_S7_lS8_T11_S7_li.numbered_sgpr, 32
	.set _ZL29rocblas_internal_gemmt_kernelIiLi16ELi32ELi8ELc84ELc67ELc85ELb0ELb0EfPKfPKS1_PKPfEviT_T9_T10_S7_lS9_S7_lS8_T11_S7_li.num_named_barrier, 0
	.set _ZL29rocblas_internal_gemmt_kernelIiLi16ELi32ELi8ELc84ELc67ELc85ELb0ELb0EfPKfPKS1_PKPfEviT_T9_T10_S7_lS9_S7_lS8_T11_S7_li.private_seg_size, 0
	.set _ZL29rocblas_internal_gemmt_kernelIiLi16ELi32ELi8ELc84ELc67ELc85ELb0ELb0EfPKfPKS1_PKPfEviT_T9_T10_S7_lS9_S7_lS8_T11_S7_li.uses_vcc, 1
	.set _ZL29rocblas_internal_gemmt_kernelIiLi16ELi32ELi8ELc84ELc67ELc85ELb0ELb0EfPKfPKS1_PKPfEviT_T9_T10_S7_lS9_S7_lS8_T11_S7_li.uses_flat_scratch, 0
	.set _ZL29rocblas_internal_gemmt_kernelIiLi16ELi32ELi8ELc84ELc67ELc85ELb0ELb0EfPKfPKS1_PKPfEviT_T9_T10_S7_lS9_S7_lS8_T11_S7_li.has_dyn_sized_stack, 0
	.set _ZL29rocblas_internal_gemmt_kernelIiLi16ELi32ELi8ELc84ELc67ELc85ELb0ELb0EfPKfPKS1_PKPfEviT_T9_T10_S7_lS9_S7_lS8_T11_S7_li.has_recursion, 0
	.set _ZL29rocblas_internal_gemmt_kernelIiLi16ELi32ELi8ELc84ELc67ELc85ELb0ELb0EfPKfPKS1_PKPfEviT_T9_T10_S7_lS9_S7_lS8_T11_S7_li.has_indirect_call, 0
	.section	.AMDGPU.csdata,"",@progbits
; Kernel info:
; codeLenInByte = 1888
; TotalNumSgprs: 34
; NumVgprs: 55
; ScratchSize: 0
; MemoryBound: 0
; FloatMode: 240
; IeeeMode: 1
; LDSByteSize: 2048 bytes/workgroup (compile time only)
; SGPRBlocks: 0
; VGPRBlocks: 6
; NumSGPRsForWavesPerEU: 34
; NumVGPRsForWavesPerEU: 55
; Occupancy: 16
; WaveLimiterHint : 1
; COMPUTE_PGM_RSRC2:SCRATCH_EN: 0
; COMPUTE_PGM_RSRC2:USER_SGPR: 2
; COMPUTE_PGM_RSRC2:TRAP_HANDLER: 0
; COMPUTE_PGM_RSRC2:TGID_X_EN: 1
; COMPUTE_PGM_RSRC2:TGID_Y_EN: 1
; COMPUTE_PGM_RSRC2:TGID_Z_EN: 1
; COMPUTE_PGM_RSRC2:TIDIG_COMP_CNT: 1
	.section	.text._ZL29rocblas_internal_gemmt_kernelIiLi16ELi32ELi8ELc67ELc78ELc85ELb0ELb0EfPKfPKS1_PKPfEviT_T9_T10_S7_lS9_S7_lS8_T11_S7_li,"axG",@progbits,_ZL29rocblas_internal_gemmt_kernelIiLi16ELi32ELi8ELc67ELc78ELc85ELb0ELb0EfPKfPKS1_PKPfEviT_T9_T10_S7_lS9_S7_lS8_T11_S7_li,comdat
	.globl	_ZL29rocblas_internal_gemmt_kernelIiLi16ELi32ELi8ELc67ELc78ELc85ELb0ELb0EfPKfPKS1_PKPfEviT_T9_T10_S7_lS9_S7_lS8_T11_S7_li ; -- Begin function _ZL29rocblas_internal_gemmt_kernelIiLi16ELi32ELi8ELc67ELc78ELc85ELb0ELb0EfPKfPKS1_PKPfEviT_T9_T10_S7_lS9_S7_lS8_T11_S7_li
	.p2align	8
	.type	_ZL29rocblas_internal_gemmt_kernelIiLi16ELi32ELi8ELc67ELc78ELc85ELb0ELb0EfPKfPKS1_PKPfEviT_T9_T10_S7_lS9_S7_lS8_T11_S7_li,@function
_ZL29rocblas_internal_gemmt_kernelIiLi16ELi32ELi8ELc67ELc78ELc85ELb0ELb0EfPKfPKS1_PKPfEviT_T9_T10_S7_lS9_S7_lS8_T11_S7_li: ; @_ZL29rocblas_internal_gemmt_kernelIiLi16ELi32ELi8ELc67ELc78ELc85ELb0ELb0EfPKfPKS1_PKPfEviT_T9_T10_S7_lS9_S7_lS8_T11_S7_li
; %bb.0:
	s_clause 0x1
	s_load_b128 s[12:15], s[0:1], 0x38
	s_load_b128 s[4:7], s[0:1], 0x8
	s_wait_kmcnt 0x0
	s_load_b32 s19, s[14:15], 0x0
	s_load_b64 s[14:15], s[0:1], 0x0
	s_load_b32 s24, s[4:5], 0x0
	s_wait_kmcnt 0x0
	s_cmp_neq_f32 s19, 1.0
	s_cselect_b32 s2, -1, 0
	s_delay_alu instid0(SALU_CYCLE_1)
	s_and_b32 vcc_lo, exec_lo, s2
	s_cbranch_vccnz .LBB294_2
; %bb.1:
	s_cmp_lg_u32 s15, 0
	s_cselect_b32 s2, -1, 0
	s_cmp_neq_f32 s24, 0
	s_cselect_b32 s3, -1, 0
	s_delay_alu instid0(SALU_CYCLE_1)
	s_and_b32 s2, s2, s3
.LBB294_2:
	s_delay_alu instid0(SALU_CYCLE_1)
	s_and_not1_b32 vcc_lo, exec_lo, s2
	s_cbranch_vccnz .LBB294_33
; %bb.3:
	s_load_b32 s25, s[0:1], 0x60
	s_lshr_b32 s20, ttmp7, 16
	s_wait_kmcnt 0x0
	s_cmp_ge_u32 s20, s25
	s_cbranch_scc1 .LBB294_33
; %bb.4:
	v_dual_mov_b32 v20, 0 :: v_dual_and_b32 v1, 0x3ff, v0
	v_bfe_u32 v2, v0, 10, 10
	s_clause 0x4
	s_load_b32 s3, s[0:1], 0x18
	s_load_b128 s[8:11], s[0:1], 0x20
	s_load_b32 s4, s[0:1], 0x30
	s_load_b96 s[16:18], s[0:1], 0x48
	s_load_b64 s[22:23], s[0:1], 0x58
	v_and_b32_e32 v14, 7, v0
	s_lshl_b32 s2, ttmp9, 5
	s_lshl_b32 s0, ttmp7, 5
	v_lshl_add_u32 v0, v2, 4, v1
	s_and_b32 s5, s0, 0x1fffe0
	v_lshlrev_b32_e32 v12, 2, v14
	s_cmp_neq_f32 s24, 0
	v_lshl_add_u32 v19, v2, 5, 0x400
	v_and_b32_e32 v3, 31, v0
	v_lshrrev_b32_e32 v4, 3, v0
	v_lshrrev_b32_e32 v15, 5, v0
	s_cselect_b32 s29, -1, 0
	s_cmp_gt_i32 s15, 0
	v_or_b32_e32 v6, s2, v3
	v_lshlrev_b32_e32 v0, 2, v3
	v_lshl_or_b32 v3, v4, 5, v12
	v_add_nc_u32_e32 v8, s5, v4
	s_cselect_b32 s30, -1, 0
	v_cmp_gt_i32_e64 s0, s14, v6
	s_wait_kmcnt 0x0
	v_mad_co_i64_i32 v[6:7], null, s3, v6, 0
	v_lshl_or_b32 v16, v15, 7, v0
	v_add_nc_u32_e32 v17, 0x400, v3
	v_add_nc_u32_e32 v3, s5, v2
	;; [unrolled: 1-line block ×3, first 2 shown]
	v_cmp_gt_i32_e64 s1, s14, v8
	v_mad_co_i64_i32 v[8:9], null, s4, v8, 0
	s_delay_alu instid0(VALU_DEP_4) | instskip(NEXT) | instid1(VALU_DEP_4)
	v_cmp_gt_i32_e32 vcc_lo, s14, v3
	v_cmp_le_i32_e64 s2, v0, v3
	v_add_nc_u32_e32 v2, 16, v0
	s_cmp_neq_f32 s19, 0
	v_lshlrev_b64_e32 v[6:7], 2, v[6:7]
	v_add_nc_u32_e32 v13, 16, v3
	v_lshlrev_b64_e32 v[8:9], 2, v[8:9]
	s_cselect_b32 s26, -1, 0
	s_and_b32 s27, vcc_lo, s2
	v_cmp_le_i32_e64 s2, v2, v3
	s_lshl_b64 s[4:5], s[8:9], 2
	v_mad_co_i64_i32 v[4:5], null, v3, s18, 0
	s_wait_alu 0xfffe
	v_add_co_u32 v6, s4, v6, s4
	s_and_b32 s28, vcc_lo, s2
	v_cmp_gt_i32_e32 vcc_lo, s14, v13
	v_mad_co_i64_i32 v[10:11], null, v13, s18, 0
	v_cmp_le_i32_e64 s2, v0, v13
	v_cmp_le_i32_e64 s3, v2, v13
	v_add_co_ci_u32_e64 v7, null, s5, v7, s4
	v_lshlrev_b32_e32 v13, 2, v15
	s_lshl_b64 s[4:5], s[12:13], 2
	v_lshlrev_b64_e32 v[4:5], 2, v[4:5]
	s_wait_alu 0xfffe
	v_add_co_u32 v8, s4, v8, s4
	s_wait_alu 0xf1ff
	v_add_co_ci_u32_e64 v9, null, s5, v9, s4
	v_add_co_u32 v21, s4, v6, v13
	s_wait_alu 0xf1ff
	v_add_co_ci_u32_e64 v22, null, 0, v7, s4
	v_add_co_u32 v23, s4, v8, v12
	v_lshlrev_b64_e32 v[6:7], 2, v[10:11]
	v_lshlrev_b32_e32 v18, 2, v1
	v_ashrrev_i32_e32 v1, 31, v0
	v_ashrrev_i32_e32 v3, 31, v2
	s_wait_alu 0xf1ff
	v_add_co_ci_u32_e64 v24, null, 0, v9, s4
	s_mov_b32 s21, 0
	s_and_b32 s8, s29, s30
	s_and_b32 s9, vcc_lo, s2
	s_and_b32 s12, vcc_lo, s3
	s_lshl_b64 s[2:3], s[22:23], 2
	s_branch .LBB294_6
.LBB294_5:                              ;   in Loop: Header=BB294_6 Depth=1
	s_wait_alu 0xfffe
	s_or_b32 exec_lo, exec_lo, s4
	s_add_co_i32 s20, s20, 0x10000
	s_delay_alu instid0(SALU_CYCLE_1)
	s_cmp_lt_u32 s20, s25
	s_cbranch_scc0 .LBB294_33
.LBB294_6:                              ; =>This Loop Header: Depth=1
                                        ;     Child Loop BB294_9 Depth 2
	s_lshl_b64 s[4:5], s[20:21], 3
	v_dual_mov_b32 v28, 0 :: v_dual_mov_b32 v27, 0
	s_wait_alu 0xfffe
	s_add_nc_u64 s[22:23], s[16:17], s[4:5]
	v_dual_mov_b32 v26, 0 :: v_dual_mov_b32 v25, 0
	global_load_b64 v[8:9], v20, s[22:23]
	s_and_not1_b32 vcc_lo, exec_lo, s8
	s_wait_alu 0xfffe
	s_cbranch_vccnz .LBB294_13
; %bb.7:                                ;   in Loop: Header=BB294_6 Depth=1
	s_add_nc_u64 s[22:23], s[6:7], s[4:5]
	s_add_nc_u64 s[4:5], s[10:11], s[4:5]
	s_clause 0x1
	global_load_b64 v[10:11], v20, s[22:23]
	global_load_b64 v[12:13], v20, s[4:5]
	v_dual_mov_b32 v25, 0 :: v_dual_mov_b32 v26, 0
	v_dual_mov_b32 v27, 0 :: v_dual_mov_b32 v28, 0
	s_mov_b32 s4, 0
	s_wait_loadcnt 0x1
	v_add_co_u32 v10, vcc_lo, v10, v21
	s_wait_alu 0xfffd
	v_add_co_ci_u32_e64 v11, null, v11, v22, vcc_lo
	s_wait_loadcnt 0x0
	v_add_co_u32 v12, vcc_lo, v12, v23
	s_wait_alu 0xfffd
	v_add_co_ci_u32_e64 v13, null, v13, v24, vcc_lo
	s_branch .LBB294_9
.LBB294_8:                              ;   in Loop: Header=BB294_9 Depth=2
	s_wait_alu 0xfffe
	s_or_b32 exec_lo, exec_lo, s5
	s_wait_loadcnt_dscnt 0x0
	ds_store_b32 v17, v30
	s_wait_dscnt 0x0
	s_barrier_signal -1
	s_barrier_wait -1
	global_inv scope:SCOPE_SE
	ds_load_b128 v[29:32], v19
	ds_load_2addr_b32 v[45:46], v18 offset1:16
	ds_load_b128 v[33:36], v19 offset:512
	ds_load_2addr_b32 v[47:48], v18 offset0:32 offset1:48
	ds_load_2addr_b32 v[49:50], v18 offset0:64 offset1:80
	;; [unrolled: 1-line block ×3, first 2 shown]
	ds_load_b128 v[37:40], v19 offset:16
	ds_load_2addr_b32 v[53:54], v18 offset0:128 offset1:144
	ds_load_b128 v[41:44], v19 offset:528
	v_add_co_u32 v10, vcc_lo, v10, 32
	s_wait_alu 0xfffd
	v_add_co_ci_u32_e64 v11, null, 0, v11, vcc_lo
	v_add_co_u32 v12, vcc_lo, v12, 32
	s_wait_alu 0xfffd
	v_add_co_ci_u32_e64 v13, null, 0, v13, vcc_lo
	s_add_co_i32 s4, s4, 8
	s_wait_alu 0xfffe
	s_cmp_lt_i32 s4, s15
	s_wait_dscnt 0x7
	v_fmac_f32_e32 v27, v46, v29
	v_fmac_f32_e32 v28, v45, v29
	s_wait_dscnt 0x6
	v_fmac_f32_e32 v25, v46, v33
	v_fmac_f32_e32 v26, v45, v33
	ds_load_2addr_b32 v[45:46], v18 offset0:160 offset1:176
	s_wait_dscnt 0x6
	v_fmac_f32_e32 v27, v48, v30
	v_fmac_f32_e32 v28, v47, v30
	v_fmac_f32_e32 v25, v48, v34
	v_fmac_f32_e32 v26, v47, v34
	ds_load_2addr_b32 v[29:30], v18 offset0:192 offset1:208
	s_wait_dscnt 0x6
	v_fmac_f32_e32 v27, v50, v31
	v_fmac_f32_e32 v28, v49, v31
	;; [unrolled: 6-line block ×3, first 2 shown]
	v_fmac_f32_e32 v25, v52, v36
	v_fmac_f32_e32 v26, v51, v36
	s_wait_loadcnt_dscnt 0x0
	v_fmac_f32_e32 v27, v54, v37
	v_fmac_f32_e32 v28, v53, v37
	;; [unrolled: 1-line block ×4, first 2 shown]
	s_barrier_signal -1
	v_fmac_f32_e32 v27, v46, v38
	v_fmac_f32_e32 v28, v45, v38
	;; [unrolled: 1-line block ×4, first 2 shown]
	s_barrier_wait -1
	v_fmac_f32_e32 v27, v30, v39
	v_fmac_f32_e32 v28, v29, v39
	;; [unrolled: 1-line block ×4, first 2 shown]
	global_inv scope:SCOPE_SE
	v_fmac_f32_e32 v27, v34, v40
	v_fmac_f32_e32 v28, v33, v40
	;; [unrolled: 1-line block ×4, first 2 shown]
	s_cbranch_scc0 .LBB294_13
.LBB294_9:                              ;   Parent Loop BB294_6 Depth=1
                                        ; =>  This Inner Loop Header: Depth=2
	s_wait_alu 0xfffe
	v_add_nc_u32_e32 v29, s4, v15
	s_delay_alu instid0(VALU_DEP_1) | instskip(SKIP_2) | instid1(SALU_CYCLE_1)
	v_cmp_gt_i32_e32 vcc_lo, s15, v29
	v_mov_b32_e32 v29, 0
	s_and_b32 s13, s0, vcc_lo
	s_and_saveexec_b32 s5, s13
	s_cbranch_execz .LBB294_11
; %bb.10:                               ;   in Loop: Header=BB294_9 Depth=2
	flat_load_b32 v29, v[10:11]
.LBB294_11:                             ;   in Loop: Header=BB294_9 Depth=2
	s_wait_alu 0xfffe
	s_or_b32 exec_lo, exec_lo, s5
	v_add_nc_u32_e32 v30, s4, v14
	s_wait_loadcnt_dscnt 0x0
	ds_store_b32 v16, v29
	v_cmp_gt_i32_e32 vcc_lo, s15, v30
	v_mov_b32_e32 v30, 0
	s_and_b32 s13, vcc_lo, s1
	s_delay_alu instid0(SALU_CYCLE_1)
	s_and_saveexec_b32 s5, s13
	s_cbranch_execz .LBB294_8
; %bb.12:                               ;   in Loop: Header=BB294_9 Depth=2
	flat_load_b32 v30, v[12:13]
	s_branch .LBB294_8
.LBB294_13:                             ;   in Loop: Header=BB294_6 Depth=1
	s_wait_loadcnt 0x0
	v_add_co_u32 v8, vcc_lo, v8, s2
	s_wait_alu 0xfffd
	v_add_co_ci_u32_e64 v9, null, s3, v9, vcc_lo
	s_delay_alu instid0(VALU_DEP_2) | instskip(SKIP_1) | instid1(VALU_DEP_2)
	v_add_co_u32 v10, vcc_lo, v8, v4
	s_wait_alu 0xfffd
	v_add_co_ci_u32_e64 v11, null, v9, v5, vcc_lo
	s_and_saveexec_b32 s4, s27
	s_cbranch_execz .LBB294_17
; %bb.14:                               ;   in Loop: Header=BB294_6 Depth=1
	v_mul_f32_e32 v12, s24, v28
	s_and_b32 vcc_lo, exec_lo, s26
	s_wait_alu 0xfffe
	s_cbranch_vccz .LBB294_28
; %bb.15:                               ;   in Loop: Header=BB294_6 Depth=1
	v_lshlrev_b64_e32 v[28:29], 2, v[0:1]
	s_delay_alu instid0(VALU_DEP_1) | instskip(SKIP_1) | instid1(VALU_DEP_2)
	v_add_co_u32 v28, vcc_lo, v10, v28
	s_wait_alu 0xfffd
	v_add_co_ci_u32_e64 v29, null, v11, v29, vcc_lo
	flat_load_b32 v13, v[28:29]
	s_wait_loadcnt_dscnt 0x0
	v_fma_f32 v13, s19, v13, v12
	flat_store_b32 v[28:29], v13
	s_cbranch_execnz .LBB294_17
.LBB294_16:                             ;   in Loop: Header=BB294_6 Depth=1
	v_lshlrev_b64_e32 v[28:29], 2, v[0:1]
	s_delay_alu instid0(VALU_DEP_1) | instskip(SKIP_1) | instid1(VALU_DEP_2)
	v_add_co_u32 v28, vcc_lo, v10, v28
	s_wait_alu 0xfffd
	v_add_co_ci_u32_e64 v29, null, v11, v29, vcc_lo
	flat_store_b32 v[28:29], v12
.LBB294_17:                             ;   in Loop: Header=BB294_6 Depth=1
	s_wait_alu 0xfffe
	s_or_b32 exec_lo, exec_lo, s4
	s_and_saveexec_b32 s4, s28
	s_cbranch_execz .LBB294_21
; %bb.18:                               ;   in Loop: Header=BB294_6 Depth=1
	v_mul_f32_e32 v12, s24, v27
	s_and_not1_b32 vcc_lo, exec_lo, s26
	s_wait_alu 0xfffe
	s_cbranch_vccnz .LBB294_29
; %bb.19:                               ;   in Loop: Header=BB294_6 Depth=1
	v_lshlrev_b64_e32 v[27:28], 2, v[2:3]
	s_delay_alu instid0(VALU_DEP_1) | instskip(SKIP_1) | instid1(VALU_DEP_2)
	v_add_co_u32 v27, vcc_lo, v10, v27
	s_wait_alu 0xfffd
	v_add_co_ci_u32_e64 v28, null, v11, v28, vcc_lo
	flat_load_b32 v13, v[27:28]
	s_wait_loadcnt_dscnt 0x0
	v_fma_f32 v13, s19, v13, v12
	flat_store_b32 v[27:28], v13
	s_cbranch_execnz .LBB294_21
.LBB294_20:                             ;   in Loop: Header=BB294_6 Depth=1
	v_lshlrev_b64_e32 v[27:28], 2, v[2:3]
	s_delay_alu instid0(VALU_DEP_1) | instskip(SKIP_1) | instid1(VALU_DEP_2)
	v_add_co_u32 v10, vcc_lo, v10, v27
	s_wait_alu 0xfffd
	v_add_co_ci_u32_e64 v11, null, v11, v28, vcc_lo
	flat_store_b32 v[10:11], v12
.LBB294_21:                             ;   in Loop: Header=BB294_6 Depth=1
	s_wait_alu 0xfffe
	s_or_b32 exec_lo, exec_lo, s4
	v_add_co_u32 v10, vcc_lo, v8, v6
	s_wait_alu 0xfffd
	v_add_co_ci_u32_e64 v11, null, v9, v7, vcc_lo
	s_and_saveexec_b32 s4, s9
	s_cbranch_execz .LBB294_25
; %bb.22:                               ;   in Loop: Header=BB294_6 Depth=1
	v_lshlrev_b64_e32 v[8:9], 2, v[0:1]
	v_mul_f32_e32 v12, s24, v26
	s_and_not1_b32 vcc_lo, exec_lo, s26
	s_wait_alu 0xfffe
	s_cbranch_vccnz .LBB294_30
; %bb.23:                               ;   in Loop: Header=BB294_6 Depth=1
	s_delay_alu instid0(VALU_DEP_2)
	v_add_co_u32 v26, vcc_lo, v10, v8
	s_wait_alu 0xfffd
	v_add_co_ci_u32_e64 v27, null, v11, v9, vcc_lo
	flat_load_b32 v13, v[26:27]
	s_wait_loadcnt_dscnt 0x0
	v_fma_f32 v13, s19, v13, v12
	flat_store_b32 v[26:27], v13
	s_cbranch_execnz .LBB294_25
.LBB294_24:                             ;   in Loop: Header=BB294_6 Depth=1
	v_add_co_u32 v8, vcc_lo, v10, v8
	s_wait_alu 0xfffd
	v_add_co_ci_u32_e64 v9, null, v11, v9, vcc_lo
	flat_store_b32 v[8:9], v12
.LBB294_25:                             ;   in Loop: Header=BB294_6 Depth=1
	s_wait_alu 0xfffe
	s_or_b32 exec_lo, exec_lo, s4
	s_and_saveexec_b32 s4, s12
	s_cbranch_execz .LBB294_5
; %bb.26:                               ;   in Loop: Header=BB294_6 Depth=1
	v_lshlrev_b64_e32 v[8:9], 2, v[2:3]
	v_mul_f32_e32 v12, s24, v25
	s_and_not1_b32 vcc_lo, exec_lo, s26
	s_wait_alu 0xfffe
	s_cbranch_vccnz .LBB294_31
; %bb.27:                               ;   in Loop: Header=BB294_6 Depth=1
	s_delay_alu instid0(VALU_DEP_2)
	v_add_co_u32 v25, vcc_lo, v10, v8
	s_wait_alu 0xfffd
	v_add_co_ci_u32_e64 v26, null, v11, v9, vcc_lo
	flat_load_b32 v13, v[25:26]
	s_wait_loadcnt_dscnt 0x0
	v_fma_f32 v13, s19, v13, v12
	flat_store_b32 v[25:26], v13
	s_cbranch_execnz .LBB294_5
	s_branch .LBB294_32
.LBB294_28:                             ;   in Loop: Header=BB294_6 Depth=1
	s_branch .LBB294_16
.LBB294_29:                             ;   in Loop: Header=BB294_6 Depth=1
	s_branch .LBB294_20
.LBB294_30:                             ;   in Loop: Header=BB294_6 Depth=1
	s_branch .LBB294_24
.LBB294_31:                             ;   in Loop: Header=BB294_6 Depth=1
.LBB294_32:                             ;   in Loop: Header=BB294_6 Depth=1
	s_delay_alu instid0(VALU_DEP_2)
	v_add_co_u32 v8, vcc_lo, v10, v8
	s_wait_alu 0xfffd
	v_add_co_ci_u32_e64 v9, null, v11, v9, vcc_lo
	flat_store_b32 v[8:9], v12
	s_branch .LBB294_5
.LBB294_33:
	s_endpgm
	.section	.rodata,"a",@progbits
	.p2align	6, 0x0
	.amdhsa_kernel _ZL29rocblas_internal_gemmt_kernelIiLi16ELi32ELi8ELc67ELc78ELc85ELb0ELb0EfPKfPKS1_PKPfEviT_T9_T10_S7_lS9_S7_lS8_T11_S7_li
		.amdhsa_group_segment_fixed_size 2048
		.amdhsa_private_segment_fixed_size 0
		.amdhsa_kernarg_size 100
		.amdhsa_user_sgpr_count 2
		.amdhsa_user_sgpr_dispatch_ptr 0
		.amdhsa_user_sgpr_queue_ptr 0
		.amdhsa_user_sgpr_kernarg_segment_ptr 1
		.amdhsa_user_sgpr_dispatch_id 0
		.amdhsa_user_sgpr_private_segment_size 0
		.amdhsa_wavefront_size32 1
		.amdhsa_uses_dynamic_stack 0
		.amdhsa_enable_private_segment 0
		.amdhsa_system_sgpr_workgroup_id_x 1
		.amdhsa_system_sgpr_workgroup_id_y 1
		.amdhsa_system_sgpr_workgroup_id_z 1
		.amdhsa_system_sgpr_workgroup_info 0
		.amdhsa_system_vgpr_workitem_id 1
		.amdhsa_next_free_vgpr 55
		.amdhsa_next_free_sgpr 31
		.amdhsa_reserve_vcc 1
		.amdhsa_float_round_mode_32 0
		.amdhsa_float_round_mode_16_64 0
		.amdhsa_float_denorm_mode_32 3
		.amdhsa_float_denorm_mode_16_64 3
		.amdhsa_fp16_overflow 0
		.amdhsa_workgroup_processor_mode 1
		.amdhsa_memory_ordered 1
		.amdhsa_forward_progress 1
		.amdhsa_inst_pref_size 15
		.amdhsa_round_robin_scheduling 0
		.amdhsa_exception_fp_ieee_invalid_op 0
		.amdhsa_exception_fp_denorm_src 0
		.amdhsa_exception_fp_ieee_div_zero 0
		.amdhsa_exception_fp_ieee_overflow 0
		.amdhsa_exception_fp_ieee_underflow 0
		.amdhsa_exception_fp_ieee_inexact 0
		.amdhsa_exception_int_div_zero 0
	.end_amdhsa_kernel
	.section	.text._ZL29rocblas_internal_gemmt_kernelIiLi16ELi32ELi8ELc67ELc78ELc85ELb0ELb0EfPKfPKS1_PKPfEviT_T9_T10_S7_lS9_S7_lS8_T11_S7_li,"axG",@progbits,_ZL29rocblas_internal_gemmt_kernelIiLi16ELi32ELi8ELc67ELc78ELc85ELb0ELb0EfPKfPKS1_PKPfEviT_T9_T10_S7_lS9_S7_lS8_T11_S7_li,comdat
.Lfunc_end294:
	.size	_ZL29rocblas_internal_gemmt_kernelIiLi16ELi32ELi8ELc67ELc78ELc85ELb0ELb0EfPKfPKS1_PKPfEviT_T9_T10_S7_lS9_S7_lS8_T11_S7_li, .Lfunc_end294-_ZL29rocblas_internal_gemmt_kernelIiLi16ELi32ELi8ELc67ELc78ELc85ELb0ELb0EfPKfPKS1_PKPfEviT_T9_T10_S7_lS9_S7_lS8_T11_S7_li
                                        ; -- End function
	.set _ZL29rocblas_internal_gemmt_kernelIiLi16ELi32ELi8ELc67ELc78ELc85ELb0ELb0EfPKfPKS1_PKPfEviT_T9_T10_S7_lS9_S7_lS8_T11_S7_li.num_vgpr, 55
	.set _ZL29rocblas_internal_gemmt_kernelIiLi16ELi32ELi8ELc67ELc78ELc85ELb0ELb0EfPKfPKS1_PKPfEviT_T9_T10_S7_lS9_S7_lS8_T11_S7_li.num_agpr, 0
	.set _ZL29rocblas_internal_gemmt_kernelIiLi16ELi32ELi8ELc67ELc78ELc85ELb0ELb0EfPKfPKS1_PKPfEviT_T9_T10_S7_lS9_S7_lS8_T11_S7_li.numbered_sgpr, 31
	.set _ZL29rocblas_internal_gemmt_kernelIiLi16ELi32ELi8ELc67ELc78ELc85ELb0ELb0EfPKfPKS1_PKPfEviT_T9_T10_S7_lS9_S7_lS8_T11_S7_li.num_named_barrier, 0
	.set _ZL29rocblas_internal_gemmt_kernelIiLi16ELi32ELi8ELc67ELc78ELc85ELb0ELb0EfPKfPKS1_PKPfEviT_T9_T10_S7_lS9_S7_lS8_T11_S7_li.private_seg_size, 0
	.set _ZL29rocblas_internal_gemmt_kernelIiLi16ELi32ELi8ELc67ELc78ELc85ELb0ELb0EfPKfPKS1_PKPfEviT_T9_T10_S7_lS9_S7_lS8_T11_S7_li.uses_vcc, 1
	.set _ZL29rocblas_internal_gemmt_kernelIiLi16ELi32ELi8ELc67ELc78ELc85ELb0ELb0EfPKfPKS1_PKPfEviT_T9_T10_S7_lS9_S7_lS8_T11_S7_li.uses_flat_scratch, 0
	.set _ZL29rocblas_internal_gemmt_kernelIiLi16ELi32ELi8ELc67ELc78ELc85ELb0ELb0EfPKfPKS1_PKPfEviT_T9_T10_S7_lS9_S7_lS8_T11_S7_li.has_dyn_sized_stack, 0
	.set _ZL29rocblas_internal_gemmt_kernelIiLi16ELi32ELi8ELc67ELc78ELc85ELb0ELb0EfPKfPKS1_PKPfEviT_T9_T10_S7_lS9_S7_lS8_T11_S7_li.has_recursion, 0
	.set _ZL29rocblas_internal_gemmt_kernelIiLi16ELi32ELi8ELc67ELc78ELc85ELb0ELb0EfPKfPKS1_PKPfEviT_T9_T10_S7_lS9_S7_lS8_T11_S7_li.has_indirect_call, 0
	.section	.AMDGPU.csdata,"",@progbits
; Kernel info:
; codeLenInByte = 1876
; TotalNumSgprs: 33
; NumVgprs: 55
; ScratchSize: 0
; MemoryBound: 0
; FloatMode: 240
; IeeeMode: 1
; LDSByteSize: 2048 bytes/workgroup (compile time only)
; SGPRBlocks: 0
; VGPRBlocks: 6
; NumSGPRsForWavesPerEU: 33
; NumVGPRsForWavesPerEU: 55
; Occupancy: 16
; WaveLimiterHint : 1
; COMPUTE_PGM_RSRC2:SCRATCH_EN: 0
; COMPUTE_PGM_RSRC2:USER_SGPR: 2
; COMPUTE_PGM_RSRC2:TRAP_HANDLER: 0
; COMPUTE_PGM_RSRC2:TGID_X_EN: 1
; COMPUTE_PGM_RSRC2:TGID_Y_EN: 1
; COMPUTE_PGM_RSRC2:TGID_Z_EN: 1
; COMPUTE_PGM_RSRC2:TIDIG_COMP_CNT: 1
	.section	.text._ZL29rocblas_internal_gemmt_kernelIiLi16ELi32ELi8ELc67ELc84ELc85ELb0ELb0EfPKfPKS1_PKPfEviT_T9_T10_S7_lS9_S7_lS8_T11_S7_li,"axG",@progbits,_ZL29rocblas_internal_gemmt_kernelIiLi16ELi32ELi8ELc67ELc84ELc85ELb0ELb0EfPKfPKS1_PKPfEviT_T9_T10_S7_lS9_S7_lS8_T11_S7_li,comdat
	.globl	_ZL29rocblas_internal_gemmt_kernelIiLi16ELi32ELi8ELc67ELc84ELc85ELb0ELb0EfPKfPKS1_PKPfEviT_T9_T10_S7_lS9_S7_lS8_T11_S7_li ; -- Begin function _ZL29rocblas_internal_gemmt_kernelIiLi16ELi32ELi8ELc67ELc84ELc85ELb0ELb0EfPKfPKS1_PKPfEviT_T9_T10_S7_lS9_S7_lS8_T11_S7_li
	.p2align	8
	.type	_ZL29rocblas_internal_gemmt_kernelIiLi16ELi32ELi8ELc67ELc84ELc85ELb0ELb0EfPKfPKS1_PKPfEviT_T9_T10_S7_lS9_S7_lS8_T11_S7_li,@function
_ZL29rocblas_internal_gemmt_kernelIiLi16ELi32ELi8ELc67ELc84ELc85ELb0ELb0EfPKfPKS1_PKPfEviT_T9_T10_S7_lS9_S7_lS8_T11_S7_li: ; @_ZL29rocblas_internal_gemmt_kernelIiLi16ELi32ELi8ELc67ELc84ELc85ELb0ELb0EfPKfPKS1_PKPfEviT_T9_T10_S7_lS9_S7_lS8_T11_S7_li
; %bb.0:
	s_clause 0x1
	s_load_b128 s[12:15], s[0:1], 0x38
	s_load_b128 s[4:7], s[0:1], 0x8
	s_wait_kmcnt 0x0
	s_load_b32 s19, s[14:15], 0x0
	s_load_b64 s[14:15], s[0:1], 0x0
	s_load_b32 s24, s[4:5], 0x0
	s_wait_kmcnt 0x0
	s_cmp_neq_f32 s19, 1.0
	s_cselect_b32 s2, -1, 0
	s_delay_alu instid0(SALU_CYCLE_1)
	s_and_b32 vcc_lo, exec_lo, s2
	s_cbranch_vccnz .LBB295_2
; %bb.1:
	s_cmp_lg_u32 s15, 0
	s_cselect_b32 s2, -1, 0
	s_cmp_neq_f32 s24, 0
	s_cselect_b32 s3, -1, 0
	s_delay_alu instid0(SALU_CYCLE_1)
	s_and_b32 s2, s2, s3
.LBB295_2:
	s_delay_alu instid0(SALU_CYCLE_1)
	s_and_not1_b32 vcc_lo, exec_lo, s2
	s_cbranch_vccnz .LBB295_33
; %bb.3:
	s_load_b32 s25, s[0:1], 0x60
	s_lshr_b32 s4, ttmp7, 16
	s_wait_kmcnt 0x0
	s_cmp_ge_u32 s4, s25
	s_cbranch_scc1 .LBB295_33
; %bb.4:
	v_dual_mov_b32 v20, 0 :: v_dual_and_b32 v1, 0x3ff, v0
	v_bfe_u32 v3, v0, 10, 10
	v_and_b32_e32 v14, 7, v0
	s_clause 0x4
	s_load_b32 s20, s[0:1], 0x30
	s_load_b32 s29, s[0:1], 0x18
	s_load_b128 s[8:11], s[0:1], 0x20
	s_load_b96 s[16:18], s[0:1], 0x48
	s_load_b64 s[22:23], s[0:1], 0x58
	v_lshl_add_u32 v0, v3, 4, v1
	v_lshlrev_b32_e32 v5, 2, v14
	s_lshl_b32 s2, ttmp9, 5
	s_lshl_b32 s0, ttmp7, 5
	v_lshlrev_b32_e32 v18, 2, v1
	v_and_b32_e32 v2, 31, v0
	v_lshrrev_b32_e32 v4, 3, v0
	v_lshrrev_b32_e32 v15, 5, v0
	s_and_b32 s3, s0, 0x1fffe0
	v_lshl_add_u32 v19, v3, 5, 0x400
	v_lshlrev_b32_e32 v0, 2, v2
	v_or_b32_e32 v6, s2, v2
	v_lshl_or_b32 v2, v4, 5, v5
	v_add_nc_u32_e32 v7, s3, v3
	v_add_nc_u32_e32 v12, s3, v4
	v_lshl_or_b32 v16, v15, 7, v0
	v_add_nc_u32_e32 v0, s2, v1
	v_add_nc_u32_e32 v17, 0x400, v2
	s_wait_kmcnt 0x0
	s_ashr_i32 s21, s20, 31
	v_cmp_gt_i32_e64 s0, s14, v6
	v_cmp_gt_i32_e32 vcc_lo, s14, v7
	v_add_nc_u32_e32 v2, 16, v0
	v_cmp_le_i32_e64 s2, v0, v7
	v_mad_co_i64_i32 v[4:5], null, v7, s18, 0
	v_add_nc_u32_e32 v13, 16, v7
	s_delay_alu instid0(VALU_DEP_4)
	v_cmp_le_i32_e64 s3, v2, v7
	v_mad_co_i64_i32 v[6:7], null, s29, v6, 0
	s_cmp_neq_f32 s24, 0
	v_mad_co_i64_i32 v[8:9], null, s20, v14, 0
	v_cmp_gt_i32_e64 s1, s14, v12
	s_cselect_b32 s30, -1, 0
	s_cmp_gt_i32 s15, 0
	v_lshlrev_b64_e32 v[6:7], 2, v[6:7]
	s_cselect_b32 s31, -1, 0
	s_cmp_neq_f32 s19, 0
	v_lshlrev_b64_e32 v[8:9], 2, v[8:9]
	v_mad_co_i64_i32 v[10:11], null, v13, s18, 0
	s_cselect_b32 s26, -1, 0
	s_and_b32 s27, vcc_lo, s2
	s_and_b32 s28, vcc_lo, s3
	v_cmp_gt_i32_e32 vcc_lo, s14, v13
	v_cmp_le_i32_e64 s2, v0, v13
	s_lshl_b64 s[8:9], s[8:9], 2
	v_lshlrev_b32_e32 v12, 2, v12
	v_add_co_u32 v6, s3, v6, s8
	s_and_b32 s14, vcc_lo, s2
	v_cmp_le_i32_e64 s2, v2, v13
	v_add_co_ci_u32_e64 v7, null, s9, v7, s3
	v_lshlrev_b32_e32 v13, 2, v15
	s_lshl_b64 s[8:9], s[12:13], 2
	v_lshlrev_b64_e32 v[4:5], 2, v[4:5]
	s_wait_alu 0xfffe
	v_add_co_u32 v8, s3, v8, s8
	s_wait_alu 0xf1ff
	v_add_co_ci_u32_e64 v9, null, s9, v9, s3
	v_add_co_u32 v21, s3, v6, v13
	s_wait_alu 0xf1ff
	v_add_co_ci_u32_e64 v22, null, 0, v7, s3
	v_add_co_u32 v23, s3, v8, v12
	v_lshlrev_b64_e32 v[6:7], 2, v[10:11]
	v_ashrrev_i32_e32 v1, 31, v0
	v_ashrrev_i32_e32 v3, 31, v2
	s_wait_alu 0xf1ff
	v_add_co_ci_u32_e64 v24, null, 0, v9, s3
	s_mov_b32 s5, 0
	s_and_b32 s18, s30, s31
	s_and_b32 s29, vcc_lo, s2
	s_lshl_b64 s[2:3], s[20:21], 5
	s_lshl_b64 s[8:9], s[22:23], 2
	s_branch .LBB295_6
.LBB295_5:                              ;   in Loop: Header=BB295_6 Depth=1
	s_wait_alu 0xfffe
	s_or_b32 exec_lo, exec_lo, s12
	s_add_co_i32 s4, s4, 0x10000
	s_delay_alu instid0(SALU_CYCLE_1)
	s_cmp_lt_u32 s4, s25
	s_cbranch_scc0 .LBB295_33
.LBB295_6:                              ; =>This Loop Header: Depth=1
                                        ;     Child Loop BB295_9 Depth 2
	s_lshl_b64 s[12:13], s[4:5], 3
	v_dual_mov_b32 v28, 0 :: v_dual_mov_b32 v27, 0
	s_wait_alu 0xfffe
	s_add_nc_u64 s[20:21], s[16:17], s[12:13]
	v_dual_mov_b32 v26, 0 :: v_dual_mov_b32 v25, 0
	global_load_b64 v[8:9], v20, s[20:21]
	s_and_not1_b32 vcc_lo, exec_lo, s18
	s_wait_alu 0xfffe
	s_cbranch_vccnz .LBB295_13
; %bb.7:                                ;   in Loop: Header=BB295_6 Depth=1
	s_add_nc_u64 s[20:21], s[6:7], s[12:13]
	s_add_nc_u64 s[12:13], s[10:11], s[12:13]
	s_clause 0x1
	global_load_b64 v[10:11], v20, s[20:21]
	global_load_b64 v[12:13], v20, s[12:13]
	v_dual_mov_b32 v25, 0 :: v_dual_mov_b32 v26, 0
	v_dual_mov_b32 v27, 0 :: v_dual_mov_b32 v28, 0
	s_mov_b32 s12, 0
	s_wait_loadcnt 0x1
	v_add_co_u32 v10, vcc_lo, v10, v21
	s_wait_alu 0xfffd
	v_add_co_ci_u32_e64 v11, null, v11, v22, vcc_lo
	s_wait_loadcnt 0x0
	v_add_co_u32 v12, vcc_lo, v12, v23
	s_wait_alu 0xfffd
	v_add_co_ci_u32_e64 v13, null, v13, v24, vcc_lo
	s_branch .LBB295_9
.LBB295_8:                              ;   in Loop: Header=BB295_9 Depth=2
	s_wait_alu 0xfffe
	s_or_b32 exec_lo, exec_lo, s13
	s_wait_loadcnt_dscnt 0x0
	ds_store_b32 v17, v30
	s_wait_dscnt 0x0
	s_barrier_signal -1
	s_barrier_wait -1
	global_inv scope:SCOPE_SE
	ds_load_b128 v[29:32], v19
	ds_load_2addr_b32 v[45:46], v18 offset1:16
	ds_load_b128 v[33:36], v19 offset:512
	ds_load_2addr_b32 v[47:48], v18 offset0:32 offset1:48
	ds_load_2addr_b32 v[49:50], v18 offset0:64 offset1:80
	;; [unrolled: 1-line block ×3, first 2 shown]
	ds_load_b128 v[37:40], v19 offset:16
	ds_load_2addr_b32 v[53:54], v18 offset0:128 offset1:144
	ds_load_b128 v[41:44], v19 offset:528
	v_add_co_u32 v10, vcc_lo, v10, 32
	s_wait_alu 0xfffd
	v_add_co_ci_u32_e64 v11, null, 0, v11, vcc_lo
	v_add_co_u32 v12, vcc_lo, v12, s2
	s_wait_alu 0xfffd
	v_add_co_ci_u32_e64 v13, null, s3, v13, vcc_lo
	s_add_co_i32 s12, s12, 8
	s_wait_alu 0xfffe
	s_cmp_lt_i32 s12, s15
	s_wait_dscnt 0x7
	v_fmac_f32_e32 v27, v46, v29
	v_fmac_f32_e32 v28, v45, v29
	s_wait_dscnt 0x6
	v_fmac_f32_e32 v25, v46, v33
	v_fmac_f32_e32 v26, v45, v33
	ds_load_2addr_b32 v[45:46], v18 offset0:160 offset1:176
	s_wait_dscnt 0x6
	v_fmac_f32_e32 v27, v48, v30
	v_fmac_f32_e32 v28, v47, v30
	v_fmac_f32_e32 v25, v48, v34
	v_fmac_f32_e32 v26, v47, v34
	ds_load_2addr_b32 v[29:30], v18 offset0:192 offset1:208
	s_wait_dscnt 0x6
	v_fmac_f32_e32 v27, v50, v31
	v_fmac_f32_e32 v28, v49, v31
	;; [unrolled: 6-line block ×3, first 2 shown]
	v_fmac_f32_e32 v25, v52, v36
	v_fmac_f32_e32 v26, v51, v36
	s_wait_loadcnt_dscnt 0x0
	v_fmac_f32_e32 v27, v54, v37
	v_fmac_f32_e32 v28, v53, v37
	;; [unrolled: 1-line block ×4, first 2 shown]
	s_barrier_signal -1
	v_fmac_f32_e32 v27, v46, v38
	v_fmac_f32_e32 v28, v45, v38
	;; [unrolled: 1-line block ×4, first 2 shown]
	s_barrier_wait -1
	v_fmac_f32_e32 v27, v30, v39
	v_fmac_f32_e32 v28, v29, v39
	;; [unrolled: 1-line block ×4, first 2 shown]
	global_inv scope:SCOPE_SE
	v_fmac_f32_e32 v27, v34, v40
	v_fmac_f32_e32 v28, v33, v40
	;; [unrolled: 1-line block ×4, first 2 shown]
	s_cbranch_scc0 .LBB295_13
.LBB295_9:                              ;   Parent Loop BB295_6 Depth=1
                                        ; =>  This Inner Loop Header: Depth=2
	s_wait_alu 0xfffe
	v_add_nc_u32_e32 v29, s12, v15
	s_delay_alu instid0(VALU_DEP_1)
	v_cmp_gt_i32_e32 vcc_lo, s15, v29
	v_mov_b32_e32 v29, 0
	s_and_b32 s20, s0, vcc_lo
	s_wait_alu 0xfffe
	s_and_saveexec_b32 s13, s20
	s_cbranch_execz .LBB295_11
; %bb.10:                               ;   in Loop: Header=BB295_9 Depth=2
	flat_load_b32 v29, v[10:11]
.LBB295_11:                             ;   in Loop: Header=BB295_9 Depth=2
	s_wait_alu 0xfffe
	s_or_b32 exec_lo, exec_lo, s13
	v_add_nc_u32_e32 v30, s12, v14
	s_wait_loadcnt_dscnt 0x0
	ds_store_b32 v16, v29
	v_cmp_gt_i32_e32 vcc_lo, s15, v30
	v_mov_b32_e32 v30, 0
	s_and_b32 s20, vcc_lo, s1
	s_wait_alu 0xfffe
	s_and_saveexec_b32 s13, s20
	s_cbranch_execz .LBB295_8
; %bb.12:                               ;   in Loop: Header=BB295_9 Depth=2
	flat_load_b32 v30, v[12:13]
	s_branch .LBB295_8
.LBB295_13:                             ;   in Loop: Header=BB295_6 Depth=1
	s_wait_loadcnt 0x0
	v_add_co_u32 v8, vcc_lo, v8, s8
	s_wait_alu 0xfffd
	v_add_co_ci_u32_e64 v9, null, s9, v9, vcc_lo
	s_delay_alu instid0(VALU_DEP_2) | instskip(SKIP_1) | instid1(VALU_DEP_2)
	v_add_co_u32 v10, vcc_lo, v8, v4
	s_wait_alu 0xfffd
	v_add_co_ci_u32_e64 v11, null, v9, v5, vcc_lo
	s_and_saveexec_b32 s12, s27
	s_cbranch_execz .LBB295_17
; %bb.14:                               ;   in Loop: Header=BB295_6 Depth=1
	v_mul_f32_e32 v12, s24, v28
	s_and_b32 vcc_lo, exec_lo, s26
	s_wait_alu 0xfffe
	s_cbranch_vccz .LBB295_28
; %bb.15:                               ;   in Loop: Header=BB295_6 Depth=1
	v_lshlrev_b64_e32 v[28:29], 2, v[0:1]
	s_delay_alu instid0(VALU_DEP_1) | instskip(SKIP_1) | instid1(VALU_DEP_2)
	v_add_co_u32 v28, vcc_lo, v10, v28
	s_wait_alu 0xfffd
	v_add_co_ci_u32_e64 v29, null, v11, v29, vcc_lo
	flat_load_b32 v13, v[28:29]
	s_wait_loadcnt_dscnt 0x0
	v_fma_f32 v13, s19, v13, v12
	flat_store_b32 v[28:29], v13
	s_cbranch_execnz .LBB295_17
.LBB295_16:                             ;   in Loop: Header=BB295_6 Depth=1
	v_lshlrev_b64_e32 v[28:29], 2, v[0:1]
	s_delay_alu instid0(VALU_DEP_1) | instskip(SKIP_1) | instid1(VALU_DEP_2)
	v_add_co_u32 v28, vcc_lo, v10, v28
	s_wait_alu 0xfffd
	v_add_co_ci_u32_e64 v29, null, v11, v29, vcc_lo
	flat_store_b32 v[28:29], v12
.LBB295_17:                             ;   in Loop: Header=BB295_6 Depth=1
	s_wait_alu 0xfffe
	s_or_b32 exec_lo, exec_lo, s12
	s_and_saveexec_b32 s12, s28
	s_cbranch_execz .LBB295_21
; %bb.18:                               ;   in Loop: Header=BB295_6 Depth=1
	v_mul_f32_e32 v12, s24, v27
	s_and_not1_b32 vcc_lo, exec_lo, s26
	s_wait_alu 0xfffe
	s_cbranch_vccnz .LBB295_29
; %bb.19:                               ;   in Loop: Header=BB295_6 Depth=1
	v_lshlrev_b64_e32 v[27:28], 2, v[2:3]
	s_delay_alu instid0(VALU_DEP_1) | instskip(SKIP_1) | instid1(VALU_DEP_2)
	v_add_co_u32 v27, vcc_lo, v10, v27
	s_wait_alu 0xfffd
	v_add_co_ci_u32_e64 v28, null, v11, v28, vcc_lo
	flat_load_b32 v13, v[27:28]
	s_wait_loadcnt_dscnt 0x0
	v_fma_f32 v13, s19, v13, v12
	flat_store_b32 v[27:28], v13
	s_cbranch_execnz .LBB295_21
.LBB295_20:                             ;   in Loop: Header=BB295_6 Depth=1
	v_lshlrev_b64_e32 v[27:28], 2, v[2:3]
	s_delay_alu instid0(VALU_DEP_1) | instskip(SKIP_1) | instid1(VALU_DEP_2)
	v_add_co_u32 v10, vcc_lo, v10, v27
	s_wait_alu 0xfffd
	v_add_co_ci_u32_e64 v11, null, v11, v28, vcc_lo
	flat_store_b32 v[10:11], v12
.LBB295_21:                             ;   in Loop: Header=BB295_6 Depth=1
	s_wait_alu 0xfffe
	s_or_b32 exec_lo, exec_lo, s12
	v_add_co_u32 v10, vcc_lo, v8, v6
	s_wait_alu 0xfffd
	v_add_co_ci_u32_e64 v11, null, v9, v7, vcc_lo
	s_and_saveexec_b32 s12, s14
	s_cbranch_execz .LBB295_25
; %bb.22:                               ;   in Loop: Header=BB295_6 Depth=1
	v_lshlrev_b64_e32 v[8:9], 2, v[0:1]
	v_mul_f32_e32 v12, s24, v26
	s_and_not1_b32 vcc_lo, exec_lo, s26
	s_wait_alu 0xfffe
	s_cbranch_vccnz .LBB295_30
; %bb.23:                               ;   in Loop: Header=BB295_6 Depth=1
	s_delay_alu instid0(VALU_DEP_2)
	v_add_co_u32 v26, vcc_lo, v10, v8
	s_wait_alu 0xfffd
	v_add_co_ci_u32_e64 v27, null, v11, v9, vcc_lo
	flat_load_b32 v13, v[26:27]
	s_wait_loadcnt_dscnt 0x0
	v_fma_f32 v13, s19, v13, v12
	flat_store_b32 v[26:27], v13
	s_cbranch_execnz .LBB295_25
.LBB295_24:                             ;   in Loop: Header=BB295_6 Depth=1
	v_add_co_u32 v8, vcc_lo, v10, v8
	s_wait_alu 0xfffd
	v_add_co_ci_u32_e64 v9, null, v11, v9, vcc_lo
	flat_store_b32 v[8:9], v12
.LBB295_25:                             ;   in Loop: Header=BB295_6 Depth=1
	s_wait_alu 0xfffe
	s_or_b32 exec_lo, exec_lo, s12
	s_and_saveexec_b32 s12, s29
	s_cbranch_execz .LBB295_5
; %bb.26:                               ;   in Loop: Header=BB295_6 Depth=1
	v_lshlrev_b64_e32 v[8:9], 2, v[2:3]
	v_mul_f32_e32 v12, s24, v25
	s_and_not1_b32 vcc_lo, exec_lo, s26
	s_wait_alu 0xfffe
	s_cbranch_vccnz .LBB295_31
; %bb.27:                               ;   in Loop: Header=BB295_6 Depth=1
	s_delay_alu instid0(VALU_DEP_2)
	v_add_co_u32 v25, vcc_lo, v10, v8
	s_wait_alu 0xfffd
	v_add_co_ci_u32_e64 v26, null, v11, v9, vcc_lo
	flat_load_b32 v13, v[25:26]
	s_wait_loadcnt_dscnt 0x0
	v_fma_f32 v13, s19, v13, v12
	flat_store_b32 v[25:26], v13
	s_cbranch_execnz .LBB295_5
	s_branch .LBB295_32
.LBB295_28:                             ;   in Loop: Header=BB295_6 Depth=1
	s_branch .LBB295_16
.LBB295_29:                             ;   in Loop: Header=BB295_6 Depth=1
	s_branch .LBB295_20
.LBB295_30:                             ;   in Loop: Header=BB295_6 Depth=1
	s_branch .LBB295_24
.LBB295_31:                             ;   in Loop: Header=BB295_6 Depth=1
.LBB295_32:                             ;   in Loop: Header=BB295_6 Depth=1
	s_delay_alu instid0(VALU_DEP_2)
	v_add_co_u32 v8, vcc_lo, v10, v8
	s_wait_alu 0xfffd
	v_add_co_ci_u32_e64 v9, null, v11, v9, vcc_lo
	flat_store_b32 v[8:9], v12
	s_branch .LBB295_5
.LBB295_33:
	s_endpgm
	.section	.rodata,"a",@progbits
	.p2align	6, 0x0
	.amdhsa_kernel _ZL29rocblas_internal_gemmt_kernelIiLi16ELi32ELi8ELc67ELc84ELc85ELb0ELb0EfPKfPKS1_PKPfEviT_T9_T10_S7_lS9_S7_lS8_T11_S7_li
		.amdhsa_group_segment_fixed_size 2048
		.amdhsa_private_segment_fixed_size 0
		.amdhsa_kernarg_size 100
		.amdhsa_user_sgpr_count 2
		.amdhsa_user_sgpr_dispatch_ptr 0
		.amdhsa_user_sgpr_queue_ptr 0
		.amdhsa_user_sgpr_kernarg_segment_ptr 1
		.amdhsa_user_sgpr_dispatch_id 0
		.amdhsa_user_sgpr_private_segment_size 0
		.amdhsa_wavefront_size32 1
		.amdhsa_uses_dynamic_stack 0
		.amdhsa_enable_private_segment 0
		.amdhsa_system_sgpr_workgroup_id_x 1
		.amdhsa_system_sgpr_workgroup_id_y 1
		.amdhsa_system_sgpr_workgroup_id_z 1
		.amdhsa_system_sgpr_workgroup_info 0
		.amdhsa_system_vgpr_workitem_id 1
		.amdhsa_next_free_vgpr 55
		.amdhsa_next_free_sgpr 32
		.amdhsa_reserve_vcc 1
		.amdhsa_float_round_mode_32 0
		.amdhsa_float_round_mode_16_64 0
		.amdhsa_float_denorm_mode_32 3
		.amdhsa_float_denorm_mode_16_64 3
		.amdhsa_fp16_overflow 0
		.amdhsa_workgroup_processor_mode 1
		.amdhsa_memory_ordered 1
		.amdhsa_forward_progress 1
		.amdhsa_inst_pref_size 15
		.amdhsa_round_robin_scheduling 0
		.amdhsa_exception_fp_ieee_invalid_op 0
		.amdhsa_exception_fp_denorm_src 0
		.amdhsa_exception_fp_ieee_div_zero 0
		.amdhsa_exception_fp_ieee_overflow 0
		.amdhsa_exception_fp_ieee_underflow 0
		.amdhsa_exception_fp_ieee_inexact 0
		.amdhsa_exception_int_div_zero 0
	.end_amdhsa_kernel
	.section	.text._ZL29rocblas_internal_gemmt_kernelIiLi16ELi32ELi8ELc67ELc84ELc85ELb0ELb0EfPKfPKS1_PKPfEviT_T9_T10_S7_lS9_S7_lS8_T11_S7_li,"axG",@progbits,_ZL29rocblas_internal_gemmt_kernelIiLi16ELi32ELi8ELc67ELc84ELc85ELb0ELb0EfPKfPKS1_PKPfEviT_T9_T10_S7_lS9_S7_lS8_T11_S7_li,comdat
.Lfunc_end295:
	.size	_ZL29rocblas_internal_gemmt_kernelIiLi16ELi32ELi8ELc67ELc84ELc85ELb0ELb0EfPKfPKS1_PKPfEviT_T9_T10_S7_lS9_S7_lS8_T11_S7_li, .Lfunc_end295-_ZL29rocblas_internal_gemmt_kernelIiLi16ELi32ELi8ELc67ELc84ELc85ELb0ELb0EfPKfPKS1_PKPfEviT_T9_T10_S7_lS9_S7_lS8_T11_S7_li
                                        ; -- End function
	.set _ZL29rocblas_internal_gemmt_kernelIiLi16ELi32ELi8ELc67ELc84ELc85ELb0ELb0EfPKfPKS1_PKPfEviT_T9_T10_S7_lS9_S7_lS8_T11_S7_li.num_vgpr, 55
	.set _ZL29rocblas_internal_gemmt_kernelIiLi16ELi32ELi8ELc67ELc84ELc85ELb0ELb0EfPKfPKS1_PKPfEviT_T9_T10_S7_lS9_S7_lS8_T11_S7_li.num_agpr, 0
	.set _ZL29rocblas_internal_gemmt_kernelIiLi16ELi32ELi8ELc67ELc84ELc85ELb0ELb0EfPKfPKS1_PKPfEviT_T9_T10_S7_lS9_S7_lS8_T11_S7_li.numbered_sgpr, 32
	.set _ZL29rocblas_internal_gemmt_kernelIiLi16ELi32ELi8ELc67ELc84ELc85ELb0ELb0EfPKfPKS1_PKPfEviT_T9_T10_S7_lS9_S7_lS8_T11_S7_li.num_named_barrier, 0
	.set _ZL29rocblas_internal_gemmt_kernelIiLi16ELi32ELi8ELc67ELc84ELc85ELb0ELb0EfPKfPKS1_PKPfEviT_T9_T10_S7_lS9_S7_lS8_T11_S7_li.private_seg_size, 0
	.set _ZL29rocblas_internal_gemmt_kernelIiLi16ELi32ELi8ELc67ELc84ELc85ELb0ELb0EfPKfPKS1_PKPfEviT_T9_T10_S7_lS9_S7_lS8_T11_S7_li.uses_vcc, 1
	.set _ZL29rocblas_internal_gemmt_kernelIiLi16ELi32ELi8ELc67ELc84ELc85ELb0ELb0EfPKfPKS1_PKPfEviT_T9_T10_S7_lS9_S7_lS8_T11_S7_li.uses_flat_scratch, 0
	.set _ZL29rocblas_internal_gemmt_kernelIiLi16ELi32ELi8ELc67ELc84ELc85ELb0ELb0EfPKfPKS1_PKPfEviT_T9_T10_S7_lS9_S7_lS8_T11_S7_li.has_dyn_sized_stack, 0
	.set _ZL29rocblas_internal_gemmt_kernelIiLi16ELi32ELi8ELc67ELc84ELc85ELb0ELb0EfPKfPKS1_PKPfEviT_T9_T10_S7_lS9_S7_lS8_T11_S7_li.has_recursion, 0
	.set _ZL29rocblas_internal_gemmt_kernelIiLi16ELi32ELi8ELc67ELc84ELc85ELb0ELb0EfPKfPKS1_PKPfEviT_T9_T10_S7_lS9_S7_lS8_T11_S7_li.has_indirect_call, 0
	.section	.AMDGPU.csdata,"",@progbits
; Kernel info:
; codeLenInByte = 1888
; TotalNumSgprs: 34
; NumVgprs: 55
; ScratchSize: 0
; MemoryBound: 0
; FloatMode: 240
; IeeeMode: 1
; LDSByteSize: 2048 bytes/workgroup (compile time only)
; SGPRBlocks: 0
; VGPRBlocks: 6
; NumSGPRsForWavesPerEU: 34
; NumVGPRsForWavesPerEU: 55
; Occupancy: 16
; WaveLimiterHint : 1
; COMPUTE_PGM_RSRC2:SCRATCH_EN: 0
; COMPUTE_PGM_RSRC2:USER_SGPR: 2
; COMPUTE_PGM_RSRC2:TRAP_HANDLER: 0
; COMPUTE_PGM_RSRC2:TGID_X_EN: 1
; COMPUTE_PGM_RSRC2:TGID_Y_EN: 1
; COMPUTE_PGM_RSRC2:TGID_Z_EN: 1
; COMPUTE_PGM_RSRC2:TIDIG_COMP_CNT: 1
	.section	.text._ZL29rocblas_internal_gemmt_kernelIiLi16ELi32ELi8ELc67ELc67ELc85ELb0ELb0EfPKfPKS1_PKPfEviT_T9_T10_S7_lS9_S7_lS8_T11_S7_li,"axG",@progbits,_ZL29rocblas_internal_gemmt_kernelIiLi16ELi32ELi8ELc67ELc67ELc85ELb0ELb0EfPKfPKS1_PKPfEviT_T9_T10_S7_lS9_S7_lS8_T11_S7_li,comdat
	.globl	_ZL29rocblas_internal_gemmt_kernelIiLi16ELi32ELi8ELc67ELc67ELc85ELb0ELb0EfPKfPKS1_PKPfEviT_T9_T10_S7_lS9_S7_lS8_T11_S7_li ; -- Begin function _ZL29rocblas_internal_gemmt_kernelIiLi16ELi32ELi8ELc67ELc67ELc85ELb0ELb0EfPKfPKS1_PKPfEviT_T9_T10_S7_lS9_S7_lS8_T11_S7_li
	.p2align	8
	.type	_ZL29rocblas_internal_gemmt_kernelIiLi16ELi32ELi8ELc67ELc67ELc85ELb0ELb0EfPKfPKS1_PKPfEviT_T9_T10_S7_lS9_S7_lS8_T11_S7_li,@function
_ZL29rocblas_internal_gemmt_kernelIiLi16ELi32ELi8ELc67ELc67ELc85ELb0ELb0EfPKfPKS1_PKPfEviT_T9_T10_S7_lS9_S7_lS8_T11_S7_li: ; @_ZL29rocblas_internal_gemmt_kernelIiLi16ELi32ELi8ELc67ELc67ELc85ELb0ELb0EfPKfPKS1_PKPfEviT_T9_T10_S7_lS9_S7_lS8_T11_S7_li
; %bb.0:
	s_clause 0x1
	s_load_b128 s[12:15], s[0:1], 0x38
	s_load_b128 s[4:7], s[0:1], 0x8
	s_wait_kmcnt 0x0
	s_load_b32 s19, s[14:15], 0x0
	s_load_b64 s[14:15], s[0:1], 0x0
	s_load_b32 s24, s[4:5], 0x0
	s_wait_kmcnt 0x0
	s_cmp_neq_f32 s19, 1.0
	s_cselect_b32 s2, -1, 0
	s_delay_alu instid0(SALU_CYCLE_1)
	s_and_b32 vcc_lo, exec_lo, s2
	s_cbranch_vccnz .LBB296_2
; %bb.1:
	s_cmp_lg_u32 s15, 0
	s_cselect_b32 s2, -1, 0
	s_cmp_neq_f32 s24, 0
	s_cselect_b32 s3, -1, 0
	s_delay_alu instid0(SALU_CYCLE_1)
	s_and_b32 s2, s2, s3
.LBB296_2:
	s_delay_alu instid0(SALU_CYCLE_1)
	s_and_not1_b32 vcc_lo, exec_lo, s2
	s_cbranch_vccnz .LBB296_33
; %bb.3:
	s_load_b32 s25, s[0:1], 0x60
	s_lshr_b32 s4, ttmp7, 16
	s_wait_kmcnt 0x0
	s_cmp_ge_u32 s4, s25
	s_cbranch_scc1 .LBB296_33
; %bb.4:
	v_dual_mov_b32 v20, 0 :: v_dual_and_b32 v1, 0x3ff, v0
	v_bfe_u32 v3, v0, 10, 10
	v_and_b32_e32 v14, 7, v0
	s_clause 0x4
	s_load_b32 s20, s[0:1], 0x30
	s_load_b32 s29, s[0:1], 0x18
	s_load_b128 s[8:11], s[0:1], 0x20
	s_load_b96 s[16:18], s[0:1], 0x48
	s_load_b64 s[22:23], s[0:1], 0x58
	v_lshl_add_u32 v0, v3, 4, v1
	v_lshlrev_b32_e32 v5, 2, v14
	s_lshl_b32 s2, ttmp9, 5
	s_lshl_b32 s0, ttmp7, 5
	v_lshlrev_b32_e32 v18, 2, v1
	v_and_b32_e32 v2, 31, v0
	v_lshrrev_b32_e32 v4, 3, v0
	v_lshrrev_b32_e32 v15, 5, v0
	s_and_b32 s3, s0, 0x1fffe0
	v_lshl_add_u32 v19, v3, 5, 0x400
	v_lshlrev_b32_e32 v0, 2, v2
	v_or_b32_e32 v6, s2, v2
	v_lshl_or_b32 v2, v4, 5, v5
	v_add_nc_u32_e32 v7, s3, v3
	v_add_nc_u32_e32 v12, s3, v4
	v_lshl_or_b32 v16, v15, 7, v0
	v_add_nc_u32_e32 v0, s2, v1
	v_add_nc_u32_e32 v17, 0x400, v2
	s_wait_kmcnt 0x0
	s_ashr_i32 s21, s20, 31
	v_cmp_gt_i32_e64 s0, s14, v6
	v_cmp_gt_i32_e32 vcc_lo, s14, v7
	v_add_nc_u32_e32 v2, 16, v0
	v_cmp_le_i32_e64 s2, v0, v7
	v_mad_co_i64_i32 v[4:5], null, v7, s18, 0
	v_add_nc_u32_e32 v13, 16, v7
	s_delay_alu instid0(VALU_DEP_4)
	v_cmp_le_i32_e64 s3, v2, v7
	v_mad_co_i64_i32 v[6:7], null, s29, v6, 0
	s_cmp_neq_f32 s24, 0
	v_mad_co_i64_i32 v[8:9], null, s20, v14, 0
	v_cmp_gt_i32_e64 s1, s14, v12
	s_cselect_b32 s30, -1, 0
	s_cmp_gt_i32 s15, 0
	v_lshlrev_b64_e32 v[6:7], 2, v[6:7]
	s_cselect_b32 s31, -1, 0
	s_cmp_neq_f32 s19, 0
	v_lshlrev_b64_e32 v[8:9], 2, v[8:9]
	v_mad_co_i64_i32 v[10:11], null, v13, s18, 0
	s_cselect_b32 s26, -1, 0
	s_and_b32 s27, vcc_lo, s2
	s_and_b32 s28, vcc_lo, s3
	v_cmp_gt_i32_e32 vcc_lo, s14, v13
	v_cmp_le_i32_e64 s2, v0, v13
	s_lshl_b64 s[8:9], s[8:9], 2
	v_lshlrev_b32_e32 v12, 2, v12
	v_add_co_u32 v6, s3, v6, s8
	s_and_b32 s14, vcc_lo, s2
	v_cmp_le_i32_e64 s2, v2, v13
	v_add_co_ci_u32_e64 v7, null, s9, v7, s3
	v_lshlrev_b32_e32 v13, 2, v15
	s_lshl_b64 s[8:9], s[12:13], 2
	v_lshlrev_b64_e32 v[4:5], 2, v[4:5]
	s_wait_alu 0xfffe
	v_add_co_u32 v8, s3, v8, s8
	s_wait_alu 0xf1ff
	v_add_co_ci_u32_e64 v9, null, s9, v9, s3
	v_add_co_u32 v21, s3, v6, v13
	s_wait_alu 0xf1ff
	v_add_co_ci_u32_e64 v22, null, 0, v7, s3
	v_add_co_u32 v23, s3, v8, v12
	v_lshlrev_b64_e32 v[6:7], 2, v[10:11]
	v_ashrrev_i32_e32 v1, 31, v0
	v_ashrrev_i32_e32 v3, 31, v2
	s_wait_alu 0xf1ff
	v_add_co_ci_u32_e64 v24, null, 0, v9, s3
	s_mov_b32 s5, 0
	s_and_b32 s18, s30, s31
	s_and_b32 s29, vcc_lo, s2
	s_lshl_b64 s[2:3], s[20:21], 5
	s_lshl_b64 s[8:9], s[22:23], 2
	s_branch .LBB296_6
.LBB296_5:                              ;   in Loop: Header=BB296_6 Depth=1
	s_wait_alu 0xfffe
	s_or_b32 exec_lo, exec_lo, s12
	s_add_co_i32 s4, s4, 0x10000
	s_delay_alu instid0(SALU_CYCLE_1)
	s_cmp_lt_u32 s4, s25
	s_cbranch_scc0 .LBB296_33
.LBB296_6:                              ; =>This Loop Header: Depth=1
                                        ;     Child Loop BB296_9 Depth 2
	s_lshl_b64 s[12:13], s[4:5], 3
	v_dual_mov_b32 v28, 0 :: v_dual_mov_b32 v27, 0
	s_wait_alu 0xfffe
	s_add_nc_u64 s[20:21], s[16:17], s[12:13]
	v_dual_mov_b32 v26, 0 :: v_dual_mov_b32 v25, 0
	global_load_b64 v[8:9], v20, s[20:21]
	s_and_not1_b32 vcc_lo, exec_lo, s18
	s_wait_alu 0xfffe
	s_cbranch_vccnz .LBB296_13
; %bb.7:                                ;   in Loop: Header=BB296_6 Depth=1
	s_add_nc_u64 s[20:21], s[6:7], s[12:13]
	s_add_nc_u64 s[12:13], s[10:11], s[12:13]
	s_clause 0x1
	global_load_b64 v[10:11], v20, s[20:21]
	global_load_b64 v[12:13], v20, s[12:13]
	v_dual_mov_b32 v25, 0 :: v_dual_mov_b32 v26, 0
	v_dual_mov_b32 v27, 0 :: v_dual_mov_b32 v28, 0
	s_mov_b32 s12, 0
	s_wait_loadcnt 0x1
	v_add_co_u32 v10, vcc_lo, v10, v21
	s_wait_alu 0xfffd
	v_add_co_ci_u32_e64 v11, null, v11, v22, vcc_lo
	s_wait_loadcnt 0x0
	v_add_co_u32 v12, vcc_lo, v12, v23
	s_wait_alu 0xfffd
	v_add_co_ci_u32_e64 v13, null, v13, v24, vcc_lo
	s_branch .LBB296_9
.LBB296_8:                              ;   in Loop: Header=BB296_9 Depth=2
	s_wait_alu 0xfffe
	s_or_b32 exec_lo, exec_lo, s13
	s_wait_loadcnt_dscnt 0x0
	ds_store_b32 v17, v30
	s_wait_dscnt 0x0
	s_barrier_signal -1
	s_barrier_wait -1
	global_inv scope:SCOPE_SE
	ds_load_b128 v[29:32], v19
	ds_load_2addr_b32 v[45:46], v18 offset1:16
	ds_load_b128 v[33:36], v19 offset:512
	ds_load_2addr_b32 v[47:48], v18 offset0:32 offset1:48
	ds_load_2addr_b32 v[49:50], v18 offset0:64 offset1:80
	;; [unrolled: 1-line block ×3, first 2 shown]
	ds_load_b128 v[37:40], v19 offset:16
	ds_load_2addr_b32 v[53:54], v18 offset0:128 offset1:144
	ds_load_b128 v[41:44], v19 offset:528
	v_add_co_u32 v10, vcc_lo, v10, 32
	s_wait_alu 0xfffd
	v_add_co_ci_u32_e64 v11, null, 0, v11, vcc_lo
	v_add_co_u32 v12, vcc_lo, v12, s2
	s_wait_alu 0xfffd
	v_add_co_ci_u32_e64 v13, null, s3, v13, vcc_lo
	s_add_co_i32 s12, s12, 8
	s_wait_alu 0xfffe
	s_cmp_lt_i32 s12, s15
	s_wait_dscnt 0x7
	v_fmac_f32_e32 v27, v46, v29
	v_fmac_f32_e32 v28, v45, v29
	s_wait_dscnt 0x6
	v_fmac_f32_e32 v25, v46, v33
	v_fmac_f32_e32 v26, v45, v33
	ds_load_2addr_b32 v[45:46], v18 offset0:160 offset1:176
	s_wait_dscnt 0x6
	v_fmac_f32_e32 v27, v48, v30
	v_fmac_f32_e32 v28, v47, v30
	v_fmac_f32_e32 v25, v48, v34
	v_fmac_f32_e32 v26, v47, v34
	ds_load_2addr_b32 v[29:30], v18 offset0:192 offset1:208
	s_wait_dscnt 0x6
	v_fmac_f32_e32 v27, v50, v31
	v_fmac_f32_e32 v28, v49, v31
	;; [unrolled: 6-line block ×3, first 2 shown]
	v_fmac_f32_e32 v25, v52, v36
	v_fmac_f32_e32 v26, v51, v36
	s_wait_loadcnt_dscnt 0x0
	v_fmac_f32_e32 v27, v54, v37
	v_fmac_f32_e32 v28, v53, v37
	;; [unrolled: 1-line block ×4, first 2 shown]
	s_barrier_signal -1
	v_fmac_f32_e32 v27, v46, v38
	v_fmac_f32_e32 v28, v45, v38
	;; [unrolled: 1-line block ×4, first 2 shown]
	s_barrier_wait -1
	v_fmac_f32_e32 v27, v30, v39
	v_fmac_f32_e32 v28, v29, v39
	;; [unrolled: 1-line block ×4, first 2 shown]
	global_inv scope:SCOPE_SE
	v_fmac_f32_e32 v27, v34, v40
	v_fmac_f32_e32 v28, v33, v40
	v_fmac_f32_e32 v25, v34, v44
	v_fmac_f32_e32 v26, v33, v44
	s_cbranch_scc0 .LBB296_13
.LBB296_9:                              ;   Parent Loop BB296_6 Depth=1
                                        ; =>  This Inner Loop Header: Depth=2
	s_wait_alu 0xfffe
	v_add_nc_u32_e32 v29, s12, v15
	s_delay_alu instid0(VALU_DEP_1)
	v_cmp_gt_i32_e32 vcc_lo, s15, v29
	v_mov_b32_e32 v29, 0
	s_and_b32 s20, s0, vcc_lo
	s_wait_alu 0xfffe
	s_and_saveexec_b32 s13, s20
	s_cbranch_execz .LBB296_11
; %bb.10:                               ;   in Loop: Header=BB296_9 Depth=2
	flat_load_b32 v29, v[10:11]
.LBB296_11:                             ;   in Loop: Header=BB296_9 Depth=2
	s_wait_alu 0xfffe
	s_or_b32 exec_lo, exec_lo, s13
	v_add_nc_u32_e32 v30, s12, v14
	s_wait_loadcnt_dscnt 0x0
	ds_store_b32 v16, v29
	v_cmp_gt_i32_e32 vcc_lo, s15, v30
	v_mov_b32_e32 v30, 0
	s_and_b32 s20, vcc_lo, s1
	s_wait_alu 0xfffe
	s_and_saveexec_b32 s13, s20
	s_cbranch_execz .LBB296_8
; %bb.12:                               ;   in Loop: Header=BB296_9 Depth=2
	flat_load_b32 v30, v[12:13]
	s_branch .LBB296_8
.LBB296_13:                             ;   in Loop: Header=BB296_6 Depth=1
	s_wait_loadcnt 0x0
	v_add_co_u32 v8, vcc_lo, v8, s8
	s_wait_alu 0xfffd
	v_add_co_ci_u32_e64 v9, null, s9, v9, vcc_lo
	s_delay_alu instid0(VALU_DEP_2) | instskip(SKIP_1) | instid1(VALU_DEP_2)
	v_add_co_u32 v10, vcc_lo, v8, v4
	s_wait_alu 0xfffd
	v_add_co_ci_u32_e64 v11, null, v9, v5, vcc_lo
	s_and_saveexec_b32 s12, s27
	s_cbranch_execz .LBB296_17
; %bb.14:                               ;   in Loop: Header=BB296_6 Depth=1
	v_mul_f32_e32 v12, s24, v28
	s_and_b32 vcc_lo, exec_lo, s26
	s_wait_alu 0xfffe
	s_cbranch_vccz .LBB296_28
; %bb.15:                               ;   in Loop: Header=BB296_6 Depth=1
	v_lshlrev_b64_e32 v[28:29], 2, v[0:1]
	s_delay_alu instid0(VALU_DEP_1) | instskip(SKIP_1) | instid1(VALU_DEP_2)
	v_add_co_u32 v28, vcc_lo, v10, v28
	s_wait_alu 0xfffd
	v_add_co_ci_u32_e64 v29, null, v11, v29, vcc_lo
	flat_load_b32 v13, v[28:29]
	s_wait_loadcnt_dscnt 0x0
	v_fma_f32 v13, s19, v13, v12
	flat_store_b32 v[28:29], v13
	s_cbranch_execnz .LBB296_17
.LBB296_16:                             ;   in Loop: Header=BB296_6 Depth=1
	v_lshlrev_b64_e32 v[28:29], 2, v[0:1]
	s_delay_alu instid0(VALU_DEP_1) | instskip(SKIP_1) | instid1(VALU_DEP_2)
	v_add_co_u32 v28, vcc_lo, v10, v28
	s_wait_alu 0xfffd
	v_add_co_ci_u32_e64 v29, null, v11, v29, vcc_lo
	flat_store_b32 v[28:29], v12
.LBB296_17:                             ;   in Loop: Header=BB296_6 Depth=1
	s_wait_alu 0xfffe
	s_or_b32 exec_lo, exec_lo, s12
	s_and_saveexec_b32 s12, s28
	s_cbranch_execz .LBB296_21
; %bb.18:                               ;   in Loop: Header=BB296_6 Depth=1
	v_mul_f32_e32 v12, s24, v27
	s_and_not1_b32 vcc_lo, exec_lo, s26
	s_wait_alu 0xfffe
	s_cbranch_vccnz .LBB296_29
; %bb.19:                               ;   in Loop: Header=BB296_6 Depth=1
	v_lshlrev_b64_e32 v[27:28], 2, v[2:3]
	s_delay_alu instid0(VALU_DEP_1) | instskip(SKIP_1) | instid1(VALU_DEP_2)
	v_add_co_u32 v27, vcc_lo, v10, v27
	s_wait_alu 0xfffd
	v_add_co_ci_u32_e64 v28, null, v11, v28, vcc_lo
	flat_load_b32 v13, v[27:28]
	s_wait_loadcnt_dscnt 0x0
	v_fma_f32 v13, s19, v13, v12
	flat_store_b32 v[27:28], v13
	s_cbranch_execnz .LBB296_21
.LBB296_20:                             ;   in Loop: Header=BB296_6 Depth=1
	v_lshlrev_b64_e32 v[27:28], 2, v[2:3]
	s_delay_alu instid0(VALU_DEP_1) | instskip(SKIP_1) | instid1(VALU_DEP_2)
	v_add_co_u32 v10, vcc_lo, v10, v27
	s_wait_alu 0xfffd
	v_add_co_ci_u32_e64 v11, null, v11, v28, vcc_lo
	flat_store_b32 v[10:11], v12
.LBB296_21:                             ;   in Loop: Header=BB296_6 Depth=1
	s_wait_alu 0xfffe
	s_or_b32 exec_lo, exec_lo, s12
	v_add_co_u32 v10, vcc_lo, v8, v6
	s_wait_alu 0xfffd
	v_add_co_ci_u32_e64 v11, null, v9, v7, vcc_lo
	s_and_saveexec_b32 s12, s14
	s_cbranch_execz .LBB296_25
; %bb.22:                               ;   in Loop: Header=BB296_6 Depth=1
	v_lshlrev_b64_e32 v[8:9], 2, v[0:1]
	v_mul_f32_e32 v12, s24, v26
	s_and_not1_b32 vcc_lo, exec_lo, s26
	s_wait_alu 0xfffe
	s_cbranch_vccnz .LBB296_30
; %bb.23:                               ;   in Loop: Header=BB296_6 Depth=1
	s_delay_alu instid0(VALU_DEP_2)
	v_add_co_u32 v26, vcc_lo, v10, v8
	s_wait_alu 0xfffd
	v_add_co_ci_u32_e64 v27, null, v11, v9, vcc_lo
	flat_load_b32 v13, v[26:27]
	s_wait_loadcnt_dscnt 0x0
	v_fma_f32 v13, s19, v13, v12
	flat_store_b32 v[26:27], v13
	s_cbranch_execnz .LBB296_25
.LBB296_24:                             ;   in Loop: Header=BB296_6 Depth=1
	v_add_co_u32 v8, vcc_lo, v10, v8
	s_wait_alu 0xfffd
	v_add_co_ci_u32_e64 v9, null, v11, v9, vcc_lo
	flat_store_b32 v[8:9], v12
.LBB296_25:                             ;   in Loop: Header=BB296_6 Depth=1
	s_wait_alu 0xfffe
	s_or_b32 exec_lo, exec_lo, s12
	s_and_saveexec_b32 s12, s29
	s_cbranch_execz .LBB296_5
; %bb.26:                               ;   in Loop: Header=BB296_6 Depth=1
	v_lshlrev_b64_e32 v[8:9], 2, v[2:3]
	v_mul_f32_e32 v12, s24, v25
	s_and_not1_b32 vcc_lo, exec_lo, s26
	s_wait_alu 0xfffe
	s_cbranch_vccnz .LBB296_31
; %bb.27:                               ;   in Loop: Header=BB296_6 Depth=1
	s_delay_alu instid0(VALU_DEP_2)
	v_add_co_u32 v25, vcc_lo, v10, v8
	s_wait_alu 0xfffd
	v_add_co_ci_u32_e64 v26, null, v11, v9, vcc_lo
	flat_load_b32 v13, v[25:26]
	s_wait_loadcnt_dscnt 0x0
	v_fma_f32 v13, s19, v13, v12
	flat_store_b32 v[25:26], v13
	s_cbranch_execnz .LBB296_5
	s_branch .LBB296_32
.LBB296_28:                             ;   in Loop: Header=BB296_6 Depth=1
	s_branch .LBB296_16
.LBB296_29:                             ;   in Loop: Header=BB296_6 Depth=1
	s_branch .LBB296_20
.LBB296_30:                             ;   in Loop: Header=BB296_6 Depth=1
	s_branch .LBB296_24
.LBB296_31:                             ;   in Loop: Header=BB296_6 Depth=1
.LBB296_32:                             ;   in Loop: Header=BB296_6 Depth=1
	s_delay_alu instid0(VALU_DEP_2)
	v_add_co_u32 v8, vcc_lo, v10, v8
	s_wait_alu 0xfffd
	v_add_co_ci_u32_e64 v9, null, v11, v9, vcc_lo
	flat_store_b32 v[8:9], v12
	s_branch .LBB296_5
.LBB296_33:
	s_endpgm
	.section	.rodata,"a",@progbits
	.p2align	6, 0x0
	.amdhsa_kernel _ZL29rocblas_internal_gemmt_kernelIiLi16ELi32ELi8ELc67ELc67ELc85ELb0ELb0EfPKfPKS1_PKPfEviT_T9_T10_S7_lS9_S7_lS8_T11_S7_li
		.amdhsa_group_segment_fixed_size 2048
		.amdhsa_private_segment_fixed_size 0
		.amdhsa_kernarg_size 100
		.amdhsa_user_sgpr_count 2
		.amdhsa_user_sgpr_dispatch_ptr 0
		.amdhsa_user_sgpr_queue_ptr 0
		.amdhsa_user_sgpr_kernarg_segment_ptr 1
		.amdhsa_user_sgpr_dispatch_id 0
		.amdhsa_user_sgpr_private_segment_size 0
		.amdhsa_wavefront_size32 1
		.amdhsa_uses_dynamic_stack 0
		.amdhsa_enable_private_segment 0
		.amdhsa_system_sgpr_workgroup_id_x 1
		.amdhsa_system_sgpr_workgroup_id_y 1
		.amdhsa_system_sgpr_workgroup_id_z 1
		.amdhsa_system_sgpr_workgroup_info 0
		.amdhsa_system_vgpr_workitem_id 1
		.amdhsa_next_free_vgpr 55
		.amdhsa_next_free_sgpr 32
		.amdhsa_reserve_vcc 1
		.amdhsa_float_round_mode_32 0
		.amdhsa_float_round_mode_16_64 0
		.amdhsa_float_denorm_mode_32 3
		.amdhsa_float_denorm_mode_16_64 3
		.amdhsa_fp16_overflow 0
		.amdhsa_workgroup_processor_mode 1
		.amdhsa_memory_ordered 1
		.amdhsa_forward_progress 1
		.amdhsa_inst_pref_size 15
		.amdhsa_round_robin_scheduling 0
		.amdhsa_exception_fp_ieee_invalid_op 0
		.amdhsa_exception_fp_denorm_src 0
		.amdhsa_exception_fp_ieee_div_zero 0
		.amdhsa_exception_fp_ieee_overflow 0
		.amdhsa_exception_fp_ieee_underflow 0
		.amdhsa_exception_fp_ieee_inexact 0
		.amdhsa_exception_int_div_zero 0
	.end_amdhsa_kernel
	.section	.text._ZL29rocblas_internal_gemmt_kernelIiLi16ELi32ELi8ELc67ELc67ELc85ELb0ELb0EfPKfPKS1_PKPfEviT_T9_T10_S7_lS9_S7_lS8_T11_S7_li,"axG",@progbits,_ZL29rocblas_internal_gemmt_kernelIiLi16ELi32ELi8ELc67ELc67ELc85ELb0ELb0EfPKfPKS1_PKPfEviT_T9_T10_S7_lS9_S7_lS8_T11_S7_li,comdat
.Lfunc_end296:
	.size	_ZL29rocblas_internal_gemmt_kernelIiLi16ELi32ELi8ELc67ELc67ELc85ELb0ELb0EfPKfPKS1_PKPfEviT_T9_T10_S7_lS9_S7_lS8_T11_S7_li, .Lfunc_end296-_ZL29rocblas_internal_gemmt_kernelIiLi16ELi32ELi8ELc67ELc67ELc85ELb0ELb0EfPKfPKS1_PKPfEviT_T9_T10_S7_lS9_S7_lS8_T11_S7_li
                                        ; -- End function
	.set _ZL29rocblas_internal_gemmt_kernelIiLi16ELi32ELi8ELc67ELc67ELc85ELb0ELb0EfPKfPKS1_PKPfEviT_T9_T10_S7_lS9_S7_lS8_T11_S7_li.num_vgpr, 55
	.set _ZL29rocblas_internal_gemmt_kernelIiLi16ELi32ELi8ELc67ELc67ELc85ELb0ELb0EfPKfPKS1_PKPfEviT_T9_T10_S7_lS9_S7_lS8_T11_S7_li.num_agpr, 0
	.set _ZL29rocblas_internal_gemmt_kernelIiLi16ELi32ELi8ELc67ELc67ELc85ELb0ELb0EfPKfPKS1_PKPfEviT_T9_T10_S7_lS9_S7_lS8_T11_S7_li.numbered_sgpr, 32
	.set _ZL29rocblas_internal_gemmt_kernelIiLi16ELi32ELi8ELc67ELc67ELc85ELb0ELb0EfPKfPKS1_PKPfEviT_T9_T10_S7_lS9_S7_lS8_T11_S7_li.num_named_barrier, 0
	.set _ZL29rocblas_internal_gemmt_kernelIiLi16ELi32ELi8ELc67ELc67ELc85ELb0ELb0EfPKfPKS1_PKPfEviT_T9_T10_S7_lS9_S7_lS8_T11_S7_li.private_seg_size, 0
	.set _ZL29rocblas_internal_gemmt_kernelIiLi16ELi32ELi8ELc67ELc67ELc85ELb0ELb0EfPKfPKS1_PKPfEviT_T9_T10_S7_lS9_S7_lS8_T11_S7_li.uses_vcc, 1
	.set _ZL29rocblas_internal_gemmt_kernelIiLi16ELi32ELi8ELc67ELc67ELc85ELb0ELb0EfPKfPKS1_PKPfEviT_T9_T10_S7_lS9_S7_lS8_T11_S7_li.uses_flat_scratch, 0
	.set _ZL29rocblas_internal_gemmt_kernelIiLi16ELi32ELi8ELc67ELc67ELc85ELb0ELb0EfPKfPKS1_PKPfEviT_T9_T10_S7_lS9_S7_lS8_T11_S7_li.has_dyn_sized_stack, 0
	.set _ZL29rocblas_internal_gemmt_kernelIiLi16ELi32ELi8ELc67ELc67ELc85ELb0ELb0EfPKfPKS1_PKPfEviT_T9_T10_S7_lS9_S7_lS8_T11_S7_li.has_recursion, 0
	.set _ZL29rocblas_internal_gemmt_kernelIiLi16ELi32ELi8ELc67ELc67ELc85ELb0ELb0EfPKfPKS1_PKPfEviT_T9_T10_S7_lS9_S7_lS8_T11_S7_li.has_indirect_call, 0
	.section	.AMDGPU.csdata,"",@progbits
; Kernel info:
; codeLenInByte = 1888
; TotalNumSgprs: 34
; NumVgprs: 55
; ScratchSize: 0
; MemoryBound: 0
; FloatMode: 240
; IeeeMode: 1
; LDSByteSize: 2048 bytes/workgroup (compile time only)
; SGPRBlocks: 0
; VGPRBlocks: 6
; NumSGPRsForWavesPerEU: 34
; NumVGPRsForWavesPerEU: 55
; Occupancy: 16
; WaveLimiterHint : 1
; COMPUTE_PGM_RSRC2:SCRATCH_EN: 0
; COMPUTE_PGM_RSRC2:USER_SGPR: 2
; COMPUTE_PGM_RSRC2:TRAP_HANDLER: 0
; COMPUTE_PGM_RSRC2:TGID_X_EN: 1
; COMPUTE_PGM_RSRC2:TGID_Y_EN: 1
; COMPUTE_PGM_RSRC2:TGID_Z_EN: 1
; COMPUTE_PGM_RSRC2:TIDIG_COMP_CNT: 1
	.section	.text._ZL29rocblas_internal_gemmt_kernelIiLi16ELi32ELi8ELc78ELc78ELc76ELb0ELb0EfPKfPKS1_PKPfEviT_T9_T10_S7_lS9_S7_lS8_T11_S7_li,"axG",@progbits,_ZL29rocblas_internal_gemmt_kernelIiLi16ELi32ELi8ELc78ELc78ELc76ELb0ELb0EfPKfPKS1_PKPfEviT_T9_T10_S7_lS9_S7_lS8_T11_S7_li,comdat
	.globl	_ZL29rocblas_internal_gemmt_kernelIiLi16ELi32ELi8ELc78ELc78ELc76ELb0ELb0EfPKfPKS1_PKPfEviT_T9_T10_S7_lS9_S7_lS8_T11_S7_li ; -- Begin function _ZL29rocblas_internal_gemmt_kernelIiLi16ELi32ELi8ELc78ELc78ELc76ELb0ELb0EfPKfPKS1_PKPfEviT_T9_T10_S7_lS9_S7_lS8_T11_S7_li
	.p2align	8
	.type	_ZL29rocblas_internal_gemmt_kernelIiLi16ELi32ELi8ELc78ELc78ELc76ELb0ELb0EfPKfPKS1_PKPfEviT_T9_T10_S7_lS9_S7_lS8_T11_S7_li,@function
_ZL29rocblas_internal_gemmt_kernelIiLi16ELi32ELi8ELc78ELc78ELc76ELb0ELb0EfPKfPKS1_PKPfEviT_T9_T10_S7_lS9_S7_lS8_T11_S7_li: ; @_ZL29rocblas_internal_gemmt_kernelIiLi16ELi32ELi8ELc78ELc78ELc76ELb0ELb0EfPKfPKS1_PKPfEviT_T9_T10_S7_lS9_S7_lS8_T11_S7_li
; %bb.0:
	s_clause 0x1
	s_load_b128 s[12:15], s[0:1], 0x38
	s_load_b128 s[4:7], s[0:1], 0x8
	s_wait_kmcnt 0x0
	s_load_b32 s19, s[14:15], 0x0
	s_load_b64 s[14:15], s[0:1], 0x0
	s_load_b32 s26, s[4:5], 0x0
	s_wait_kmcnt 0x0
	s_cmp_neq_f32 s19, 1.0
	s_cselect_b32 s2, -1, 0
	s_delay_alu instid0(SALU_CYCLE_1)
	s_and_b32 vcc_lo, exec_lo, s2
	s_cbranch_vccnz .LBB297_2
; %bb.1:
	s_cmp_lg_u32 s15, 0
	s_cselect_b32 s2, -1, 0
	s_cmp_neq_f32 s26, 0
	s_cselect_b32 s3, -1, 0
	s_delay_alu instid0(SALU_CYCLE_1)
	s_and_b32 s2, s2, s3
.LBB297_2:
	s_delay_alu instid0(SALU_CYCLE_1)
	s_and_not1_b32 vcc_lo, exec_lo, s2
	s_cbranch_vccnz .LBB297_33
; %bb.3:
	s_load_b32 s27, s[0:1], 0x60
	s_lshr_b32 s20, ttmp7, 16
	s_wait_kmcnt 0x0
	s_cmp_ge_u32 s20, s27
	s_cbranch_scc1 .LBB297_33
; %bb.4:
	s_load_b32 s22, s[0:1], 0x18
	v_dual_mov_b32 v22, 0 :: v_dual_and_b32 v1, 0x3ff, v0
	v_bfe_u32 v2, v0, 10, 10
	v_and_b32_e32 v14, 7, v0
	s_clause 0x3
	s_load_b128 s[8:11], s[0:1], 0x20
	s_load_b32 s5, s[0:1], 0x30
	s_load_b96 s[16:18], s[0:1], 0x48
	s_load_b64 s[24:25], s[0:1], 0x58
	s_lshl_b32 s0, ttmp7, 5
	v_lshl_add_u32 v0, v2, 4, v1
	v_lshlrev_b32_e32 v23, 2, v14
	s_lshl_b32 s2, ttmp9, 5
	s_and_b32 s3, s0, 0x1fffe0
	v_lshl_add_u32 v19, v2, 5, 0x400
	v_and_b32_e32 v3, 31, v0
	v_lshrrev_b32_e32 v5, 3, v0
	v_lshrrev_b32_e32 v15, 5, v0
	v_lshlrev_b32_e32 v18, 2, v1
	s_mov_b32 s21, 0
	v_lshlrev_b32_e32 v0, 2, v3
	v_or_b32_e32 v4, s2, v3
	v_add_nc_u32_e32 v12, s3, v5
	v_lshl_or_b32 v3, v5, 5, v23
	v_add_nc_u32_e32 v5, s3, v2
	s_wait_kmcnt 0x0
	s_ashr_i32 s23, s22, 31
	s_cmp_neq_f32 s26, 0
	v_lshl_or_b32 v16, v15, 7, v0
	v_add_nc_u32_e32 v0, s2, v1
	v_mad_co_i64_i32 v[8:9], null, v15, s22, 0
	v_add_nc_u32_e32 v20, 16, v5
	s_cselect_b32 s30, -1, 0
	s_cmp_gt_i32 s15, 0
	v_cmp_le_i32_e32 vcc_lo, v5, v0
	v_cmp_gt_i32_e64 s2, s14, v0
	v_add_nc_u32_e32 v2, 16, v0
	s_cselect_b32 s31, -1, 0
	s_cmp_neq_f32 s19, 0
	v_cmp_le_i32_e64 s4, v20, v0
	v_cmp_gt_i32_e64 s1, s14, v12
	v_lshlrev_b64_e32 v[8:9], 2, v[8:9]
	v_mad_co_i64_i32 v[12:13], null, s5, v12, 0
	s_cselect_b32 s28, -1, 0
	v_mad_co_i64_i32 v[6:7], null, v5, s18, 0
	s_and_b32 s29, vcc_lo, s2
	v_cmp_le_i32_e32 vcc_lo, v5, v2
	v_cmp_gt_i32_e64 s3, s14, v2
	v_ashrrev_i32_e32 v5, 31, v4
	v_mad_co_i64_i32 v[10:11], null, v20, s18, 0
	s_and_b32 s18, s4, s2
	s_lshl_b64 s[4:5], s[8:9], 2
	v_cmp_gt_i32_e64 s0, s14, v4
	s_and_b32 s14, vcc_lo, s3
	v_cmp_le_i32_e32 vcc_lo, v20, v2
	v_lshlrev_b64_e32 v[4:5], 2, v[4:5]
	s_wait_alu 0xfffe
	v_add_co_u32 v20, s2, v8, s4
	s_wait_alu 0xf1ff
	v_add_co_ci_u32_e64 v21, null, s5, v9, s2
	v_lshlrev_b64_e32 v[8:9], 2, v[12:13]
	s_delay_alu instid0(VALU_DEP_3)
	v_add_co_u32 v20, s2, v20, v4
	s_lshl_b64 s[4:5], s[12:13], 2
	s_wait_alu 0xf1ff
	v_add_co_ci_u32_e64 v21, null, v21, v5, s2
	s_wait_alu 0xfffe
	v_add_co_u32 v4, s2, v8, s4
	s_wait_alu 0xf1ff
	v_add_co_ci_u32_e64 v5, null, s5, v9, s2
	v_add_nc_u32_e32 v17, 0x400, v3
	s_delay_alu instid0(VALU_DEP_3) | instskip(SKIP_1) | instid1(VALU_DEP_3)
	v_add_co_u32 v23, s2, v4, v23
	s_wait_alu 0xf1ff
	v_add_co_ci_u32_e64 v24, null, 0, v5, s2
	v_lshlrev_b64_e32 v[4:5], 2, v[6:7]
	v_lshlrev_b64_e32 v[6:7], 2, v[10:11]
	v_ashrrev_i32_e32 v1, 31, v0
	v_ashrrev_i32_e32 v3, 31, v2
	s_and_b32 s12, s30, s31
	s_and_b32 s13, vcc_lo, s3
	s_lshl_b64 s[2:3], s[22:23], 5
	s_lshl_b64 s[4:5], s[24:25], 2
	s_branch .LBB297_6
.LBB297_5:                              ;   in Loop: Header=BB297_6 Depth=1
	s_wait_alu 0xfffe
	s_or_b32 exec_lo, exec_lo, s8
	s_add_co_i32 s20, s20, 0x10000
	s_delay_alu instid0(SALU_CYCLE_1)
	s_cmp_lt_u32 s20, s27
	s_cbranch_scc0 .LBB297_33
.LBB297_6:                              ; =>This Loop Header: Depth=1
                                        ;     Child Loop BB297_9 Depth 2
	s_lshl_b64 s[8:9], s[20:21], 3
	v_dual_mov_b32 v28, 0 :: v_dual_mov_b32 v27, 0
	s_wait_alu 0xfffe
	s_add_nc_u64 s[22:23], s[16:17], s[8:9]
	v_dual_mov_b32 v26, 0 :: v_dual_mov_b32 v25, 0
	global_load_b64 v[8:9], v22, s[22:23]
	s_and_not1_b32 vcc_lo, exec_lo, s12
	s_wait_alu 0xfffe
	s_cbranch_vccnz .LBB297_13
; %bb.7:                                ;   in Loop: Header=BB297_6 Depth=1
	s_add_nc_u64 s[22:23], s[6:7], s[8:9]
	s_add_nc_u64 s[8:9], s[10:11], s[8:9]
	s_clause 0x1
	global_load_b64 v[10:11], v22, s[22:23]
	global_load_b64 v[12:13], v22, s[8:9]
	v_dual_mov_b32 v25, 0 :: v_dual_mov_b32 v26, 0
	v_dual_mov_b32 v27, 0 :: v_dual_mov_b32 v28, 0
	s_mov_b32 s8, 0
	s_wait_loadcnt 0x1
	v_add_co_u32 v10, vcc_lo, v10, v20
	s_wait_alu 0xfffd
	v_add_co_ci_u32_e64 v11, null, v11, v21, vcc_lo
	s_wait_loadcnt 0x0
	v_add_co_u32 v12, vcc_lo, v12, v23
	s_wait_alu 0xfffd
	v_add_co_ci_u32_e64 v13, null, v13, v24, vcc_lo
	s_branch .LBB297_9
.LBB297_8:                              ;   in Loop: Header=BB297_9 Depth=2
	s_wait_alu 0xfffe
	s_or_b32 exec_lo, exec_lo, s9
	s_wait_loadcnt_dscnt 0x0
	ds_store_b32 v17, v30
	s_wait_dscnt 0x0
	s_barrier_signal -1
	s_barrier_wait -1
	global_inv scope:SCOPE_SE
	ds_load_b128 v[29:32], v19
	ds_load_2addr_b32 v[45:46], v18 offset1:16
	ds_load_b128 v[33:36], v19 offset:512
	ds_load_2addr_b32 v[47:48], v18 offset0:32 offset1:48
	ds_load_2addr_b32 v[49:50], v18 offset0:64 offset1:80
	;; [unrolled: 1-line block ×3, first 2 shown]
	ds_load_b128 v[37:40], v19 offset:16
	ds_load_2addr_b32 v[53:54], v18 offset0:128 offset1:144
	ds_load_b128 v[41:44], v19 offset:528
	v_add_co_u32 v10, vcc_lo, v10, s2
	s_wait_alu 0xfffd
	v_add_co_ci_u32_e64 v11, null, s3, v11, vcc_lo
	v_add_co_u32 v12, vcc_lo, v12, 32
	s_wait_alu 0xfffd
	v_add_co_ci_u32_e64 v13, null, 0, v13, vcc_lo
	s_add_co_i32 s8, s8, 8
	s_wait_alu 0xfffe
	s_cmp_lt_i32 s8, s15
	s_wait_dscnt 0x7
	v_fmac_f32_e32 v27, v46, v29
	v_fmac_f32_e32 v28, v45, v29
	s_wait_dscnt 0x6
	v_fmac_f32_e32 v25, v46, v33
	v_fmac_f32_e32 v26, v45, v33
	ds_load_2addr_b32 v[45:46], v18 offset0:160 offset1:176
	s_wait_dscnt 0x6
	v_fmac_f32_e32 v27, v48, v30
	v_fmac_f32_e32 v28, v47, v30
	v_fmac_f32_e32 v25, v48, v34
	v_fmac_f32_e32 v26, v47, v34
	ds_load_2addr_b32 v[29:30], v18 offset0:192 offset1:208
	s_wait_dscnt 0x6
	v_fmac_f32_e32 v27, v50, v31
	v_fmac_f32_e32 v28, v49, v31
	;; [unrolled: 6-line block ×3, first 2 shown]
	v_fmac_f32_e32 v25, v52, v36
	v_fmac_f32_e32 v26, v51, v36
	s_wait_loadcnt_dscnt 0x0
	v_fmac_f32_e32 v27, v54, v37
	v_fmac_f32_e32 v28, v53, v37
	;; [unrolled: 1-line block ×4, first 2 shown]
	s_barrier_signal -1
	v_fmac_f32_e32 v27, v46, v38
	v_fmac_f32_e32 v28, v45, v38
	;; [unrolled: 1-line block ×4, first 2 shown]
	s_barrier_wait -1
	v_fmac_f32_e32 v27, v30, v39
	v_fmac_f32_e32 v28, v29, v39
	;; [unrolled: 1-line block ×4, first 2 shown]
	global_inv scope:SCOPE_SE
	v_fmac_f32_e32 v27, v34, v40
	v_fmac_f32_e32 v28, v33, v40
	;; [unrolled: 1-line block ×4, first 2 shown]
	s_cbranch_scc0 .LBB297_13
.LBB297_9:                              ;   Parent Loop BB297_6 Depth=1
                                        ; =>  This Inner Loop Header: Depth=2
	s_wait_alu 0xfffe
	v_add_nc_u32_e32 v29, s8, v15
	s_delay_alu instid0(VALU_DEP_1)
	v_cmp_gt_i32_e32 vcc_lo, s15, v29
	v_mov_b32_e32 v29, 0
	s_and_b32 s22, s0, vcc_lo
	s_wait_alu 0xfffe
	s_and_saveexec_b32 s9, s22
	s_cbranch_execz .LBB297_11
; %bb.10:                               ;   in Loop: Header=BB297_9 Depth=2
	flat_load_b32 v29, v[10:11]
.LBB297_11:                             ;   in Loop: Header=BB297_9 Depth=2
	s_wait_alu 0xfffe
	s_or_b32 exec_lo, exec_lo, s9
	v_add_nc_u32_e32 v30, s8, v14
	s_wait_loadcnt_dscnt 0x0
	ds_store_b32 v16, v29
	v_cmp_gt_i32_e32 vcc_lo, s15, v30
	v_mov_b32_e32 v30, 0
	s_and_b32 s22, vcc_lo, s1
	s_wait_alu 0xfffe
	s_and_saveexec_b32 s9, s22
	s_cbranch_execz .LBB297_8
; %bb.12:                               ;   in Loop: Header=BB297_9 Depth=2
	flat_load_b32 v30, v[12:13]
	s_branch .LBB297_8
.LBB297_13:                             ;   in Loop: Header=BB297_6 Depth=1
	s_wait_loadcnt 0x0
	s_wait_alu 0xfffe
	v_add_co_u32 v8, vcc_lo, v8, s4
	s_wait_alu 0xfffd
	v_add_co_ci_u32_e64 v9, null, s5, v9, vcc_lo
	s_delay_alu instid0(VALU_DEP_2) | instskip(SKIP_1) | instid1(VALU_DEP_2)
	v_add_co_u32 v10, vcc_lo, v8, v4
	s_wait_alu 0xfffd
	v_add_co_ci_u32_e64 v11, null, v9, v5, vcc_lo
	s_and_saveexec_b32 s8, s29
	s_cbranch_execz .LBB297_17
; %bb.14:                               ;   in Loop: Header=BB297_6 Depth=1
	v_mul_f32_e32 v12, s26, v28
	s_and_b32 vcc_lo, exec_lo, s28
	s_wait_alu 0xfffe
	s_cbranch_vccz .LBB297_28
; %bb.15:                               ;   in Loop: Header=BB297_6 Depth=1
	v_lshlrev_b64_e32 v[28:29], 2, v[0:1]
	s_delay_alu instid0(VALU_DEP_1) | instskip(SKIP_1) | instid1(VALU_DEP_2)
	v_add_co_u32 v28, vcc_lo, v10, v28
	s_wait_alu 0xfffd
	v_add_co_ci_u32_e64 v29, null, v11, v29, vcc_lo
	flat_load_b32 v13, v[28:29]
	s_wait_loadcnt_dscnt 0x0
	v_fma_f32 v13, s19, v13, v12
	flat_store_b32 v[28:29], v13
	s_cbranch_execnz .LBB297_17
.LBB297_16:                             ;   in Loop: Header=BB297_6 Depth=1
	v_lshlrev_b64_e32 v[28:29], 2, v[0:1]
	s_delay_alu instid0(VALU_DEP_1) | instskip(SKIP_1) | instid1(VALU_DEP_2)
	v_add_co_u32 v28, vcc_lo, v10, v28
	s_wait_alu 0xfffd
	v_add_co_ci_u32_e64 v29, null, v11, v29, vcc_lo
	flat_store_b32 v[28:29], v12
.LBB297_17:                             ;   in Loop: Header=BB297_6 Depth=1
	s_wait_alu 0xfffe
	s_or_b32 exec_lo, exec_lo, s8
	s_and_saveexec_b32 s8, s14
	s_cbranch_execz .LBB297_21
; %bb.18:                               ;   in Loop: Header=BB297_6 Depth=1
	v_mul_f32_e32 v12, s26, v27
	s_and_not1_b32 vcc_lo, exec_lo, s28
	s_wait_alu 0xfffe
	s_cbranch_vccnz .LBB297_29
; %bb.19:                               ;   in Loop: Header=BB297_6 Depth=1
	v_lshlrev_b64_e32 v[27:28], 2, v[2:3]
	s_delay_alu instid0(VALU_DEP_1) | instskip(SKIP_1) | instid1(VALU_DEP_2)
	v_add_co_u32 v27, vcc_lo, v10, v27
	s_wait_alu 0xfffd
	v_add_co_ci_u32_e64 v28, null, v11, v28, vcc_lo
	flat_load_b32 v13, v[27:28]
	s_wait_loadcnt_dscnt 0x0
	v_fma_f32 v13, s19, v13, v12
	flat_store_b32 v[27:28], v13
	s_cbranch_execnz .LBB297_21
.LBB297_20:                             ;   in Loop: Header=BB297_6 Depth=1
	v_lshlrev_b64_e32 v[27:28], 2, v[2:3]
	s_delay_alu instid0(VALU_DEP_1) | instskip(SKIP_1) | instid1(VALU_DEP_2)
	v_add_co_u32 v10, vcc_lo, v10, v27
	s_wait_alu 0xfffd
	v_add_co_ci_u32_e64 v11, null, v11, v28, vcc_lo
	flat_store_b32 v[10:11], v12
.LBB297_21:                             ;   in Loop: Header=BB297_6 Depth=1
	s_wait_alu 0xfffe
	s_or_b32 exec_lo, exec_lo, s8
	v_add_co_u32 v10, vcc_lo, v8, v6
	s_wait_alu 0xfffd
	v_add_co_ci_u32_e64 v11, null, v9, v7, vcc_lo
	s_and_saveexec_b32 s8, s18
	s_cbranch_execz .LBB297_25
; %bb.22:                               ;   in Loop: Header=BB297_6 Depth=1
	v_lshlrev_b64_e32 v[8:9], 2, v[0:1]
	v_mul_f32_e32 v12, s26, v26
	s_and_not1_b32 vcc_lo, exec_lo, s28
	s_wait_alu 0xfffe
	s_cbranch_vccnz .LBB297_30
; %bb.23:                               ;   in Loop: Header=BB297_6 Depth=1
	s_delay_alu instid0(VALU_DEP_2)
	v_add_co_u32 v26, vcc_lo, v10, v8
	s_wait_alu 0xfffd
	v_add_co_ci_u32_e64 v27, null, v11, v9, vcc_lo
	flat_load_b32 v13, v[26:27]
	s_wait_loadcnt_dscnt 0x0
	v_fma_f32 v13, s19, v13, v12
	flat_store_b32 v[26:27], v13
	s_cbranch_execnz .LBB297_25
.LBB297_24:                             ;   in Loop: Header=BB297_6 Depth=1
	v_add_co_u32 v8, vcc_lo, v10, v8
	s_wait_alu 0xfffd
	v_add_co_ci_u32_e64 v9, null, v11, v9, vcc_lo
	flat_store_b32 v[8:9], v12
.LBB297_25:                             ;   in Loop: Header=BB297_6 Depth=1
	s_wait_alu 0xfffe
	s_or_b32 exec_lo, exec_lo, s8
	s_and_saveexec_b32 s8, s13
	s_cbranch_execz .LBB297_5
; %bb.26:                               ;   in Loop: Header=BB297_6 Depth=1
	v_lshlrev_b64_e32 v[8:9], 2, v[2:3]
	v_mul_f32_e32 v12, s26, v25
	s_and_not1_b32 vcc_lo, exec_lo, s28
	s_wait_alu 0xfffe
	s_cbranch_vccnz .LBB297_31
; %bb.27:                               ;   in Loop: Header=BB297_6 Depth=1
	s_delay_alu instid0(VALU_DEP_2)
	v_add_co_u32 v25, vcc_lo, v10, v8
	s_wait_alu 0xfffd
	v_add_co_ci_u32_e64 v26, null, v11, v9, vcc_lo
	flat_load_b32 v13, v[25:26]
	s_wait_loadcnt_dscnt 0x0
	v_fma_f32 v13, s19, v13, v12
	flat_store_b32 v[25:26], v13
	s_cbranch_execnz .LBB297_5
	s_branch .LBB297_32
.LBB297_28:                             ;   in Loop: Header=BB297_6 Depth=1
	s_branch .LBB297_16
.LBB297_29:                             ;   in Loop: Header=BB297_6 Depth=1
	s_branch .LBB297_20
.LBB297_30:                             ;   in Loop: Header=BB297_6 Depth=1
	s_branch .LBB297_24
.LBB297_31:                             ;   in Loop: Header=BB297_6 Depth=1
.LBB297_32:                             ;   in Loop: Header=BB297_6 Depth=1
	s_delay_alu instid0(VALU_DEP_2)
	v_add_co_u32 v8, vcc_lo, v10, v8
	s_wait_alu 0xfffd
	v_add_co_ci_u32_e64 v9, null, v11, v9, vcc_lo
	flat_store_b32 v[8:9], v12
	s_branch .LBB297_5
.LBB297_33:
	s_endpgm
	.section	.rodata,"a",@progbits
	.p2align	6, 0x0
	.amdhsa_kernel _ZL29rocblas_internal_gemmt_kernelIiLi16ELi32ELi8ELc78ELc78ELc76ELb0ELb0EfPKfPKS1_PKPfEviT_T9_T10_S7_lS9_S7_lS8_T11_S7_li
		.amdhsa_group_segment_fixed_size 2048
		.amdhsa_private_segment_fixed_size 0
		.amdhsa_kernarg_size 100
		.amdhsa_user_sgpr_count 2
		.amdhsa_user_sgpr_dispatch_ptr 0
		.amdhsa_user_sgpr_queue_ptr 0
		.amdhsa_user_sgpr_kernarg_segment_ptr 1
		.amdhsa_user_sgpr_dispatch_id 0
		.amdhsa_user_sgpr_private_segment_size 0
		.amdhsa_wavefront_size32 1
		.amdhsa_uses_dynamic_stack 0
		.amdhsa_enable_private_segment 0
		.amdhsa_system_sgpr_workgroup_id_x 1
		.amdhsa_system_sgpr_workgroup_id_y 1
		.amdhsa_system_sgpr_workgroup_id_z 1
		.amdhsa_system_sgpr_workgroup_info 0
		.amdhsa_system_vgpr_workitem_id 1
		.amdhsa_next_free_vgpr 55
		.amdhsa_next_free_sgpr 32
		.amdhsa_reserve_vcc 1
		.amdhsa_float_round_mode_32 0
		.amdhsa_float_round_mode_16_64 0
		.amdhsa_float_denorm_mode_32 3
		.amdhsa_float_denorm_mode_16_64 3
		.amdhsa_fp16_overflow 0
		.amdhsa_workgroup_processor_mode 1
		.amdhsa_memory_ordered 1
		.amdhsa_forward_progress 1
		.amdhsa_inst_pref_size 15
		.amdhsa_round_robin_scheduling 0
		.amdhsa_exception_fp_ieee_invalid_op 0
		.amdhsa_exception_fp_denorm_src 0
		.amdhsa_exception_fp_ieee_div_zero 0
		.amdhsa_exception_fp_ieee_overflow 0
		.amdhsa_exception_fp_ieee_underflow 0
		.amdhsa_exception_fp_ieee_inexact 0
		.amdhsa_exception_int_div_zero 0
	.end_amdhsa_kernel
	.section	.text._ZL29rocblas_internal_gemmt_kernelIiLi16ELi32ELi8ELc78ELc78ELc76ELb0ELb0EfPKfPKS1_PKPfEviT_T9_T10_S7_lS9_S7_lS8_T11_S7_li,"axG",@progbits,_ZL29rocblas_internal_gemmt_kernelIiLi16ELi32ELi8ELc78ELc78ELc76ELb0ELb0EfPKfPKS1_PKPfEviT_T9_T10_S7_lS9_S7_lS8_T11_S7_li,comdat
.Lfunc_end297:
	.size	_ZL29rocblas_internal_gemmt_kernelIiLi16ELi32ELi8ELc78ELc78ELc76ELb0ELb0EfPKfPKS1_PKPfEviT_T9_T10_S7_lS9_S7_lS8_T11_S7_li, .Lfunc_end297-_ZL29rocblas_internal_gemmt_kernelIiLi16ELi32ELi8ELc78ELc78ELc76ELb0ELb0EfPKfPKS1_PKPfEviT_T9_T10_S7_lS9_S7_lS8_T11_S7_li
                                        ; -- End function
	.set _ZL29rocblas_internal_gemmt_kernelIiLi16ELi32ELi8ELc78ELc78ELc76ELb0ELb0EfPKfPKS1_PKPfEviT_T9_T10_S7_lS9_S7_lS8_T11_S7_li.num_vgpr, 55
	.set _ZL29rocblas_internal_gemmt_kernelIiLi16ELi32ELi8ELc78ELc78ELc76ELb0ELb0EfPKfPKS1_PKPfEviT_T9_T10_S7_lS9_S7_lS8_T11_S7_li.num_agpr, 0
	.set _ZL29rocblas_internal_gemmt_kernelIiLi16ELi32ELi8ELc78ELc78ELc76ELb0ELb0EfPKfPKS1_PKPfEviT_T9_T10_S7_lS9_S7_lS8_T11_S7_li.numbered_sgpr, 32
	.set _ZL29rocblas_internal_gemmt_kernelIiLi16ELi32ELi8ELc78ELc78ELc76ELb0ELb0EfPKfPKS1_PKPfEviT_T9_T10_S7_lS9_S7_lS8_T11_S7_li.num_named_barrier, 0
	.set _ZL29rocblas_internal_gemmt_kernelIiLi16ELi32ELi8ELc78ELc78ELc76ELb0ELb0EfPKfPKS1_PKPfEviT_T9_T10_S7_lS9_S7_lS8_T11_S7_li.private_seg_size, 0
	.set _ZL29rocblas_internal_gemmt_kernelIiLi16ELi32ELi8ELc78ELc78ELc76ELb0ELb0EfPKfPKS1_PKPfEviT_T9_T10_S7_lS9_S7_lS8_T11_S7_li.uses_vcc, 1
	.set _ZL29rocblas_internal_gemmt_kernelIiLi16ELi32ELi8ELc78ELc78ELc76ELb0ELb0EfPKfPKS1_PKPfEviT_T9_T10_S7_lS9_S7_lS8_T11_S7_li.uses_flat_scratch, 0
	.set _ZL29rocblas_internal_gemmt_kernelIiLi16ELi32ELi8ELc78ELc78ELc76ELb0ELb0EfPKfPKS1_PKPfEviT_T9_T10_S7_lS9_S7_lS8_T11_S7_li.has_dyn_sized_stack, 0
	.set _ZL29rocblas_internal_gemmt_kernelIiLi16ELi32ELi8ELc78ELc78ELc76ELb0ELb0EfPKfPKS1_PKPfEviT_T9_T10_S7_lS9_S7_lS8_T11_S7_li.has_recursion, 0
	.set _ZL29rocblas_internal_gemmt_kernelIiLi16ELi32ELi8ELc78ELc78ELc76ELb0ELb0EfPKfPKS1_PKPfEviT_T9_T10_S7_lS9_S7_lS8_T11_S7_li.has_indirect_call, 0
	.section	.AMDGPU.csdata,"",@progbits
; Kernel info:
; codeLenInByte = 1900
; TotalNumSgprs: 34
; NumVgprs: 55
; ScratchSize: 0
; MemoryBound: 0
; FloatMode: 240
; IeeeMode: 1
; LDSByteSize: 2048 bytes/workgroup (compile time only)
; SGPRBlocks: 0
; VGPRBlocks: 6
; NumSGPRsForWavesPerEU: 34
; NumVGPRsForWavesPerEU: 55
; Occupancy: 16
; WaveLimiterHint : 1
; COMPUTE_PGM_RSRC2:SCRATCH_EN: 0
; COMPUTE_PGM_RSRC2:USER_SGPR: 2
; COMPUTE_PGM_RSRC2:TRAP_HANDLER: 0
; COMPUTE_PGM_RSRC2:TGID_X_EN: 1
; COMPUTE_PGM_RSRC2:TGID_Y_EN: 1
; COMPUTE_PGM_RSRC2:TGID_Z_EN: 1
; COMPUTE_PGM_RSRC2:TIDIG_COMP_CNT: 1
	.section	.text._ZL29rocblas_internal_gemmt_kernelIiLi16ELi32ELi8ELc78ELc84ELc76ELb0ELb0EfPKfPKS1_PKPfEviT_T9_T10_S7_lS9_S7_lS8_T11_S7_li,"axG",@progbits,_ZL29rocblas_internal_gemmt_kernelIiLi16ELi32ELi8ELc78ELc84ELc76ELb0ELb0EfPKfPKS1_PKPfEviT_T9_T10_S7_lS9_S7_lS8_T11_S7_li,comdat
	.globl	_ZL29rocblas_internal_gemmt_kernelIiLi16ELi32ELi8ELc78ELc84ELc76ELb0ELb0EfPKfPKS1_PKPfEviT_T9_T10_S7_lS9_S7_lS8_T11_S7_li ; -- Begin function _ZL29rocblas_internal_gemmt_kernelIiLi16ELi32ELi8ELc78ELc84ELc76ELb0ELb0EfPKfPKS1_PKPfEviT_T9_T10_S7_lS9_S7_lS8_T11_S7_li
	.p2align	8
	.type	_ZL29rocblas_internal_gemmt_kernelIiLi16ELi32ELi8ELc78ELc84ELc76ELb0ELb0EfPKfPKS1_PKPfEviT_T9_T10_S7_lS9_S7_lS8_T11_S7_li,@function
_ZL29rocblas_internal_gemmt_kernelIiLi16ELi32ELi8ELc78ELc84ELc76ELb0ELb0EfPKfPKS1_PKPfEviT_T9_T10_S7_lS9_S7_lS8_T11_S7_li: ; @_ZL29rocblas_internal_gemmt_kernelIiLi16ELi32ELi8ELc78ELc84ELc76ELb0ELb0EfPKfPKS1_PKPfEviT_T9_T10_S7_lS9_S7_lS8_T11_S7_li
; %bb.0:
	s_clause 0x1
	s_load_b128 s[12:15], s[0:1], 0x38
	s_load_b128 s[4:7], s[0:1], 0x8
	s_wait_kmcnt 0x0
	s_load_b32 s19, s[14:15], 0x0
	s_load_b64 s[14:15], s[0:1], 0x0
	s_load_b32 s28, s[4:5], 0x0
	s_wait_kmcnt 0x0
	s_cmp_neq_f32 s19, 1.0
	s_cselect_b32 s2, -1, 0
	s_delay_alu instid0(SALU_CYCLE_1)
	s_and_b32 vcc_lo, exec_lo, s2
	s_cbranch_vccnz .LBB298_2
; %bb.1:
	s_cmp_lg_u32 s15, 0
	s_cselect_b32 s2, -1, 0
	s_cmp_neq_f32 s28, 0
	s_cselect_b32 s3, -1, 0
	s_delay_alu instid0(SALU_CYCLE_1)
	s_and_b32 s2, s2, s3
.LBB298_2:
	s_delay_alu instid0(SALU_CYCLE_1)
	s_and_not1_b32 vcc_lo, exec_lo, s2
	s_cbranch_vccnz .LBB298_33
; %bb.3:
	s_load_b32 s29, s[0:1], 0x60
	s_lshr_b32 s20, ttmp7, 16
	s_wait_kmcnt 0x0
	s_cmp_ge_u32 s20, s29
	s_cbranch_scc1 .LBB298_33
; %bb.4:
	s_clause 0x1
	s_load_b32 s22, s[0:1], 0x18
	s_load_b32 s24, s[0:1], 0x30
	v_and_b32_e32 v1, 0x3ff, v0
	v_bfe_u32 v2, v0, 10, 10
	v_and_b32_e32 v14, 7, v0
	s_lshl_b32 s2, ttmp9, 5
	s_clause 0x2
	s_load_b128 s[8:11], s[0:1], 0x20
	s_load_b96 s[16:18], s[0:1], 0x48
	s_load_b64 s[26:27], s[0:1], 0x58
	v_lshl_add_u32 v0, v2, 4, v1
	v_lshlrev_b32_e32 v5, 2, v14
	s_lshl_b32 s0, ttmp7, 5
	v_lshl_add_u32 v19, v2, 5, 0x400
	s_and_b32 s3, s0, 0x1fffe0
	v_and_b32_e32 v3, 31, v0
	v_lshrrev_b32_e32 v15, 5, v0
	v_lshrrev_b32_e32 v0, 3, v0
	s_mov_b32 s21, 0
	s_delay_alu instid0(VALU_DEP_3)
	v_or_b32_e32 v4, s2, v3
	v_lshlrev_b32_e32 v3, 2, v3
	s_wait_kmcnt 0x0
	s_ashr_i32 s23, s22, 31
	s_ashr_i32 s25, s24, 31
	s_cmp_neq_f32 s28, 0
	v_add_nc_u32_e32 v22, s3, v0
	v_lshl_or_b32 v5, v0, 5, v5
	v_lshl_or_b32 v16, v15, 7, v3
	v_add_nc_u32_e32 v0, s2, v1
	v_add_nc_u32_e32 v3, s3, v2
	s_cselect_b32 s5, -1, 0
	s_cmp_gt_i32 s15, 0
	v_mad_co_i64_i32 v[8:9], null, v15, s22, 0
	s_delay_alu instid0(VALU_DEP_2)
	v_cmp_le_i32_e32 vcc_lo, v3, v0
	v_cmp_gt_i32_e64 s2, s14, v0
	v_add_nc_u32_e32 v2, 16, v0
	s_cselect_b32 s34, -1, 0
	s_cmp_neq_f32 s19, 0
	v_add_nc_u32_e32 v17, 0x400, v5
	v_add_nc_u32_e32 v5, 16, v3
	v_cmp_gt_i32_e64 s3, s14, v2
	s_cselect_b32 s30, -1, 0
	s_and_b32 s31, vcc_lo, s2
	v_cmp_le_i32_e32 vcc_lo, v3, v2
	v_cmp_gt_i32_e64 s0, s14, v4
	v_cmp_gt_i32_e64 s1, s14, v22
	v_cmp_le_i32_e64 s4, v5, v0
	v_lshlrev_b64_e32 v[8:9], 2, v[8:9]
	s_and_b32 s14, vcc_lo, s3
	v_cmp_le_i32_e32 vcc_lo, v5, v2
	v_mad_co_i64_i32 v[12:13], null, s24, v14, 0
	v_mad_co_i64_i32 v[10:11], null, v5, s18, 0
	v_ashrrev_i32_e32 v5, 31, v4
	v_mad_co_i64_i32 v[6:7], null, v3, s18, 0
	s_and_b32 s18, s4, s2
	s_and_b32 s33, vcc_lo, s3
	s_lshl_b64 s[2:3], s[8:9], 2
	v_lshlrev_b64_e32 v[4:5], 2, v[4:5]
	s_wait_alu 0xfffe
	v_add_co_u32 v20, vcc_lo, v8, s2
	s_delay_alu instid0(VALU_DEP_1) | instskip(SKIP_1) | instid1(VALU_DEP_3)
	v_add_co_ci_u32_e64 v21, null, s3, v9, vcc_lo
	v_lshlrev_b64_e32 v[8:9], 2, v[12:13]
	v_add_co_u32 v20, vcc_lo, v20, v4
	s_lshl_b64 s[2:3], s[12:13], 2
	s_wait_alu 0xfffd
	v_add_co_ci_u32_e64 v21, null, v21, v5, vcc_lo
	v_lshlrev_b32_e32 v4, 2, v22
	s_wait_alu 0xfffe
	v_add_co_u32 v5, vcc_lo, v8, s2
	s_wait_alu 0xfffd
	v_add_co_ci_u32_e64 v8, null, s3, v9, vcc_lo
	v_ashrrev_i32_e32 v3, 31, v2
	s_delay_alu instid0(VALU_DEP_3)
	v_add_co_u32 v23, vcc_lo, v5, v4
	v_lshlrev_b64_e32 v[4:5], 2, v[6:7]
	v_lshlrev_b64_e32 v[6:7], 2, v[10:11]
	v_mov_b32_e32 v22, 0
	v_lshlrev_b32_e32 v18, 2, v1
	v_ashrrev_i32_e32 v1, 31, v0
	s_wait_alu 0xfffd
	v_add_co_ci_u32_e64 v24, null, 0, v8, vcc_lo
	s_and_b32 s34, s5, s34
	s_lshl_b64 s[2:3], s[22:23], 5
	s_lshl_b64 s[4:5], s[24:25], 5
	;; [unrolled: 1-line block ×3, first 2 shown]
	s_branch .LBB298_6
.LBB298_5:                              ;   in Loop: Header=BB298_6 Depth=1
	s_wait_alu 0xfffe
	s_or_b32 exec_lo, exec_lo, s12
	s_add_co_i32 s20, s20, 0x10000
	s_delay_alu instid0(SALU_CYCLE_1)
	s_cmp_lt_u32 s20, s29
	s_cbranch_scc0 .LBB298_33
.LBB298_6:                              ; =>This Loop Header: Depth=1
                                        ;     Child Loop BB298_9 Depth 2
	s_lshl_b64 s[12:13], s[20:21], 3
	v_dual_mov_b32 v28, 0 :: v_dual_mov_b32 v27, 0
	s_wait_alu 0xfffe
	s_add_nc_u64 s[22:23], s[16:17], s[12:13]
	v_dual_mov_b32 v26, 0 :: v_dual_mov_b32 v25, 0
	global_load_b64 v[8:9], v22, s[22:23]
	s_and_not1_b32 vcc_lo, exec_lo, s34
	s_wait_alu 0xfffe
	s_cbranch_vccnz .LBB298_13
; %bb.7:                                ;   in Loop: Header=BB298_6 Depth=1
	s_add_nc_u64 s[22:23], s[6:7], s[12:13]
	s_add_nc_u64 s[12:13], s[10:11], s[12:13]
	s_clause 0x1
	global_load_b64 v[10:11], v22, s[22:23]
	global_load_b64 v[12:13], v22, s[12:13]
	v_dual_mov_b32 v25, 0 :: v_dual_mov_b32 v26, 0
	v_dual_mov_b32 v27, 0 :: v_dual_mov_b32 v28, 0
	s_mov_b32 s12, 0
	s_wait_loadcnt 0x1
	v_add_co_u32 v10, vcc_lo, v10, v20
	s_wait_alu 0xfffd
	v_add_co_ci_u32_e64 v11, null, v11, v21, vcc_lo
	s_wait_loadcnt 0x0
	v_add_co_u32 v12, vcc_lo, v12, v23
	s_wait_alu 0xfffd
	v_add_co_ci_u32_e64 v13, null, v13, v24, vcc_lo
	s_branch .LBB298_9
.LBB298_8:                              ;   in Loop: Header=BB298_9 Depth=2
	s_wait_alu 0xfffe
	s_or_b32 exec_lo, exec_lo, s13
	s_wait_loadcnt_dscnt 0x0
	ds_store_b32 v17, v30
	s_wait_dscnt 0x0
	s_barrier_signal -1
	s_barrier_wait -1
	global_inv scope:SCOPE_SE
	ds_load_b128 v[29:32], v19
	ds_load_2addr_b32 v[45:46], v18 offset1:16
	ds_load_b128 v[33:36], v19 offset:512
	ds_load_2addr_b32 v[47:48], v18 offset0:32 offset1:48
	ds_load_2addr_b32 v[49:50], v18 offset0:64 offset1:80
	;; [unrolled: 1-line block ×3, first 2 shown]
	ds_load_b128 v[37:40], v19 offset:16
	ds_load_2addr_b32 v[53:54], v18 offset0:128 offset1:144
	ds_load_b128 v[41:44], v19 offset:528
	v_add_co_u32 v10, vcc_lo, v10, s2
	s_wait_alu 0xfffd
	v_add_co_ci_u32_e64 v11, null, s3, v11, vcc_lo
	v_add_co_u32 v12, vcc_lo, v12, s4
	s_wait_alu 0xfffd
	v_add_co_ci_u32_e64 v13, null, s5, v13, vcc_lo
	s_add_co_i32 s12, s12, 8
	s_wait_alu 0xfffe
	s_cmp_lt_i32 s12, s15
	s_wait_dscnt 0x7
	v_fmac_f32_e32 v27, v46, v29
	v_fmac_f32_e32 v28, v45, v29
	s_wait_dscnt 0x6
	v_fmac_f32_e32 v25, v46, v33
	v_fmac_f32_e32 v26, v45, v33
	ds_load_2addr_b32 v[45:46], v18 offset0:160 offset1:176
	s_wait_dscnt 0x6
	v_fmac_f32_e32 v27, v48, v30
	v_fmac_f32_e32 v28, v47, v30
	v_fmac_f32_e32 v25, v48, v34
	v_fmac_f32_e32 v26, v47, v34
	ds_load_2addr_b32 v[29:30], v18 offset0:192 offset1:208
	s_wait_dscnt 0x6
	v_fmac_f32_e32 v27, v50, v31
	v_fmac_f32_e32 v28, v49, v31
	;; [unrolled: 6-line block ×3, first 2 shown]
	v_fmac_f32_e32 v25, v52, v36
	v_fmac_f32_e32 v26, v51, v36
	s_wait_loadcnt_dscnt 0x0
	v_fmac_f32_e32 v27, v54, v37
	v_fmac_f32_e32 v28, v53, v37
	;; [unrolled: 1-line block ×4, first 2 shown]
	s_barrier_signal -1
	v_fmac_f32_e32 v27, v46, v38
	v_fmac_f32_e32 v28, v45, v38
	;; [unrolled: 1-line block ×4, first 2 shown]
	s_barrier_wait -1
	v_fmac_f32_e32 v27, v30, v39
	v_fmac_f32_e32 v28, v29, v39
	;; [unrolled: 1-line block ×4, first 2 shown]
	global_inv scope:SCOPE_SE
	v_fmac_f32_e32 v27, v34, v40
	v_fmac_f32_e32 v28, v33, v40
	;; [unrolled: 1-line block ×4, first 2 shown]
	s_cbranch_scc0 .LBB298_13
.LBB298_9:                              ;   Parent Loop BB298_6 Depth=1
                                        ; =>  This Inner Loop Header: Depth=2
	s_wait_alu 0xfffe
	v_add_nc_u32_e32 v29, s12, v15
	s_delay_alu instid0(VALU_DEP_1)
	v_cmp_gt_i32_e32 vcc_lo, s15, v29
	v_mov_b32_e32 v29, 0
	s_and_b32 s22, s0, vcc_lo
	s_wait_alu 0xfffe
	s_and_saveexec_b32 s13, s22
	s_cbranch_execz .LBB298_11
; %bb.10:                               ;   in Loop: Header=BB298_9 Depth=2
	flat_load_b32 v29, v[10:11]
.LBB298_11:                             ;   in Loop: Header=BB298_9 Depth=2
	s_wait_alu 0xfffe
	s_or_b32 exec_lo, exec_lo, s13
	v_add_nc_u32_e32 v30, s12, v14
	s_wait_loadcnt_dscnt 0x0
	ds_store_b32 v16, v29
	v_cmp_gt_i32_e32 vcc_lo, s15, v30
	v_mov_b32_e32 v30, 0
	s_and_b32 s22, vcc_lo, s1
	s_wait_alu 0xfffe
	s_and_saveexec_b32 s13, s22
	s_cbranch_execz .LBB298_8
; %bb.12:                               ;   in Loop: Header=BB298_9 Depth=2
	flat_load_b32 v30, v[12:13]
	s_branch .LBB298_8
.LBB298_13:                             ;   in Loop: Header=BB298_6 Depth=1
	s_wait_loadcnt 0x0
	v_add_co_u32 v8, vcc_lo, v8, s8
	s_wait_alu 0xfffd
	v_add_co_ci_u32_e64 v9, null, s9, v9, vcc_lo
	s_delay_alu instid0(VALU_DEP_2) | instskip(SKIP_1) | instid1(VALU_DEP_2)
	v_add_co_u32 v10, vcc_lo, v8, v4
	s_wait_alu 0xfffd
	v_add_co_ci_u32_e64 v11, null, v9, v5, vcc_lo
	s_and_saveexec_b32 s12, s31
	s_cbranch_execz .LBB298_17
; %bb.14:                               ;   in Loop: Header=BB298_6 Depth=1
	v_mul_f32_e32 v12, s28, v28
	s_and_b32 vcc_lo, exec_lo, s30
	s_wait_alu 0xfffe
	s_cbranch_vccz .LBB298_28
; %bb.15:                               ;   in Loop: Header=BB298_6 Depth=1
	v_lshlrev_b64_e32 v[28:29], 2, v[0:1]
	s_delay_alu instid0(VALU_DEP_1) | instskip(SKIP_1) | instid1(VALU_DEP_2)
	v_add_co_u32 v28, vcc_lo, v10, v28
	s_wait_alu 0xfffd
	v_add_co_ci_u32_e64 v29, null, v11, v29, vcc_lo
	flat_load_b32 v13, v[28:29]
	s_wait_loadcnt_dscnt 0x0
	v_fma_f32 v13, s19, v13, v12
	flat_store_b32 v[28:29], v13
	s_cbranch_execnz .LBB298_17
.LBB298_16:                             ;   in Loop: Header=BB298_6 Depth=1
	v_lshlrev_b64_e32 v[28:29], 2, v[0:1]
	s_delay_alu instid0(VALU_DEP_1) | instskip(SKIP_1) | instid1(VALU_DEP_2)
	v_add_co_u32 v28, vcc_lo, v10, v28
	s_wait_alu 0xfffd
	v_add_co_ci_u32_e64 v29, null, v11, v29, vcc_lo
	flat_store_b32 v[28:29], v12
.LBB298_17:                             ;   in Loop: Header=BB298_6 Depth=1
	s_wait_alu 0xfffe
	s_or_b32 exec_lo, exec_lo, s12
	s_and_saveexec_b32 s12, s14
	s_cbranch_execz .LBB298_21
; %bb.18:                               ;   in Loop: Header=BB298_6 Depth=1
	v_mul_f32_e32 v12, s28, v27
	s_and_not1_b32 vcc_lo, exec_lo, s30
	s_wait_alu 0xfffe
	s_cbranch_vccnz .LBB298_29
; %bb.19:                               ;   in Loop: Header=BB298_6 Depth=1
	v_lshlrev_b64_e32 v[27:28], 2, v[2:3]
	s_delay_alu instid0(VALU_DEP_1) | instskip(SKIP_1) | instid1(VALU_DEP_2)
	v_add_co_u32 v27, vcc_lo, v10, v27
	s_wait_alu 0xfffd
	v_add_co_ci_u32_e64 v28, null, v11, v28, vcc_lo
	flat_load_b32 v13, v[27:28]
	s_wait_loadcnt_dscnt 0x0
	v_fma_f32 v13, s19, v13, v12
	flat_store_b32 v[27:28], v13
	s_cbranch_execnz .LBB298_21
.LBB298_20:                             ;   in Loop: Header=BB298_6 Depth=1
	v_lshlrev_b64_e32 v[27:28], 2, v[2:3]
	s_delay_alu instid0(VALU_DEP_1) | instskip(SKIP_1) | instid1(VALU_DEP_2)
	v_add_co_u32 v10, vcc_lo, v10, v27
	s_wait_alu 0xfffd
	v_add_co_ci_u32_e64 v11, null, v11, v28, vcc_lo
	flat_store_b32 v[10:11], v12
.LBB298_21:                             ;   in Loop: Header=BB298_6 Depth=1
	s_wait_alu 0xfffe
	s_or_b32 exec_lo, exec_lo, s12
	v_add_co_u32 v10, vcc_lo, v8, v6
	s_wait_alu 0xfffd
	v_add_co_ci_u32_e64 v11, null, v9, v7, vcc_lo
	s_and_saveexec_b32 s12, s18
	s_cbranch_execz .LBB298_25
; %bb.22:                               ;   in Loop: Header=BB298_6 Depth=1
	v_lshlrev_b64_e32 v[8:9], 2, v[0:1]
	v_mul_f32_e32 v12, s28, v26
	s_and_not1_b32 vcc_lo, exec_lo, s30
	s_wait_alu 0xfffe
	s_cbranch_vccnz .LBB298_30
; %bb.23:                               ;   in Loop: Header=BB298_6 Depth=1
	s_delay_alu instid0(VALU_DEP_2)
	v_add_co_u32 v26, vcc_lo, v10, v8
	s_wait_alu 0xfffd
	v_add_co_ci_u32_e64 v27, null, v11, v9, vcc_lo
	flat_load_b32 v13, v[26:27]
	s_wait_loadcnt_dscnt 0x0
	v_fma_f32 v13, s19, v13, v12
	flat_store_b32 v[26:27], v13
	s_cbranch_execnz .LBB298_25
.LBB298_24:                             ;   in Loop: Header=BB298_6 Depth=1
	v_add_co_u32 v8, vcc_lo, v10, v8
	s_wait_alu 0xfffd
	v_add_co_ci_u32_e64 v9, null, v11, v9, vcc_lo
	flat_store_b32 v[8:9], v12
.LBB298_25:                             ;   in Loop: Header=BB298_6 Depth=1
	s_wait_alu 0xfffe
	s_or_b32 exec_lo, exec_lo, s12
	s_and_saveexec_b32 s12, s33
	s_cbranch_execz .LBB298_5
; %bb.26:                               ;   in Loop: Header=BB298_6 Depth=1
	v_lshlrev_b64_e32 v[8:9], 2, v[2:3]
	v_mul_f32_e32 v12, s28, v25
	s_and_not1_b32 vcc_lo, exec_lo, s30
	s_wait_alu 0xfffe
	s_cbranch_vccnz .LBB298_31
; %bb.27:                               ;   in Loop: Header=BB298_6 Depth=1
	s_delay_alu instid0(VALU_DEP_2)
	v_add_co_u32 v25, vcc_lo, v10, v8
	s_wait_alu 0xfffd
	v_add_co_ci_u32_e64 v26, null, v11, v9, vcc_lo
	flat_load_b32 v13, v[25:26]
	s_wait_loadcnt_dscnt 0x0
	v_fma_f32 v13, s19, v13, v12
	flat_store_b32 v[25:26], v13
	s_cbranch_execnz .LBB298_5
	s_branch .LBB298_32
.LBB298_28:                             ;   in Loop: Header=BB298_6 Depth=1
	s_branch .LBB298_16
.LBB298_29:                             ;   in Loop: Header=BB298_6 Depth=1
	s_branch .LBB298_20
.LBB298_30:                             ;   in Loop: Header=BB298_6 Depth=1
	s_branch .LBB298_24
.LBB298_31:                             ;   in Loop: Header=BB298_6 Depth=1
.LBB298_32:                             ;   in Loop: Header=BB298_6 Depth=1
	s_delay_alu instid0(VALU_DEP_2)
	v_add_co_u32 v8, vcc_lo, v10, v8
	s_wait_alu 0xfffd
	v_add_co_ci_u32_e64 v9, null, v11, v9, vcc_lo
	flat_store_b32 v[8:9], v12
	s_branch .LBB298_5
.LBB298_33:
	s_endpgm
	.section	.rodata,"a",@progbits
	.p2align	6, 0x0
	.amdhsa_kernel _ZL29rocblas_internal_gemmt_kernelIiLi16ELi32ELi8ELc78ELc84ELc76ELb0ELb0EfPKfPKS1_PKPfEviT_T9_T10_S7_lS9_S7_lS8_T11_S7_li
		.amdhsa_group_segment_fixed_size 2048
		.amdhsa_private_segment_fixed_size 0
		.amdhsa_kernarg_size 100
		.amdhsa_user_sgpr_count 2
		.amdhsa_user_sgpr_dispatch_ptr 0
		.amdhsa_user_sgpr_queue_ptr 0
		.amdhsa_user_sgpr_kernarg_segment_ptr 1
		.amdhsa_user_sgpr_dispatch_id 0
		.amdhsa_user_sgpr_private_segment_size 0
		.amdhsa_wavefront_size32 1
		.amdhsa_uses_dynamic_stack 0
		.amdhsa_enable_private_segment 0
		.amdhsa_system_sgpr_workgroup_id_x 1
		.amdhsa_system_sgpr_workgroup_id_y 1
		.amdhsa_system_sgpr_workgroup_id_z 1
		.amdhsa_system_sgpr_workgroup_info 0
		.amdhsa_system_vgpr_workitem_id 1
		.amdhsa_next_free_vgpr 55
		.amdhsa_next_free_sgpr 35
		.amdhsa_reserve_vcc 1
		.amdhsa_float_round_mode_32 0
		.amdhsa_float_round_mode_16_64 0
		.amdhsa_float_denorm_mode_32 3
		.amdhsa_float_denorm_mode_16_64 3
		.amdhsa_fp16_overflow 0
		.amdhsa_workgroup_processor_mode 1
		.amdhsa_memory_ordered 1
		.amdhsa_forward_progress 1
		.amdhsa_inst_pref_size 15
		.amdhsa_round_robin_scheduling 0
		.amdhsa_exception_fp_ieee_invalid_op 0
		.amdhsa_exception_fp_denorm_src 0
		.amdhsa_exception_fp_ieee_div_zero 0
		.amdhsa_exception_fp_ieee_overflow 0
		.amdhsa_exception_fp_ieee_underflow 0
		.amdhsa_exception_fp_ieee_inexact 0
		.amdhsa_exception_int_div_zero 0
	.end_amdhsa_kernel
	.section	.text._ZL29rocblas_internal_gemmt_kernelIiLi16ELi32ELi8ELc78ELc84ELc76ELb0ELb0EfPKfPKS1_PKPfEviT_T9_T10_S7_lS9_S7_lS8_T11_S7_li,"axG",@progbits,_ZL29rocblas_internal_gemmt_kernelIiLi16ELi32ELi8ELc78ELc84ELc76ELb0ELb0EfPKfPKS1_PKPfEviT_T9_T10_S7_lS9_S7_lS8_T11_S7_li,comdat
.Lfunc_end298:
	.size	_ZL29rocblas_internal_gemmt_kernelIiLi16ELi32ELi8ELc78ELc84ELc76ELb0ELb0EfPKfPKS1_PKPfEviT_T9_T10_S7_lS9_S7_lS8_T11_S7_li, .Lfunc_end298-_ZL29rocblas_internal_gemmt_kernelIiLi16ELi32ELi8ELc78ELc84ELc76ELb0ELb0EfPKfPKS1_PKPfEviT_T9_T10_S7_lS9_S7_lS8_T11_S7_li
                                        ; -- End function
	.set _ZL29rocblas_internal_gemmt_kernelIiLi16ELi32ELi8ELc78ELc84ELc76ELb0ELb0EfPKfPKS1_PKPfEviT_T9_T10_S7_lS9_S7_lS8_T11_S7_li.num_vgpr, 55
	.set _ZL29rocblas_internal_gemmt_kernelIiLi16ELi32ELi8ELc78ELc84ELc76ELb0ELb0EfPKfPKS1_PKPfEviT_T9_T10_S7_lS9_S7_lS8_T11_S7_li.num_agpr, 0
	.set _ZL29rocblas_internal_gemmt_kernelIiLi16ELi32ELi8ELc78ELc84ELc76ELb0ELb0EfPKfPKS1_PKPfEviT_T9_T10_S7_lS9_S7_lS8_T11_S7_li.numbered_sgpr, 35
	.set _ZL29rocblas_internal_gemmt_kernelIiLi16ELi32ELi8ELc78ELc84ELc76ELb0ELb0EfPKfPKS1_PKPfEviT_T9_T10_S7_lS9_S7_lS8_T11_S7_li.num_named_barrier, 0
	.set _ZL29rocblas_internal_gemmt_kernelIiLi16ELi32ELi8ELc78ELc84ELc76ELb0ELb0EfPKfPKS1_PKPfEviT_T9_T10_S7_lS9_S7_lS8_T11_S7_li.private_seg_size, 0
	.set _ZL29rocblas_internal_gemmt_kernelIiLi16ELi32ELi8ELc78ELc84ELc76ELb0ELb0EfPKfPKS1_PKPfEviT_T9_T10_S7_lS9_S7_lS8_T11_S7_li.uses_vcc, 1
	.set _ZL29rocblas_internal_gemmt_kernelIiLi16ELi32ELi8ELc78ELc84ELc76ELb0ELb0EfPKfPKS1_PKPfEviT_T9_T10_S7_lS9_S7_lS8_T11_S7_li.uses_flat_scratch, 0
	.set _ZL29rocblas_internal_gemmt_kernelIiLi16ELi32ELi8ELc78ELc84ELc76ELb0ELb0EfPKfPKS1_PKPfEviT_T9_T10_S7_lS9_S7_lS8_T11_S7_li.has_dyn_sized_stack, 0
	.set _ZL29rocblas_internal_gemmt_kernelIiLi16ELi32ELi8ELc78ELc84ELc76ELb0ELb0EfPKfPKS1_PKPfEviT_T9_T10_S7_lS9_S7_lS8_T11_S7_li.has_recursion, 0
	.set _ZL29rocblas_internal_gemmt_kernelIiLi16ELi32ELi8ELc78ELc84ELc76ELb0ELb0EfPKfPKS1_PKPfEviT_T9_T10_S7_lS9_S7_lS8_T11_S7_li.has_indirect_call, 0
	.section	.AMDGPU.csdata,"",@progbits
; Kernel info:
; codeLenInByte = 1916
; TotalNumSgprs: 37
; NumVgprs: 55
; ScratchSize: 0
; MemoryBound: 0
; FloatMode: 240
; IeeeMode: 1
; LDSByteSize: 2048 bytes/workgroup (compile time only)
; SGPRBlocks: 0
; VGPRBlocks: 6
; NumSGPRsForWavesPerEU: 37
; NumVGPRsForWavesPerEU: 55
; Occupancy: 16
; WaveLimiterHint : 1
; COMPUTE_PGM_RSRC2:SCRATCH_EN: 0
; COMPUTE_PGM_RSRC2:USER_SGPR: 2
; COMPUTE_PGM_RSRC2:TRAP_HANDLER: 0
; COMPUTE_PGM_RSRC2:TGID_X_EN: 1
; COMPUTE_PGM_RSRC2:TGID_Y_EN: 1
; COMPUTE_PGM_RSRC2:TGID_Z_EN: 1
; COMPUTE_PGM_RSRC2:TIDIG_COMP_CNT: 1
	.section	.text._ZL29rocblas_internal_gemmt_kernelIiLi16ELi32ELi8ELc78ELc67ELc76ELb0ELb0EfPKfPKS1_PKPfEviT_T9_T10_S7_lS9_S7_lS8_T11_S7_li,"axG",@progbits,_ZL29rocblas_internal_gemmt_kernelIiLi16ELi32ELi8ELc78ELc67ELc76ELb0ELb0EfPKfPKS1_PKPfEviT_T9_T10_S7_lS9_S7_lS8_T11_S7_li,comdat
	.globl	_ZL29rocblas_internal_gemmt_kernelIiLi16ELi32ELi8ELc78ELc67ELc76ELb0ELb0EfPKfPKS1_PKPfEviT_T9_T10_S7_lS9_S7_lS8_T11_S7_li ; -- Begin function _ZL29rocblas_internal_gemmt_kernelIiLi16ELi32ELi8ELc78ELc67ELc76ELb0ELb0EfPKfPKS1_PKPfEviT_T9_T10_S7_lS9_S7_lS8_T11_S7_li
	.p2align	8
	.type	_ZL29rocblas_internal_gemmt_kernelIiLi16ELi32ELi8ELc78ELc67ELc76ELb0ELb0EfPKfPKS1_PKPfEviT_T9_T10_S7_lS9_S7_lS8_T11_S7_li,@function
_ZL29rocblas_internal_gemmt_kernelIiLi16ELi32ELi8ELc78ELc67ELc76ELb0ELb0EfPKfPKS1_PKPfEviT_T9_T10_S7_lS9_S7_lS8_T11_S7_li: ; @_ZL29rocblas_internal_gemmt_kernelIiLi16ELi32ELi8ELc78ELc67ELc76ELb0ELb0EfPKfPKS1_PKPfEviT_T9_T10_S7_lS9_S7_lS8_T11_S7_li
; %bb.0:
	s_clause 0x1
	s_load_b128 s[12:15], s[0:1], 0x38
	s_load_b128 s[4:7], s[0:1], 0x8
	s_wait_kmcnt 0x0
	s_load_b32 s19, s[14:15], 0x0
	s_load_b64 s[14:15], s[0:1], 0x0
	s_load_b32 s28, s[4:5], 0x0
	s_wait_kmcnt 0x0
	s_cmp_neq_f32 s19, 1.0
	s_cselect_b32 s2, -1, 0
	s_delay_alu instid0(SALU_CYCLE_1)
	s_and_b32 vcc_lo, exec_lo, s2
	s_cbranch_vccnz .LBB299_2
; %bb.1:
	s_cmp_lg_u32 s15, 0
	s_cselect_b32 s2, -1, 0
	s_cmp_neq_f32 s28, 0
	s_cselect_b32 s3, -1, 0
	s_delay_alu instid0(SALU_CYCLE_1)
	s_and_b32 s2, s2, s3
.LBB299_2:
	s_delay_alu instid0(SALU_CYCLE_1)
	s_and_not1_b32 vcc_lo, exec_lo, s2
	s_cbranch_vccnz .LBB299_33
; %bb.3:
	s_load_b32 s29, s[0:1], 0x60
	s_lshr_b32 s20, ttmp7, 16
	s_wait_kmcnt 0x0
	s_cmp_ge_u32 s20, s29
	s_cbranch_scc1 .LBB299_33
; %bb.4:
	s_clause 0x1
	s_load_b32 s22, s[0:1], 0x18
	s_load_b32 s24, s[0:1], 0x30
	v_and_b32_e32 v1, 0x3ff, v0
	v_bfe_u32 v2, v0, 10, 10
	v_and_b32_e32 v14, 7, v0
	s_lshl_b32 s2, ttmp9, 5
	s_clause 0x2
	s_load_b128 s[8:11], s[0:1], 0x20
	s_load_b96 s[16:18], s[0:1], 0x48
	s_load_b64 s[26:27], s[0:1], 0x58
	v_lshl_add_u32 v0, v2, 4, v1
	v_lshlrev_b32_e32 v5, 2, v14
	s_lshl_b32 s0, ttmp7, 5
	v_lshl_add_u32 v19, v2, 5, 0x400
	s_and_b32 s3, s0, 0x1fffe0
	v_and_b32_e32 v3, 31, v0
	v_lshrrev_b32_e32 v15, 5, v0
	v_lshrrev_b32_e32 v0, 3, v0
	s_mov_b32 s21, 0
	s_delay_alu instid0(VALU_DEP_3)
	v_or_b32_e32 v4, s2, v3
	v_lshlrev_b32_e32 v3, 2, v3
	s_wait_kmcnt 0x0
	s_ashr_i32 s23, s22, 31
	s_ashr_i32 s25, s24, 31
	s_cmp_neq_f32 s28, 0
	v_add_nc_u32_e32 v22, s3, v0
	v_lshl_or_b32 v5, v0, 5, v5
	v_lshl_or_b32 v16, v15, 7, v3
	v_add_nc_u32_e32 v0, s2, v1
	v_add_nc_u32_e32 v3, s3, v2
	s_cselect_b32 s5, -1, 0
	s_cmp_gt_i32 s15, 0
	v_mad_co_i64_i32 v[8:9], null, v15, s22, 0
	s_delay_alu instid0(VALU_DEP_2)
	v_cmp_le_i32_e32 vcc_lo, v3, v0
	v_cmp_gt_i32_e64 s2, s14, v0
	v_add_nc_u32_e32 v2, 16, v0
	s_cselect_b32 s34, -1, 0
	s_cmp_neq_f32 s19, 0
	v_add_nc_u32_e32 v17, 0x400, v5
	v_add_nc_u32_e32 v5, 16, v3
	v_cmp_gt_i32_e64 s3, s14, v2
	s_cselect_b32 s30, -1, 0
	s_and_b32 s31, vcc_lo, s2
	v_cmp_le_i32_e32 vcc_lo, v3, v2
	v_cmp_gt_i32_e64 s0, s14, v4
	v_cmp_gt_i32_e64 s1, s14, v22
	v_cmp_le_i32_e64 s4, v5, v0
	v_lshlrev_b64_e32 v[8:9], 2, v[8:9]
	s_and_b32 s14, vcc_lo, s3
	v_cmp_le_i32_e32 vcc_lo, v5, v2
	v_mad_co_i64_i32 v[12:13], null, s24, v14, 0
	v_mad_co_i64_i32 v[10:11], null, v5, s18, 0
	v_ashrrev_i32_e32 v5, 31, v4
	v_mad_co_i64_i32 v[6:7], null, v3, s18, 0
	s_and_b32 s18, s4, s2
	s_and_b32 s33, vcc_lo, s3
	s_lshl_b64 s[2:3], s[8:9], 2
	v_lshlrev_b64_e32 v[4:5], 2, v[4:5]
	s_wait_alu 0xfffe
	v_add_co_u32 v20, vcc_lo, v8, s2
	s_delay_alu instid0(VALU_DEP_1) | instskip(SKIP_1) | instid1(VALU_DEP_3)
	v_add_co_ci_u32_e64 v21, null, s3, v9, vcc_lo
	v_lshlrev_b64_e32 v[8:9], 2, v[12:13]
	v_add_co_u32 v20, vcc_lo, v20, v4
	s_lshl_b64 s[2:3], s[12:13], 2
	s_wait_alu 0xfffd
	v_add_co_ci_u32_e64 v21, null, v21, v5, vcc_lo
	v_lshlrev_b32_e32 v4, 2, v22
	s_wait_alu 0xfffe
	v_add_co_u32 v5, vcc_lo, v8, s2
	s_wait_alu 0xfffd
	v_add_co_ci_u32_e64 v8, null, s3, v9, vcc_lo
	v_ashrrev_i32_e32 v3, 31, v2
	s_delay_alu instid0(VALU_DEP_3)
	v_add_co_u32 v23, vcc_lo, v5, v4
	v_lshlrev_b64_e32 v[4:5], 2, v[6:7]
	v_lshlrev_b64_e32 v[6:7], 2, v[10:11]
	v_mov_b32_e32 v22, 0
	v_lshlrev_b32_e32 v18, 2, v1
	v_ashrrev_i32_e32 v1, 31, v0
	s_wait_alu 0xfffd
	v_add_co_ci_u32_e64 v24, null, 0, v8, vcc_lo
	s_and_b32 s34, s5, s34
	s_lshl_b64 s[2:3], s[22:23], 5
	s_lshl_b64 s[4:5], s[24:25], 5
	;; [unrolled: 1-line block ×3, first 2 shown]
	s_branch .LBB299_6
.LBB299_5:                              ;   in Loop: Header=BB299_6 Depth=1
	s_wait_alu 0xfffe
	s_or_b32 exec_lo, exec_lo, s12
	s_add_co_i32 s20, s20, 0x10000
	s_delay_alu instid0(SALU_CYCLE_1)
	s_cmp_lt_u32 s20, s29
	s_cbranch_scc0 .LBB299_33
.LBB299_6:                              ; =>This Loop Header: Depth=1
                                        ;     Child Loop BB299_9 Depth 2
	s_lshl_b64 s[12:13], s[20:21], 3
	v_dual_mov_b32 v28, 0 :: v_dual_mov_b32 v27, 0
	s_wait_alu 0xfffe
	s_add_nc_u64 s[22:23], s[16:17], s[12:13]
	v_dual_mov_b32 v26, 0 :: v_dual_mov_b32 v25, 0
	global_load_b64 v[8:9], v22, s[22:23]
	s_and_not1_b32 vcc_lo, exec_lo, s34
	s_wait_alu 0xfffe
	s_cbranch_vccnz .LBB299_13
; %bb.7:                                ;   in Loop: Header=BB299_6 Depth=1
	s_add_nc_u64 s[22:23], s[6:7], s[12:13]
	s_add_nc_u64 s[12:13], s[10:11], s[12:13]
	s_clause 0x1
	global_load_b64 v[10:11], v22, s[22:23]
	global_load_b64 v[12:13], v22, s[12:13]
	v_dual_mov_b32 v25, 0 :: v_dual_mov_b32 v26, 0
	v_dual_mov_b32 v27, 0 :: v_dual_mov_b32 v28, 0
	s_mov_b32 s12, 0
	s_wait_loadcnt 0x1
	v_add_co_u32 v10, vcc_lo, v10, v20
	s_wait_alu 0xfffd
	v_add_co_ci_u32_e64 v11, null, v11, v21, vcc_lo
	s_wait_loadcnt 0x0
	v_add_co_u32 v12, vcc_lo, v12, v23
	s_wait_alu 0xfffd
	v_add_co_ci_u32_e64 v13, null, v13, v24, vcc_lo
	s_branch .LBB299_9
.LBB299_8:                              ;   in Loop: Header=BB299_9 Depth=2
	s_wait_alu 0xfffe
	s_or_b32 exec_lo, exec_lo, s13
	s_wait_loadcnt_dscnt 0x0
	ds_store_b32 v17, v30
	s_wait_dscnt 0x0
	s_barrier_signal -1
	s_barrier_wait -1
	global_inv scope:SCOPE_SE
	ds_load_b128 v[29:32], v19
	ds_load_2addr_b32 v[45:46], v18 offset1:16
	ds_load_b128 v[33:36], v19 offset:512
	ds_load_2addr_b32 v[47:48], v18 offset0:32 offset1:48
	ds_load_2addr_b32 v[49:50], v18 offset0:64 offset1:80
	;; [unrolled: 1-line block ×3, first 2 shown]
	ds_load_b128 v[37:40], v19 offset:16
	ds_load_2addr_b32 v[53:54], v18 offset0:128 offset1:144
	ds_load_b128 v[41:44], v19 offset:528
	v_add_co_u32 v10, vcc_lo, v10, s2
	s_wait_alu 0xfffd
	v_add_co_ci_u32_e64 v11, null, s3, v11, vcc_lo
	v_add_co_u32 v12, vcc_lo, v12, s4
	s_wait_alu 0xfffd
	v_add_co_ci_u32_e64 v13, null, s5, v13, vcc_lo
	s_add_co_i32 s12, s12, 8
	s_wait_alu 0xfffe
	s_cmp_lt_i32 s12, s15
	s_wait_dscnt 0x7
	v_fmac_f32_e32 v27, v46, v29
	v_fmac_f32_e32 v28, v45, v29
	s_wait_dscnt 0x6
	v_fmac_f32_e32 v25, v46, v33
	v_fmac_f32_e32 v26, v45, v33
	ds_load_2addr_b32 v[45:46], v18 offset0:160 offset1:176
	s_wait_dscnt 0x6
	v_fmac_f32_e32 v27, v48, v30
	v_fmac_f32_e32 v28, v47, v30
	v_fmac_f32_e32 v25, v48, v34
	v_fmac_f32_e32 v26, v47, v34
	ds_load_2addr_b32 v[29:30], v18 offset0:192 offset1:208
	s_wait_dscnt 0x6
	v_fmac_f32_e32 v27, v50, v31
	v_fmac_f32_e32 v28, v49, v31
	;; [unrolled: 6-line block ×3, first 2 shown]
	v_fmac_f32_e32 v25, v52, v36
	v_fmac_f32_e32 v26, v51, v36
	s_wait_loadcnt_dscnt 0x0
	v_fmac_f32_e32 v27, v54, v37
	v_fmac_f32_e32 v28, v53, v37
	;; [unrolled: 1-line block ×4, first 2 shown]
	s_barrier_signal -1
	v_fmac_f32_e32 v27, v46, v38
	v_fmac_f32_e32 v28, v45, v38
	;; [unrolled: 1-line block ×4, first 2 shown]
	s_barrier_wait -1
	v_fmac_f32_e32 v27, v30, v39
	v_fmac_f32_e32 v28, v29, v39
	;; [unrolled: 1-line block ×4, first 2 shown]
	global_inv scope:SCOPE_SE
	v_fmac_f32_e32 v27, v34, v40
	v_fmac_f32_e32 v28, v33, v40
	;; [unrolled: 1-line block ×4, first 2 shown]
	s_cbranch_scc0 .LBB299_13
.LBB299_9:                              ;   Parent Loop BB299_6 Depth=1
                                        ; =>  This Inner Loop Header: Depth=2
	s_wait_alu 0xfffe
	v_add_nc_u32_e32 v29, s12, v15
	s_delay_alu instid0(VALU_DEP_1)
	v_cmp_gt_i32_e32 vcc_lo, s15, v29
	v_mov_b32_e32 v29, 0
	s_and_b32 s22, s0, vcc_lo
	s_wait_alu 0xfffe
	s_and_saveexec_b32 s13, s22
	s_cbranch_execz .LBB299_11
; %bb.10:                               ;   in Loop: Header=BB299_9 Depth=2
	flat_load_b32 v29, v[10:11]
.LBB299_11:                             ;   in Loop: Header=BB299_9 Depth=2
	s_wait_alu 0xfffe
	s_or_b32 exec_lo, exec_lo, s13
	v_add_nc_u32_e32 v30, s12, v14
	s_wait_loadcnt_dscnt 0x0
	ds_store_b32 v16, v29
	v_cmp_gt_i32_e32 vcc_lo, s15, v30
	v_mov_b32_e32 v30, 0
	s_and_b32 s22, vcc_lo, s1
	s_wait_alu 0xfffe
	s_and_saveexec_b32 s13, s22
	s_cbranch_execz .LBB299_8
; %bb.12:                               ;   in Loop: Header=BB299_9 Depth=2
	flat_load_b32 v30, v[12:13]
	s_branch .LBB299_8
.LBB299_13:                             ;   in Loop: Header=BB299_6 Depth=1
	s_wait_loadcnt 0x0
	v_add_co_u32 v8, vcc_lo, v8, s8
	s_wait_alu 0xfffd
	v_add_co_ci_u32_e64 v9, null, s9, v9, vcc_lo
	s_delay_alu instid0(VALU_DEP_2) | instskip(SKIP_1) | instid1(VALU_DEP_2)
	v_add_co_u32 v10, vcc_lo, v8, v4
	s_wait_alu 0xfffd
	v_add_co_ci_u32_e64 v11, null, v9, v5, vcc_lo
	s_and_saveexec_b32 s12, s31
	s_cbranch_execz .LBB299_17
; %bb.14:                               ;   in Loop: Header=BB299_6 Depth=1
	v_mul_f32_e32 v12, s28, v28
	s_and_b32 vcc_lo, exec_lo, s30
	s_wait_alu 0xfffe
	s_cbranch_vccz .LBB299_28
; %bb.15:                               ;   in Loop: Header=BB299_6 Depth=1
	v_lshlrev_b64_e32 v[28:29], 2, v[0:1]
	s_delay_alu instid0(VALU_DEP_1) | instskip(SKIP_1) | instid1(VALU_DEP_2)
	v_add_co_u32 v28, vcc_lo, v10, v28
	s_wait_alu 0xfffd
	v_add_co_ci_u32_e64 v29, null, v11, v29, vcc_lo
	flat_load_b32 v13, v[28:29]
	s_wait_loadcnt_dscnt 0x0
	v_fma_f32 v13, s19, v13, v12
	flat_store_b32 v[28:29], v13
	s_cbranch_execnz .LBB299_17
.LBB299_16:                             ;   in Loop: Header=BB299_6 Depth=1
	v_lshlrev_b64_e32 v[28:29], 2, v[0:1]
	s_delay_alu instid0(VALU_DEP_1) | instskip(SKIP_1) | instid1(VALU_DEP_2)
	v_add_co_u32 v28, vcc_lo, v10, v28
	s_wait_alu 0xfffd
	v_add_co_ci_u32_e64 v29, null, v11, v29, vcc_lo
	flat_store_b32 v[28:29], v12
.LBB299_17:                             ;   in Loop: Header=BB299_6 Depth=1
	s_wait_alu 0xfffe
	s_or_b32 exec_lo, exec_lo, s12
	s_and_saveexec_b32 s12, s14
	s_cbranch_execz .LBB299_21
; %bb.18:                               ;   in Loop: Header=BB299_6 Depth=1
	v_mul_f32_e32 v12, s28, v27
	s_and_not1_b32 vcc_lo, exec_lo, s30
	s_wait_alu 0xfffe
	s_cbranch_vccnz .LBB299_29
; %bb.19:                               ;   in Loop: Header=BB299_6 Depth=1
	v_lshlrev_b64_e32 v[27:28], 2, v[2:3]
	s_delay_alu instid0(VALU_DEP_1) | instskip(SKIP_1) | instid1(VALU_DEP_2)
	v_add_co_u32 v27, vcc_lo, v10, v27
	s_wait_alu 0xfffd
	v_add_co_ci_u32_e64 v28, null, v11, v28, vcc_lo
	flat_load_b32 v13, v[27:28]
	s_wait_loadcnt_dscnt 0x0
	v_fma_f32 v13, s19, v13, v12
	flat_store_b32 v[27:28], v13
	s_cbranch_execnz .LBB299_21
.LBB299_20:                             ;   in Loop: Header=BB299_6 Depth=1
	v_lshlrev_b64_e32 v[27:28], 2, v[2:3]
	s_delay_alu instid0(VALU_DEP_1) | instskip(SKIP_1) | instid1(VALU_DEP_2)
	v_add_co_u32 v10, vcc_lo, v10, v27
	s_wait_alu 0xfffd
	v_add_co_ci_u32_e64 v11, null, v11, v28, vcc_lo
	flat_store_b32 v[10:11], v12
.LBB299_21:                             ;   in Loop: Header=BB299_6 Depth=1
	s_wait_alu 0xfffe
	s_or_b32 exec_lo, exec_lo, s12
	v_add_co_u32 v10, vcc_lo, v8, v6
	s_wait_alu 0xfffd
	v_add_co_ci_u32_e64 v11, null, v9, v7, vcc_lo
	s_and_saveexec_b32 s12, s18
	s_cbranch_execz .LBB299_25
; %bb.22:                               ;   in Loop: Header=BB299_6 Depth=1
	v_lshlrev_b64_e32 v[8:9], 2, v[0:1]
	v_mul_f32_e32 v12, s28, v26
	s_and_not1_b32 vcc_lo, exec_lo, s30
	s_wait_alu 0xfffe
	s_cbranch_vccnz .LBB299_30
; %bb.23:                               ;   in Loop: Header=BB299_6 Depth=1
	s_delay_alu instid0(VALU_DEP_2)
	v_add_co_u32 v26, vcc_lo, v10, v8
	s_wait_alu 0xfffd
	v_add_co_ci_u32_e64 v27, null, v11, v9, vcc_lo
	flat_load_b32 v13, v[26:27]
	s_wait_loadcnt_dscnt 0x0
	v_fma_f32 v13, s19, v13, v12
	flat_store_b32 v[26:27], v13
	s_cbranch_execnz .LBB299_25
.LBB299_24:                             ;   in Loop: Header=BB299_6 Depth=1
	v_add_co_u32 v8, vcc_lo, v10, v8
	s_wait_alu 0xfffd
	v_add_co_ci_u32_e64 v9, null, v11, v9, vcc_lo
	flat_store_b32 v[8:9], v12
.LBB299_25:                             ;   in Loop: Header=BB299_6 Depth=1
	s_wait_alu 0xfffe
	s_or_b32 exec_lo, exec_lo, s12
	s_and_saveexec_b32 s12, s33
	s_cbranch_execz .LBB299_5
; %bb.26:                               ;   in Loop: Header=BB299_6 Depth=1
	v_lshlrev_b64_e32 v[8:9], 2, v[2:3]
	v_mul_f32_e32 v12, s28, v25
	s_and_not1_b32 vcc_lo, exec_lo, s30
	s_wait_alu 0xfffe
	s_cbranch_vccnz .LBB299_31
; %bb.27:                               ;   in Loop: Header=BB299_6 Depth=1
	s_delay_alu instid0(VALU_DEP_2)
	v_add_co_u32 v25, vcc_lo, v10, v8
	s_wait_alu 0xfffd
	v_add_co_ci_u32_e64 v26, null, v11, v9, vcc_lo
	flat_load_b32 v13, v[25:26]
	s_wait_loadcnt_dscnt 0x0
	v_fma_f32 v13, s19, v13, v12
	flat_store_b32 v[25:26], v13
	s_cbranch_execnz .LBB299_5
	s_branch .LBB299_32
.LBB299_28:                             ;   in Loop: Header=BB299_6 Depth=1
	s_branch .LBB299_16
.LBB299_29:                             ;   in Loop: Header=BB299_6 Depth=1
	s_branch .LBB299_20
.LBB299_30:                             ;   in Loop: Header=BB299_6 Depth=1
	s_branch .LBB299_24
.LBB299_31:                             ;   in Loop: Header=BB299_6 Depth=1
.LBB299_32:                             ;   in Loop: Header=BB299_6 Depth=1
	s_delay_alu instid0(VALU_DEP_2)
	v_add_co_u32 v8, vcc_lo, v10, v8
	s_wait_alu 0xfffd
	v_add_co_ci_u32_e64 v9, null, v11, v9, vcc_lo
	flat_store_b32 v[8:9], v12
	s_branch .LBB299_5
.LBB299_33:
	s_endpgm
	.section	.rodata,"a",@progbits
	.p2align	6, 0x0
	.amdhsa_kernel _ZL29rocblas_internal_gemmt_kernelIiLi16ELi32ELi8ELc78ELc67ELc76ELb0ELb0EfPKfPKS1_PKPfEviT_T9_T10_S7_lS9_S7_lS8_T11_S7_li
		.amdhsa_group_segment_fixed_size 2048
		.amdhsa_private_segment_fixed_size 0
		.amdhsa_kernarg_size 100
		.amdhsa_user_sgpr_count 2
		.amdhsa_user_sgpr_dispatch_ptr 0
		.amdhsa_user_sgpr_queue_ptr 0
		.amdhsa_user_sgpr_kernarg_segment_ptr 1
		.amdhsa_user_sgpr_dispatch_id 0
		.amdhsa_user_sgpr_private_segment_size 0
		.amdhsa_wavefront_size32 1
		.amdhsa_uses_dynamic_stack 0
		.amdhsa_enable_private_segment 0
		.amdhsa_system_sgpr_workgroup_id_x 1
		.amdhsa_system_sgpr_workgroup_id_y 1
		.amdhsa_system_sgpr_workgroup_id_z 1
		.amdhsa_system_sgpr_workgroup_info 0
		.amdhsa_system_vgpr_workitem_id 1
		.amdhsa_next_free_vgpr 55
		.amdhsa_next_free_sgpr 35
		.amdhsa_reserve_vcc 1
		.amdhsa_float_round_mode_32 0
		.amdhsa_float_round_mode_16_64 0
		.amdhsa_float_denorm_mode_32 3
		.amdhsa_float_denorm_mode_16_64 3
		.amdhsa_fp16_overflow 0
		.amdhsa_workgroup_processor_mode 1
		.amdhsa_memory_ordered 1
		.amdhsa_forward_progress 1
		.amdhsa_inst_pref_size 15
		.amdhsa_round_robin_scheduling 0
		.amdhsa_exception_fp_ieee_invalid_op 0
		.amdhsa_exception_fp_denorm_src 0
		.amdhsa_exception_fp_ieee_div_zero 0
		.amdhsa_exception_fp_ieee_overflow 0
		.amdhsa_exception_fp_ieee_underflow 0
		.amdhsa_exception_fp_ieee_inexact 0
		.amdhsa_exception_int_div_zero 0
	.end_amdhsa_kernel
	.section	.text._ZL29rocblas_internal_gemmt_kernelIiLi16ELi32ELi8ELc78ELc67ELc76ELb0ELb0EfPKfPKS1_PKPfEviT_T9_T10_S7_lS9_S7_lS8_T11_S7_li,"axG",@progbits,_ZL29rocblas_internal_gemmt_kernelIiLi16ELi32ELi8ELc78ELc67ELc76ELb0ELb0EfPKfPKS1_PKPfEviT_T9_T10_S7_lS9_S7_lS8_T11_S7_li,comdat
.Lfunc_end299:
	.size	_ZL29rocblas_internal_gemmt_kernelIiLi16ELi32ELi8ELc78ELc67ELc76ELb0ELb0EfPKfPKS1_PKPfEviT_T9_T10_S7_lS9_S7_lS8_T11_S7_li, .Lfunc_end299-_ZL29rocblas_internal_gemmt_kernelIiLi16ELi32ELi8ELc78ELc67ELc76ELb0ELb0EfPKfPKS1_PKPfEviT_T9_T10_S7_lS9_S7_lS8_T11_S7_li
                                        ; -- End function
	.set _ZL29rocblas_internal_gemmt_kernelIiLi16ELi32ELi8ELc78ELc67ELc76ELb0ELb0EfPKfPKS1_PKPfEviT_T9_T10_S7_lS9_S7_lS8_T11_S7_li.num_vgpr, 55
	.set _ZL29rocblas_internal_gemmt_kernelIiLi16ELi32ELi8ELc78ELc67ELc76ELb0ELb0EfPKfPKS1_PKPfEviT_T9_T10_S7_lS9_S7_lS8_T11_S7_li.num_agpr, 0
	.set _ZL29rocblas_internal_gemmt_kernelIiLi16ELi32ELi8ELc78ELc67ELc76ELb0ELb0EfPKfPKS1_PKPfEviT_T9_T10_S7_lS9_S7_lS8_T11_S7_li.numbered_sgpr, 35
	.set _ZL29rocblas_internal_gemmt_kernelIiLi16ELi32ELi8ELc78ELc67ELc76ELb0ELb0EfPKfPKS1_PKPfEviT_T9_T10_S7_lS9_S7_lS8_T11_S7_li.num_named_barrier, 0
	.set _ZL29rocblas_internal_gemmt_kernelIiLi16ELi32ELi8ELc78ELc67ELc76ELb0ELb0EfPKfPKS1_PKPfEviT_T9_T10_S7_lS9_S7_lS8_T11_S7_li.private_seg_size, 0
	.set _ZL29rocblas_internal_gemmt_kernelIiLi16ELi32ELi8ELc78ELc67ELc76ELb0ELb0EfPKfPKS1_PKPfEviT_T9_T10_S7_lS9_S7_lS8_T11_S7_li.uses_vcc, 1
	.set _ZL29rocblas_internal_gemmt_kernelIiLi16ELi32ELi8ELc78ELc67ELc76ELb0ELb0EfPKfPKS1_PKPfEviT_T9_T10_S7_lS9_S7_lS8_T11_S7_li.uses_flat_scratch, 0
	.set _ZL29rocblas_internal_gemmt_kernelIiLi16ELi32ELi8ELc78ELc67ELc76ELb0ELb0EfPKfPKS1_PKPfEviT_T9_T10_S7_lS9_S7_lS8_T11_S7_li.has_dyn_sized_stack, 0
	.set _ZL29rocblas_internal_gemmt_kernelIiLi16ELi32ELi8ELc78ELc67ELc76ELb0ELb0EfPKfPKS1_PKPfEviT_T9_T10_S7_lS9_S7_lS8_T11_S7_li.has_recursion, 0
	.set _ZL29rocblas_internal_gemmt_kernelIiLi16ELi32ELi8ELc78ELc67ELc76ELb0ELb0EfPKfPKS1_PKPfEviT_T9_T10_S7_lS9_S7_lS8_T11_S7_li.has_indirect_call, 0
	.section	.AMDGPU.csdata,"",@progbits
; Kernel info:
; codeLenInByte = 1916
; TotalNumSgprs: 37
; NumVgprs: 55
; ScratchSize: 0
; MemoryBound: 0
; FloatMode: 240
; IeeeMode: 1
; LDSByteSize: 2048 bytes/workgroup (compile time only)
; SGPRBlocks: 0
; VGPRBlocks: 6
; NumSGPRsForWavesPerEU: 37
; NumVGPRsForWavesPerEU: 55
; Occupancy: 16
; WaveLimiterHint : 1
; COMPUTE_PGM_RSRC2:SCRATCH_EN: 0
; COMPUTE_PGM_RSRC2:USER_SGPR: 2
; COMPUTE_PGM_RSRC2:TRAP_HANDLER: 0
; COMPUTE_PGM_RSRC2:TGID_X_EN: 1
; COMPUTE_PGM_RSRC2:TGID_Y_EN: 1
; COMPUTE_PGM_RSRC2:TGID_Z_EN: 1
; COMPUTE_PGM_RSRC2:TIDIG_COMP_CNT: 1
	.section	.text._ZL29rocblas_internal_gemmt_kernelIiLi16ELi32ELi8ELc84ELc78ELc76ELb0ELb0EfPKfPKS1_PKPfEviT_T9_T10_S7_lS9_S7_lS8_T11_S7_li,"axG",@progbits,_ZL29rocblas_internal_gemmt_kernelIiLi16ELi32ELi8ELc84ELc78ELc76ELb0ELb0EfPKfPKS1_PKPfEviT_T9_T10_S7_lS9_S7_lS8_T11_S7_li,comdat
	.globl	_ZL29rocblas_internal_gemmt_kernelIiLi16ELi32ELi8ELc84ELc78ELc76ELb0ELb0EfPKfPKS1_PKPfEviT_T9_T10_S7_lS9_S7_lS8_T11_S7_li ; -- Begin function _ZL29rocblas_internal_gemmt_kernelIiLi16ELi32ELi8ELc84ELc78ELc76ELb0ELb0EfPKfPKS1_PKPfEviT_T9_T10_S7_lS9_S7_lS8_T11_S7_li
	.p2align	8
	.type	_ZL29rocblas_internal_gemmt_kernelIiLi16ELi32ELi8ELc84ELc78ELc76ELb0ELb0EfPKfPKS1_PKPfEviT_T9_T10_S7_lS9_S7_lS8_T11_S7_li,@function
_ZL29rocblas_internal_gemmt_kernelIiLi16ELi32ELi8ELc84ELc78ELc76ELb0ELb0EfPKfPKS1_PKPfEviT_T9_T10_S7_lS9_S7_lS8_T11_S7_li: ; @_ZL29rocblas_internal_gemmt_kernelIiLi16ELi32ELi8ELc84ELc78ELc76ELb0ELb0EfPKfPKS1_PKPfEviT_T9_T10_S7_lS9_S7_lS8_T11_S7_li
; %bb.0:
	s_clause 0x1
	s_load_b128 s[12:15], s[0:1], 0x38
	s_load_b128 s[4:7], s[0:1], 0x8
	s_wait_kmcnt 0x0
	s_load_b32 s19, s[14:15], 0x0
	s_load_b64 s[14:15], s[0:1], 0x0
	s_load_b32 s24, s[4:5], 0x0
	s_wait_kmcnt 0x0
	s_cmp_neq_f32 s19, 1.0
	s_cselect_b32 s2, -1, 0
	s_delay_alu instid0(SALU_CYCLE_1)
	s_and_b32 vcc_lo, exec_lo, s2
	s_cbranch_vccnz .LBB300_2
; %bb.1:
	s_cmp_lg_u32 s15, 0
	s_cselect_b32 s2, -1, 0
	s_cmp_neq_f32 s24, 0
	s_cselect_b32 s3, -1, 0
	s_delay_alu instid0(SALU_CYCLE_1)
	s_and_b32 s2, s2, s3
.LBB300_2:
	s_delay_alu instid0(SALU_CYCLE_1)
	s_and_not1_b32 vcc_lo, exec_lo, s2
	s_cbranch_vccnz .LBB300_33
; %bb.3:
	s_load_b32 s25, s[0:1], 0x60
	s_lshr_b32 s20, ttmp7, 16
	s_wait_kmcnt 0x0
	s_cmp_ge_u32 s20, s25
	s_cbranch_scc1 .LBB300_33
; %bb.4:
	v_dual_mov_b32 v20, 0 :: v_dual_and_b32 v1, 0x3ff, v0
	v_bfe_u32 v2, v0, 10, 10
	s_clause 0x4
	s_load_b32 s5, s[0:1], 0x18
	s_load_b128 s[8:11], s[0:1], 0x20
	s_load_b32 s28, s[0:1], 0x30
	s_load_b96 s[16:18], s[0:1], 0x48
	s_load_b64 s[22:23], s[0:1], 0x58
	v_and_b32_e32 v14, 7, v0
	s_lshl_b32 s2, ttmp9, 5
	s_lshl_b32 s0, ttmp7, 5
	v_lshl_add_u32 v0, v2, 4, v1
	s_and_b32 s3, s0, 0x1fffe0
	v_lshlrev_b32_e32 v12, 2, v14
	s_cmp_neq_f32 s24, 0
	v_lshl_add_u32 v19, v2, 5, 0x400
	v_and_b32_e32 v3, 31, v0
	v_lshrrev_b32_e32 v4, 3, v0
	v_lshrrev_b32_e32 v15, 5, v0
	s_cselect_b32 s29, -1, 0
	s_cmp_gt_i32 s15, 0
	v_or_b32_e32 v6, s2, v3
	v_lshlrev_b32_e32 v0, 2, v3
	v_add_nc_u32_e32 v8, s3, v4
	v_lshl_or_b32 v3, v4, 5, v12
	s_cselect_b32 s30, -1, 0
	v_cmp_gt_i32_e64 s0, s14, v6
	s_wait_kmcnt 0x0
	v_mad_co_i64_i32 v[6:7], null, s5, v6, 0
	v_lshl_or_b32 v16, v15, 7, v0
	v_add_nc_u32_e32 v0, s2, v1
	v_cmp_gt_i32_e64 s1, s14, v8
	v_mad_co_i64_i32 v[8:9], null, s28, v8, 0
	v_add_nc_u32_e32 v17, 0x400, v3
	v_add_nc_u32_e32 v3, s3, v2
	;; [unrolled: 1-line block ×3, first 2 shown]
	s_cmp_neq_f32 s19, 0
	v_lshlrev_b64_e32 v[6:7], 2, v[6:7]
	v_cmp_gt_i32_e64 s2, s14, v0
	v_cmp_le_i32_e32 vcc_lo, v3, v0
	v_cmp_le_i32_e64 s3, v3, v2
	v_cmp_gt_i32_e64 s4, s14, v2
	v_add_nc_u32_e32 v13, 16, v3
	s_cselect_b32 s26, -1, 0
	s_lshl_b64 s[8:9], s[8:9], 2
	v_lshlrev_b64_e32 v[8:9], 2, v[8:9]
	v_add_co_u32 v6, s5, v6, s8
	v_mad_co_i64_i32 v[4:5], null, v3, s18, 0
	s_and_b32 s14, vcc_lo, s2
	s_and_b32 s27, s3, s4
	v_mad_co_i64_i32 v[10:11], null, v13, s18, 0
	v_cmp_le_i32_e32 vcc_lo, v13, v0
	v_cmp_le_i32_e64 s3, v13, v2
	v_add_co_ci_u32_e64 v7, null, s9, v7, s5
	v_lshlrev_b32_e32 v13, 2, v15
	s_lshl_b64 s[8:9], s[12:13], 2
	v_lshlrev_b64_e32 v[4:5], 2, v[4:5]
	s_wait_alu 0xfffe
	v_add_co_u32 v8, s5, v8, s8
	s_wait_alu 0xf1ff
	v_add_co_ci_u32_e64 v9, null, s9, v9, s5
	v_add_co_u32 v21, s5, v6, v13
	s_wait_alu 0xf1ff
	v_add_co_ci_u32_e64 v22, null, 0, v7, s5
	v_add_co_u32 v23, s5, v8, v12
	v_lshlrev_b64_e32 v[6:7], 2, v[10:11]
	v_lshlrev_b32_e32 v18, 2, v1
	v_ashrrev_i32_e32 v1, 31, v0
	v_ashrrev_i32_e32 v3, 31, v2
	s_wait_alu 0xf1ff
	v_add_co_ci_u32_e64 v24, null, 0, v9, s5
	s_mov_b32 s21, 0
	s_and_b32 s8, s29, s30
	s_and_b32 s9, vcc_lo, s2
	s_and_b32 s12, s3, s4
	s_lshl_b64 s[2:3], s[22:23], 2
	s_branch .LBB300_6
.LBB300_5:                              ;   in Loop: Header=BB300_6 Depth=1
	s_wait_alu 0xfffe
	s_or_b32 exec_lo, exec_lo, s4
	s_add_co_i32 s20, s20, 0x10000
	s_delay_alu instid0(SALU_CYCLE_1)
	s_cmp_lt_u32 s20, s25
	s_cbranch_scc0 .LBB300_33
.LBB300_6:                              ; =>This Loop Header: Depth=1
                                        ;     Child Loop BB300_9 Depth 2
	s_lshl_b64 s[4:5], s[20:21], 3
	v_dual_mov_b32 v28, 0 :: v_dual_mov_b32 v27, 0
	s_wait_alu 0xfffe
	s_add_nc_u64 s[22:23], s[16:17], s[4:5]
	v_dual_mov_b32 v26, 0 :: v_dual_mov_b32 v25, 0
	global_load_b64 v[8:9], v20, s[22:23]
	s_and_not1_b32 vcc_lo, exec_lo, s8
	s_wait_alu 0xfffe
	s_cbranch_vccnz .LBB300_13
; %bb.7:                                ;   in Loop: Header=BB300_6 Depth=1
	s_add_nc_u64 s[22:23], s[6:7], s[4:5]
	s_add_nc_u64 s[4:5], s[10:11], s[4:5]
	s_clause 0x1
	global_load_b64 v[10:11], v20, s[22:23]
	global_load_b64 v[12:13], v20, s[4:5]
	v_dual_mov_b32 v25, 0 :: v_dual_mov_b32 v26, 0
	v_dual_mov_b32 v27, 0 :: v_dual_mov_b32 v28, 0
	s_mov_b32 s4, 0
	s_wait_loadcnt 0x1
	v_add_co_u32 v10, vcc_lo, v10, v21
	s_wait_alu 0xfffd
	v_add_co_ci_u32_e64 v11, null, v11, v22, vcc_lo
	s_wait_loadcnt 0x0
	v_add_co_u32 v12, vcc_lo, v12, v23
	s_wait_alu 0xfffd
	v_add_co_ci_u32_e64 v13, null, v13, v24, vcc_lo
	s_branch .LBB300_9
.LBB300_8:                              ;   in Loop: Header=BB300_9 Depth=2
	s_wait_alu 0xfffe
	s_or_b32 exec_lo, exec_lo, s5
	s_wait_loadcnt_dscnt 0x0
	ds_store_b32 v17, v30
	s_wait_dscnt 0x0
	s_barrier_signal -1
	s_barrier_wait -1
	global_inv scope:SCOPE_SE
	ds_load_b128 v[29:32], v19
	ds_load_2addr_b32 v[45:46], v18 offset1:16
	ds_load_b128 v[33:36], v19 offset:512
	ds_load_2addr_b32 v[47:48], v18 offset0:32 offset1:48
	ds_load_2addr_b32 v[49:50], v18 offset0:64 offset1:80
	;; [unrolled: 1-line block ×3, first 2 shown]
	ds_load_b128 v[37:40], v19 offset:16
	ds_load_2addr_b32 v[53:54], v18 offset0:128 offset1:144
	ds_load_b128 v[41:44], v19 offset:528
	v_add_co_u32 v10, vcc_lo, v10, 32
	s_wait_alu 0xfffd
	v_add_co_ci_u32_e64 v11, null, 0, v11, vcc_lo
	v_add_co_u32 v12, vcc_lo, v12, 32
	s_wait_alu 0xfffd
	v_add_co_ci_u32_e64 v13, null, 0, v13, vcc_lo
	s_add_co_i32 s4, s4, 8
	s_wait_alu 0xfffe
	s_cmp_lt_i32 s4, s15
	s_wait_dscnt 0x7
	v_fmac_f32_e32 v27, v46, v29
	v_fmac_f32_e32 v28, v45, v29
	s_wait_dscnt 0x6
	v_fmac_f32_e32 v25, v46, v33
	v_fmac_f32_e32 v26, v45, v33
	ds_load_2addr_b32 v[45:46], v18 offset0:160 offset1:176
	s_wait_dscnt 0x6
	v_fmac_f32_e32 v27, v48, v30
	v_fmac_f32_e32 v28, v47, v30
	v_fmac_f32_e32 v25, v48, v34
	v_fmac_f32_e32 v26, v47, v34
	ds_load_2addr_b32 v[29:30], v18 offset0:192 offset1:208
	s_wait_dscnt 0x6
	v_fmac_f32_e32 v27, v50, v31
	v_fmac_f32_e32 v28, v49, v31
	;; [unrolled: 6-line block ×3, first 2 shown]
	v_fmac_f32_e32 v25, v52, v36
	v_fmac_f32_e32 v26, v51, v36
	s_wait_loadcnt_dscnt 0x0
	v_fmac_f32_e32 v27, v54, v37
	v_fmac_f32_e32 v28, v53, v37
	;; [unrolled: 1-line block ×4, first 2 shown]
	s_barrier_signal -1
	v_fmac_f32_e32 v27, v46, v38
	v_fmac_f32_e32 v28, v45, v38
	;; [unrolled: 1-line block ×4, first 2 shown]
	s_barrier_wait -1
	v_fmac_f32_e32 v27, v30, v39
	v_fmac_f32_e32 v28, v29, v39
	;; [unrolled: 1-line block ×4, first 2 shown]
	global_inv scope:SCOPE_SE
	v_fmac_f32_e32 v27, v34, v40
	v_fmac_f32_e32 v28, v33, v40
	;; [unrolled: 1-line block ×4, first 2 shown]
	s_cbranch_scc0 .LBB300_13
.LBB300_9:                              ;   Parent Loop BB300_6 Depth=1
                                        ; =>  This Inner Loop Header: Depth=2
	s_wait_alu 0xfffe
	v_add_nc_u32_e32 v29, s4, v15
	s_delay_alu instid0(VALU_DEP_1) | instskip(SKIP_2) | instid1(SALU_CYCLE_1)
	v_cmp_gt_i32_e32 vcc_lo, s15, v29
	v_mov_b32_e32 v29, 0
	s_and_b32 s13, s0, vcc_lo
	s_and_saveexec_b32 s5, s13
	s_cbranch_execz .LBB300_11
; %bb.10:                               ;   in Loop: Header=BB300_9 Depth=2
	flat_load_b32 v29, v[10:11]
.LBB300_11:                             ;   in Loop: Header=BB300_9 Depth=2
	s_wait_alu 0xfffe
	s_or_b32 exec_lo, exec_lo, s5
	v_add_nc_u32_e32 v30, s4, v14
	s_wait_loadcnt_dscnt 0x0
	ds_store_b32 v16, v29
	v_cmp_gt_i32_e32 vcc_lo, s15, v30
	v_mov_b32_e32 v30, 0
	s_and_b32 s13, vcc_lo, s1
	s_delay_alu instid0(SALU_CYCLE_1)
	s_and_saveexec_b32 s5, s13
	s_cbranch_execz .LBB300_8
; %bb.12:                               ;   in Loop: Header=BB300_9 Depth=2
	flat_load_b32 v30, v[12:13]
	s_branch .LBB300_8
.LBB300_13:                             ;   in Loop: Header=BB300_6 Depth=1
	s_wait_loadcnt 0x0
	v_add_co_u32 v8, vcc_lo, v8, s2
	s_wait_alu 0xfffd
	v_add_co_ci_u32_e64 v9, null, s3, v9, vcc_lo
	s_delay_alu instid0(VALU_DEP_2) | instskip(SKIP_1) | instid1(VALU_DEP_2)
	v_add_co_u32 v10, vcc_lo, v8, v4
	s_wait_alu 0xfffd
	v_add_co_ci_u32_e64 v11, null, v9, v5, vcc_lo
	s_and_saveexec_b32 s4, s14
	s_cbranch_execz .LBB300_17
; %bb.14:                               ;   in Loop: Header=BB300_6 Depth=1
	v_mul_f32_e32 v12, s24, v28
	s_and_b32 vcc_lo, exec_lo, s26
	s_wait_alu 0xfffe
	s_cbranch_vccz .LBB300_28
; %bb.15:                               ;   in Loop: Header=BB300_6 Depth=1
	v_lshlrev_b64_e32 v[28:29], 2, v[0:1]
	s_delay_alu instid0(VALU_DEP_1) | instskip(SKIP_1) | instid1(VALU_DEP_2)
	v_add_co_u32 v28, vcc_lo, v10, v28
	s_wait_alu 0xfffd
	v_add_co_ci_u32_e64 v29, null, v11, v29, vcc_lo
	flat_load_b32 v13, v[28:29]
	s_wait_loadcnt_dscnt 0x0
	v_fma_f32 v13, s19, v13, v12
	flat_store_b32 v[28:29], v13
	s_cbranch_execnz .LBB300_17
.LBB300_16:                             ;   in Loop: Header=BB300_6 Depth=1
	v_lshlrev_b64_e32 v[28:29], 2, v[0:1]
	s_delay_alu instid0(VALU_DEP_1) | instskip(SKIP_1) | instid1(VALU_DEP_2)
	v_add_co_u32 v28, vcc_lo, v10, v28
	s_wait_alu 0xfffd
	v_add_co_ci_u32_e64 v29, null, v11, v29, vcc_lo
	flat_store_b32 v[28:29], v12
.LBB300_17:                             ;   in Loop: Header=BB300_6 Depth=1
	s_wait_alu 0xfffe
	s_or_b32 exec_lo, exec_lo, s4
	s_and_saveexec_b32 s4, s27
	s_cbranch_execz .LBB300_21
; %bb.18:                               ;   in Loop: Header=BB300_6 Depth=1
	v_mul_f32_e32 v12, s24, v27
	s_and_not1_b32 vcc_lo, exec_lo, s26
	s_wait_alu 0xfffe
	s_cbranch_vccnz .LBB300_29
; %bb.19:                               ;   in Loop: Header=BB300_6 Depth=1
	v_lshlrev_b64_e32 v[27:28], 2, v[2:3]
	s_delay_alu instid0(VALU_DEP_1) | instskip(SKIP_1) | instid1(VALU_DEP_2)
	v_add_co_u32 v27, vcc_lo, v10, v27
	s_wait_alu 0xfffd
	v_add_co_ci_u32_e64 v28, null, v11, v28, vcc_lo
	flat_load_b32 v13, v[27:28]
	s_wait_loadcnt_dscnt 0x0
	v_fma_f32 v13, s19, v13, v12
	flat_store_b32 v[27:28], v13
	s_cbranch_execnz .LBB300_21
.LBB300_20:                             ;   in Loop: Header=BB300_6 Depth=1
	v_lshlrev_b64_e32 v[27:28], 2, v[2:3]
	s_delay_alu instid0(VALU_DEP_1) | instskip(SKIP_1) | instid1(VALU_DEP_2)
	v_add_co_u32 v10, vcc_lo, v10, v27
	s_wait_alu 0xfffd
	v_add_co_ci_u32_e64 v11, null, v11, v28, vcc_lo
	flat_store_b32 v[10:11], v12
.LBB300_21:                             ;   in Loop: Header=BB300_6 Depth=1
	s_wait_alu 0xfffe
	s_or_b32 exec_lo, exec_lo, s4
	v_add_co_u32 v10, vcc_lo, v8, v6
	s_wait_alu 0xfffd
	v_add_co_ci_u32_e64 v11, null, v9, v7, vcc_lo
	s_and_saveexec_b32 s4, s9
	s_cbranch_execz .LBB300_25
; %bb.22:                               ;   in Loop: Header=BB300_6 Depth=1
	v_lshlrev_b64_e32 v[8:9], 2, v[0:1]
	v_mul_f32_e32 v12, s24, v26
	s_and_not1_b32 vcc_lo, exec_lo, s26
	s_wait_alu 0xfffe
	s_cbranch_vccnz .LBB300_30
; %bb.23:                               ;   in Loop: Header=BB300_6 Depth=1
	s_delay_alu instid0(VALU_DEP_2)
	v_add_co_u32 v26, vcc_lo, v10, v8
	s_wait_alu 0xfffd
	v_add_co_ci_u32_e64 v27, null, v11, v9, vcc_lo
	flat_load_b32 v13, v[26:27]
	s_wait_loadcnt_dscnt 0x0
	v_fma_f32 v13, s19, v13, v12
	flat_store_b32 v[26:27], v13
	s_cbranch_execnz .LBB300_25
.LBB300_24:                             ;   in Loop: Header=BB300_6 Depth=1
	v_add_co_u32 v8, vcc_lo, v10, v8
	s_wait_alu 0xfffd
	v_add_co_ci_u32_e64 v9, null, v11, v9, vcc_lo
	flat_store_b32 v[8:9], v12
.LBB300_25:                             ;   in Loop: Header=BB300_6 Depth=1
	s_wait_alu 0xfffe
	s_or_b32 exec_lo, exec_lo, s4
	s_and_saveexec_b32 s4, s12
	s_cbranch_execz .LBB300_5
; %bb.26:                               ;   in Loop: Header=BB300_6 Depth=1
	v_lshlrev_b64_e32 v[8:9], 2, v[2:3]
	v_mul_f32_e32 v12, s24, v25
	s_and_not1_b32 vcc_lo, exec_lo, s26
	s_wait_alu 0xfffe
	s_cbranch_vccnz .LBB300_31
; %bb.27:                               ;   in Loop: Header=BB300_6 Depth=1
	s_delay_alu instid0(VALU_DEP_2)
	v_add_co_u32 v25, vcc_lo, v10, v8
	s_wait_alu 0xfffd
	v_add_co_ci_u32_e64 v26, null, v11, v9, vcc_lo
	flat_load_b32 v13, v[25:26]
	s_wait_loadcnt_dscnt 0x0
	v_fma_f32 v13, s19, v13, v12
	flat_store_b32 v[25:26], v13
	s_cbranch_execnz .LBB300_5
	s_branch .LBB300_32
.LBB300_28:                             ;   in Loop: Header=BB300_6 Depth=1
	s_branch .LBB300_16
.LBB300_29:                             ;   in Loop: Header=BB300_6 Depth=1
	s_branch .LBB300_20
.LBB300_30:                             ;   in Loop: Header=BB300_6 Depth=1
	s_branch .LBB300_24
.LBB300_31:                             ;   in Loop: Header=BB300_6 Depth=1
.LBB300_32:                             ;   in Loop: Header=BB300_6 Depth=1
	s_delay_alu instid0(VALU_DEP_2)
	v_add_co_u32 v8, vcc_lo, v10, v8
	s_wait_alu 0xfffd
	v_add_co_ci_u32_e64 v9, null, v11, v9, vcc_lo
	flat_store_b32 v[8:9], v12
	s_branch .LBB300_5
.LBB300_33:
	s_endpgm
	.section	.rodata,"a",@progbits
	.p2align	6, 0x0
	.amdhsa_kernel _ZL29rocblas_internal_gemmt_kernelIiLi16ELi32ELi8ELc84ELc78ELc76ELb0ELb0EfPKfPKS1_PKPfEviT_T9_T10_S7_lS9_S7_lS8_T11_S7_li
		.amdhsa_group_segment_fixed_size 2048
		.amdhsa_private_segment_fixed_size 0
		.amdhsa_kernarg_size 100
		.amdhsa_user_sgpr_count 2
		.amdhsa_user_sgpr_dispatch_ptr 0
		.amdhsa_user_sgpr_queue_ptr 0
		.amdhsa_user_sgpr_kernarg_segment_ptr 1
		.amdhsa_user_sgpr_dispatch_id 0
		.amdhsa_user_sgpr_private_segment_size 0
		.amdhsa_wavefront_size32 1
		.amdhsa_uses_dynamic_stack 0
		.amdhsa_enable_private_segment 0
		.amdhsa_system_sgpr_workgroup_id_x 1
		.amdhsa_system_sgpr_workgroup_id_y 1
		.amdhsa_system_sgpr_workgroup_id_z 1
		.amdhsa_system_sgpr_workgroup_info 0
		.amdhsa_system_vgpr_workitem_id 1
		.amdhsa_next_free_vgpr 55
		.amdhsa_next_free_sgpr 31
		.amdhsa_reserve_vcc 1
		.amdhsa_float_round_mode_32 0
		.amdhsa_float_round_mode_16_64 0
		.amdhsa_float_denorm_mode_32 3
		.amdhsa_float_denorm_mode_16_64 3
		.amdhsa_fp16_overflow 0
		.amdhsa_workgroup_processor_mode 1
		.amdhsa_memory_ordered 1
		.amdhsa_forward_progress 1
		.amdhsa_inst_pref_size 15
		.amdhsa_round_robin_scheduling 0
		.amdhsa_exception_fp_ieee_invalid_op 0
		.amdhsa_exception_fp_denorm_src 0
		.amdhsa_exception_fp_ieee_div_zero 0
		.amdhsa_exception_fp_ieee_overflow 0
		.amdhsa_exception_fp_ieee_underflow 0
		.amdhsa_exception_fp_ieee_inexact 0
		.amdhsa_exception_int_div_zero 0
	.end_amdhsa_kernel
	.section	.text._ZL29rocblas_internal_gemmt_kernelIiLi16ELi32ELi8ELc84ELc78ELc76ELb0ELb0EfPKfPKS1_PKPfEviT_T9_T10_S7_lS9_S7_lS8_T11_S7_li,"axG",@progbits,_ZL29rocblas_internal_gemmt_kernelIiLi16ELi32ELi8ELc84ELc78ELc76ELb0ELb0EfPKfPKS1_PKPfEviT_T9_T10_S7_lS9_S7_lS8_T11_S7_li,comdat
.Lfunc_end300:
	.size	_ZL29rocblas_internal_gemmt_kernelIiLi16ELi32ELi8ELc84ELc78ELc76ELb0ELb0EfPKfPKS1_PKPfEviT_T9_T10_S7_lS9_S7_lS8_T11_S7_li, .Lfunc_end300-_ZL29rocblas_internal_gemmt_kernelIiLi16ELi32ELi8ELc84ELc78ELc76ELb0ELb0EfPKfPKS1_PKPfEviT_T9_T10_S7_lS9_S7_lS8_T11_S7_li
                                        ; -- End function
	.set _ZL29rocblas_internal_gemmt_kernelIiLi16ELi32ELi8ELc84ELc78ELc76ELb0ELb0EfPKfPKS1_PKPfEviT_T9_T10_S7_lS9_S7_lS8_T11_S7_li.num_vgpr, 55
	.set _ZL29rocblas_internal_gemmt_kernelIiLi16ELi32ELi8ELc84ELc78ELc76ELb0ELb0EfPKfPKS1_PKPfEviT_T9_T10_S7_lS9_S7_lS8_T11_S7_li.num_agpr, 0
	.set _ZL29rocblas_internal_gemmt_kernelIiLi16ELi32ELi8ELc84ELc78ELc76ELb0ELb0EfPKfPKS1_PKPfEviT_T9_T10_S7_lS9_S7_lS8_T11_S7_li.numbered_sgpr, 31
	.set _ZL29rocblas_internal_gemmt_kernelIiLi16ELi32ELi8ELc84ELc78ELc76ELb0ELb0EfPKfPKS1_PKPfEviT_T9_T10_S7_lS9_S7_lS8_T11_S7_li.num_named_barrier, 0
	.set _ZL29rocblas_internal_gemmt_kernelIiLi16ELi32ELi8ELc84ELc78ELc76ELb0ELb0EfPKfPKS1_PKPfEviT_T9_T10_S7_lS9_S7_lS8_T11_S7_li.private_seg_size, 0
	.set _ZL29rocblas_internal_gemmt_kernelIiLi16ELi32ELi8ELc84ELc78ELc76ELb0ELb0EfPKfPKS1_PKPfEviT_T9_T10_S7_lS9_S7_lS8_T11_S7_li.uses_vcc, 1
	.set _ZL29rocblas_internal_gemmt_kernelIiLi16ELi32ELi8ELc84ELc78ELc76ELb0ELb0EfPKfPKS1_PKPfEviT_T9_T10_S7_lS9_S7_lS8_T11_S7_li.uses_flat_scratch, 0
	.set _ZL29rocblas_internal_gemmt_kernelIiLi16ELi32ELi8ELc84ELc78ELc76ELb0ELb0EfPKfPKS1_PKPfEviT_T9_T10_S7_lS9_S7_lS8_T11_S7_li.has_dyn_sized_stack, 0
	.set _ZL29rocblas_internal_gemmt_kernelIiLi16ELi32ELi8ELc84ELc78ELc76ELb0ELb0EfPKfPKS1_PKPfEviT_T9_T10_S7_lS9_S7_lS8_T11_S7_li.has_recursion, 0
	.set _ZL29rocblas_internal_gemmt_kernelIiLi16ELi32ELi8ELc84ELc78ELc76ELb0ELb0EfPKfPKS1_PKPfEviT_T9_T10_S7_lS9_S7_lS8_T11_S7_li.has_indirect_call, 0
	.section	.AMDGPU.csdata,"",@progbits
; Kernel info:
; codeLenInByte = 1868
; TotalNumSgprs: 33
; NumVgprs: 55
; ScratchSize: 0
; MemoryBound: 0
; FloatMode: 240
; IeeeMode: 1
; LDSByteSize: 2048 bytes/workgroup (compile time only)
; SGPRBlocks: 0
; VGPRBlocks: 6
; NumSGPRsForWavesPerEU: 33
; NumVGPRsForWavesPerEU: 55
; Occupancy: 16
; WaveLimiterHint : 1
; COMPUTE_PGM_RSRC2:SCRATCH_EN: 0
; COMPUTE_PGM_RSRC2:USER_SGPR: 2
; COMPUTE_PGM_RSRC2:TRAP_HANDLER: 0
; COMPUTE_PGM_RSRC2:TGID_X_EN: 1
; COMPUTE_PGM_RSRC2:TGID_Y_EN: 1
; COMPUTE_PGM_RSRC2:TGID_Z_EN: 1
; COMPUTE_PGM_RSRC2:TIDIG_COMP_CNT: 1
	.section	.text._ZL29rocblas_internal_gemmt_kernelIiLi16ELi32ELi8ELc84ELc84ELc76ELb0ELb0EfPKfPKS1_PKPfEviT_T9_T10_S7_lS9_S7_lS8_T11_S7_li,"axG",@progbits,_ZL29rocblas_internal_gemmt_kernelIiLi16ELi32ELi8ELc84ELc84ELc76ELb0ELb0EfPKfPKS1_PKPfEviT_T9_T10_S7_lS9_S7_lS8_T11_S7_li,comdat
	.globl	_ZL29rocblas_internal_gemmt_kernelIiLi16ELi32ELi8ELc84ELc84ELc76ELb0ELb0EfPKfPKS1_PKPfEviT_T9_T10_S7_lS9_S7_lS8_T11_S7_li ; -- Begin function _ZL29rocblas_internal_gemmt_kernelIiLi16ELi32ELi8ELc84ELc84ELc76ELb0ELb0EfPKfPKS1_PKPfEviT_T9_T10_S7_lS9_S7_lS8_T11_S7_li
	.p2align	8
	.type	_ZL29rocblas_internal_gemmt_kernelIiLi16ELi32ELi8ELc84ELc84ELc76ELb0ELb0EfPKfPKS1_PKPfEviT_T9_T10_S7_lS9_S7_lS8_T11_S7_li,@function
_ZL29rocblas_internal_gemmt_kernelIiLi16ELi32ELi8ELc84ELc84ELc76ELb0ELb0EfPKfPKS1_PKPfEviT_T9_T10_S7_lS9_S7_lS8_T11_S7_li: ; @_ZL29rocblas_internal_gemmt_kernelIiLi16ELi32ELi8ELc84ELc84ELc76ELb0ELb0EfPKfPKS1_PKPfEviT_T9_T10_S7_lS9_S7_lS8_T11_S7_li
; %bb.0:
	s_clause 0x1
	s_load_b128 s[12:15], s[0:1], 0x38
	s_load_b128 s[4:7], s[0:1], 0x8
	s_wait_kmcnt 0x0
	s_load_b32 s19, s[14:15], 0x0
	s_load_b64 s[14:15], s[0:1], 0x0
	s_load_b32 s24, s[4:5], 0x0
	s_wait_kmcnt 0x0
	s_cmp_neq_f32 s19, 1.0
	s_cselect_b32 s2, -1, 0
	s_delay_alu instid0(SALU_CYCLE_1)
	s_and_b32 vcc_lo, exec_lo, s2
	s_cbranch_vccnz .LBB301_2
; %bb.1:
	s_cmp_lg_u32 s15, 0
	s_cselect_b32 s2, -1, 0
	s_cmp_neq_f32 s24, 0
	s_cselect_b32 s3, -1, 0
	s_delay_alu instid0(SALU_CYCLE_1)
	s_and_b32 s2, s2, s3
.LBB301_2:
	s_delay_alu instid0(SALU_CYCLE_1)
	s_and_not1_b32 vcc_lo, exec_lo, s2
	s_cbranch_vccnz .LBB301_33
; %bb.3:
	s_load_b32 s25, s[0:1], 0x60
	s_lshr_b32 s4, ttmp7, 16
	s_wait_kmcnt 0x0
	s_cmp_ge_u32 s4, s25
	s_cbranch_scc1 .LBB301_33
; %bb.4:
	s_load_b32 s20, s[0:1], 0x30
	v_dual_mov_b32 v20, 0 :: v_dual_and_b32 v1, 0x3ff, v0
	v_bfe_u32 v2, v0, 10, 10
	v_and_b32_e32 v14, 7, v0
	s_clause 0x3
	s_load_b32 s28, s[0:1], 0x18
	s_load_b128 s[8:11], s[0:1], 0x20
	s_load_b96 s[16:18], s[0:1], 0x48
	s_load_b64 s[22:23], s[0:1], 0x58
	s_lshl_b32 s0, ttmp7, 5
	v_lshl_add_u32 v0, v2, 4, v1
	s_lshl_b32 s2, ttmp9, 5
	s_and_b32 s3, s0, 0x1fffe0
	v_lshlrev_b32_e32 v5, 2, v14
	v_add_nc_u32_e32 v7, s3, v2
	v_and_b32_e32 v3, 31, v0
	v_lshrrev_b32_e32 v4, 3, v0
	v_lshrrev_b32_e32 v15, 5, v0
	v_lshl_add_u32 v19, v2, 5, 0x400
	v_add_nc_u32_e32 v13, 16, v7
	v_lshlrev_b32_e32 v0, 2, v3
	v_or_b32_e32 v6, s2, v3
	s_wait_kmcnt 0x0
	s_ashr_i32 s21, s20, 31
	s_cmp_neq_f32 s24, 0
	v_add_nc_u32_e32 v12, s3, v4
	v_lshl_or_b32 v16, v15, 7, v0
	v_add_nc_u32_e32 v0, s2, v1
	s_cselect_b32 s29, -1, 0
	s_cmp_gt_i32 s15, 0
	v_lshl_or_b32 v3, v4, 5, v5
	s_cselect_b32 s30, -1, 0
	v_cmp_le_i32_e32 vcc_lo, v7, v0
	v_cmp_gt_i32_e64 s2, s14, v0
	v_add_nc_u32_e32 v2, 16, v0
	s_cmp_neq_f32 s19, 0
	v_cmp_gt_i32_e64 s0, s14, v6
	v_mad_co_i64_i32 v[4:5], null, v7, s18, 0
	s_cselect_b32 s26, -1, 0
	s_and_b32 s27, vcc_lo, s2
	v_cmp_le_i32_e32 vcc_lo, v7, v2
	v_mad_co_i64_i32 v[6:7], null, s28, v6, 0
	v_cmp_gt_i32_e64 s3, s14, v2
	v_mad_co_i64_i32 v[8:9], null, s20, v14, 0
	v_cmp_gt_i32_e64 s1, s14, v12
	s_lshl_b64 s[8:9], s[8:9], 2
	s_and_b32 s14, vcc_lo, s3
	v_lshlrev_b64_e32 v[6:7], 2, v[6:7]
	v_cmp_le_i32_e32 vcc_lo, v13, v0
	v_mad_co_i64_i32 v[10:11], null, v13, s18, 0
	v_lshlrev_b64_e32 v[8:9], 2, v[8:9]
	v_lshlrev_b32_e32 v12, 2, v12
	s_and_b32 s18, vcc_lo, s2
	v_add_co_u32 v6, s2, v6, s8
	v_cmp_le_i32_e32 vcc_lo, v13, v2
	s_wait_alu 0xf1ff
	v_add_co_ci_u32_e64 v7, null, s9, v7, s2
	v_lshlrev_b32_e32 v13, 2, v15
	s_lshl_b64 s[8:9], s[12:13], 2
	v_lshlrev_b64_e32 v[4:5], 2, v[4:5]
	s_wait_alu 0xfffe
	v_add_co_u32 v8, s2, v8, s8
	s_wait_alu 0xf1ff
	v_add_co_ci_u32_e64 v9, null, s9, v9, s2
	v_add_co_u32 v21, s2, v6, v13
	s_wait_alu 0xf1ff
	v_add_co_ci_u32_e64 v22, null, 0, v7, s2
	v_add_co_u32 v23, s2, v8, v12
	v_lshlrev_b64_e32 v[6:7], 2, v[10:11]
	v_add_nc_u32_e32 v17, 0x400, v3
	v_lshlrev_b32_e32 v18, 2, v1
	v_ashrrev_i32_e32 v1, 31, v0
	v_ashrrev_i32_e32 v3, 31, v2
	s_wait_alu 0xf1ff
	v_add_co_ci_u32_e64 v24, null, 0, v9, s2
	s_mov_b32 s5, 0
	s_and_b32 s28, s29, s30
	s_and_b32 s29, vcc_lo, s3
	s_lshl_b64 s[2:3], s[20:21], 5
	s_lshl_b64 s[8:9], s[22:23], 2
	s_branch .LBB301_6
.LBB301_5:                              ;   in Loop: Header=BB301_6 Depth=1
	s_wait_alu 0xfffe
	s_or_b32 exec_lo, exec_lo, s12
	s_add_co_i32 s4, s4, 0x10000
	s_delay_alu instid0(SALU_CYCLE_1)
	s_cmp_lt_u32 s4, s25
	s_cbranch_scc0 .LBB301_33
.LBB301_6:                              ; =>This Loop Header: Depth=1
                                        ;     Child Loop BB301_9 Depth 2
	s_lshl_b64 s[12:13], s[4:5], 3
	v_dual_mov_b32 v28, 0 :: v_dual_mov_b32 v27, 0
	s_wait_alu 0xfffe
	s_add_nc_u64 s[20:21], s[16:17], s[12:13]
	v_dual_mov_b32 v26, 0 :: v_dual_mov_b32 v25, 0
	global_load_b64 v[8:9], v20, s[20:21]
	s_and_not1_b32 vcc_lo, exec_lo, s28
	s_wait_alu 0xfffe
	s_cbranch_vccnz .LBB301_13
; %bb.7:                                ;   in Loop: Header=BB301_6 Depth=1
	s_add_nc_u64 s[20:21], s[6:7], s[12:13]
	s_add_nc_u64 s[12:13], s[10:11], s[12:13]
	s_clause 0x1
	global_load_b64 v[10:11], v20, s[20:21]
	global_load_b64 v[12:13], v20, s[12:13]
	v_dual_mov_b32 v25, 0 :: v_dual_mov_b32 v26, 0
	v_dual_mov_b32 v27, 0 :: v_dual_mov_b32 v28, 0
	s_mov_b32 s12, 0
	s_wait_loadcnt 0x1
	v_add_co_u32 v10, vcc_lo, v10, v21
	s_wait_alu 0xfffd
	v_add_co_ci_u32_e64 v11, null, v11, v22, vcc_lo
	s_wait_loadcnt 0x0
	v_add_co_u32 v12, vcc_lo, v12, v23
	s_wait_alu 0xfffd
	v_add_co_ci_u32_e64 v13, null, v13, v24, vcc_lo
	s_branch .LBB301_9
.LBB301_8:                              ;   in Loop: Header=BB301_9 Depth=2
	s_wait_alu 0xfffe
	s_or_b32 exec_lo, exec_lo, s13
	s_wait_loadcnt_dscnt 0x0
	ds_store_b32 v17, v30
	s_wait_dscnt 0x0
	s_barrier_signal -1
	s_barrier_wait -1
	global_inv scope:SCOPE_SE
	ds_load_b128 v[29:32], v19
	ds_load_2addr_b32 v[45:46], v18 offset1:16
	ds_load_b128 v[33:36], v19 offset:512
	ds_load_2addr_b32 v[47:48], v18 offset0:32 offset1:48
	ds_load_2addr_b32 v[49:50], v18 offset0:64 offset1:80
	;; [unrolled: 1-line block ×3, first 2 shown]
	ds_load_b128 v[37:40], v19 offset:16
	ds_load_2addr_b32 v[53:54], v18 offset0:128 offset1:144
	ds_load_b128 v[41:44], v19 offset:528
	v_add_co_u32 v10, vcc_lo, v10, 32
	s_wait_alu 0xfffd
	v_add_co_ci_u32_e64 v11, null, 0, v11, vcc_lo
	v_add_co_u32 v12, vcc_lo, v12, s2
	s_wait_alu 0xfffd
	v_add_co_ci_u32_e64 v13, null, s3, v13, vcc_lo
	s_add_co_i32 s12, s12, 8
	s_wait_alu 0xfffe
	s_cmp_lt_i32 s12, s15
	s_wait_dscnt 0x7
	v_fmac_f32_e32 v27, v46, v29
	v_fmac_f32_e32 v28, v45, v29
	s_wait_dscnt 0x6
	v_fmac_f32_e32 v25, v46, v33
	v_fmac_f32_e32 v26, v45, v33
	ds_load_2addr_b32 v[45:46], v18 offset0:160 offset1:176
	s_wait_dscnt 0x6
	v_fmac_f32_e32 v27, v48, v30
	v_fmac_f32_e32 v28, v47, v30
	v_fmac_f32_e32 v25, v48, v34
	v_fmac_f32_e32 v26, v47, v34
	ds_load_2addr_b32 v[29:30], v18 offset0:192 offset1:208
	s_wait_dscnt 0x6
	v_fmac_f32_e32 v27, v50, v31
	v_fmac_f32_e32 v28, v49, v31
	;; [unrolled: 6-line block ×3, first 2 shown]
	v_fmac_f32_e32 v25, v52, v36
	v_fmac_f32_e32 v26, v51, v36
	s_wait_loadcnt_dscnt 0x0
	v_fmac_f32_e32 v27, v54, v37
	v_fmac_f32_e32 v28, v53, v37
	v_fmac_f32_e32 v25, v54, v41
	v_fmac_f32_e32 v26, v53, v41
	s_barrier_signal -1
	v_fmac_f32_e32 v27, v46, v38
	v_fmac_f32_e32 v28, v45, v38
	;; [unrolled: 1-line block ×4, first 2 shown]
	s_barrier_wait -1
	v_fmac_f32_e32 v27, v30, v39
	v_fmac_f32_e32 v28, v29, v39
	;; [unrolled: 1-line block ×4, first 2 shown]
	global_inv scope:SCOPE_SE
	v_fmac_f32_e32 v27, v34, v40
	v_fmac_f32_e32 v28, v33, v40
	;; [unrolled: 1-line block ×4, first 2 shown]
	s_cbranch_scc0 .LBB301_13
.LBB301_9:                              ;   Parent Loop BB301_6 Depth=1
                                        ; =>  This Inner Loop Header: Depth=2
	s_wait_alu 0xfffe
	v_add_nc_u32_e32 v29, s12, v15
	s_delay_alu instid0(VALU_DEP_1)
	v_cmp_gt_i32_e32 vcc_lo, s15, v29
	v_mov_b32_e32 v29, 0
	s_and_b32 s20, s0, vcc_lo
	s_wait_alu 0xfffe
	s_and_saveexec_b32 s13, s20
	s_cbranch_execz .LBB301_11
; %bb.10:                               ;   in Loop: Header=BB301_9 Depth=2
	flat_load_b32 v29, v[10:11]
.LBB301_11:                             ;   in Loop: Header=BB301_9 Depth=2
	s_wait_alu 0xfffe
	s_or_b32 exec_lo, exec_lo, s13
	v_add_nc_u32_e32 v30, s12, v14
	s_wait_loadcnt_dscnt 0x0
	ds_store_b32 v16, v29
	v_cmp_gt_i32_e32 vcc_lo, s15, v30
	v_mov_b32_e32 v30, 0
	s_and_b32 s20, vcc_lo, s1
	s_wait_alu 0xfffe
	s_and_saveexec_b32 s13, s20
	s_cbranch_execz .LBB301_8
; %bb.12:                               ;   in Loop: Header=BB301_9 Depth=2
	flat_load_b32 v30, v[12:13]
	s_branch .LBB301_8
.LBB301_13:                             ;   in Loop: Header=BB301_6 Depth=1
	s_wait_loadcnt 0x0
	v_add_co_u32 v8, vcc_lo, v8, s8
	s_wait_alu 0xfffd
	v_add_co_ci_u32_e64 v9, null, s9, v9, vcc_lo
	s_delay_alu instid0(VALU_DEP_2) | instskip(SKIP_1) | instid1(VALU_DEP_2)
	v_add_co_u32 v10, vcc_lo, v8, v4
	s_wait_alu 0xfffd
	v_add_co_ci_u32_e64 v11, null, v9, v5, vcc_lo
	s_and_saveexec_b32 s12, s27
	s_cbranch_execz .LBB301_17
; %bb.14:                               ;   in Loop: Header=BB301_6 Depth=1
	v_mul_f32_e32 v12, s24, v28
	s_and_b32 vcc_lo, exec_lo, s26
	s_wait_alu 0xfffe
	s_cbranch_vccz .LBB301_28
; %bb.15:                               ;   in Loop: Header=BB301_6 Depth=1
	v_lshlrev_b64_e32 v[28:29], 2, v[0:1]
	s_delay_alu instid0(VALU_DEP_1) | instskip(SKIP_1) | instid1(VALU_DEP_2)
	v_add_co_u32 v28, vcc_lo, v10, v28
	s_wait_alu 0xfffd
	v_add_co_ci_u32_e64 v29, null, v11, v29, vcc_lo
	flat_load_b32 v13, v[28:29]
	s_wait_loadcnt_dscnt 0x0
	v_fma_f32 v13, s19, v13, v12
	flat_store_b32 v[28:29], v13
	s_cbranch_execnz .LBB301_17
.LBB301_16:                             ;   in Loop: Header=BB301_6 Depth=1
	v_lshlrev_b64_e32 v[28:29], 2, v[0:1]
	s_delay_alu instid0(VALU_DEP_1) | instskip(SKIP_1) | instid1(VALU_DEP_2)
	v_add_co_u32 v28, vcc_lo, v10, v28
	s_wait_alu 0xfffd
	v_add_co_ci_u32_e64 v29, null, v11, v29, vcc_lo
	flat_store_b32 v[28:29], v12
.LBB301_17:                             ;   in Loop: Header=BB301_6 Depth=1
	s_wait_alu 0xfffe
	s_or_b32 exec_lo, exec_lo, s12
	s_and_saveexec_b32 s12, s14
	s_cbranch_execz .LBB301_21
; %bb.18:                               ;   in Loop: Header=BB301_6 Depth=1
	v_mul_f32_e32 v12, s24, v27
	s_and_not1_b32 vcc_lo, exec_lo, s26
	s_wait_alu 0xfffe
	s_cbranch_vccnz .LBB301_29
; %bb.19:                               ;   in Loop: Header=BB301_6 Depth=1
	v_lshlrev_b64_e32 v[27:28], 2, v[2:3]
	s_delay_alu instid0(VALU_DEP_1) | instskip(SKIP_1) | instid1(VALU_DEP_2)
	v_add_co_u32 v27, vcc_lo, v10, v27
	s_wait_alu 0xfffd
	v_add_co_ci_u32_e64 v28, null, v11, v28, vcc_lo
	flat_load_b32 v13, v[27:28]
	s_wait_loadcnt_dscnt 0x0
	v_fma_f32 v13, s19, v13, v12
	flat_store_b32 v[27:28], v13
	s_cbranch_execnz .LBB301_21
.LBB301_20:                             ;   in Loop: Header=BB301_6 Depth=1
	v_lshlrev_b64_e32 v[27:28], 2, v[2:3]
	s_delay_alu instid0(VALU_DEP_1) | instskip(SKIP_1) | instid1(VALU_DEP_2)
	v_add_co_u32 v10, vcc_lo, v10, v27
	s_wait_alu 0xfffd
	v_add_co_ci_u32_e64 v11, null, v11, v28, vcc_lo
	flat_store_b32 v[10:11], v12
.LBB301_21:                             ;   in Loop: Header=BB301_6 Depth=1
	s_wait_alu 0xfffe
	s_or_b32 exec_lo, exec_lo, s12
	v_add_co_u32 v10, vcc_lo, v8, v6
	s_wait_alu 0xfffd
	v_add_co_ci_u32_e64 v11, null, v9, v7, vcc_lo
	s_and_saveexec_b32 s12, s18
	s_cbranch_execz .LBB301_25
; %bb.22:                               ;   in Loop: Header=BB301_6 Depth=1
	v_lshlrev_b64_e32 v[8:9], 2, v[0:1]
	v_mul_f32_e32 v12, s24, v26
	s_and_not1_b32 vcc_lo, exec_lo, s26
	s_wait_alu 0xfffe
	s_cbranch_vccnz .LBB301_30
; %bb.23:                               ;   in Loop: Header=BB301_6 Depth=1
	s_delay_alu instid0(VALU_DEP_2)
	v_add_co_u32 v26, vcc_lo, v10, v8
	s_wait_alu 0xfffd
	v_add_co_ci_u32_e64 v27, null, v11, v9, vcc_lo
	flat_load_b32 v13, v[26:27]
	s_wait_loadcnt_dscnt 0x0
	v_fma_f32 v13, s19, v13, v12
	flat_store_b32 v[26:27], v13
	s_cbranch_execnz .LBB301_25
.LBB301_24:                             ;   in Loop: Header=BB301_6 Depth=1
	v_add_co_u32 v8, vcc_lo, v10, v8
	s_wait_alu 0xfffd
	v_add_co_ci_u32_e64 v9, null, v11, v9, vcc_lo
	flat_store_b32 v[8:9], v12
.LBB301_25:                             ;   in Loop: Header=BB301_6 Depth=1
	s_wait_alu 0xfffe
	s_or_b32 exec_lo, exec_lo, s12
	s_and_saveexec_b32 s12, s29
	s_cbranch_execz .LBB301_5
; %bb.26:                               ;   in Loop: Header=BB301_6 Depth=1
	v_lshlrev_b64_e32 v[8:9], 2, v[2:3]
	v_mul_f32_e32 v12, s24, v25
	s_and_not1_b32 vcc_lo, exec_lo, s26
	s_wait_alu 0xfffe
	s_cbranch_vccnz .LBB301_31
; %bb.27:                               ;   in Loop: Header=BB301_6 Depth=1
	s_delay_alu instid0(VALU_DEP_2)
	v_add_co_u32 v25, vcc_lo, v10, v8
	s_wait_alu 0xfffd
	v_add_co_ci_u32_e64 v26, null, v11, v9, vcc_lo
	flat_load_b32 v13, v[25:26]
	s_wait_loadcnt_dscnt 0x0
	v_fma_f32 v13, s19, v13, v12
	flat_store_b32 v[25:26], v13
	s_cbranch_execnz .LBB301_5
	s_branch .LBB301_32
.LBB301_28:                             ;   in Loop: Header=BB301_6 Depth=1
	s_branch .LBB301_16
.LBB301_29:                             ;   in Loop: Header=BB301_6 Depth=1
	s_branch .LBB301_20
.LBB301_30:                             ;   in Loop: Header=BB301_6 Depth=1
	s_branch .LBB301_24
.LBB301_31:                             ;   in Loop: Header=BB301_6 Depth=1
.LBB301_32:                             ;   in Loop: Header=BB301_6 Depth=1
	s_delay_alu instid0(VALU_DEP_2)
	v_add_co_u32 v8, vcc_lo, v10, v8
	s_wait_alu 0xfffd
	v_add_co_ci_u32_e64 v9, null, v11, v9, vcc_lo
	flat_store_b32 v[8:9], v12
	s_branch .LBB301_5
.LBB301_33:
	s_endpgm
	.section	.rodata,"a",@progbits
	.p2align	6, 0x0
	.amdhsa_kernel _ZL29rocblas_internal_gemmt_kernelIiLi16ELi32ELi8ELc84ELc84ELc76ELb0ELb0EfPKfPKS1_PKPfEviT_T9_T10_S7_lS9_S7_lS8_T11_S7_li
		.amdhsa_group_segment_fixed_size 2048
		.amdhsa_private_segment_fixed_size 0
		.amdhsa_kernarg_size 100
		.amdhsa_user_sgpr_count 2
		.amdhsa_user_sgpr_dispatch_ptr 0
		.amdhsa_user_sgpr_queue_ptr 0
		.amdhsa_user_sgpr_kernarg_segment_ptr 1
		.amdhsa_user_sgpr_dispatch_id 0
		.amdhsa_user_sgpr_private_segment_size 0
		.amdhsa_wavefront_size32 1
		.amdhsa_uses_dynamic_stack 0
		.amdhsa_enable_private_segment 0
		.amdhsa_system_sgpr_workgroup_id_x 1
		.amdhsa_system_sgpr_workgroup_id_y 1
		.amdhsa_system_sgpr_workgroup_id_z 1
		.amdhsa_system_sgpr_workgroup_info 0
		.amdhsa_system_vgpr_workitem_id 1
		.amdhsa_next_free_vgpr 55
		.amdhsa_next_free_sgpr 31
		.amdhsa_reserve_vcc 1
		.amdhsa_float_round_mode_32 0
		.amdhsa_float_round_mode_16_64 0
		.amdhsa_float_denorm_mode_32 3
		.amdhsa_float_denorm_mode_16_64 3
		.amdhsa_fp16_overflow 0
		.amdhsa_workgroup_processor_mode 1
		.amdhsa_memory_ordered 1
		.amdhsa_forward_progress 1
		.amdhsa_inst_pref_size 15
		.amdhsa_round_robin_scheduling 0
		.amdhsa_exception_fp_ieee_invalid_op 0
		.amdhsa_exception_fp_denorm_src 0
		.amdhsa_exception_fp_ieee_div_zero 0
		.amdhsa_exception_fp_ieee_overflow 0
		.amdhsa_exception_fp_ieee_underflow 0
		.amdhsa_exception_fp_ieee_inexact 0
		.amdhsa_exception_int_div_zero 0
	.end_amdhsa_kernel
	.section	.text._ZL29rocblas_internal_gemmt_kernelIiLi16ELi32ELi8ELc84ELc84ELc76ELb0ELb0EfPKfPKS1_PKPfEviT_T9_T10_S7_lS9_S7_lS8_T11_S7_li,"axG",@progbits,_ZL29rocblas_internal_gemmt_kernelIiLi16ELi32ELi8ELc84ELc84ELc76ELb0ELb0EfPKfPKS1_PKPfEviT_T9_T10_S7_lS9_S7_lS8_T11_S7_li,comdat
.Lfunc_end301:
	.size	_ZL29rocblas_internal_gemmt_kernelIiLi16ELi32ELi8ELc84ELc84ELc76ELb0ELb0EfPKfPKS1_PKPfEviT_T9_T10_S7_lS9_S7_lS8_T11_S7_li, .Lfunc_end301-_ZL29rocblas_internal_gemmt_kernelIiLi16ELi32ELi8ELc84ELc84ELc76ELb0ELb0EfPKfPKS1_PKPfEviT_T9_T10_S7_lS9_S7_lS8_T11_S7_li
                                        ; -- End function
	.set _ZL29rocblas_internal_gemmt_kernelIiLi16ELi32ELi8ELc84ELc84ELc76ELb0ELb0EfPKfPKS1_PKPfEviT_T9_T10_S7_lS9_S7_lS8_T11_S7_li.num_vgpr, 55
	.set _ZL29rocblas_internal_gemmt_kernelIiLi16ELi32ELi8ELc84ELc84ELc76ELb0ELb0EfPKfPKS1_PKPfEviT_T9_T10_S7_lS9_S7_lS8_T11_S7_li.num_agpr, 0
	.set _ZL29rocblas_internal_gemmt_kernelIiLi16ELi32ELi8ELc84ELc84ELc76ELb0ELb0EfPKfPKS1_PKPfEviT_T9_T10_S7_lS9_S7_lS8_T11_S7_li.numbered_sgpr, 31
	.set _ZL29rocblas_internal_gemmt_kernelIiLi16ELi32ELi8ELc84ELc84ELc76ELb0ELb0EfPKfPKS1_PKPfEviT_T9_T10_S7_lS9_S7_lS8_T11_S7_li.num_named_barrier, 0
	.set _ZL29rocblas_internal_gemmt_kernelIiLi16ELi32ELi8ELc84ELc84ELc76ELb0ELb0EfPKfPKS1_PKPfEviT_T9_T10_S7_lS9_S7_lS8_T11_S7_li.private_seg_size, 0
	.set _ZL29rocblas_internal_gemmt_kernelIiLi16ELi32ELi8ELc84ELc84ELc76ELb0ELb0EfPKfPKS1_PKPfEviT_T9_T10_S7_lS9_S7_lS8_T11_S7_li.uses_vcc, 1
	.set _ZL29rocblas_internal_gemmt_kernelIiLi16ELi32ELi8ELc84ELc84ELc76ELb0ELb0EfPKfPKS1_PKPfEviT_T9_T10_S7_lS9_S7_lS8_T11_S7_li.uses_flat_scratch, 0
	.set _ZL29rocblas_internal_gemmt_kernelIiLi16ELi32ELi8ELc84ELc84ELc76ELb0ELb0EfPKfPKS1_PKPfEviT_T9_T10_S7_lS9_S7_lS8_T11_S7_li.has_dyn_sized_stack, 0
	.set _ZL29rocblas_internal_gemmt_kernelIiLi16ELi32ELi8ELc84ELc84ELc76ELb0ELb0EfPKfPKS1_PKPfEviT_T9_T10_S7_lS9_S7_lS8_T11_S7_li.has_recursion, 0
	.set _ZL29rocblas_internal_gemmt_kernelIiLi16ELi32ELi8ELc84ELc84ELc76ELb0ELb0EfPKfPKS1_PKPfEviT_T9_T10_S7_lS9_S7_lS8_T11_S7_li.has_indirect_call, 0
	.section	.AMDGPU.csdata,"",@progbits
; Kernel info:
; codeLenInByte = 1880
; TotalNumSgprs: 33
; NumVgprs: 55
; ScratchSize: 0
; MemoryBound: 0
; FloatMode: 240
; IeeeMode: 1
; LDSByteSize: 2048 bytes/workgroup (compile time only)
; SGPRBlocks: 0
; VGPRBlocks: 6
; NumSGPRsForWavesPerEU: 33
; NumVGPRsForWavesPerEU: 55
; Occupancy: 16
; WaveLimiterHint : 1
; COMPUTE_PGM_RSRC2:SCRATCH_EN: 0
; COMPUTE_PGM_RSRC2:USER_SGPR: 2
; COMPUTE_PGM_RSRC2:TRAP_HANDLER: 0
; COMPUTE_PGM_RSRC2:TGID_X_EN: 1
; COMPUTE_PGM_RSRC2:TGID_Y_EN: 1
; COMPUTE_PGM_RSRC2:TGID_Z_EN: 1
; COMPUTE_PGM_RSRC2:TIDIG_COMP_CNT: 1
	.section	.text._ZL29rocblas_internal_gemmt_kernelIiLi16ELi32ELi8ELc84ELc67ELc76ELb0ELb0EfPKfPKS1_PKPfEviT_T9_T10_S7_lS9_S7_lS8_T11_S7_li,"axG",@progbits,_ZL29rocblas_internal_gemmt_kernelIiLi16ELi32ELi8ELc84ELc67ELc76ELb0ELb0EfPKfPKS1_PKPfEviT_T9_T10_S7_lS9_S7_lS8_T11_S7_li,comdat
	.globl	_ZL29rocblas_internal_gemmt_kernelIiLi16ELi32ELi8ELc84ELc67ELc76ELb0ELb0EfPKfPKS1_PKPfEviT_T9_T10_S7_lS9_S7_lS8_T11_S7_li ; -- Begin function _ZL29rocblas_internal_gemmt_kernelIiLi16ELi32ELi8ELc84ELc67ELc76ELb0ELb0EfPKfPKS1_PKPfEviT_T9_T10_S7_lS9_S7_lS8_T11_S7_li
	.p2align	8
	.type	_ZL29rocblas_internal_gemmt_kernelIiLi16ELi32ELi8ELc84ELc67ELc76ELb0ELb0EfPKfPKS1_PKPfEviT_T9_T10_S7_lS9_S7_lS8_T11_S7_li,@function
_ZL29rocblas_internal_gemmt_kernelIiLi16ELi32ELi8ELc84ELc67ELc76ELb0ELb0EfPKfPKS1_PKPfEviT_T9_T10_S7_lS9_S7_lS8_T11_S7_li: ; @_ZL29rocblas_internal_gemmt_kernelIiLi16ELi32ELi8ELc84ELc67ELc76ELb0ELb0EfPKfPKS1_PKPfEviT_T9_T10_S7_lS9_S7_lS8_T11_S7_li
; %bb.0:
	s_clause 0x1
	s_load_b128 s[12:15], s[0:1], 0x38
	s_load_b128 s[4:7], s[0:1], 0x8
	s_wait_kmcnt 0x0
	s_load_b32 s19, s[14:15], 0x0
	s_load_b64 s[14:15], s[0:1], 0x0
	s_load_b32 s24, s[4:5], 0x0
	s_wait_kmcnt 0x0
	s_cmp_neq_f32 s19, 1.0
	s_cselect_b32 s2, -1, 0
	s_delay_alu instid0(SALU_CYCLE_1)
	s_and_b32 vcc_lo, exec_lo, s2
	s_cbranch_vccnz .LBB302_2
; %bb.1:
	s_cmp_lg_u32 s15, 0
	s_cselect_b32 s2, -1, 0
	s_cmp_neq_f32 s24, 0
	s_cselect_b32 s3, -1, 0
	s_delay_alu instid0(SALU_CYCLE_1)
	s_and_b32 s2, s2, s3
.LBB302_2:
	s_delay_alu instid0(SALU_CYCLE_1)
	s_and_not1_b32 vcc_lo, exec_lo, s2
	s_cbranch_vccnz .LBB302_33
; %bb.3:
	s_load_b32 s25, s[0:1], 0x60
	s_lshr_b32 s4, ttmp7, 16
	s_wait_kmcnt 0x0
	s_cmp_ge_u32 s4, s25
	s_cbranch_scc1 .LBB302_33
; %bb.4:
	s_load_b32 s20, s[0:1], 0x30
	v_dual_mov_b32 v20, 0 :: v_dual_and_b32 v1, 0x3ff, v0
	v_bfe_u32 v2, v0, 10, 10
	v_and_b32_e32 v14, 7, v0
	s_clause 0x3
	s_load_b32 s28, s[0:1], 0x18
	s_load_b128 s[8:11], s[0:1], 0x20
	s_load_b96 s[16:18], s[0:1], 0x48
	s_load_b64 s[22:23], s[0:1], 0x58
	s_lshl_b32 s0, ttmp7, 5
	v_lshl_add_u32 v0, v2, 4, v1
	s_lshl_b32 s2, ttmp9, 5
	s_and_b32 s3, s0, 0x1fffe0
	v_lshlrev_b32_e32 v5, 2, v14
	v_add_nc_u32_e32 v7, s3, v2
	v_and_b32_e32 v3, 31, v0
	v_lshrrev_b32_e32 v4, 3, v0
	v_lshrrev_b32_e32 v15, 5, v0
	v_lshl_add_u32 v19, v2, 5, 0x400
	v_add_nc_u32_e32 v13, 16, v7
	v_lshlrev_b32_e32 v0, 2, v3
	v_or_b32_e32 v6, s2, v3
	s_wait_kmcnt 0x0
	s_ashr_i32 s21, s20, 31
	s_cmp_neq_f32 s24, 0
	v_add_nc_u32_e32 v12, s3, v4
	v_lshl_or_b32 v16, v15, 7, v0
	v_add_nc_u32_e32 v0, s2, v1
	s_cselect_b32 s29, -1, 0
	s_cmp_gt_i32 s15, 0
	v_lshl_or_b32 v3, v4, 5, v5
	s_cselect_b32 s30, -1, 0
	v_cmp_le_i32_e32 vcc_lo, v7, v0
	v_cmp_gt_i32_e64 s2, s14, v0
	v_add_nc_u32_e32 v2, 16, v0
	s_cmp_neq_f32 s19, 0
	v_cmp_gt_i32_e64 s0, s14, v6
	v_mad_co_i64_i32 v[4:5], null, v7, s18, 0
	s_cselect_b32 s26, -1, 0
	s_and_b32 s27, vcc_lo, s2
	v_cmp_le_i32_e32 vcc_lo, v7, v2
	v_mad_co_i64_i32 v[6:7], null, s28, v6, 0
	v_cmp_gt_i32_e64 s3, s14, v2
	v_mad_co_i64_i32 v[8:9], null, s20, v14, 0
	v_cmp_gt_i32_e64 s1, s14, v12
	s_lshl_b64 s[8:9], s[8:9], 2
	s_and_b32 s14, vcc_lo, s3
	v_lshlrev_b64_e32 v[6:7], 2, v[6:7]
	v_cmp_le_i32_e32 vcc_lo, v13, v0
	v_mad_co_i64_i32 v[10:11], null, v13, s18, 0
	v_lshlrev_b64_e32 v[8:9], 2, v[8:9]
	v_lshlrev_b32_e32 v12, 2, v12
	s_and_b32 s18, vcc_lo, s2
	v_add_co_u32 v6, s2, v6, s8
	v_cmp_le_i32_e32 vcc_lo, v13, v2
	s_wait_alu 0xf1ff
	v_add_co_ci_u32_e64 v7, null, s9, v7, s2
	v_lshlrev_b32_e32 v13, 2, v15
	s_lshl_b64 s[8:9], s[12:13], 2
	v_lshlrev_b64_e32 v[4:5], 2, v[4:5]
	s_wait_alu 0xfffe
	v_add_co_u32 v8, s2, v8, s8
	s_wait_alu 0xf1ff
	v_add_co_ci_u32_e64 v9, null, s9, v9, s2
	v_add_co_u32 v21, s2, v6, v13
	s_wait_alu 0xf1ff
	v_add_co_ci_u32_e64 v22, null, 0, v7, s2
	v_add_co_u32 v23, s2, v8, v12
	v_lshlrev_b64_e32 v[6:7], 2, v[10:11]
	v_add_nc_u32_e32 v17, 0x400, v3
	v_lshlrev_b32_e32 v18, 2, v1
	v_ashrrev_i32_e32 v1, 31, v0
	v_ashrrev_i32_e32 v3, 31, v2
	s_wait_alu 0xf1ff
	v_add_co_ci_u32_e64 v24, null, 0, v9, s2
	s_mov_b32 s5, 0
	s_and_b32 s28, s29, s30
	s_and_b32 s29, vcc_lo, s3
	s_lshl_b64 s[2:3], s[20:21], 5
	s_lshl_b64 s[8:9], s[22:23], 2
	s_branch .LBB302_6
.LBB302_5:                              ;   in Loop: Header=BB302_6 Depth=1
	s_wait_alu 0xfffe
	s_or_b32 exec_lo, exec_lo, s12
	s_add_co_i32 s4, s4, 0x10000
	s_delay_alu instid0(SALU_CYCLE_1)
	s_cmp_lt_u32 s4, s25
	s_cbranch_scc0 .LBB302_33
.LBB302_6:                              ; =>This Loop Header: Depth=1
                                        ;     Child Loop BB302_9 Depth 2
	s_lshl_b64 s[12:13], s[4:5], 3
	v_dual_mov_b32 v28, 0 :: v_dual_mov_b32 v27, 0
	s_wait_alu 0xfffe
	s_add_nc_u64 s[20:21], s[16:17], s[12:13]
	v_dual_mov_b32 v26, 0 :: v_dual_mov_b32 v25, 0
	global_load_b64 v[8:9], v20, s[20:21]
	s_and_not1_b32 vcc_lo, exec_lo, s28
	s_wait_alu 0xfffe
	s_cbranch_vccnz .LBB302_13
; %bb.7:                                ;   in Loop: Header=BB302_6 Depth=1
	s_add_nc_u64 s[20:21], s[6:7], s[12:13]
	s_add_nc_u64 s[12:13], s[10:11], s[12:13]
	s_clause 0x1
	global_load_b64 v[10:11], v20, s[20:21]
	global_load_b64 v[12:13], v20, s[12:13]
	v_dual_mov_b32 v25, 0 :: v_dual_mov_b32 v26, 0
	v_dual_mov_b32 v27, 0 :: v_dual_mov_b32 v28, 0
	s_mov_b32 s12, 0
	s_wait_loadcnt 0x1
	v_add_co_u32 v10, vcc_lo, v10, v21
	s_wait_alu 0xfffd
	v_add_co_ci_u32_e64 v11, null, v11, v22, vcc_lo
	s_wait_loadcnt 0x0
	v_add_co_u32 v12, vcc_lo, v12, v23
	s_wait_alu 0xfffd
	v_add_co_ci_u32_e64 v13, null, v13, v24, vcc_lo
	s_branch .LBB302_9
.LBB302_8:                              ;   in Loop: Header=BB302_9 Depth=2
	s_wait_alu 0xfffe
	s_or_b32 exec_lo, exec_lo, s13
	s_wait_loadcnt_dscnt 0x0
	ds_store_b32 v17, v30
	s_wait_dscnt 0x0
	s_barrier_signal -1
	s_barrier_wait -1
	global_inv scope:SCOPE_SE
	ds_load_b128 v[29:32], v19
	ds_load_2addr_b32 v[45:46], v18 offset1:16
	ds_load_b128 v[33:36], v19 offset:512
	ds_load_2addr_b32 v[47:48], v18 offset0:32 offset1:48
	ds_load_2addr_b32 v[49:50], v18 offset0:64 offset1:80
	;; [unrolled: 1-line block ×3, first 2 shown]
	ds_load_b128 v[37:40], v19 offset:16
	ds_load_2addr_b32 v[53:54], v18 offset0:128 offset1:144
	ds_load_b128 v[41:44], v19 offset:528
	v_add_co_u32 v10, vcc_lo, v10, 32
	s_wait_alu 0xfffd
	v_add_co_ci_u32_e64 v11, null, 0, v11, vcc_lo
	v_add_co_u32 v12, vcc_lo, v12, s2
	s_wait_alu 0xfffd
	v_add_co_ci_u32_e64 v13, null, s3, v13, vcc_lo
	s_add_co_i32 s12, s12, 8
	s_wait_alu 0xfffe
	s_cmp_lt_i32 s12, s15
	s_wait_dscnt 0x7
	v_fmac_f32_e32 v27, v46, v29
	v_fmac_f32_e32 v28, v45, v29
	s_wait_dscnt 0x6
	v_fmac_f32_e32 v25, v46, v33
	v_fmac_f32_e32 v26, v45, v33
	ds_load_2addr_b32 v[45:46], v18 offset0:160 offset1:176
	s_wait_dscnt 0x6
	v_fmac_f32_e32 v27, v48, v30
	v_fmac_f32_e32 v28, v47, v30
	v_fmac_f32_e32 v25, v48, v34
	v_fmac_f32_e32 v26, v47, v34
	ds_load_2addr_b32 v[29:30], v18 offset0:192 offset1:208
	s_wait_dscnt 0x6
	v_fmac_f32_e32 v27, v50, v31
	v_fmac_f32_e32 v28, v49, v31
	;; [unrolled: 6-line block ×3, first 2 shown]
	v_fmac_f32_e32 v25, v52, v36
	v_fmac_f32_e32 v26, v51, v36
	s_wait_loadcnt_dscnt 0x0
	v_fmac_f32_e32 v27, v54, v37
	v_fmac_f32_e32 v28, v53, v37
	;; [unrolled: 1-line block ×4, first 2 shown]
	s_barrier_signal -1
	v_fmac_f32_e32 v27, v46, v38
	v_fmac_f32_e32 v28, v45, v38
	;; [unrolled: 1-line block ×4, first 2 shown]
	s_barrier_wait -1
	v_fmac_f32_e32 v27, v30, v39
	v_fmac_f32_e32 v28, v29, v39
	;; [unrolled: 1-line block ×4, first 2 shown]
	global_inv scope:SCOPE_SE
	v_fmac_f32_e32 v27, v34, v40
	v_fmac_f32_e32 v28, v33, v40
	;; [unrolled: 1-line block ×4, first 2 shown]
	s_cbranch_scc0 .LBB302_13
.LBB302_9:                              ;   Parent Loop BB302_6 Depth=1
                                        ; =>  This Inner Loop Header: Depth=2
	s_wait_alu 0xfffe
	v_add_nc_u32_e32 v29, s12, v15
	s_delay_alu instid0(VALU_DEP_1)
	v_cmp_gt_i32_e32 vcc_lo, s15, v29
	v_mov_b32_e32 v29, 0
	s_and_b32 s20, s0, vcc_lo
	s_wait_alu 0xfffe
	s_and_saveexec_b32 s13, s20
	s_cbranch_execz .LBB302_11
; %bb.10:                               ;   in Loop: Header=BB302_9 Depth=2
	flat_load_b32 v29, v[10:11]
.LBB302_11:                             ;   in Loop: Header=BB302_9 Depth=2
	s_wait_alu 0xfffe
	s_or_b32 exec_lo, exec_lo, s13
	v_add_nc_u32_e32 v30, s12, v14
	s_wait_loadcnt_dscnt 0x0
	ds_store_b32 v16, v29
	v_cmp_gt_i32_e32 vcc_lo, s15, v30
	v_mov_b32_e32 v30, 0
	s_and_b32 s20, vcc_lo, s1
	s_wait_alu 0xfffe
	s_and_saveexec_b32 s13, s20
	s_cbranch_execz .LBB302_8
; %bb.12:                               ;   in Loop: Header=BB302_9 Depth=2
	flat_load_b32 v30, v[12:13]
	s_branch .LBB302_8
.LBB302_13:                             ;   in Loop: Header=BB302_6 Depth=1
	s_wait_loadcnt 0x0
	v_add_co_u32 v8, vcc_lo, v8, s8
	s_wait_alu 0xfffd
	v_add_co_ci_u32_e64 v9, null, s9, v9, vcc_lo
	s_delay_alu instid0(VALU_DEP_2) | instskip(SKIP_1) | instid1(VALU_DEP_2)
	v_add_co_u32 v10, vcc_lo, v8, v4
	s_wait_alu 0xfffd
	v_add_co_ci_u32_e64 v11, null, v9, v5, vcc_lo
	s_and_saveexec_b32 s12, s27
	s_cbranch_execz .LBB302_17
; %bb.14:                               ;   in Loop: Header=BB302_6 Depth=1
	v_mul_f32_e32 v12, s24, v28
	s_and_b32 vcc_lo, exec_lo, s26
	s_wait_alu 0xfffe
	s_cbranch_vccz .LBB302_28
; %bb.15:                               ;   in Loop: Header=BB302_6 Depth=1
	v_lshlrev_b64_e32 v[28:29], 2, v[0:1]
	s_delay_alu instid0(VALU_DEP_1) | instskip(SKIP_1) | instid1(VALU_DEP_2)
	v_add_co_u32 v28, vcc_lo, v10, v28
	s_wait_alu 0xfffd
	v_add_co_ci_u32_e64 v29, null, v11, v29, vcc_lo
	flat_load_b32 v13, v[28:29]
	s_wait_loadcnt_dscnt 0x0
	v_fma_f32 v13, s19, v13, v12
	flat_store_b32 v[28:29], v13
	s_cbranch_execnz .LBB302_17
.LBB302_16:                             ;   in Loop: Header=BB302_6 Depth=1
	v_lshlrev_b64_e32 v[28:29], 2, v[0:1]
	s_delay_alu instid0(VALU_DEP_1) | instskip(SKIP_1) | instid1(VALU_DEP_2)
	v_add_co_u32 v28, vcc_lo, v10, v28
	s_wait_alu 0xfffd
	v_add_co_ci_u32_e64 v29, null, v11, v29, vcc_lo
	flat_store_b32 v[28:29], v12
.LBB302_17:                             ;   in Loop: Header=BB302_6 Depth=1
	s_wait_alu 0xfffe
	s_or_b32 exec_lo, exec_lo, s12
	s_and_saveexec_b32 s12, s14
	s_cbranch_execz .LBB302_21
; %bb.18:                               ;   in Loop: Header=BB302_6 Depth=1
	v_mul_f32_e32 v12, s24, v27
	s_and_not1_b32 vcc_lo, exec_lo, s26
	s_wait_alu 0xfffe
	s_cbranch_vccnz .LBB302_29
; %bb.19:                               ;   in Loop: Header=BB302_6 Depth=1
	v_lshlrev_b64_e32 v[27:28], 2, v[2:3]
	s_delay_alu instid0(VALU_DEP_1) | instskip(SKIP_1) | instid1(VALU_DEP_2)
	v_add_co_u32 v27, vcc_lo, v10, v27
	s_wait_alu 0xfffd
	v_add_co_ci_u32_e64 v28, null, v11, v28, vcc_lo
	flat_load_b32 v13, v[27:28]
	s_wait_loadcnt_dscnt 0x0
	v_fma_f32 v13, s19, v13, v12
	flat_store_b32 v[27:28], v13
	s_cbranch_execnz .LBB302_21
.LBB302_20:                             ;   in Loop: Header=BB302_6 Depth=1
	v_lshlrev_b64_e32 v[27:28], 2, v[2:3]
	s_delay_alu instid0(VALU_DEP_1) | instskip(SKIP_1) | instid1(VALU_DEP_2)
	v_add_co_u32 v10, vcc_lo, v10, v27
	s_wait_alu 0xfffd
	v_add_co_ci_u32_e64 v11, null, v11, v28, vcc_lo
	flat_store_b32 v[10:11], v12
.LBB302_21:                             ;   in Loop: Header=BB302_6 Depth=1
	s_wait_alu 0xfffe
	s_or_b32 exec_lo, exec_lo, s12
	v_add_co_u32 v10, vcc_lo, v8, v6
	s_wait_alu 0xfffd
	v_add_co_ci_u32_e64 v11, null, v9, v7, vcc_lo
	s_and_saveexec_b32 s12, s18
	s_cbranch_execz .LBB302_25
; %bb.22:                               ;   in Loop: Header=BB302_6 Depth=1
	v_lshlrev_b64_e32 v[8:9], 2, v[0:1]
	v_mul_f32_e32 v12, s24, v26
	s_and_not1_b32 vcc_lo, exec_lo, s26
	s_wait_alu 0xfffe
	s_cbranch_vccnz .LBB302_30
; %bb.23:                               ;   in Loop: Header=BB302_6 Depth=1
	s_delay_alu instid0(VALU_DEP_2)
	v_add_co_u32 v26, vcc_lo, v10, v8
	s_wait_alu 0xfffd
	v_add_co_ci_u32_e64 v27, null, v11, v9, vcc_lo
	flat_load_b32 v13, v[26:27]
	s_wait_loadcnt_dscnt 0x0
	v_fma_f32 v13, s19, v13, v12
	flat_store_b32 v[26:27], v13
	s_cbranch_execnz .LBB302_25
.LBB302_24:                             ;   in Loop: Header=BB302_6 Depth=1
	v_add_co_u32 v8, vcc_lo, v10, v8
	s_wait_alu 0xfffd
	v_add_co_ci_u32_e64 v9, null, v11, v9, vcc_lo
	flat_store_b32 v[8:9], v12
.LBB302_25:                             ;   in Loop: Header=BB302_6 Depth=1
	s_wait_alu 0xfffe
	s_or_b32 exec_lo, exec_lo, s12
	s_and_saveexec_b32 s12, s29
	s_cbranch_execz .LBB302_5
; %bb.26:                               ;   in Loop: Header=BB302_6 Depth=1
	v_lshlrev_b64_e32 v[8:9], 2, v[2:3]
	v_mul_f32_e32 v12, s24, v25
	s_and_not1_b32 vcc_lo, exec_lo, s26
	s_wait_alu 0xfffe
	s_cbranch_vccnz .LBB302_31
; %bb.27:                               ;   in Loop: Header=BB302_6 Depth=1
	s_delay_alu instid0(VALU_DEP_2)
	v_add_co_u32 v25, vcc_lo, v10, v8
	s_wait_alu 0xfffd
	v_add_co_ci_u32_e64 v26, null, v11, v9, vcc_lo
	flat_load_b32 v13, v[25:26]
	s_wait_loadcnt_dscnt 0x0
	v_fma_f32 v13, s19, v13, v12
	flat_store_b32 v[25:26], v13
	s_cbranch_execnz .LBB302_5
	s_branch .LBB302_32
.LBB302_28:                             ;   in Loop: Header=BB302_6 Depth=1
	s_branch .LBB302_16
.LBB302_29:                             ;   in Loop: Header=BB302_6 Depth=1
	s_branch .LBB302_20
.LBB302_30:                             ;   in Loop: Header=BB302_6 Depth=1
	s_branch .LBB302_24
.LBB302_31:                             ;   in Loop: Header=BB302_6 Depth=1
.LBB302_32:                             ;   in Loop: Header=BB302_6 Depth=1
	s_delay_alu instid0(VALU_DEP_2)
	v_add_co_u32 v8, vcc_lo, v10, v8
	s_wait_alu 0xfffd
	v_add_co_ci_u32_e64 v9, null, v11, v9, vcc_lo
	flat_store_b32 v[8:9], v12
	s_branch .LBB302_5
.LBB302_33:
	s_endpgm
	.section	.rodata,"a",@progbits
	.p2align	6, 0x0
	.amdhsa_kernel _ZL29rocblas_internal_gemmt_kernelIiLi16ELi32ELi8ELc84ELc67ELc76ELb0ELb0EfPKfPKS1_PKPfEviT_T9_T10_S7_lS9_S7_lS8_T11_S7_li
		.amdhsa_group_segment_fixed_size 2048
		.amdhsa_private_segment_fixed_size 0
		.amdhsa_kernarg_size 100
		.amdhsa_user_sgpr_count 2
		.amdhsa_user_sgpr_dispatch_ptr 0
		.amdhsa_user_sgpr_queue_ptr 0
		.amdhsa_user_sgpr_kernarg_segment_ptr 1
		.amdhsa_user_sgpr_dispatch_id 0
		.amdhsa_user_sgpr_private_segment_size 0
		.amdhsa_wavefront_size32 1
		.amdhsa_uses_dynamic_stack 0
		.amdhsa_enable_private_segment 0
		.amdhsa_system_sgpr_workgroup_id_x 1
		.amdhsa_system_sgpr_workgroup_id_y 1
		.amdhsa_system_sgpr_workgroup_id_z 1
		.amdhsa_system_sgpr_workgroup_info 0
		.amdhsa_system_vgpr_workitem_id 1
		.amdhsa_next_free_vgpr 55
		.amdhsa_next_free_sgpr 31
		.amdhsa_reserve_vcc 1
		.amdhsa_float_round_mode_32 0
		.amdhsa_float_round_mode_16_64 0
		.amdhsa_float_denorm_mode_32 3
		.amdhsa_float_denorm_mode_16_64 3
		.amdhsa_fp16_overflow 0
		.amdhsa_workgroup_processor_mode 1
		.amdhsa_memory_ordered 1
		.amdhsa_forward_progress 1
		.amdhsa_inst_pref_size 15
		.amdhsa_round_robin_scheduling 0
		.amdhsa_exception_fp_ieee_invalid_op 0
		.amdhsa_exception_fp_denorm_src 0
		.amdhsa_exception_fp_ieee_div_zero 0
		.amdhsa_exception_fp_ieee_overflow 0
		.amdhsa_exception_fp_ieee_underflow 0
		.amdhsa_exception_fp_ieee_inexact 0
		.amdhsa_exception_int_div_zero 0
	.end_amdhsa_kernel
	.section	.text._ZL29rocblas_internal_gemmt_kernelIiLi16ELi32ELi8ELc84ELc67ELc76ELb0ELb0EfPKfPKS1_PKPfEviT_T9_T10_S7_lS9_S7_lS8_T11_S7_li,"axG",@progbits,_ZL29rocblas_internal_gemmt_kernelIiLi16ELi32ELi8ELc84ELc67ELc76ELb0ELb0EfPKfPKS1_PKPfEviT_T9_T10_S7_lS9_S7_lS8_T11_S7_li,comdat
.Lfunc_end302:
	.size	_ZL29rocblas_internal_gemmt_kernelIiLi16ELi32ELi8ELc84ELc67ELc76ELb0ELb0EfPKfPKS1_PKPfEviT_T9_T10_S7_lS9_S7_lS8_T11_S7_li, .Lfunc_end302-_ZL29rocblas_internal_gemmt_kernelIiLi16ELi32ELi8ELc84ELc67ELc76ELb0ELb0EfPKfPKS1_PKPfEviT_T9_T10_S7_lS9_S7_lS8_T11_S7_li
                                        ; -- End function
	.set _ZL29rocblas_internal_gemmt_kernelIiLi16ELi32ELi8ELc84ELc67ELc76ELb0ELb0EfPKfPKS1_PKPfEviT_T9_T10_S7_lS9_S7_lS8_T11_S7_li.num_vgpr, 55
	.set _ZL29rocblas_internal_gemmt_kernelIiLi16ELi32ELi8ELc84ELc67ELc76ELb0ELb0EfPKfPKS1_PKPfEviT_T9_T10_S7_lS9_S7_lS8_T11_S7_li.num_agpr, 0
	.set _ZL29rocblas_internal_gemmt_kernelIiLi16ELi32ELi8ELc84ELc67ELc76ELb0ELb0EfPKfPKS1_PKPfEviT_T9_T10_S7_lS9_S7_lS8_T11_S7_li.numbered_sgpr, 31
	.set _ZL29rocblas_internal_gemmt_kernelIiLi16ELi32ELi8ELc84ELc67ELc76ELb0ELb0EfPKfPKS1_PKPfEviT_T9_T10_S7_lS9_S7_lS8_T11_S7_li.num_named_barrier, 0
	.set _ZL29rocblas_internal_gemmt_kernelIiLi16ELi32ELi8ELc84ELc67ELc76ELb0ELb0EfPKfPKS1_PKPfEviT_T9_T10_S7_lS9_S7_lS8_T11_S7_li.private_seg_size, 0
	.set _ZL29rocblas_internal_gemmt_kernelIiLi16ELi32ELi8ELc84ELc67ELc76ELb0ELb0EfPKfPKS1_PKPfEviT_T9_T10_S7_lS9_S7_lS8_T11_S7_li.uses_vcc, 1
	.set _ZL29rocblas_internal_gemmt_kernelIiLi16ELi32ELi8ELc84ELc67ELc76ELb0ELb0EfPKfPKS1_PKPfEviT_T9_T10_S7_lS9_S7_lS8_T11_S7_li.uses_flat_scratch, 0
	.set _ZL29rocblas_internal_gemmt_kernelIiLi16ELi32ELi8ELc84ELc67ELc76ELb0ELb0EfPKfPKS1_PKPfEviT_T9_T10_S7_lS9_S7_lS8_T11_S7_li.has_dyn_sized_stack, 0
	.set _ZL29rocblas_internal_gemmt_kernelIiLi16ELi32ELi8ELc84ELc67ELc76ELb0ELb0EfPKfPKS1_PKPfEviT_T9_T10_S7_lS9_S7_lS8_T11_S7_li.has_recursion, 0
	.set _ZL29rocblas_internal_gemmt_kernelIiLi16ELi32ELi8ELc84ELc67ELc76ELb0ELb0EfPKfPKS1_PKPfEviT_T9_T10_S7_lS9_S7_lS8_T11_S7_li.has_indirect_call, 0
	.section	.AMDGPU.csdata,"",@progbits
; Kernel info:
; codeLenInByte = 1880
; TotalNumSgprs: 33
; NumVgprs: 55
; ScratchSize: 0
; MemoryBound: 0
; FloatMode: 240
; IeeeMode: 1
; LDSByteSize: 2048 bytes/workgroup (compile time only)
; SGPRBlocks: 0
; VGPRBlocks: 6
; NumSGPRsForWavesPerEU: 33
; NumVGPRsForWavesPerEU: 55
; Occupancy: 16
; WaveLimiterHint : 1
; COMPUTE_PGM_RSRC2:SCRATCH_EN: 0
; COMPUTE_PGM_RSRC2:USER_SGPR: 2
; COMPUTE_PGM_RSRC2:TRAP_HANDLER: 0
; COMPUTE_PGM_RSRC2:TGID_X_EN: 1
; COMPUTE_PGM_RSRC2:TGID_Y_EN: 1
; COMPUTE_PGM_RSRC2:TGID_Z_EN: 1
; COMPUTE_PGM_RSRC2:TIDIG_COMP_CNT: 1
	.section	.text._ZL29rocblas_internal_gemmt_kernelIiLi16ELi32ELi8ELc67ELc78ELc76ELb0ELb0EfPKfPKS1_PKPfEviT_T9_T10_S7_lS9_S7_lS8_T11_S7_li,"axG",@progbits,_ZL29rocblas_internal_gemmt_kernelIiLi16ELi32ELi8ELc67ELc78ELc76ELb0ELb0EfPKfPKS1_PKPfEviT_T9_T10_S7_lS9_S7_lS8_T11_S7_li,comdat
	.globl	_ZL29rocblas_internal_gemmt_kernelIiLi16ELi32ELi8ELc67ELc78ELc76ELb0ELb0EfPKfPKS1_PKPfEviT_T9_T10_S7_lS9_S7_lS8_T11_S7_li ; -- Begin function _ZL29rocblas_internal_gemmt_kernelIiLi16ELi32ELi8ELc67ELc78ELc76ELb0ELb0EfPKfPKS1_PKPfEviT_T9_T10_S7_lS9_S7_lS8_T11_S7_li
	.p2align	8
	.type	_ZL29rocblas_internal_gemmt_kernelIiLi16ELi32ELi8ELc67ELc78ELc76ELb0ELb0EfPKfPKS1_PKPfEviT_T9_T10_S7_lS9_S7_lS8_T11_S7_li,@function
_ZL29rocblas_internal_gemmt_kernelIiLi16ELi32ELi8ELc67ELc78ELc76ELb0ELb0EfPKfPKS1_PKPfEviT_T9_T10_S7_lS9_S7_lS8_T11_S7_li: ; @_ZL29rocblas_internal_gemmt_kernelIiLi16ELi32ELi8ELc67ELc78ELc76ELb0ELb0EfPKfPKS1_PKPfEviT_T9_T10_S7_lS9_S7_lS8_T11_S7_li
; %bb.0:
	s_clause 0x1
	s_load_b128 s[12:15], s[0:1], 0x38
	s_load_b128 s[4:7], s[0:1], 0x8
	s_wait_kmcnt 0x0
	s_load_b32 s19, s[14:15], 0x0
	s_load_b64 s[14:15], s[0:1], 0x0
	s_load_b32 s24, s[4:5], 0x0
	s_wait_kmcnt 0x0
	s_cmp_neq_f32 s19, 1.0
	s_cselect_b32 s2, -1, 0
	s_delay_alu instid0(SALU_CYCLE_1)
	s_and_b32 vcc_lo, exec_lo, s2
	s_cbranch_vccnz .LBB303_2
; %bb.1:
	s_cmp_lg_u32 s15, 0
	s_cselect_b32 s2, -1, 0
	s_cmp_neq_f32 s24, 0
	s_cselect_b32 s3, -1, 0
	s_delay_alu instid0(SALU_CYCLE_1)
	s_and_b32 s2, s2, s3
.LBB303_2:
	s_delay_alu instid0(SALU_CYCLE_1)
	s_and_not1_b32 vcc_lo, exec_lo, s2
	s_cbranch_vccnz .LBB303_33
; %bb.3:
	s_load_b32 s25, s[0:1], 0x60
	s_lshr_b32 s20, ttmp7, 16
	s_wait_kmcnt 0x0
	s_cmp_ge_u32 s20, s25
	s_cbranch_scc1 .LBB303_33
; %bb.4:
	v_dual_mov_b32 v20, 0 :: v_dual_and_b32 v1, 0x3ff, v0
	v_bfe_u32 v2, v0, 10, 10
	s_clause 0x4
	s_load_b32 s5, s[0:1], 0x18
	s_load_b128 s[8:11], s[0:1], 0x20
	s_load_b32 s28, s[0:1], 0x30
	s_load_b96 s[16:18], s[0:1], 0x48
	s_load_b64 s[22:23], s[0:1], 0x58
	v_and_b32_e32 v14, 7, v0
	s_lshl_b32 s2, ttmp9, 5
	s_lshl_b32 s0, ttmp7, 5
	v_lshl_add_u32 v0, v2, 4, v1
	s_and_b32 s3, s0, 0x1fffe0
	v_lshlrev_b32_e32 v12, 2, v14
	s_cmp_neq_f32 s24, 0
	v_lshl_add_u32 v19, v2, 5, 0x400
	v_and_b32_e32 v3, 31, v0
	v_lshrrev_b32_e32 v4, 3, v0
	v_lshrrev_b32_e32 v15, 5, v0
	s_cselect_b32 s29, -1, 0
	s_cmp_gt_i32 s15, 0
	v_or_b32_e32 v6, s2, v3
	v_lshlrev_b32_e32 v0, 2, v3
	v_add_nc_u32_e32 v8, s3, v4
	v_lshl_or_b32 v3, v4, 5, v12
	s_cselect_b32 s30, -1, 0
	v_cmp_gt_i32_e64 s0, s14, v6
	s_wait_kmcnt 0x0
	v_mad_co_i64_i32 v[6:7], null, s5, v6, 0
	v_lshl_or_b32 v16, v15, 7, v0
	v_add_nc_u32_e32 v0, s2, v1
	v_cmp_gt_i32_e64 s1, s14, v8
	v_mad_co_i64_i32 v[8:9], null, s28, v8, 0
	v_add_nc_u32_e32 v17, 0x400, v3
	v_add_nc_u32_e32 v3, s3, v2
	;; [unrolled: 1-line block ×3, first 2 shown]
	s_cmp_neq_f32 s19, 0
	v_lshlrev_b64_e32 v[6:7], 2, v[6:7]
	v_cmp_gt_i32_e64 s2, s14, v0
	v_cmp_le_i32_e32 vcc_lo, v3, v0
	v_cmp_le_i32_e64 s3, v3, v2
	v_cmp_gt_i32_e64 s4, s14, v2
	v_add_nc_u32_e32 v13, 16, v3
	s_cselect_b32 s26, -1, 0
	s_lshl_b64 s[8:9], s[8:9], 2
	v_lshlrev_b64_e32 v[8:9], 2, v[8:9]
	v_add_co_u32 v6, s5, v6, s8
	v_mad_co_i64_i32 v[4:5], null, v3, s18, 0
	s_and_b32 s14, vcc_lo, s2
	s_and_b32 s27, s3, s4
	v_mad_co_i64_i32 v[10:11], null, v13, s18, 0
	v_cmp_le_i32_e32 vcc_lo, v13, v0
	v_cmp_le_i32_e64 s3, v13, v2
	v_add_co_ci_u32_e64 v7, null, s9, v7, s5
	v_lshlrev_b32_e32 v13, 2, v15
	s_lshl_b64 s[8:9], s[12:13], 2
	v_lshlrev_b64_e32 v[4:5], 2, v[4:5]
	s_wait_alu 0xfffe
	v_add_co_u32 v8, s5, v8, s8
	s_wait_alu 0xf1ff
	v_add_co_ci_u32_e64 v9, null, s9, v9, s5
	v_add_co_u32 v21, s5, v6, v13
	s_wait_alu 0xf1ff
	v_add_co_ci_u32_e64 v22, null, 0, v7, s5
	v_add_co_u32 v23, s5, v8, v12
	v_lshlrev_b64_e32 v[6:7], 2, v[10:11]
	v_lshlrev_b32_e32 v18, 2, v1
	v_ashrrev_i32_e32 v1, 31, v0
	v_ashrrev_i32_e32 v3, 31, v2
	s_wait_alu 0xf1ff
	v_add_co_ci_u32_e64 v24, null, 0, v9, s5
	s_mov_b32 s21, 0
	s_and_b32 s8, s29, s30
	s_and_b32 s9, vcc_lo, s2
	s_and_b32 s12, s3, s4
	s_lshl_b64 s[2:3], s[22:23], 2
	s_branch .LBB303_6
.LBB303_5:                              ;   in Loop: Header=BB303_6 Depth=1
	s_wait_alu 0xfffe
	s_or_b32 exec_lo, exec_lo, s4
	s_add_co_i32 s20, s20, 0x10000
	s_delay_alu instid0(SALU_CYCLE_1)
	s_cmp_lt_u32 s20, s25
	s_cbranch_scc0 .LBB303_33
.LBB303_6:                              ; =>This Loop Header: Depth=1
                                        ;     Child Loop BB303_9 Depth 2
	s_lshl_b64 s[4:5], s[20:21], 3
	v_dual_mov_b32 v28, 0 :: v_dual_mov_b32 v27, 0
	s_wait_alu 0xfffe
	s_add_nc_u64 s[22:23], s[16:17], s[4:5]
	v_dual_mov_b32 v26, 0 :: v_dual_mov_b32 v25, 0
	global_load_b64 v[8:9], v20, s[22:23]
	s_and_not1_b32 vcc_lo, exec_lo, s8
	s_wait_alu 0xfffe
	s_cbranch_vccnz .LBB303_13
; %bb.7:                                ;   in Loop: Header=BB303_6 Depth=1
	s_add_nc_u64 s[22:23], s[6:7], s[4:5]
	s_add_nc_u64 s[4:5], s[10:11], s[4:5]
	s_clause 0x1
	global_load_b64 v[10:11], v20, s[22:23]
	global_load_b64 v[12:13], v20, s[4:5]
	v_dual_mov_b32 v25, 0 :: v_dual_mov_b32 v26, 0
	v_dual_mov_b32 v27, 0 :: v_dual_mov_b32 v28, 0
	s_mov_b32 s4, 0
	s_wait_loadcnt 0x1
	v_add_co_u32 v10, vcc_lo, v10, v21
	s_wait_alu 0xfffd
	v_add_co_ci_u32_e64 v11, null, v11, v22, vcc_lo
	s_wait_loadcnt 0x0
	v_add_co_u32 v12, vcc_lo, v12, v23
	s_wait_alu 0xfffd
	v_add_co_ci_u32_e64 v13, null, v13, v24, vcc_lo
	s_branch .LBB303_9
.LBB303_8:                              ;   in Loop: Header=BB303_9 Depth=2
	s_wait_alu 0xfffe
	s_or_b32 exec_lo, exec_lo, s5
	s_wait_loadcnt_dscnt 0x0
	ds_store_b32 v17, v30
	s_wait_dscnt 0x0
	s_barrier_signal -1
	s_barrier_wait -1
	global_inv scope:SCOPE_SE
	ds_load_b128 v[29:32], v19
	ds_load_2addr_b32 v[45:46], v18 offset1:16
	ds_load_b128 v[33:36], v19 offset:512
	ds_load_2addr_b32 v[47:48], v18 offset0:32 offset1:48
	ds_load_2addr_b32 v[49:50], v18 offset0:64 offset1:80
	;; [unrolled: 1-line block ×3, first 2 shown]
	ds_load_b128 v[37:40], v19 offset:16
	ds_load_2addr_b32 v[53:54], v18 offset0:128 offset1:144
	ds_load_b128 v[41:44], v19 offset:528
	v_add_co_u32 v10, vcc_lo, v10, 32
	s_wait_alu 0xfffd
	v_add_co_ci_u32_e64 v11, null, 0, v11, vcc_lo
	v_add_co_u32 v12, vcc_lo, v12, 32
	s_wait_alu 0xfffd
	v_add_co_ci_u32_e64 v13, null, 0, v13, vcc_lo
	s_add_co_i32 s4, s4, 8
	s_wait_alu 0xfffe
	s_cmp_lt_i32 s4, s15
	s_wait_dscnt 0x7
	v_fmac_f32_e32 v27, v46, v29
	v_fmac_f32_e32 v28, v45, v29
	s_wait_dscnt 0x6
	v_fmac_f32_e32 v25, v46, v33
	v_fmac_f32_e32 v26, v45, v33
	ds_load_2addr_b32 v[45:46], v18 offset0:160 offset1:176
	s_wait_dscnt 0x6
	v_fmac_f32_e32 v27, v48, v30
	v_fmac_f32_e32 v28, v47, v30
	v_fmac_f32_e32 v25, v48, v34
	v_fmac_f32_e32 v26, v47, v34
	ds_load_2addr_b32 v[29:30], v18 offset0:192 offset1:208
	s_wait_dscnt 0x6
	v_fmac_f32_e32 v27, v50, v31
	v_fmac_f32_e32 v28, v49, v31
	;; [unrolled: 6-line block ×3, first 2 shown]
	v_fmac_f32_e32 v25, v52, v36
	v_fmac_f32_e32 v26, v51, v36
	s_wait_loadcnt_dscnt 0x0
	v_fmac_f32_e32 v27, v54, v37
	v_fmac_f32_e32 v28, v53, v37
	;; [unrolled: 1-line block ×4, first 2 shown]
	s_barrier_signal -1
	v_fmac_f32_e32 v27, v46, v38
	v_fmac_f32_e32 v28, v45, v38
	;; [unrolled: 1-line block ×4, first 2 shown]
	s_barrier_wait -1
	v_fmac_f32_e32 v27, v30, v39
	v_fmac_f32_e32 v28, v29, v39
	v_fmac_f32_e32 v25, v30, v43
	v_fmac_f32_e32 v26, v29, v43
	global_inv scope:SCOPE_SE
	v_fmac_f32_e32 v27, v34, v40
	v_fmac_f32_e32 v28, v33, v40
	;; [unrolled: 1-line block ×4, first 2 shown]
	s_cbranch_scc0 .LBB303_13
.LBB303_9:                              ;   Parent Loop BB303_6 Depth=1
                                        ; =>  This Inner Loop Header: Depth=2
	s_wait_alu 0xfffe
	v_add_nc_u32_e32 v29, s4, v15
	s_delay_alu instid0(VALU_DEP_1) | instskip(SKIP_2) | instid1(SALU_CYCLE_1)
	v_cmp_gt_i32_e32 vcc_lo, s15, v29
	v_mov_b32_e32 v29, 0
	s_and_b32 s13, s0, vcc_lo
	s_and_saveexec_b32 s5, s13
	s_cbranch_execz .LBB303_11
; %bb.10:                               ;   in Loop: Header=BB303_9 Depth=2
	flat_load_b32 v29, v[10:11]
.LBB303_11:                             ;   in Loop: Header=BB303_9 Depth=2
	s_wait_alu 0xfffe
	s_or_b32 exec_lo, exec_lo, s5
	v_add_nc_u32_e32 v30, s4, v14
	s_wait_loadcnt_dscnt 0x0
	ds_store_b32 v16, v29
	v_cmp_gt_i32_e32 vcc_lo, s15, v30
	v_mov_b32_e32 v30, 0
	s_and_b32 s13, vcc_lo, s1
	s_delay_alu instid0(SALU_CYCLE_1)
	s_and_saveexec_b32 s5, s13
	s_cbranch_execz .LBB303_8
; %bb.12:                               ;   in Loop: Header=BB303_9 Depth=2
	flat_load_b32 v30, v[12:13]
	s_branch .LBB303_8
.LBB303_13:                             ;   in Loop: Header=BB303_6 Depth=1
	s_wait_loadcnt 0x0
	v_add_co_u32 v8, vcc_lo, v8, s2
	s_wait_alu 0xfffd
	v_add_co_ci_u32_e64 v9, null, s3, v9, vcc_lo
	s_delay_alu instid0(VALU_DEP_2) | instskip(SKIP_1) | instid1(VALU_DEP_2)
	v_add_co_u32 v10, vcc_lo, v8, v4
	s_wait_alu 0xfffd
	v_add_co_ci_u32_e64 v11, null, v9, v5, vcc_lo
	s_and_saveexec_b32 s4, s14
	s_cbranch_execz .LBB303_17
; %bb.14:                               ;   in Loop: Header=BB303_6 Depth=1
	v_mul_f32_e32 v12, s24, v28
	s_and_b32 vcc_lo, exec_lo, s26
	s_wait_alu 0xfffe
	s_cbranch_vccz .LBB303_28
; %bb.15:                               ;   in Loop: Header=BB303_6 Depth=1
	v_lshlrev_b64_e32 v[28:29], 2, v[0:1]
	s_delay_alu instid0(VALU_DEP_1) | instskip(SKIP_1) | instid1(VALU_DEP_2)
	v_add_co_u32 v28, vcc_lo, v10, v28
	s_wait_alu 0xfffd
	v_add_co_ci_u32_e64 v29, null, v11, v29, vcc_lo
	flat_load_b32 v13, v[28:29]
	s_wait_loadcnt_dscnt 0x0
	v_fma_f32 v13, s19, v13, v12
	flat_store_b32 v[28:29], v13
	s_cbranch_execnz .LBB303_17
.LBB303_16:                             ;   in Loop: Header=BB303_6 Depth=1
	v_lshlrev_b64_e32 v[28:29], 2, v[0:1]
	s_delay_alu instid0(VALU_DEP_1) | instskip(SKIP_1) | instid1(VALU_DEP_2)
	v_add_co_u32 v28, vcc_lo, v10, v28
	s_wait_alu 0xfffd
	v_add_co_ci_u32_e64 v29, null, v11, v29, vcc_lo
	flat_store_b32 v[28:29], v12
.LBB303_17:                             ;   in Loop: Header=BB303_6 Depth=1
	s_wait_alu 0xfffe
	s_or_b32 exec_lo, exec_lo, s4
	s_and_saveexec_b32 s4, s27
	s_cbranch_execz .LBB303_21
; %bb.18:                               ;   in Loop: Header=BB303_6 Depth=1
	v_mul_f32_e32 v12, s24, v27
	s_and_not1_b32 vcc_lo, exec_lo, s26
	s_wait_alu 0xfffe
	s_cbranch_vccnz .LBB303_29
; %bb.19:                               ;   in Loop: Header=BB303_6 Depth=1
	v_lshlrev_b64_e32 v[27:28], 2, v[2:3]
	s_delay_alu instid0(VALU_DEP_1) | instskip(SKIP_1) | instid1(VALU_DEP_2)
	v_add_co_u32 v27, vcc_lo, v10, v27
	s_wait_alu 0xfffd
	v_add_co_ci_u32_e64 v28, null, v11, v28, vcc_lo
	flat_load_b32 v13, v[27:28]
	s_wait_loadcnt_dscnt 0x0
	v_fma_f32 v13, s19, v13, v12
	flat_store_b32 v[27:28], v13
	s_cbranch_execnz .LBB303_21
.LBB303_20:                             ;   in Loop: Header=BB303_6 Depth=1
	v_lshlrev_b64_e32 v[27:28], 2, v[2:3]
	s_delay_alu instid0(VALU_DEP_1) | instskip(SKIP_1) | instid1(VALU_DEP_2)
	v_add_co_u32 v10, vcc_lo, v10, v27
	s_wait_alu 0xfffd
	v_add_co_ci_u32_e64 v11, null, v11, v28, vcc_lo
	flat_store_b32 v[10:11], v12
.LBB303_21:                             ;   in Loop: Header=BB303_6 Depth=1
	s_wait_alu 0xfffe
	s_or_b32 exec_lo, exec_lo, s4
	v_add_co_u32 v10, vcc_lo, v8, v6
	s_wait_alu 0xfffd
	v_add_co_ci_u32_e64 v11, null, v9, v7, vcc_lo
	s_and_saveexec_b32 s4, s9
	s_cbranch_execz .LBB303_25
; %bb.22:                               ;   in Loop: Header=BB303_6 Depth=1
	v_lshlrev_b64_e32 v[8:9], 2, v[0:1]
	v_mul_f32_e32 v12, s24, v26
	s_and_not1_b32 vcc_lo, exec_lo, s26
	s_wait_alu 0xfffe
	s_cbranch_vccnz .LBB303_30
; %bb.23:                               ;   in Loop: Header=BB303_6 Depth=1
	s_delay_alu instid0(VALU_DEP_2)
	v_add_co_u32 v26, vcc_lo, v10, v8
	s_wait_alu 0xfffd
	v_add_co_ci_u32_e64 v27, null, v11, v9, vcc_lo
	flat_load_b32 v13, v[26:27]
	s_wait_loadcnt_dscnt 0x0
	v_fma_f32 v13, s19, v13, v12
	flat_store_b32 v[26:27], v13
	s_cbranch_execnz .LBB303_25
.LBB303_24:                             ;   in Loop: Header=BB303_6 Depth=1
	v_add_co_u32 v8, vcc_lo, v10, v8
	s_wait_alu 0xfffd
	v_add_co_ci_u32_e64 v9, null, v11, v9, vcc_lo
	flat_store_b32 v[8:9], v12
.LBB303_25:                             ;   in Loop: Header=BB303_6 Depth=1
	s_wait_alu 0xfffe
	s_or_b32 exec_lo, exec_lo, s4
	s_and_saveexec_b32 s4, s12
	s_cbranch_execz .LBB303_5
; %bb.26:                               ;   in Loop: Header=BB303_6 Depth=1
	v_lshlrev_b64_e32 v[8:9], 2, v[2:3]
	v_mul_f32_e32 v12, s24, v25
	s_and_not1_b32 vcc_lo, exec_lo, s26
	s_wait_alu 0xfffe
	s_cbranch_vccnz .LBB303_31
; %bb.27:                               ;   in Loop: Header=BB303_6 Depth=1
	s_delay_alu instid0(VALU_DEP_2)
	v_add_co_u32 v25, vcc_lo, v10, v8
	s_wait_alu 0xfffd
	v_add_co_ci_u32_e64 v26, null, v11, v9, vcc_lo
	flat_load_b32 v13, v[25:26]
	s_wait_loadcnt_dscnt 0x0
	v_fma_f32 v13, s19, v13, v12
	flat_store_b32 v[25:26], v13
	s_cbranch_execnz .LBB303_5
	s_branch .LBB303_32
.LBB303_28:                             ;   in Loop: Header=BB303_6 Depth=1
	s_branch .LBB303_16
.LBB303_29:                             ;   in Loop: Header=BB303_6 Depth=1
	s_branch .LBB303_20
.LBB303_30:                             ;   in Loop: Header=BB303_6 Depth=1
	s_branch .LBB303_24
.LBB303_31:                             ;   in Loop: Header=BB303_6 Depth=1
.LBB303_32:                             ;   in Loop: Header=BB303_6 Depth=1
	s_delay_alu instid0(VALU_DEP_2)
	v_add_co_u32 v8, vcc_lo, v10, v8
	s_wait_alu 0xfffd
	v_add_co_ci_u32_e64 v9, null, v11, v9, vcc_lo
	flat_store_b32 v[8:9], v12
	s_branch .LBB303_5
.LBB303_33:
	s_endpgm
	.section	.rodata,"a",@progbits
	.p2align	6, 0x0
	.amdhsa_kernel _ZL29rocblas_internal_gemmt_kernelIiLi16ELi32ELi8ELc67ELc78ELc76ELb0ELb0EfPKfPKS1_PKPfEviT_T9_T10_S7_lS9_S7_lS8_T11_S7_li
		.amdhsa_group_segment_fixed_size 2048
		.amdhsa_private_segment_fixed_size 0
		.amdhsa_kernarg_size 100
		.amdhsa_user_sgpr_count 2
		.amdhsa_user_sgpr_dispatch_ptr 0
		.amdhsa_user_sgpr_queue_ptr 0
		.amdhsa_user_sgpr_kernarg_segment_ptr 1
		.amdhsa_user_sgpr_dispatch_id 0
		.amdhsa_user_sgpr_private_segment_size 0
		.amdhsa_wavefront_size32 1
		.amdhsa_uses_dynamic_stack 0
		.amdhsa_enable_private_segment 0
		.amdhsa_system_sgpr_workgroup_id_x 1
		.amdhsa_system_sgpr_workgroup_id_y 1
		.amdhsa_system_sgpr_workgroup_id_z 1
		.amdhsa_system_sgpr_workgroup_info 0
		.amdhsa_system_vgpr_workitem_id 1
		.amdhsa_next_free_vgpr 55
		.amdhsa_next_free_sgpr 31
		.amdhsa_reserve_vcc 1
		.amdhsa_float_round_mode_32 0
		.amdhsa_float_round_mode_16_64 0
		.amdhsa_float_denorm_mode_32 3
		.amdhsa_float_denorm_mode_16_64 3
		.amdhsa_fp16_overflow 0
		.amdhsa_workgroup_processor_mode 1
		.amdhsa_memory_ordered 1
		.amdhsa_forward_progress 1
		.amdhsa_inst_pref_size 15
		.amdhsa_round_robin_scheduling 0
		.amdhsa_exception_fp_ieee_invalid_op 0
		.amdhsa_exception_fp_denorm_src 0
		.amdhsa_exception_fp_ieee_div_zero 0
		.amdhsa_exception_fp_ieee_overflow 0
		.amdhsa_exception_fp_ieee_underflow 0
		.amdhsa_exception_fp_ieee_inexact 0
		.amdhsa_exception_int_div_zero 0
	.end_amdhsa_kernel
	.section	.text._ZL29rocblas_internal_gemmt_kernelIiLi16ELi32ELi8ELc67ELc78ELc76ELb0ELb0EfPKfPKS1_PKPfEviT_T9_T10_S7_lS9_S7_lS8_T11_S7_li,"axG",@progbits,_ZL29rocblas_internal_gemmt_kernelIiLi16ELi32ELi8ELc67ELc78ELc76ELb0ELb0EfPKfPKS1_PKPfEviT_T9_T10_S7_lS9_S7_lS8_T11_S7_li,comdat
.Lfunc_end303:
	.size	_ZL29rocblas_internal_gemmt_kernelIiLi16ELi32ELi8ELc67ELc78ELc76ELb0ELb0EfPKfPKS1_PKPfEviT_T9_T10_S7_lS9_S7_lS8_T11_S7_li, .Lfunc_end303-_ZL29rocblas_internal_gemmt_kernelIiLi16ELi32ELi8ELc67ELc78ELc76ELb0ELb0EfPKfPKS1_PKPfEviT_T9_T10_S7_lS9_S7_lS8_T11_S7_li
                                        ; -- End function
	.set _ZL29rocblas_internal_gemmt_kernelIiLi16ELi32ELi8ELc67ELc78ELc76ELb0ELb0EfPKfPKS1_PKPfEviT_T9_T10_S7_lS9_S7_lS8_T11_S7_li.num_vgpr, 55
	.set _ZL29rocblas_internal_gemmt_kernelIiLi16ELi32ELi8ELc67ELc78ELc76ELb0ELb0EfPKfPKS1_PKPfEviT_T9_T10_S7_lS9_S7_lS8_T11_S7_li.num_agpr, 0
	.set _ZL29rocblas_internal_gemmt_kernelIiLi16ELi32ELi8ELc67ELc78ELc76ELb0ELb0EfPKfPKS1_PKPfEviT_T9_T10_S7_lS9_S7_lS8_T11_S7_li.numbered_sgpr, 31
	.set _ZL29rocblas_internal_gemmt_kernelIiLi16ELi32ELi8ELc67ELc78ELc76ELb0ELb0EfPKfPKS1_PKPfEviT_T9_T10_S7_lS9_S7_lS8_T11_S7_li.num_named_barrier, 0
	.set _ZL29rocblas_internal_gemmt_kernelIiLi16ELi32ELi8ELc67ELc78ELc76ELb0ELb0EfPKfPKS1_PKPfEviT_T9_T10_S7_lS9_S7_lS8_T11_S7_li.private_seg_size, 0
	.set _ZL29rocblas_internal_gemmt_kernelIiLi16ELi32ELi8ELc67ELc78ELc76ELb0ELb0EfPKfPKS1_PKPfEviT_T9_T10_S7_lS9_S7_lS8_T11_S7_li.uses_vcc, 1
	.set _ZL29rocblas_internal_gemmt_kernelIiLi16ELi32ELi8ELc67ELc78ELc76ELb0ELb0EfPKfPKS1_PKPfEviT_T9_T10_S7_lS9_S7_lS8_T11_S7_li.uses_flat_scratch, 0
	.set _ZL29rocblas_internal_gemmt_kernelIiLi16ELi32ELi8ELc67ELc78ELc76ELb0ELb0EfPKfPKS1_PKPfEviT_T9_T10_S7_lS9_S7_lS8_T11_S7_li.has_dyn_sized_stack, 0
	.set _ZL29rocblas_internal_gemmt_kernelIiLi16ELi32ELi8ELc67ELc78ELc76ELb0ELb0EfPKfPKS1_PKPfEviT_T9_T10_S7_lS9_S7_lS8_T11_S7_li.has_recursion, 0
	.set _ZL29rocblas_internal_gemmt_kernelIiLi16ELi32ELi8ELc67ELc78ELc76ELb0ELb0EfPKfPKS1_PKPfEviT_T9_T10_S7_lS9_S7_lS8_T11_S7_li.has_indirect_call, 0
	.section	.AMDGPU.csdata,"",@progbits
; Kernel info:
; codeLenInByte = 1868
; TotalNumSgprs: 33
; NumVgprs: 55
; ScratchSize: 0
; MemoryBound: 0
; FloatMode: 240
; IeeeMode: 1
; LDSByteSize: 2048 bytes/workgroup (compile time only)
; SGPRBlocks: 0
; VGPRBlocks: 6
; NumSGPRsForWavesPerEU: 33
; NumVGPRsForWavesPerEU: 55
; Occupancy: 16
; WaveLimiterHint : 1
; COMPUTE_PGM_RSRC2:SCRATCH_EN: 0
; COMPUTE_PGM_RSRC2:USER_SGPR: 2
; COMPUTE_PGM_RSRC2:TRAP_HANDLER: 0
; COMPUTE_PGM_RSRC2:TGID_X_EN: 1
; COMPUTE_PGM_RSRC2:TGID_Y_EN: 1
; COMPUTE_PGM_RSRC2:TGID_Z_EN: 1
; COMPUTE_PGM_RSRC2:TIDIG_COMP_CNT: 1
	.section	.text._ZL29rocblas_internal_gemmt_kernelIiLi16ELi32ELi8ELc67ELc84ELc76ELb0ELb0EfPKfPKS1_PKPfEviT_T9_T10_S7_lS9_S7_lS8_T11_S7_li,"axG",@progbits,_ZL29rocblas_internal_gemmt_kernelIiLi16ELi32ELi8ELc67ELc84ELc76ELb0ELb0EfPKfPKS1_PKPfEviT_T9_T10_S7_lS9_S7_lS8_T11_S7_li,comdat
	.globl	_ZL29rocblas_internal_gemmt_kernelIiLi16ELi32ELi8ELc67ELc84ELc76ELb0ELb0EfPKfPKS1_PKPfEviT_T9_T10_S7_lS9_S7_lS8_T11_S7_li ; -- Begin function _ZL29rocblas_internal_gemmt_kernelIiLi16ELi32ELi8ELc67ELc84ELc76ELb0ELb0EfPKfPKS1_PKPfEviT_T9_T10_S7_lS9_S7_lS8_T11_S7_li
	.p2align	8
	.type	_ZL29rocblas_internal_gemmt_kernelIiLi16ELi32ELi8ELc67ELc84ELc76ELb0ELb0EfPKfPKS1_PKPfEviT_T9_T10_S7_lS9_S7_lS8_T11_S7_li,@function
_ZL29rocblas_internal_gemmt_kernelIiLi16ELi32ELi8ELc67ELc84ELc76ELb0ELb0EfPKfPKS1_PKPfEviT_T9_T10_S7_lS9_S7_lS8_T11_S7_li: ; @_ZL29rocblas_internal_gemmt_kernelIiLi16ELi32ELi8ELc67ELc84ELc76ELb0ELb0EfPKfPKS1_PKPfEviT_T9_T10_S7_lS9_S7_lS8_T11_S7_li
; %bb.0:
	s_clause 0x1
	s_load_b128 s[12:15], s[0:1], 0x38
	s_load_b128 s[4:7], s[0:1], 0x8
	s_wait_kmcnt 0x0
	s_load_b32 s19, s[14:15], 0x0
	s_load_b64 s[14:15], s[0:1], 0x0
	s_load_b32 s24, s[4:5], 0x0
	s_wait_kmcnt 0x0
	s_cmp_neq_f32 s19, 1.0
	s_cselect_b32 s2, -1, 0
	s_delay_alu instid0(SALU_CYCLE_1)
	s_and_b32 vcc_lo, exec_lo, s2
	s_cbranch_vccnz .LBB304_2
; %bb.1:
	s_cmp_lg_u32 s15, 0
	s_cselect_b32 s2, -1, 0
	s_cmp_neq_f32 s24, 0
	s_cselect_b32 s3, -1, 0
	s_delay_alu instid0(SALU_CYCLE_1)
	s_and_b32 s2, s2, s3
.LBB304_2:
	s_delay_alu instid0(SALU_CYCLE_1)
	s_and_not1_b32 vcc_lo, exec_lo, s2
	s_cbranch_vccnz .LBB304_33
; %bb.3:
	s_load_b32 s25, s[0:1], 0x60
	s_lshr_b32 s4, ttmp7, 16
	s_wait_kmcnt 0x0
	s_cmp_ge_u32 s4, s25
	s_cbranch_scc1 .LBB304_33
; %bb.4:
	s_load_b32 s20, s[0:1], 0x30
	v_dual_mov_b32 v20, 0 :: v_dual_and_b32 v1, 0x3ff, v0
	v_bfe_u32 v2, v0, 10, 10
	v_and_b32_e32 v14, 7, v0
	s_clause 0x3
	s_load_b32 s28, s[0:1], 0x18
	s_load_b128 s[8:11], s[0:1], 0x20
	s_load_b96 s[16:18], s[0:1], 0x48
	s_load_b64 s[22:23], s[0:1], 0x58
	s_lshl_b32 s0, ttmp7, 5
	v_lshl_add_u32 v0, v2, 4, v1
	s_lshl_b32 s2, ttmp9, 5
	s_and_b32 s3, s0, 0x1fffe0
	v_lshlrev_b32_e32 v5, 2, v14
	v_add_nc_u32_e32 v7, s3, v2
	v_and_b32_e32 v3, 31, v0
	v_lshrrev_b32_e32 v4, 3, v0
	v_lshrrev_b32_e32 v15, 5, v0
	v_lshl_add_u32 v19, v2, 5, 0x400
	v_add_nc_u32_e32 v13, 16, v7
	v_lshlrev_b32_e32 v0, 2, v3
	v_or_b32_e32 v6, s2, v3
	s_wait_kmcnt 0x0
	s_ashr_i32 s21, s20, 31
	s_cmp_neq_f32 s24, 0
	v_add_nc_u32_e32 v12, s3, v4
	v_lshl_or_b32 v16, v15, 7, v0
	v_add_nc_u32_e32 v0, s2, v1
	s_cselect_b32 s29, -1, 0
	s_cmp_gt_i32 s15, 0
	v_lshl_or_b32 v3, v4, 5, v5
	s_cselect_b32 s30, -1, 0
	v_cmp_le_i32_e32 vcc_lo, v7, v0
	v_cmp_gt_i32_e64 s2, s14, v0
	v_add_nc_u32_e32 v2, 16, v0
	s_cmp_neq_f32 s19, 0
	v_cmp_gt_i32_e64 s0, s14, v6
	v_mad_co_i64_i32 v[4:5], null, v7, s18, 0
	s_cselect_b32 s26, -1, 0
	s_and_b32 s27, vcc_lo, s2
	v_cmp_le_i32_e32 vcc_lo, v7, v2
	v_mad_co_i64_i32 v[6:7], null, s28, v6, 0
	v_cmp_gt_i32_e64 s3, s14, v2
	v_mad_co_i64_i32 v[8:9], null, s20, v14, 0
	v_cmp_gt_i32_e64 s1, s14, v12
	s_lshl_b64 s[8:9], s[8:9], 2
	s_and_b32 s14, vcc_lo, s3
	v_lshlrev_b64_e32 v[6:7], 2, v[6:7]
	v_cmp_le_i32_e32 vcc_lo, v13, v0
	v_mad_co_i64_i32 v[10:11], null, v13, s18, 0
	v_lshlrev_b64_e32 v[8:9], 2, v[8:9]
	v_lshlrev_b32_e32 v12, 2, v12
	s_and_b32 s18, vcc_lo, s2
	v_add_co_u32 v6, s2, v6, s8
	v_cmp_le_i32_e32 vcc_lo, v13, v2
	s_wait_alu 0xf1ff
	v_add_co_ci_u32_e64 v7, null, s9, v7, s2
	v_lshlrev_b32_e32 v13, 2, v15
	s_lshl_b64 s[8:9], s[12:13], 2
	v_lshlrev_b64_e32 v[4:5], 2, v[4:5]
	s_wait_alu 0xfffe
	v_add_co_u32 v8, s2, v8, s8
	s_wait_alu 0xf1ff
	v_add_co_ci_u32_e64 v9, null, s9, v9, s2
	v_add_co_u32 v21, s2, v6, v13
	s_wait_alu 0xf1ff
	v_add_co_ci_u32_e64 v22, null, 0, v7, s2
	v_add_co_u32 v23, s2, v8, v12
	v_lshlrev_b64_e32 v[6:7], 2, v[10:11]
	v_add_nc_u32_e32 v17, 0x400, v3
	v_lshlrev_b32_e32 v18, 2, v1
	v_ashrrev_i32_e32 v1, 31, v0
	v_ashrrev_i32_e32 v3, 31, v2
	s_wait_alu 0xf1ff
	v_add_co_ci_u32_e64 v24, null, 0, v9, s2
	s_mov_b32 s5, 0
	s_and_b32 s28, s29, s30
	s_and_b32 s29, vcc_lo, s3
	s_lshl_b64 s[2:3], s[20:21], 5
	s_lshl_b64 s[8:9], s[22:23], 2
	s_branch .LBB304_6
.LBB304_5:                              ;   in Loop: Header=BB304_6 Depth=1
	s_wait_alu 0xfffe
	s_or_b32 exec_lo, exec_lo, s12
	s_add_co_i32 s4, s4, 0x10000
	s_delay_alu instid0(SALU_CYCLE_1)
	s_cmp_lt_u32 s4, s25
	s_cbranch_scc0 .LBB304_33
.LBB304_6:                              ; =>This Loop Header: Depth=1
                                        ;     Child Loop BB304_9 Depth 2
	s_lshl_b64 s[12:13], s[4:5], 3
	v_dual_mov_b32 v28, 0 :: v_dual_mov_b32 v27, 0
	s_wait_alu 0xfffe
	s_add_nc_u64 s[20:21], s[16:17], s[12:13]
	v_dual_mov_b32 v26, 0 :: v_dual_mov_b32 v25, 0
	global_load_b64 v[8:9], v20, s[20:21]
	s_and_not1_b32 vcc_lo, exec_lo, s28
	s_wait_alu 0xfffe
	s_cbranch_vccnz .LBB304_13
; %bb.7:                                ;   in Loop: Header=BB304_6 Depth=1
	s_add_nc_u64 s[20:21], s[6:7], s[12:13]
	s_add_nc_u64 s[12:13], s[10:11], s[12:13]
	s_clause 0x1
	global_load_b64 v[10:11], v20, s[20:21]
	global_load_b64 v[12:13], v20, s[12:13]
	v_dual_mov_b32 v25, 0 :: v_dual_mov_b32 v26, 0
	v_dual_mov_b32 v27, 0 :: v_dual_mov_b32 v28, 0
	s_mov_b32 s12, 0
	s_wait_loadcnt 0x1
	v_add_co_u32 v10, vcc_lo, v10, v21
	s_wait_alu 0xfffd
	v_add_co_ci_u32_e64 v11, null, v11, v22, vcc_lo
	s_wait_loadcnt 0x0
	v_add_co_u32 v12, vcc_lo, v12, v23
	s_wait_alu 0xfffd
	v_add_co_ci_u32_e64 v13, null, v13, v24, vcc_lo
	s_branch .LBB304_9
.LBB304_8:                              ;   in Loop: Header=BB304_9 Depth=2
	s_wait_alu 0xfffe
	s_or_b32 exec_lo, exec_lo, s13
	s_wait_loadcnt_dscnt 0x0
	ds_store_b32 v17, v30
	s_wait_dscnt 0x0
	s_barrier_signal -1
	s_barrier_wait -1
	global_inv scope:SCOPE_SE
	ds_load_b128 v[29:32], v19
	ds_load_2addr_b32 v[45:46], v18 offset1:16
	ds_load_b128 v[33:36], v19 offset:512
	ds_load_2addr_b32 v[47:48], v18 offset0:32 offset1:48
	ds_load_2addr_b32 v[49:50], v18 offset0:64 offset1:80
	ds_load_2addr_b32 v[51:52], v18 offset0:96 offset1:112
	ds_load_b128 v[37:40], v19 offset:16
	ds_load_2addr_b32 v[53:54], v18 offset0:128 offset1:144
	ds_load_b128 v[41:44], v19 offset:528
	v_add_co_u32 v10, vcc_lo, v10, 32
	s_wait_alu 0xfffd
	v_add_co_ci_u32_e64 v11, null, 0, v11, vcc_lo
	v_add_co_u32 v12, vcc_lo, v12, s2
	s_wait_alu 0xfffd
	v_add_co_ci_u32_e64 v13, null, s3, v13, vcc_lo
	s_add_co_i32 s12, s12, 8
	s_wait_alu 0xfffe
	s_cmp_lt_i32 s12, s15
	s_wait_dscnt 0x7
	v_fmac_f32_e32 v27, v46, v29
	v_fmac_f32_e32 v28, v45, v29
	s_wait_dscnt 0x6
	v_fmac_f32_e32 v25, v46, v33
	v_fmac_f32_e32 v26, v45, v33
	ds_load_2addr_b32 v[45:46], v18 offset0:160 offset1:176
	s_wait_dscnt 0x6
	v_fmac_f32_e32 v27, v48, v30
	v_fmac_f32_e32 v28, v47, v30
	v_fmac_f32_e32 v25, v48, v34
	v_fmac_f32_e32 v26, v47, v34
	ds_load_2addr_b32 v[29:30], v18 offset0:192 offset1:208
	s_wait_dscnt 0x6
	v_fmac_f32_e32 v27, v50, v31
	v_fmac_f32_e32 v28, v49, v31
	v_fmac_f32_e32 v25, v50, v35
	v_fmac_f32_e32 v26, v49, v35
	ds_load_2addr_b32 v[33:34], v18 offset0:224 offset1:240
	s_wait_dscnt 0x6
	v_fmac_f32_e32 v27, v52, v32
	v_fmac_f32_e32 v28, v51, v32
	v_fmac_f32_e32 v25, v52, v36
	v_fmac_f32_e32 v26, v51, v36
	s_wait_loadcnt_dscnt 0x0
	v_fmac_f32_e32 v27, v54, v37
	v_fmac_f32_e32 v28, v53, v37
	v_fmac_f32_e32 v25, v54, v41
	v_fmac_f32_e32 v26, v53, v41
	s_barrier_signal -1
	v_fmac_f32_e32 v27, v46, v38
	v_fmac_f32_e32 v28, v45, v38
	;; [unrolled: 1-line block ×4, first 2 shown]
	s_barrier_wait -1
	v_fmac_f32_e32 v27, v30, v39
	v_fmac_f32_e32 v28, v29, v39
	;; [unrolled: 1-line block ×4, first 2 shown]
	global_inv scope:SCOPE_SE
	v_fmac_f32_e32 v27, v34, v40
	v_fmac_f32_e32 v28, v33, v40
	;; [unrolled: 1-line block ×4, first 2 shown]
	s_cbranch_scc0 .LBB304_13
.LBB304_9:                              ;   Parent Loop BB304_6 Depth=1
                                        ; =>  This Inner Loop Header: Depth=2
	s_wait_alu 0xfffe
	v_add_nc_u32_e32 v29, s12, v15
	s_delay_alu instid0(VALU_DEP_1)
	v_cmp_gt_i32_e32 vcc_lo, s15, v29
	v_mov_b32_e32 v29, 0
	s_and_b32 s20, s0, vcc_lo
	s_wait_alu 0xfffe
	s_and_saveexec_b32 s13, s20
	s_cbranch_execz .LBB304_11
; %bb.10:                               ;   in Loop: Header=BB304_9 Depth=2
	flat_load_b32 v29, v[10:11]
.LBB304_11:                             ;   in Loop: Header=BB304_9 Depth=2
	s_wait_alu 0xfffe
	s_or_b32 exec_lo, exec_lo, s13
	v_add_nc_u32_e32 v30, s12, v14
	s_wait_loadcnt_dscnt 0x0
	ds_store_b32 v16, v29
	v_cmp_gt_i32_e32 vcc_lo, s15, v30
	v_mov_b32_e32 v30, 0
	s_and_b32 s20, vcc_lo, s1
	s_wait_alu 0xfffe
	s_and_saveexec_b32 s13, s20
	s_cbranch_execz .LBB304_8
; %bb.12:                               ;   in Loop: Header=BB304_9 Depth=2
	flat_load_b32 v30, v[12:13]
	s_branch .LBB304_8
.LBB304_13:                             ;   in Loop: Header=BB304_6 Depth=1
	s_wait_loadcnt 0x0
	v_add_co_u32 v8, vcc_lo, v8, s8
	s_wait_alu 0xfffd
	v_add_co_ci_u32_e64 v9, null, s9, v9, vcc_lo
	s_delay_alu instid0(VALU_DEP_2) | instskip(SKIP_1) | instid1(VALU_DEP_2)
	v_add_co_u32 v10, vcc_lo, v8, v4
	s_wait_alu 0xfffd
	v_add_co_ci_u32_e64 v11, null, v9, v5, vcc_lo
	s_and_saveexec_b32 s12, s27
	s_cbranch_execz .LBB304_17
; %bb.14:                               ;   in Loop: Header=BB304_6 Depth=1
	v_mul_f32_e32 v12, s24, v28
	s_and_b32 vcc_lo, exec_lo, s26
	s_wait_alu 0xfffe
	s_cbranch_vccz .LBB304_28
; %bb.15:                               ;   in Loop: Header=BB304_6 Depth=1
	v_lshlrev_b64_e32 v[28:29], 2, v[0:1]
	s_delay_alu instid0(VALU_DEP_1) | instskip(SKIP_1) | instid1(VALU_DEP_2)
	v_add_co_u32 v28, vcc_lo, v10, v28
	s_wait_alu 0xfffd
	v_add_co_ci_u32_e64 v29, null, v11, v29, vcc_lo
	flat_load_b32 v13, v[28:29]
	s_wait_loadcnt_dscnt 0x0
	v_fma_f32 v13, s19, v13, v12
	flat_store_b32 v[28:29], v13
	s_cbranch_execnz .LBB304_17
.LBB304_16:                             ;   in Loop: Header=BB304_6 Depth=1
	v_lshlrev_b64_e32 v[28:29], 2, v[0:1]
	s_delay_alu instid0(VALU_DEP_1) | instskip(SKIP_1) | instid1(VALU_DEP_2)
	v_add_co_u32 v28, vcc_lo, v10, v28
	s_wait_alu 0xfffd
	v_add_co_ci_u32_e64 v29, null, v11, v29, vcc_lo
	flat_store_b32 v[28:29], v12
.LBB304_17:                             ;   in Loop: Header=BB304_6 Depth=1
	s_wait_alu 0xfffe
	s_or_b32 exec_lo, exec_lo, s12
	s_and_saveexec_b32 s12, s14
	s_cbranch_execz .LBB304_21
; %bb.18:                               ;   in Loop: Header=BB304_6 Depth=1
	v_mul_f32_e32 v12, s24, v27
	s_and_not1_b32 vcc_lo, exec_lo, s26
	s_wait_alu 0xfffe
	s_cbranch_vccnz .LBB304_29
; %bb.19:                               ;   in Loop: Header=BB304_6 Depth=1
	v_lshlrev_b64_e32 v[27:28], 2, v[2:3]
	s_delay_alu instid0(VALU_DEP_1) | instskip(SKIP_1) | instid1(VALU_DEP_2)
	v_add_co_u32 v27, vcc_lo, v10, v27
	s_wait_alu 0xfffd
	v_add_co_ci_u32_e64 v28, null, v11, v28, vcc_lo
	flat_load_b32 v13, v[27:28]
	s_wait_loadcnt_dscnt 0x0
	v_fma_f32 v13, s19, v13, v12
	flat_store_b32 v[27:28], v13
	s_cbranch_execnz .LBB304_21
.LBB304_20:                             ;   in Loop: Header=BB304_6 Depth=1
	v_lshlrev_b64_e32 v[27:28], 2, v[2:3]
	s_delay_alu instid0(VALU_DEP_1) | instskip(SKIP_1) | instid1(VALU_DEP_2)
	v_add_co_u32 v10, vcc_lo, v10, v27
	s_wait_alu 0xfffd
	v_add_co_ci_u32_e64 v11, null, v11, v28, vcc_lo
	flat_store_b32 v[10:11], v12
.LBB304_21:                             ;   in Loop: Header=BB304_6 Depth=1
	s_wait_alu 0xfffe
	s_or_b32 exec_lo, exec_lo, s12
	v_add_co_u32 v10, vcc_lo, v8, v6
	s_wait_alu 0xfffd
	v_add_co_ci_u32_e64 v11, null, v9, v7, vcc_lo
	s_and_saveexec_b32 s12, s18
	s_cbranch_execz .LBB304_25
; %bb.22:                               ;   in Loop: Header=BB304_6 Depth=1
	v_lshlrev_b64_e32 v[8:9], 2, v[0:1]
	v_mul_f32_e32 v12, s24, v26
	s_and_not1_b32 vcc_lo, exec_lo, s26
	s_wait_alu 0xfffe
	s_cbranch_vccnz .LBB304_30
; %bb.23:                               ;   in Loop: Header=BB304_6 Depth=1
	s_delay_alu instid0(VALU_DEP_2)
	v_add_co_u32 v26, vcc_lo, v10, v8
	s_wait_alu 0xfffd
	v_add_co_ci_u32_e64 v27, null, v11, v9, vcc_lo
	flat_load_b32 v13, v[26:27]
	s_wait_loadcnt_dscnt 0x0
	v_fma_f32 v13, s19, v13, v12
	flat_store_b32 v[26:27], v13
	s_cbranch_execnz .LBB304_25
.LBB304_24:                             ;   in Loop: Header=BB304_6 Depth=1
	v_add_co_u32 v8, vcc_lo, v10, v8
	s_wait_alu 0xfffd
	v_add_co_ci_u32_e64 v9, null, v11, v9, vcc_lo
	flat_store_b32 v[8:9], v12
.LBB304_25:                             ;   in Loop: Header=BB304_6 Depth=1
	s_wait_alu 0xfffe
	s_or_b32 exec_lo, exec_lo, s12
	s_and_saveexec_b32 s12, s29
	s_cbranch_execz .LBB304_5
; %bb.26:                               ;   in Loop: Header=BB304_6 Depth=1
	v_lshlrev_b64_e32 v[8:9], 2, v[2:3]
	v_mul_f32_e32 v12, s24, v25
	s_and_not1_b32 vcc_lo, exec_lo, s26
	s_wait_alu 0xfffe
	s_cbranch_vccnz .LBB304_31
; %bb.27:                               ;   in Loop: Header=BB304_6 Depth=1
	s_delay_alu instid0(VALU_DEP_2)
	v_add_co_u32 v25, vcc_lo, v10, v8
	s_wait_alu 0xfffd
	v_add_co_ci_u32_e64 v26, null, v11, v9, vcc_lo
	flat_load_b32 v13, v[25:26]
	s_wait_loadcnt_dscnt 0x0
	v_fma_f32 v13, s19, v13, v12
	flat_store_b32 v[25:26], v13
	s_cbranch_execnz .LBB304_5
	s_branch .LBB304_32
.LBB304_28:                             ;   in Loop: Header=BB304_6 Depth=1
	s_branch .LBB304_16
.LBB304_29:                             ;   in Loop: Header=BB304_6 Depth=1
	s_branch .LBB304_20
.LBB304_30:                             ;   in Loop: Header=BB304_6 Depth=1
	s_branch .LBB304_24
.LBB304_31:                             ;   in Loop: Header=BB304_6 Depth=1
.LBB304_32:                             ;   in Loop: Header=BB304_6 Depth=1
	s_delay_alu instid0(VALU_DEP_2)
	v_add_co_u32 v8, vcc_lo, v10, v8
	s_wait_alu 0xfffd
	v_add_co_ci_u32_e64 v9, null, v11, v9, vcc_lo
	flat_store_b32 v[8:9], v12
	s_branch .LBB304_5
.LBB304_33:
	s_endpgm
	.section	.rodata,"a",@progbits
	.p2align	6, 0x0
	.amdhsa_kernel _ZL29rocblas_internal_gemmt_kernelIiLi16ELi32ELi8ELc67ELc84ELc76ELb0ELb0EfPKfPKS1_PKPfEviT_T9_T10_S7_lS9_S7_lS8_T11_S7_li
		.amdhsa_group_segment_fixed_size 2048
		.amdhsa_private_segment_fixed_size 0
		.amdhsa_kernarg_size 100
		.amdhsa_user_sgpr_count 2
		.amdhsa_user_sgpr_dispatch_ptr 0
		.amdhsa_user_sgpr_queue_ptr 0
		.amdhsa_user_sgpr_kernarg_segment_ptr 1
		.amdhsa_user_sgpr_dispatch_id 0
		.amdhsa_user_sgpr_private_segment_size 0
		.amdhsa_wavefront_size32 1
		.amdhsa_uses_dynamic_stack 0
		.amdhsa_enable_private_segment 0
		.amdhsa_system_sgpr_workgroup_id_x 1
		.amdhsa_system_sgpr_workgroup_id_y 1
		.amdhsa_system_sgpr_workgroup_id_z 1
		.amdhsa_system_sgpr_workgroup_info 0
		.amdhsa_system_vgpr_workitem_id 1
		.amdhsa_next_free_vgpr 55
		.amdhsa_next_free_sgpr 31
		.amdhsa_reserve_vcc 1
		.amdhsa_float_round_mode_32 0
		.amdhsa_float_round_mode_16_64 0
		.amdhsa_float_denorm_mode_32 3
		.amdhsa_float_denorm_mode_16_64 3
		.amdhsa_fp16_overflow 0
		.amdhsa_workgroup_processor_mode 1
		.amdhsa_memory_ordered 1
		.amdhsa_forward_progress 1
		.amdhsa_inst_pref_size 15
		.amdhsa_round_robin_scheduling 0
		.amdhsa_exception_fp_ieee_invalid_op 0
		.amdhsa_exception_fp_denorm_src 0
		.amdhsa_exception_fp_ieee_div_zero 0
		.amdhsa_exception_fp_ieee_overflow 0
		.amdhsa_exception_fp_ieee_underflow 0
		.amdhsa_exception_fp_ieee_inexact 0
		.amdhsa_exception_int_div_zero 0
	.end_amdhsa_kernel
	.section	.text._ZL29rocblas_internal_gemmt_kernelIiLi16ELi32ELi8ELc67ELc84ELc76ELb0ELb0EfPKfPKS1_PKPfEviT_T9_T10_S7_lS9_S7_lS8_T11_S7_li,"axG",@progbits,_ZL29rocblas_internal_gemmt_kernelIiLi16ELi32ELi8ELc67ELc84ELc76ELb0ELb0EfPKfPKS1_PKPfEviT_T9_T10_S7_lS9_S7_lS8_T11_S7_li,comdat
.Lfunc_end304:
	.size	_ZL29rocblas_internal_gemmt_kernelIiLi16ELi32ELi8ELc67ELc84ELc76ELb0ELb0EfPKfPKS1_PKPfEviT_T9_T10_S7_lS9_S7_lS8_T11_S7_li, .Lfunc_end304-_ZL29rocblas_internal_gemmt_kernelIiLi16ELi32ELi8ELc67ELc84ELc76ELb0ELb0EfPKfPKS1_PKPfEviT_T9_T10_S7_lS9_S7_lS8_T11_S7_li
                                        ; -- End function
	.set _ZL29rocblas_internal_gemmt_kernelIiLi16ELi32ELi8ELc67ELc84ELc76ELb0ELb0EfPKfPKS1_PKPfEviT_T9_T10_S7_lS9_S7_lS8_T11_S7_li.num_vgpr, 55
	.set _ZL29rocblas_internal_gemmt_kernelIiLi16ELi32ELi8ELc67ELc84ELc76ELb0ELb0EfPKfPKS1_PKPfEviT_T9_T10_S7_lS9_S7_lS8_T11_S7_li.num_agpr, 0
	.set _ZL29rocblas_internal_gemmt_kernelIiLi16ELi32ELi8ELc67ELc84ELc76ELb0ELb0EfPKfPKS1_PKPfEviT_T9_T10_S7_lS9_S7_lS8_T11_S7_li.numbered_sgpr, 31
	.set _ZL29rocblas_internal_gemmt_kernelIiLi16ELi32ELi8ELc67ELc84ELc76ELb0ELb0EfPKfPKS1_PKPfEviT_T9_T10_S7_lS9_S7_lS8_T11_S7_li.num_named_barrier, 0
	.set _ZL29rocblas_internal_gemmt_kernelIiLi16ELi32ELi8ELc67ELc84ELc76ELb0ELb0EfPKfPKS1_PKPfEviT_T9_T10_S7_lS9_S7_lS8_T11_S7_li.private_seg_size, 0
	.set _ZL29rocblas_internal_gemmt_kernelIiLi16ELi32ELi8ELc67ELc84ELc76ELb0ELb0EfPKfPKS1_PKPfEviT_T9_T10_S7_lS9_S7_lS8_T11_S7_li.uses_vcc, 1
	.set _ZL29rocblas_internal_gemmt_kernelIiLi16ELi32ELi8ELc67ELc84ELc76ELb0ELb0EfPKfPKS1_PKPfEviT_T9_T10_S7_lS9_S7_lS8_T11_S7_li.uses_flat_scratch, 0
	.set _ZL29rocblas_internal_gemmt_kernelIiLi16ELi32ELi8ELc67ELc84ELc76ELb0ELb0EfPKfPKS1_PKPfEviT_T9_T10_S7_lS9_S7_lS8_T11_S7_li.has_dyn_sized_stack, 0
	.set _ZL29rocblas_internal_gemmt_kernelIiLi16ELi32ELi8ELc67ELc84ELc76ELb0ELb0EfPKfPKS1_PKPfEviT_T9_T10_S7_lS9_S7_lS8_T11_S7_li.has_recursion, 0
	.set _ZL29rocblas_internal_gemmt_kernelIiLi16ELi32ELi8ELc67ELc84ELc76ELb0ELb0EfPKfPKS1_PKPfEviT_T9_T10_S7_lS9_S7_lS8_T11_S7_li.has_indirect_call, 0
	.section	.AMDGPU.csdata,"",@progbits
; Kernel info:
; codeLenInByte = 1880
; TotalNumSgprs: 33
; NumVgprs: 55
; ScratchSize: 0
; MemoryBound: 0
; FloatMode: 240
; IeeeMode: 1
; LDSByteSize: 2048 bytes/workgroup (compile time only)
; SGPRBlocks: 0
; VGPRBlocks: 6
; NumSGPRsForWavesPerEU: 33
; NumVGPRsForWavesPerEU: 55
; Occupancy: 16
; WaveLimiterHint : 1
; COMPUTE_PGM_RSRC2:SCRATCH_EN: 0
; COMPUTE_PGM_RSRC2:USER_SGPR: 2
; COMPUTE_PGM_RSRC2:TRAP_HANDLER: 0
; COMPUTE_PGM_RSRC2:TGID_X_EN: 1
; COMPUTE_PGM_RSRC2:TGID_Y_EN: 1
; COMPUTE_PGM_RSRC2:TGID_Z_EN: 1
; COMPUTE_PGM_RSRC2:TIDIG_COMP_CNT: 1
	.section	.text._ZL29rocblas_internal_gemmt_kernelIiLi16ELi32ELi8ELc67ELc67ELc76ELb0ELb0EfPKfPKS1_PKPfEviT_T9_T10_S7_lS9_S7_lS8_T11_S7_li,"axG",@progbits,_ZL29rocblas_internal_gemmt_kernelIiLi16ELi32ELi8ELc67ELc67ELc76ELb0ELb0EfPKfPKS1_PKPfEviT_T9_T10_S7_lS9_S7_lS8_T11_S7_li,comdat
	.globl	_ZL29rocblas_internal_gemmt_kernelIiLi16ELi32ELi8ELc67ELc67ELc76ELb0ELb0EfPKfPKS1_PKPfEviT_T9_T10_S7_lS9_S7_lS8_T11_S7_li ; -- Begin function _ZL29rocblas_internal_gemmt_kernelIiLi16ELi32ELi8ELc67ELc67ELc76ELb0ELb0EfPKfPKS1_PKPfEviT_T9_T10_S7_lS9_S7_lS8_T11_S7_li
	.p2align	8
	.type	_ZL29rocblas_internal_gemmt_kernelIiLi16ELi32ELi8ELc67ELc67ELc76ELb0ELb0EfPKfPKS1_PKPfEviT_T9_T10_S7_lS9_S7_lS8_T11_S7_li,@function
_ZL29rocblas_internal_gemmt_kernelIiLi16ELi32ELi8ELc67ELc67ELc76ELb0ELb0EfPKfPKS1_PKPfEviT_T9_T10_S7_lS9_S7_lS8_T11_S7_li: ; @_ZL29rocblas_internal_gemmt_kernelIiLi16ELi32ELi8ELc67ELc67ELc76ELb0ELb0EfPKfPKS1_PKPfEviT_T9_T10_S7_lS9_S7_lS8_T11_S7_li
; %bb.0:
	s_clause 0x1
	s_load_b128 s[12:15], s[0:1], 0x38
	s_load_b128 s[4:7], s[0:1], 0x8
	s_wait_kmcnt 0x0
	s_load_b32 s19, s[14:15], 0x0
	s_load_b64 s[14:15], s[0:1], 0x0
	s_load_b32 s24, s[4:5], 0x0
	s_wait_kmcnt 0x0
	s_cmp_neq_f32 s19, 1.0
	s_cselect_b32 s2, -1, 0
	s_delay_alu instid0(SALU_CYCLE_1)
	s_and_b32 vcc_lo, exec_lo, s2
	s_cbranch_vccnz .LBB305_2
; %bb.1:
	s_cmp_lg_u32 s15, 0
	s_cselect_b32 s2, -1, 0
	s_cmp_neq_f32 s24, 0
	s_cselect_b32 s3, -1, 0
	s_delay_alu instid0(SALU_CYCLE_1)
	s_and_b32 s2, s2, s3
.LBB305_2:
	s_delay_alu instid0(SALU_CYCLE_1)
	s_and_not1_b32 vcc_lo, exec_lo, s2
	s_cbranch_vccnz .LBB305_33
; %bb.3:
	s_load_b32 s25, s[0:1], 0x60
	s_lshr_b32 s4, ttmp7, 16
	s_wait_kmcnt 0x0
	s_cmp_ge_u32 s4, s25
	s_cbranch_scc1 .LBB305_33
; %bb.4:
	s_load_b32 s20, s[0:1], 0x30
	v_dual_mov_b32 v20, 0 :: v_dual_and_b32 v1, 0x3ff, v0
	v_bfe_u32 v2, v0, 10, 10
	v_and_b32_e32 v14, 7, v0
	s_clause 0x3
	s_load_b32 s28, s[0:1], 0x18
	s_load_b128 s[8:11], s[0:1], 0x20
	s_load_b96 s[16:18], s[0:1], 0x48
	s_load_b64 s[22:23], s[0:1], 0x58
	s_lshl_b32 s0, ttmp7, 5
	v_lshl_add_u32 v0, v2, 4, v1
	s_lshl_b32 s2, ttmp9, 5
	s_and_b32 s3, s0, 0x1fffe0
	v_lshlrev_b32_e32 v5, 2, v14
	v_add_nc_u32_e32 v7, s3, v2
	v_and_b32_e32 v3, 31, v0
	v_lshrrev_b32_e32 v4, 3, v0
	v_lshrrev_b32_e32 v15, 5, v0
	v_lshl_add_u32 v19, v2, 5, 0x400
	v_add_nc_u32_e32 v13, 16, v7
	v_lshlrev_b32_e32 v0, 2, v3
	v_or_b32_e32 v6, s2, v3
	s_wait_kmcnt 0x0
	s_ashr_i32 s21, s20, 31
	s_cmp_neq_f32 s24, 0
	v_add_nc_u32_e32 v12, s3, v4
	v_lshl_or_b32 v16, v15, 7, v0
	v_add_nc_u32_e32 v0, s2, v1
	s_cselect_b32 s29, -1, 0
	s_cmp_gt_i32 s15, 0
	v_lshl_or_b32 v3, v4, 5, v5
	s_cselect_b32 s30, -1, 0
	v_cmp_le_i32_e32 vcc_lo, v7, v0
	v_cmp_gt_i32_e64 s2, s14, v0
	v_add_nc_u32_e32 v2, 16, v0
	s_cmp_neq_f32 s19, 0
	v_cmp_gt_i32_e64 s0, s14, v6
	v_mad_co_i64_i32 v[4:5], null, v7, s18, 0
	s_cselect_b32 s26, -1, 0
	s_and_b32 s27, vcc_lo, s2
	v_cmp_le_i32_e32 vcc_lo, v7, v2
	v_mad_co_i64_i32 v[6:7], null, s28, v6, 0
	v_cmp_gt_i32_e64 s3, s14, v2
	v_mad_co_i64_i32 v[8:9], null, s20, v14, 0
	v_cmp_gt_i32_e64 s1, s14, v12
	s_lshl_b64 s[8:9], s[8:9], 2
	s_and_b32 s14, vcc_lo, s3
	v_lshlrev_b64_e32 v[6:7], 2, v[6:7]
	v_cmp_le_i32_e32 vcc_lo, v13, v0
	v_mad_co_i64_i32 v[10:11], null, v13, s18, 0
	v_lshlrev_b64_e32 v[8:9], 2, v[8:9]
	v_lshlrev_b32_e32 v12, 2, v12
	s_and_b32 s18, vcc_lo, s2
	v_add_co_u32 v6, s2, v6, s8
	v_cmp_le_i32_e32 vcc_lo, v13, v2
	s_wait_alu 0xf1ff
	v_add_co_ci_u32_e64 v7, null, s9, v7, s2
	v_lshlrev_b32_e32 v13, 2, v15
	s_lshl_b64 s[8:9], s[12:13], 2
	v_lshlrev_b64_e32 v[4:5], 2, v[4:5]
	s_wait_alu 0xfffe
	v_add_co_u32 v8, s2, v8, s8
	s_wait_alu 0xf1ff
	v_add_co_ci_u32_e64 v9, null, s9, v9, s2
	v_add_co_u32 v21, s2, v6, v13
	s_wait_alu 0xf1ff
	v_add_co_ci_u32_e64 v22, null, 0, v7, s2
	v_add_co_u32 v23, s2, v8, v12
	v_lshlrev_b64_e32 v[6:7], 2, v[10:11]
	v_add_nc_u32_e32 v17, 0x400, v3
	v_lshlrev_b32_e32 v18, 2, v1
	v_ashrrev_i32_e32 v1, 31, v0
	v_ashrrev_i32_e32 v3, 31, v2
	s_wait_alu 0xf1ff
	v_add_co_ci_u32_e64 v24, null, 0, v9, s2
	s_mov_b32 s5, 0
	s_and_b32 s28, s29, s30
	s_and_b32 s29, vcc_lo, s3
	s_lshl_b64 s[2:3], s[20:21], 5
	s_lshl_b64 s[8:9], s[22:23], 2
	s_branch .LBB305_6
.LBB305_5:                              ;   in Loop: Header=BB305_6 Depth=1
	s_wait_alu 0xfffe
	s_or_b32 exec_lo, exec_lo, s12
	s_add_co_i32 s4, s4, 0x10000
	s_delay_alu instid0(SALU_CYCLE_1)
	s_cmp_lt_u32 s4, s25
	s_cbranch_scc0 .LBB305_33
.LBB305_6:                              ; =>This Loop Header: Depth=1
                                        ;     Child Loop BB305_9 Depth 2
	s_lshl_b64 s[12:13], s[4:5], 3
	v_dual_mov_b32 v28, 0 :: v_dual_mov_b32 v27, 0
	s_wait_alu 0xfffe
	s_add_nc_u64 s[20:21], s[16:17], s[12:13]
	v_dual_mov_b32 v26, 0 :: v_dual_mov_b32 v25, 0
	global_load_b64 v[8:9], v20, s[20:21]
	s_and_not1_b32 vcc_lo, exec_lo, s28
	s_wait_alu 0xfffe
	s_cbranch_vccnz .LBB305_13
; %bb.7:                                ;   in Loop: Header=BB305_6 Depth=1
	s_add_nc_u64 s[20:21], s[6:7], s[12:13]
	s_add_nc_u64 s[12:13], s[10:11], s[12:13]
	s_clause 0x1
	global_load_b64 v[10:11], v20, s[20:21]
	global_load_b64 v[12:13], v20, s[12:13]
	v_dual_mov_b32 v25, 0 :: v_dual_mov_b32 v26, 0
	v_dual_mov_b32 v27, 0 :: v_dual_mov_b32 v28, 0
	s_mov_b32 s12, 0
	s_wait_loadcnt 0x1
	v_add_co_u32 v10, vcc_lo, v10, v21
	s_wait_alu 0xfffd
	v_add_co_ci_u32_e64 v11, null, v11, v22, vcc_lo
	s_wait_loadcnt 0x0
	v_add_co_u32 v12, vcc_lo, v12, v23
	s_wait_alu 0xfffd
	v_add_co_ci_u32_e64 v13, null, v13, v24, vcc_lo
	s_branch .LBB305_9
.LBB305_8:                              ;   in Loop: Header=BB305_9 Depth=2
	s_wait_alu 0xfffe
	s_or_b32 exec_lo, exec_lo, s13
	s_wait_loadcnt_dscnt 0x0
	ds_store_b32 v17, v30
	s_wait_dscnt 0x0
	s_barrier_signal -1
	s_barrier_wait -1
	global_inv scope:SCOPE_SE
	ds_load_b128 v[29:32], v19
	ds_load_2addr_b32 v[45:46], v18 offset1:16
	ds_load_b128 v[33:36], v19 offset:512
	ds_load_2addr_b32 v[47:48], v18 offset0:32 offset1:48
	ds_load_2addr_b32 v[49:50], v18 offset0:64 offset1:80
	;; [unrolled: 1-line block ×3, first 2 shown]
	ds_load_b128 v[37:40], v19 offset:16
	ds_load_2addr_b32 v[53:54], v18 offset0:128 offset1:144
	ds_load_b128 v[41:44], v19 offset:528
	v_add_co_u32 v10, vcc_lo, v10, 32
	s_wait_alu 0xfffd
	v_add_co_ci_u32_e64 v11, null, 0, v11, vcc_lo
	v_add_co_u32 v12, vcc_lo, v12, s2
	s_wait_alu 0xfffd
	v_add_co_ci_u32_e64 v13, null, s3, v13, vcc_lo
	s_add_co_i32 s12, s12, 8
	s_wait_alu 0xfffe
	s_cmp_lt_i32 s12, s15
	s_wait_dscnt 0x7
	v_fmac_f32_e32 v27, v46, v29
	v_fmac_f32_e32 v28, v45, v29
	s_wait_dscnt 0x6
	v_fmac_f32_e32 v25, v46, v33
	v_fmac_f32_e32 v26, v45, v33
	ds_load_2addr_b32 v[45:46], v18 offset0:160 offset1:176
	s_wait_dscnt 0x6
	v_fmac_f32_e32 v27, v48, v30
	v_fmac_f32_e32 v28, v47, v30
	v_fmac_f32_e32 v25, v48, v34
	v_fmac_f32_e32 v26, v47, v34
	ds_load_2addr_b32 v[29:30], v18 offset0:192 offset1:208
	s_wait_dscnt 0x6
	v_fmac_f32_e32 v27, v50, v31
	v_fmac_f32_e32 v28, v49, v31
	;; [unrolled: 6-line block ×3, first 2 shown]
	v_fmac_f32_e32 v25, v52, v36
	v_fmac_f32_e32 v26, v51, v36
	s_wait_loadcnt_dscnt 0x0
	v_fmac_f32_e32 v27, v54, v37
	v_fmac_f32_e32 v28, v53, v37
	;; [unrolled: 1-line block ×4, first 2 shown]
	s_barrier_signal -1
	v_fmac_f32_e32 v27, v46, v38
	v_fmac_f32_e32 v28, v45, v38
	;; [unrolled: 1-line block ×4, first 2 shown]
	s_barrier_wait -1
	v_fmac_f32_e32 v27, v30, v39
	v_fmac_f32_e32 v28, v29, v39
	;; [unrolled: 1-line block ×4, first 2 shown]
	global_inv scope:SCOPE_SE
	v_fmac_f32_e32 v27, v34, v40
	v_fmac_f32_e32 v28, v33, v40
	;; [unrolled: 1-line block ×4, first 2 shown]
	s_cbranch_scc0 .LBB305_13
.LBB305_9:                              ;   Parent Loop BB305_6 Depth=1
                                        ; =>  This Inner Loop Header: Depth=2
	s_wait_alu 0xfffe
	v_add_nc_u32_e32 v29, s12, v15
	s_delay_alu instid0(VALU_DEP_1)
	v_cmp_gt_i32_e32 vcc_lo, s15, v29
	v_mov_b32_e32 v29, 0
	s_and_b32 s20, s0, vcc_lo
	s_wait_alu 0xfffe
	s_and_saveexec_b32 s13, s20
	s_cbranch_execz .LBB305_11
; %bb.10:                               ;   in Loop: Header=BB305_9 Depth=2
	flat_load_b32 v29, v[10:11]
.LBB305_11:                             ;   in Loop: Header=BB305_9 Depth=2
	s_wait_alu 0xfffe
	s_or_b32 exec_lo, exec_lo, s13
	v_add_nc_u32_e32 v30, s12, v14
	s_wait_loadcnt_dscnt 0x0
	ds_store_b32 v16, v29
	v_cmp_gt_i32_e32 vcc_lo, s15, v30
	v_mov_b32_e32 v30, 0
	s_and_b32 s20, vcc_lo, s1
	s_wait_alu 0xfffe
	s_and_saveexec_b32 s13, s20
	s_cbranch_execz .LBB305_8
; %bb.12:                               ;   in Loop: Header=BB305_9 Depth=2
	flat_load_b32 v30, v[12:13]
	s_branch .LBB305_8
.LBB305_13:                             ;   in Loop: Header=BB305_6 Depth=1
	s_wait_loadcnt 0x0
	v_add_co_u32 v8, vcc_lo, v8, s8
	s_wait_alu 0xfffd
	v_add_co_ci_u32_e64 v9, null, s9, v9, vcc_lo
	s_delay_alu instid0(VALU_DEP_2) | instskip(SKIP_1) | instid1(VALU_DEP_2)
	v_add_co_u32 v10, vcc_lo, v8, v4
	s_wait_alu 0xfffd
	v_add_co_ci_u32_e64 v11, null, v9, v5, vcc_lo
	s_and_saveexec_b32 s12, s27
	s_cbranch_execz .LBB305_17
; %bb.14:                               ;   in Loop: Header=BB305_6 Depth=1
	v_mul_f32_e32 v12, s24, v28
	s_and_b32 vcc_lo, exec_lo, s26
	s_wait_alu 0xfffe
	s_cbranch_vccz .LBB305_28
; %bb.15:                               ;   in Loop: Header=BB305_6 Depth=1
	v_lshlrev_b64_e32 v[28:29], 2, v[0:1]
	s_delay_alu instid0(VALU_DEP_1) | instskip(SKIP_1) | instid1(VALU_DEP_2)
	v_add_co_u32 v28, vcc_lo, v10, v28
	s_wait_alu 0xfffd
	v_add_co_ci_u32_e64 v29, null, v11, v29, vcc_lo
	flat_load_b32 v13, v[28:29]
	s_wait_loadcnt_dscnt 0x0
	v_fma_f32 v13, s19, v13, v12
	flat_store_b32 v[28:29], v13
	s_cbranch_execnz .LBB305_17
.LBB305_16:                             ;   in Loop: Header=BB305_6 Depth=1
	v_lshlrev_b64_e32 v[28:29], 2, v[0:1]
	s_delay_alu instid0(VALU_DEP_1) | instskip(SKIP_1) | instid1(VALU_DEP_2)
	v_add_co_u32 v28, vcc_lo, v10, v28
	s_wait_alu 0xfffd
	v_add_co_ci_u32_e64 v29, null, v11, v29, vcc_lo
	flat_store_b32 v[28:29], v12
.LBB305_17:                             ;   in Loop: Header=BB305_6 Depth=1
	s_wait_alu 0xfffe
	s_or_b32 exec_lo, exec_lo, s12
	s_and_saveexec_b32 s12, s14
	s_cbranch_execz .LBB305_21
; %bb.18:                               ;   in Loop: Header=BB305_6 Depth=1
	v_mul_f32_e32 v12, s24, v27
	s_and_not1_b32 vcc_lo, exec_lo, s26
	s_wait_alu 0xfffe
	s_cbranch_vccnz .LBB305_29
; %bb.19:                               ;   in Loop: Header=BB305_6 Depth=1
	v_lshlrev_b64_e32 v[27:28], 2, v[2:3]
	s_delay_alu instid0(VALU_DEP_1) | instskip(SKIP_1) | instid1(VALU_DEP_2)
	v_add_co_u32 v27, vcc_lo, v10, v27
	s_wait_alu 0xfffd
	v_add_co_ci_u32_e64 v28, null, v11, v28, vcc_lo
	flat_load_b32 v13, v[27:28]
	s_wait_loadcnt_dscnt 0x0
	v_fma_f32 v13, s19, v13, v12
	flat_store_b32 v[27:28], v13
	s_cbranch_execnz .LBB305_21
.LBB305_20:                             ;   in Loop: Header=BB305_6 Depth=1
	v_lshlrev_b64_e32 v[27:28], 2, v[2:3]
	s_delay_alu instid0(VALU_DEP_1) | instskip(SKIP_1) | instid1(VALU_DEP_2)
	v_add_co_u32 v10, vcc_lo, v10, v27
	s_wait_alu 0xfffd
	v_add_co_ci_u32_e64 v11, null, v11, v28, vcc_lo
	flat_store_b32 v[10:11], v12
.LBB305_21:                             ;   in Loop: Header=BB305_6 Depth=1
	s_wait_alu 0xfffe
	s_or_b32 exec_lo, exec_lo, s12
	v_add_co_u32 v10, vcc_lo, v8, v6
	s_wait_alu 0xfffd
	v_add_co_ci_u32_e64 v11, null, v9, v7, vcc_lo
	s_and_saveexec_b32 s12, s18
	s_cbranch_execz .LBB305_25
; %bb.22:                               ;   in Loop: Header=BB305_6 Depth=1
	v_lshlrev_b64_e32 v[8:9], 2, v[0:1]
	v_mul_f32_e32 v12, s24, v26
	s_and_not1_b32 vcc_lo, exec_lo, s26
	s_wait_alu 0xfffe
	s_cbranch_vccnz .LBB305_30
; %bb.23:                               ;   in Loop: Header=BB305_6 Depth=1
	s_delay_alu instid0(VALU_DEP_2)
	v_add_co_u32 v26, vcc_lo, v10, v8
	s_wait_alu 0xfffd
	v_add_co_ci_u32_e64 v27, null, v11, v9, vcc_lo
	flat_load_b32 v13, v[26:27]
	s_wait_loadcnt_dscnt 0x0
	v_fma_f32 v13, s19, v13, v12
	flat_store_b32 v[26:27], v13
	s_cbranch_execnz .LBB305_25
.LBB305_24:                             ;   in Loop: Header=BB305_6 Depth=1
	v_add_co_u32 v8, vcc_lo, v10, v8
	s_wait_alu 0xfffd
	v_add_co_ci_u32_e64 v9, null, v11, v9, vcc_lo
	flat_store_b32 v[8:9], v12
.LBB305_25:                             ;   in Loop: Header=BB305_6 Depth=1
	s_wait_alu 0xfffe
	s_or_b32 exec_lo, exec_lo, s12
	s_and_saveexec_b32 s12, s29
	s_cbranch_execz .LBB305_5
; %bb.26:                               ;   in Loop: Header=BB305_6 Depth=1
	v_lshlrev_b64_e32 v[8:9], 2, v[2:3]
	v_mul_f32_e32 v12, s24, v25
	s_and_not1_b32 vcc_lo, exec_lo, s26
	s_wait_alu 0xfffe
	s_cbranch_vccnz .LBB305_31
; %bb.27:                               ;   in Loop: Header=BB305_6 Depth=1
	s_delay_alu instid0(VALU_DEP_2)
	v_add_co_u32 v25, vcc_lo, v10, v8
	s_wait_alu 0xfffd
	v_add_co_ci_u32_e64 v26, null, v11, v9, vcc_lo
	flat_load_b32 v13, v[25:26]
	s_wait_loadcnt_dscnt 0x0
	v_fma_f32 v13, s19, v13, v12
	flat_store_b32 v[25:26], v13
	s_cbranch_execnz .LBB305_5
	s_branch .LBB305_32
.LBB305_28:                             ;   in Loop: Header=BB305_6 Depth=1
	s_branch .LBB305_16
.LBB305_29:                             ;   in Loop: Header=BB305_6 Depth=1
	s_branch .LBB305_20
.LBB305_30:                             ;   in Loop: Header=BB305_6 Depth=1
	s_branch .LBB305_24
.LBB305_31:                             ;   in Loop: Header=BB305_6 Depth=1
.LBB305_32:                             ;   in Loop: Header=BB305_6 Depth=1
	s_delay_alu instid0(VALU_DEP_2)
	v_add_co_u32 v8, vcc_lo, v10, v8
	s_wait_alu 0xfffd
	v_add_co_ci_u32_e64 v9, null, v11, v9, vcc_lo
	flat_store_b32 v[8:9], v12
	s_branch .LBB305_5
.LBB305_33:
	s_endpgm
	.section	.rodata,"a",@progbits
	.p2align	6, 0x0
	.amdhsa_kernel _ZL29rocblas_internal_gemmt_kernelIiLi16ELi32ELi8ELc67ELc67ELc76ELb0ELb0EfPKfPKS1_PKPfEviT_T9_T10_S7_lS9_S7_lS8_T11_S7_li
		.amdhsa_group_segment_fixed_size 2048
		.amdhsa_private_segment_fixed_size 0
		.amdhsa_kernarg_size 100
		.amdhsa_user_sgpr_count 2
		.amdhsa_user_sgpr_dispatch_ptr 0
		.amdhsa_user_sgpr_queue_ptr 0
		.amdhsa_user_sgpr_kernarg_segment_ptr 1
		.amdhsa_user_sgpr_dispatch_id 0
		.amdhsa_user_sgpr_private_segment_size 0
		.amdhsa_wavefront_size32 1
		.amdhsa_uses_dynamic_stack 0
		.amdhsa_enable_private_segment 0
		.amdhsa_system_sgpr_workgroup_id_x 1
		.amdhsa_system_sgpr_workgroup_id_y 1
		.amdhsa_system_sgpr_workgroup_id_z 1
		.amdhsa_system_sgpr_workgroup_info 0
		.amdhsa_system_vgpr_workitem_id 1
		.amdhsa_next_free_vgpr 55
		.amdhsa_next_free_sgpr 31
		.amdhsa_reserve_vcc 1
		.amdhsa_float_round_mode_32 0
		.amdhsa_float_round_mode_16_64 0
		.amdhsa_float_denorm_mode_32 3
		.amdhsa_float_denorm_mode_16_64 3
		.amdhsa_fp16_overflow 0
		.amdhsa_workgroup_processor_mode 1
		.amdhsa_memory_ordered 1
		.amdhsa_forward_progress 1
		.amdhsa_inst_pref_size 15
		.amdhsa_round_robin_scheduling 0
		.amdhsa_exception_fp_ieee_invalid_op 0
		.amdhsa_exception_fp_denorm_src 0
		.amdhsa_exception_fp_ieee_div_zero 0
		.amdhsa_exception_fp_ieee_overflow 0
		.amdhsa_exception_fp_ieee_underflow 0
		.amdhsa_exception_fp_ieee_inexact 0
		.amdhsa_exception_int_div_zero 0
	.end_amdhsa_kernel
	.section	.text._ZL29rocblas_internal_gemmt_kernelIiLi16ELi32ELi8ELc67ELc67ELc76ELb0ELb0EfPKfPKS1_PKPfEviT_T9_T10_S7_lS9_S7_lS8_T11_S7_li,"axG",@progbits,_ZL29rocblas_internal_gemmt_kernelIiLi16ELi32ELi8ELc67ELc67ELc76ELb0ELb0EfPKfPKS1_PKPfEviT_T9_T10_S7_lS9_S7_lS8_T11_S7_li,comdat
.Lfunc_end305:
	.size	_ZL29rocblas_internal_gemmt_kernelIiLi16ELi32ELi8ELc67ELc67ELc76ELb0ELb0EfPKfPKS1_PKPfEviT_T9_T10_S7_lS9_S7_lS8_T11_S7_li, .Lfunc_end305-_ZL29rocblas_internal_gemmt_kernelIiLi16ELi32ELi8ELc67ELc67ELc76ELb0ELb0EfPKfPKS1_PKPfEviT_T9_T10_S7_lS9_S7_lS8_T11_S7_li
                                        ; -- End function
	.set _ZL29rocblas_internal_gemmt_kernelIiLi16ELi32ELi8ELc67ELc67ELc76ELb0ELb0EfPKfPKS1_PKPfEviT_T9_T10_S7_lS9_S7_lS8_T11_S7_li.num_vgpr, 55
	.set _ZL29rocblas_internal_gemmt_kernelIiLi16ELi32ELi8ELc67ELc67ELc76ELb0ELb0EfPKfPKS1_PKPfEviT_T9_T10_S7_lS9_S7_lS8_T11_S7_li.num_agpr, 0
	.set _ZL29rocblas_internal_gemmt_kernelIiLi16ELi32ELi8ELc67ELc67ELc76ELb0ELb0EfPKfPKS1_PKPfEviT_T9_T10_S7_lS9_S7_lS8_T11_S7_li.numbered_sgpr, 31
	.set _ZL29rocblas_internal_gemmt_kernelIiLi16ELi32ELi8ELc67ELc67ELc76ELb0ELb0EfPKfPKS1_PKPfEviT_T9_T10_S7_lS9_S7_lS8_T11_S7_li.num_named_barrier, 0
	.set _ZL29rocblas_internal_gemmt_kernelIiLi16ELi32ELi8ELc67ELc67ELc76ELb0ELb0EfPKfPKS1_PKPfEviT_T9_T10_S7_lS9_S7_lS8_T11_S7_li.private_seg_size, 0
	.set _ZL29rocblas_internal_gemmt_kernelIiLi16ELi32ELi8ELc67ELc67ELc76ELb0ELb0EfPKfPKS1_PKPfEviT_T9_T10_S7_lS9_S7_lS8_T11_S7_li.uses_vcc, 1
	.set _ZL29rocblas_internal_gemmt_kernelIiLi16ELi32ELi8ELc67ELc67ELc76ELb0ELb0EfPKfPKS1_PKPfEviT_T9_T10_S7_lS9_S7_lS8_T11_S7_li.uses_flat_scratch, 0
	.set _ZL29rocblas_internal_gemmt_kernelIiLi16ELi32ELi8ELc67ELc67ELc76ELb0ELb0EfPKfPKS1_PKPfEviT_T9_T10_S7_lS9_S7_lS8_T11_S7_li.has_dyn_sized_stack, 0
	.set _ZL29rocblas_internal_gemmt_kernelIiLi16ELi32ELi8ELc67ELc67ELc76ELb0ELb0EfPKfPKS1_PKPfEviT_T9_T10_S7_lS9_S7_lS8_T11_S7_li.has_recursion, 0
	.set _ZL29rocblas_internal_gemmt_kernelIiLi16ELi32ELi8ELc67ELc67ELc76ELb0ELb0EfPKfPKS1_PKPfEviT_T9_T10_S7_lS9_S7_lS8_T11_S7_li.has_indirect_call, 0
	.section	.AMDGPU.csdata,"",@progbits
; Kernel info:
; codeLenInByte = 1880
; TotalNumSgprs: 33
; NumVgprs: 55
; ScratchSize: 0
; MemoryBound: 0
; FloatMode: 240
; IeeeMode: 1
; LDSByteSize: 2048 bytes/workgroup (compile time only)
; SGPRBlocks: 0
; VGPRBlocks: 6
; NumSGPRsForWavesPerEU: 33
; NumVGPRsForWavesPerEU: 55
; Occupancy: 16
; WaveLimiterHint : 1
; COMPUTE_PGM_RSRC2:SCRATCH_EN: 0
; COMPUTE_PGM_RSRC2:USER_SGPR: 2
; COMPUTE_PGM_RSRC2:TRAP_HANDLER: 0
; COMPUTE_PGM_RSRC2:TGID_X_EN: 1
; COMPUTE_PGM_RSRC2:TGID_Y_EN: 1
; COMPUTE_PGM_RSRC2:TGID_Z_EN: 1
; COMPUTE_PGM_RSRC2:TIDIG_COMP_CNT: 1
	.section	.text._ZL29rocblas_internal_gemmt_kernelIiLi16ELi32ELi8ELc78ELc78ELc85ELb0ELb0EffPKPKfPKPfEviT_T9_T10_S7_lS9_S7_lS8_T11_S7_li,"axG",@progbits,_ZL29rocblas_internal_gemmt_kernelIiLi16ELi32ELi8ELc78ELc78ELc85ELb0ELb0EffPKPKfPKPfEviT_T9_T10_S7_lS9_S7_lS8_T11_S7_li,comdat
	.globl	_ZL29rocblas_internal_gemmt_kernelIiLi16ELi32ELi8ELc78ELc78ELc85ELb0ELb0EffPKPKfPKPfEviT_T9_T10_S7_lS9_S7_lS8_T11_S7_li ; -- Begin function _ZL29rocblas_internal_gemmt_kernelIiLi16ELi32ELi8ELc78ELc78ELc85ELb0ELb0EffPKPKfPKPfEviT_T9_T10_S7_lS9_S7_lS8_T11_S7_li
	.p2align	8
	.type	_ZL29rocblas_internal_gemmt_kernelIiLi16ELi32ELi8ELc78ELc78ELc85ELb0ELb0EffPKPKfPKPfEviT_T9_T10_S7_lS9_S7_lS8_T11_S7_li,@function
_ZL29rocblas_internal_gemmt_kernelIiLi16ELi32ELi8ELc78ELc78ELc85ELb0ELb0EffPKPKfPKPfEviT_T9_T10_S7_lS9_S7_lS8_T11_S7_li: ; @_ZL29rocblas_internal_gemmt_kernelIiLi16ELi32ELi8ELc78ELc78ELc85ELb0ELb0EffPKPKfPKPfEviT_T9_T10_S7_lS9_S7_lS8_T11_S7_li
; %bb.0:
	s_clause 0x1
	s_load_b32 s7, s[0:1], 0x40
	s_load_b96 s[4:6], s[0:1], 0x0
	s_wait_kmcnt 0x0
	s_cmp_neq_f32 s7, 1.0
	s_cselect_b32 s2, -1, 0
	s_delay_alu instid0(SALU_CYCLE_1)
	s_and_b32 vcc_lo, exec_lo, s2
	s_cbranch_vccnz .LBB306_2
; %bb.1:
	s_cmp_lg_u32 s5, 0
	s_cselect_b32 s2, -1, 0
	s_cmp_neq_f32 s6, 0
	s_cselect_b32 s3, -1, 0
	s_delay_alu instid0(SALU_CYCLE_1)
	s_and_b32 s2, s2, s3
.LBB306_2:
	s_delay_alu instid0(SALU_CYCLE_1)
	s_and_not1_b32 vcc_lo, exec_lo, s2
	s_cbranch_vccnz .LBB306_33
; %bb.3:
	s_load_b32 s19, s[0:1], 0x60
	s_lshr_b32 s20, ttmp7, 16
	s_wait_kmcnt 0x0
	s_cmp_ge_u32 s20, s19
	s_cbranch_scc1 .LBB306_33
; %bb.4:
	s_clause 0x1
	s_load_b96 s[12:14], s[0:1], 0x10
	s_load_b128 s[8:11], s[0:1], 0x20
	v_dual_mov_b32 v22, 0 :: v_dual_and_b32 v1, 0x3ff, v0
	v_bfe_u32 v2, v0, 10, 10
	v_and_b32_e32 v14, 7, v0
	s_clause 0x3
	s_load_b32 s15, s[0:1], 0x30
	s_load_b64 s[24:25], s[0:1], 0x38
	s_load_b96 s[16:18], s[0:1], 0x48
	s_load_b64 s[22:23], s[0:1], 0x58
	s_lshl_b32 s2, ttmp9, 5
	s_lshl_b32 s0, ttmp7, 5
	v_lshl_add_u32 v0, v2, 4, v1
	v_lshlrev_b32_e32 v23, 2, v14
	s_and_b32 s3, s0, 0x1fffe0
	v_lshl_add_u32 v19, v2, 5, 0x400
	v_lshlrev_b32_e32 v18, 2, v1
	v_and_b32_e32 v3, 31, v0
	v_lshrrev_b32_e32 v5, 3, v0
	v_lshrrev_b32_e32 v15, 5, v0
	s_mov_b32 s21, 0
	s_delay_alu instid0(VALU_DEP_3)
	v_or_b32_e32 v4, s2, v3
	v_lshlrev_b32_e32 v0, 2, v3
	v_lshl_or_b32 v3, v5, 5, v23
	s_wait_kmcnt 0x0
	s_ashr_i32 s31, s14, 31
	s_cmp_neq_f32 s6, 0
	v_mad_co_i64_i32 v[8:9], null, v15, s14, 0
	v_lshl_or_b32 v16, v15, 7, v0
	v_add_nc_u32_e32 v17, 0x400, v3
	v_add_nc_u32_e32 v3, s3, v2
	;; [unrolled: 1-line block ×4, first 2 shown]
	s_cselect_b32 s29, -1, 0
	s_cmp_gt_i32 s5, 0
	v_cmp_gt_i32_e32 vcc_lo, s4, v3
	v_cmp_le_i32_e64 s2, v0, v3
	v_add_nc_u32_e32 v2, 16, v0
	s_cselect_b32 s33, -1, 0
	s_cmp_neq_f32 s7, 0
	v_cmp_gt_i32_e64 s1, s4, v12
	v_lshlrev_b64_e32 v[8:9], 2, v[8:9]
	v_mad_co_i64_i32 v[12:13], null, s15, v12, 0
	s_cselect_b32 s26, -1, 0
	s_and_b32 s27, vcc_lo, s2
	v_add_nc_u32_e32 v20, 16, v3
	v_cmp_le_i32_e64 s2, v2, v3
	v_ashrrev_i32_e32 v5, 31, v4
	s_lshl_b64 s[8:9], s[8:9], 2
	v_cmp_gt_i32_e64 s0, s4, v4
	v_cmp_gt_i32_e64 s3, s4, v20
	v_cmp_le_i32_e64 s4, v0, v20
	s_and_b32 s28, vcc_lo, s2
	v_mad_co_i64_i32 v[10:11], null, v20, s18, 0
	v_cmp_le_i32_e32 vcc_lo, v2, v20
	v_lshlrev_b64_e32 v[4:5], 2, v[4:5]
	v_add_co_u32 v20, s2, v8, s8
	s_wait_alu 0xf1ff
	v_add_co_ci_u32_e64 v21, null, s9, v9, s2
	v_lshlrev_b64_e32 v[8:9], 2, v[12:13]
	s_delay_alu instid0(VALU_DEP_3)
	v_add_co_u32 v20, s2, v20, v4
	s_lshl_b64 s[8:9], s[24:25], 2
	v_mad_co_i64_i32 v[6:7], null, v3, s18, 0
	s_wait_alu 0xf1ff
	v_add_co_ci_u32_e64 v21, null, v21, v5, s2
	s_wait_alu 0xfffe
	v_add_co_u32 v4, s2, v8, s8
	s_wait_alu 0xf1ff
	v_add_co_ci_u32_e64 v5, null, s9, v9, s2
	v_ashrrev_i32_e32 v1, 31, v0
	s_delay_alu instid0(VALU_DEP_3) | instskip(SKIP_1) | instid1(VALU_DEP_3)
	v_add_co_u32 v23, s2, v4, v23
	s_wait_alu 0xf1ff
	v_add_co_ci_u32_e64 v24, null, 0, v5, s2
	v_lshlrev_b64_e32 v[4:5], 2, v[6:7]
	v_lshlrev_b64_e32 v[6:7], 2, v[10:11]
	v_ashrrev_i32_e32 v3, 31, v2
	s_mov_b32 s30, s14
	s_and_b32 s4, s3, s4
	s_and_b32 s18, s29, s33
	s_and_b32 s24, s3, vcc_lo
	s_lshl_b64 s[2:3], s[30:31], 5
	s_lshl_b64 s[8:9], s[22:23], 2
	s_branch .LBB306_6
.LBB306_5:                              ;   in Loop: Header=BB306_6 Depth=1
	s_wait_alu 0xfffe
	s_or_b32 exec_lo, exec_lo, s14
	s_add_co_i32 s20, s20, 0x10000
	s_delay_alu instid0(SALU_CYCLE_1)
	s_cmp_lt_u32 s20, s19
	s_cbranch_scc0 .LBB306_33
.LBB306_6:                              ; =>This Loop Header: Depth=1
                                        ;     Child Loop BB306_9 Depth 2
	s_lshl_b64 s[14:15], s[20:21], 3
	v_dual_mov_b32 v28, 0 :: v_dual_mov_b32 v27, 0
	s_wait_alu 0xfffe
	s_add_nc_u64 s[22:23], s[16:17], s[14:15]
	v_dual_mov_b32 v26, 0 :: v_dual_mov_b32 v25, 0
	global_load_b64 v[8:9], v22, s[22:23]
	s_and_not1_b32 vcc_lo, exec_lo, s18
	s_wait_alu 0xfffe
	s_cbranch_vccnz .LBB306_13
; %bb.7:                                ;   in Loop: Header=BB306_6 Depth=1
	s_add_nc_u64 s[22:23], s[12:13], s[14:15]
	s_add_nc_u64 s[14:15], s[10:11], s[14:15]
	s_clause 0x1
	global_load_b64 v[10:11], v22, s[22:23]
	global_load_b64 v[12:13], v22, s[14:15]
	v_dual_mov_b32 v25, 0 :: v_dual_mov_b32 v26, 0
	v_dual_mov_b32 v27, 0 :: v_dual_mov_b32 v28, 0
	s_mov_b32 s14, 0
	s_wait_loadcnt 0x1
	v_add_co_u32 v10, vcc_lo, v10, v20
	s_wait_alu 0xfffd
	v_add_co_ci_u32_e64 v11, null, v11, v21, vcc_lo
	s_wait_loadcnt 0x0
	v_add_co_u32 v12, vcc_lo, v12, v23
	s_wait_alu 0xfffd
	v_add_co_ci_u32_e64 v13, null, v13, v24, vcc_lo
	s_branch .LBB306_9
.LBB306_8:                              ;   in Loop: Header=BB306_9 Depth=2
	s_wait_alu 0xfffe
	s_or_b32 exec_lo, exec_lo, s15
	s_wait_loadcnt_dscnt 0x0
	ds_store_b32 v17, v30
	s_wait_dscnt 0x0
	s_barrier_signal -1
	s_barrier_wait -1
	global_inv scope:SCOPE_SE
	ds_load_b128 v[29:32], v19
	ds_load_2addr_b32 v[45:46], v18 offset1:16
	ds_load_b128 v[33:36], v19 offset:512
	ds_load_2addr_b32 v[47:48], v18 offset0:32 offset1:48
	ds_load_2addr_b32 v[49:50], v18 offset0:64 offset1:80
	;; [unrolled: 1-line block ×3, first 2 shown]
	ds_load_b128 v[37:40], v19 offset:16
	ds_load_2addr_b32 v[53:54], v18 offset0:128 offset1:144
	ds_load_b128 v[41:44], v19 offset:528
	v_add_co_u32 v10, vcc_lo, v10, s2
	s_wait_alu 0xfffd
	v_add_co_ci_u32_e64 v11, null, s3, v11, vcc_lo
	v_add_co_u32 v12, vcc_lo, v12, 32
	s_wait_alu 0xfffd
	v_add_co_ci_u32_e64 v13, null, 0, v13, vcc_lo
	s_add_co_i32 s14, s14, 8
	s_wait_alu 0xfffe
	s_cmp_lt_i32 s14, s5
	s_wait_dscnt 0x7
	v_fmac_f32_e32 v27, v46, v29
	v_fmac_f32_e32 v28, v45, v29
	s_wait_dscnt 0x6
	v_fmac_f32_e32 v25, v46, v33
	v_fmac_f32_e32 v26, v45, v33
	ds_load_2addr_b32 v[45:46], v18 offset0:160 offset1:176
	s_wait_dscnt 0x6
	v_fmac_f32_e32 v27, v48, v30
	v_fmac_f32_e32 v28, v47, v30
	v_fmac_f32_e32 v25, v48, v34
	v_fmac_f32_e32 v26, v47, v34
	ds_load_2addr_b32 v[29:30], v18 offset0:192 offset1:208
	s_wait_dscnt 0x6
	v_fmac_f32_e32 v27, v50, v31
	v_fmac_f32_e32 v28, v49, v31
	;; [unrolled: 6-line block ×3, first 2 shown]
	v_fmac_f32_e32 v25, v52, v36
	v_fmac_f32_e32 v26, v51, v36
	s_wait_loadcnt_dscnt 0x0
	v_fmac_f32_e32 v27, v54, v37
	v_fmac_f32_e32 v28, v53, v37
	;; [unrolled: 1-line block ×4, first 2 shown]
	s_barrier_signal -1
	v_fmac_f32_e32 v27, v46, v38
	v_fmac_f32_e32 v28, v45, v38
	;; [unrolled: 1-line block ×4, first 2 shown]
	s_barrier_wait -1
	v_fmac_f32_e32 v27, v30, v39
	v_fmac_f32_e32 v28, v29, v39
	;; [unrolled: 1-line block ×4, first 2 shown]
	global_inv scope:SCOPE_SE
	v_fmac_f32_e32 v27, v34, v40
	v_fmac_f32_e32 v28, v33, v40
	;; [unrolled: 1-line block ×4, first 2 shown]
	s_cbranch_scc0 .LBB306_13
.LBB306_9:                              ;   Parent Loop BB306_6 Depth=1
                                        ; =>  This Inner Loop Header: Depth=2
	s_wait_alu 0xfffe
	v_add_nc_u32_e32 v29, s14, v15
	s_delay_alu instid0(VALU_DEP_1) | instskip(SKIP_2) | instid1(SALU_CYCLE_1)
	v_cmp_gt_i32_e32 vcc_lo, s5, v29
	v_mov_b32_e32 v29, 0
	s_and_b32 s22, s0, vcc_lo
	s_and_saveexec_b32 s15, s22
	s_cbranch_execz .LBB306_11
; %bb.10:                               ;   in Loop: Header=BB306_9 Depth=2
	flat_load_b32 v29, v[10:11]
.LBB306_11:                             ;   in Loop: Header=BB306_9 Depth=2
	s_wait_alu 0xfffe
	s_or_b32 exec_lo, exec_lo, s15
	v_add_nc_u32_e32 v30, s14, v14
	s_wait_loadcnt_dscnt 0x0
	ds_store_b32 v16, v29
	v_cmp_gt_i32_e32 vcc_lo, s5, v30
	v_mov_b32_e32 v30, 0
	s_and_b32 s22, vcc_lo, s1
	s_delay_alu instid0(SALU_CYCLE_1)
	s_and_saveexec_b32 s15, s22
	s_cbranch_execz .LBB306_8
; %bb.12:                               ;   in Loop: Header=BB306_9 Depth=2
	flat_load_b32 v30, v[12:13]
	s_branch .LBB306_8
.LBB306_13:                             ;   in Loop: Header=BB306_6 Depth=1
	s_wait_loadcnt 0x0
	v_add_co_u32 v8, vcc_lo, v8, s8
	s_wait_alu 0xfffd
	v_add_co_ci_u32_e64 v9, null, s9, v9, vcc_lo
	s_delay_alu instid0(VALU_DEP_2) | instskip(SKIP_1) | instid1(VALU_DEP_2)
	v_add_co_u32 v10, vcc_lo, v8, v4
	s_wait_alu 0xfffd
	v_add_co_ci_u32_e64 v11, null, v9, v5, vcc_lo
	s_and_saveexec_b32 s14, s27
	s_cbranch_execz .LBB306_17
; %bb.14:                               ;   in Loop: Header=BB306_6 Depth=1
	v_mul_f32_e32 v12, s6, v28
	s_and_b32 vcc_lo, exec_lo, s26
	s_wait_alu 0xfffe
	s_cbranch_vccz .LBB306_28
; %bb.15:                               ;   in Loop: Header=BB306_6 Depth=1
	v_lshlrev_b64_e32 v[28:29], 2, v[0:1]
	s_delay_alu instid0(VALU_DEP_1) | instskip(SKIP_1) | instid1(VALU_DEP_2)
	v_add_co_u32 v28, vcc_lo, v10, v28
	s_wait_alu 0xfffd
	v_add_co_ci_u32_e64 v29, null, v11, v29, vcc_lo
	flat_load_b32 v13, v[28:29]
	s_wait_loadcnt_dscnt 0x0
	v_fma_f32 v13, s7, v13, v12
	flat_store_b32 v[28:29], v13
	s_cbranch_execnz .LBB306_17
.LBB306_16:                             ;   in Loop: Header=BB306_6 Depth=1
	v_lshlrev_b64_e32 v[28:29], 2, v[0:1]
	s_delay_alu instid0(VALU_DEP_1) | instskip(SKIP_1) | instid1(VALU_DEP_2)
	v_add_co_u32 v28, vcc_lo, v10, v28
	s_wait_alu 0xfffd
	v_add_co_ci_u32_e64 v29, null, v11, v29, vcc_lo
	flat_store_b32 v[28:29], v12
.LBB306_17:                             ;   in Loop: Header=BB306_6 Depth=1
	s_wait_alu 0xfffe
	s_or_b32 exec_lo, exec_lo, s14
	s_and_saveexec_b32 s14, s28
	s_cbranch_execz .LBB306_21
; %bb.18:                               ;   in Loop: Header=BB306_6 Depth=1
	v_mul_f32_e32 v12, s6, v27
	s_and_not1_b32 vcc_lo, exec_lo, s26
	s_wait_alu 0xfffe
	s_cbranch_vccnz .LBB306_29
; %bb.19:                               ;   in Loop: Header=BB306_6 Depth=1
	v_lshlrev_b64_e32 v[27:28], 2, v[2:3]
	s_delay_alu instid0(VALU_DEP_1) | instskip(SKIP_1) | instid1(VALU_DEP_2)
	v_add_co_u32 v27, vcc_lo, v10, v27
	s_wait_alu 0xfffd
	v_add_co_ci_u32_e64 v28, null, v11, v28, vcc_lo
	flat_load_b32 v13, v[27:28]
	s_wait_loadcnt_dscnt 0x0
	v_fma_f32 v13, s7, v13, v12
	flat_store_b32 v[27:28], v13
	s_cbranch_execnz .LBB306_21
.LBB306_20:                             ;   in Loop: Header=BB306_6 Depth=1
	v_lshlrev_b64_e32 v[27:28], 2, v[2:3]
	s_delay_alu instid0(VALU_DEP_1) | instskip(SKIP_1) | instid1(VALU_DEP_2)
	v_add_co_u32 v10, vcc_lo, v10, v27
	s_wait_alu 0xfffd
	v_add_co_ci_u32_e64 v11, null, v11, v28, vcc_lo
	flat_store_b32 v[10:11], v12
.LBB306_21:                             ;   in Loop: Header=BB306_6 Depth=1
	s_wait_alu 0xfffe
	s_or_b32 exec_lo, exec_lo, s14
	v_add_co_u32 v10, vcc_lo, v8, v6
	s_wait_alu 0xfffd
	v_add_co_ci_u32_e64 v11, null, v9, v7, vcc_lo
	s_and_saveexec_b32 s14, s4
	s_cbranch_execz .LBB306_25
; %bb.22:                               ;   in Loop: Header=BB306_6 Depth=1
	v_lshlrev_b64_e32 v[8:9], 2, v[0:1]
	v_mul_f32_e32 v12, s6, v26
	s_and_not1_b32 vcc_lo, exec_lo, s26
	s_wait_alu 0xfffe
	s_cbranch_vccnz .LBB306_30
; %bb.23:                               ;   in Loop: Header=BB306_6 Depth=1
	s_delay_alu instid0(VALU_DEP_2)
	v_add_co_u32 v26, vcc_lo, v10, v8
	s_wait_alu 0xfffd
	v_add_co_ci_u32_e64 v27, null, v11, v9, vcc_lo
	flat_load_b32 v13, v[26:27]
	s_wait_loadcnt_dscnt 0x0
	v_fma_f32 v13, s7, v13, v12
	flat_store_b32 v[26:27], v13
	s_cbranch_execnz .LBB306_25
.LBB306_24:                             ;   in Loop: Header=BB306_6 Depth=1
	v_add_co_u32 v8, vcc_lo, v10, v8
	s_wait_alu 0xfffd
	v_add_co_ci_u32_e64 v9, null, v11, v9, vcc_lo
	flat_store_b32 v[8:9], v12
.LBB306_25:                             ;   in Loop: Header=BB306_6 Depth=1
	s_wait_alu 0xfffe
	s_or_b32 exec_lo, exec_lo, s14
	s_and_saveexec_b32 s14, s24
	s_cbranch_execz .LBB306_5
; %bb.26:                               ;   in Loop: Header=BB306_6 Depth=1
	v_lshlrev_b64_e32 v[8:9], 2, v[2:3]
	v_mul_f32_e32 v12, s6, v25
	s_and_not1_b32 vcc_lo, exec_lo, s26
	s_wait_alu 0xfffe
	s_cbranch_vccnz .LBB306_31
; %bb.27:                               ;   in Loop: Header=BB306_6 Depth=1
	s_delay_alu instid0(VALU_DEP_2)
	v_add_co_u32 v25, vcc_lo, v10, v8
	s_wait_alu 0xfffd
	v_add_co_ci_u32_e64 v26, null, v11, v9, vcc_lo
	flat_load_b32 v13, v[25:26]
	s_wait_loadcnt_dscnt 0x0
	v_fma_f32 v13, s7, v13, v12
	flat_store_b32 v[25:26], v13
	s_cbranch_execnz .LBB306_5
	s_branch .LBB306_32
.LBB306_28:                             ;   in Loop: Header=BB306_6 Depth=1
	s_branch .LBB306_16
.LBB306_29:                             ;   in Loop: Header=BB306_6 Depth=1
	s_branch .LBB306_20
.LBB306_30:                             ;   in Loop: Header=BB306_6 Depth=1
	s_branch .LBB306_24
.LBB306_31:                             ;   in Loop: Header=BB306_6 Depth=1
.LBB306_32:                             ;   in Loop: Header=BB306_6 Depth=1
	s_delay_alu instid0(VALU_DEP_2)
	v_add_co_u32 v8, vcc_lo, v10, v8
	s_wait_alu 0xfffd
	v_add_co_ci_u32_e64 v9, null, v11, v9, vcc_lo
	flat_store_b32 v[8:9], v12
	s_branch .LBB306_5
.LBB306_33:
	s_endpgm
	.section	.rodata,"a",@progbits
	.p2align	6, 0x0
	.amdhsa_kernel _ZL29rocblas_internal_gemmt_kernelIiLi16ELi32ELi8ELc78ELc78ELc85ELb0ELb0EffPKPKfPKPfEviT_T9_T10_S7_lS9_S7_lS8_T11_S7_li
		.amdhsa_group_segment_fixed_size 2048
		.amdhsa_private_segment_fixed_size 0
		.amdhsa_kernarg_size 100
		.amdhsa_user_sgpr_count 2
		.amdhsa_user_sgpr_dispatch_ptr 0
		.amdhsa_user_sgpr_queue_ptr 0
		.amdhsa_user_sgpr_kernarg_segment_ptr 1
		.amdhsa_user_sgpr_dispatch_id 0
		.amdhsa_user_sgpr_private_segment_size 0
		.amdhsa_wavefront_size32 1
		.amdhsa_uses_dynamic_stack 0
		.amdhsa_enable_private_segment 0
		.amdhsa_system_sgpr_workgroup_id_x 1
		.amdhsa_system_sgpr_workgroup_id_y 1
		.amdhsa_system_sgpr_workgroup_id_z 1
		.amdhsa_system_sgpr_workgroup_info 0
		.amdhsa_system_vgpr_workitem_id 1
		.amdhsa_next_free_vgpr 55
		.amdhsa_next_free_sgpr 34
		.amdhsa_reserve_vcc 1
		.amdhsa_float_round_mode_32 0
		.amdhsa_float_round_mode_16_64 0
		.amdhsa_float_denorm_mode_32 3
		.amdhsa_float_denorm_mode_16_64 3
		.amdhsa_fp16_overflow 0
		.amdhsa_workgroup_processor_mode 1
		.amdhsa_memory_ordered 1
		.amdhsa_forward_progress 1
		.amdhsa_inst_pref_size 15
		.amdhsa_round_robin_scheduling 0
		.amdhsa_exception_fp_ieee_invalid_op 0
		.amdhsa_exception_fp_denorm_src 0
		.amdhsa_exception_fp_ieee_div_zero 0
		.amdhsa_exception_fp_ieee_overflow 0
		.amdhsa_exception_fp_ieee_underflow 0
		.amdhsa_exception_fp_ieee_inexact 0
		.amdhsa_exception_int_div_zero 0
	.end_amdhsa_kernel
	.section	.text._ZL29rocblas_internal_gemmt_kernelIiLi16ELi32ELi8ELc78ELc78ELc85ELb0ELb0EffPKPKfPKPfEviT_T9_T10_S7_lS9_S7_lS8_T11_S7_li,"axG",@progbits,_ZL29rocblas_internal_gemmt_kernelIiLi16ELi32ELi8ELc78ELc78ELc85ELb0ELb0EffPKPKfPKPfEviT_T9_T10_S7_lS9_S7_lS8_T11_S7_li,comdat
.Lfunc_end306:
	.size	_ZL29rocblas_internal_gemmt_kernelIiLi16ELi32ELi8ELc78ELc78ELc85ELb0ELb0EffPKPKfPKPfEviT_T9_T10_S7_lS9_S7_lS8_T11_S7_li, .Lfunc_end306-_ZL29rocblas_internal_gemmt_kernelIiLi16ELi32ELi8ELc78ELc78ELc85ELb0ELb0EffPKPKfPKPfEviT_T9_T10_S7_lS9_S7_lS8_T11_S7_li
                                        ; -- End function
	.set _ZL29rocblas_internal_gemmt_kernelIiLi16ELi32ELi8ELc78ELc78ELc85ELb0ELb0EffPKPKfPKPfEviT_T9_T10_S7_lS9_S7_lS8_T11_S7_li.num_vgpr, 55
	.set _ZL29rocblas_internal_gemmt_kernelIiLi16ELi32ELi8ELc78ELc78ELc85ELb0ELb0EffPKPKfPKPfEviT_T9_T10_S7_lS9_S7_lS8_T11_S7_li.num_agpr, 0
	.set _ZL29rocblas_internal_gemmt_kernelIiLi16ELi32ELi8ELc78ELc78ELc85ELb0ELb0EffPKPKfPKPfEviT_T9_T10_S7_lS9_S7_lS8_T11_S7_li.numbered_sgpr, 34
	.set _ZL29rocblas_internal_gemmt_kernelIiLi16ELi32ELi8ELc78ELc78ELc85ELb0ELb0EffPKPKfPKPfEviT_T9_T10_S7_lS9_S7_lS8_T11_S7_li.num_named_barrier, 0
	.set _ZL29rocblas_internal_gemmt_kernelIiLi16ELi32ELi8ELc78ELc78ELc85ELb0ELb0EffPKPKfPKPfEviT_T9_T10_S7_lS9_S7_lS8_T11_S7_li.private_seg_size, 0
	.set _ZL29rocblas_internal_gemmt_kernelIiLi16ELi32ELi8ELc78ELc78ELc85ELb0ELb0EffPKPKfPKPfEviT_T9_T10_S7_lS9_S7_lS8_T11_S7_li.uses_vcc, 1
	.set _ZL29rocblas_internal_gemmt_kernelIiLi16ELi32ELi8ELc78ELc78ELc85ELb0ELb0EffPKPKfPKPfEviT_T9_T10_S7_lS9_S7_lS8_T11_S7_li.uses_flat_scratch, 0
	.set _ZL29rocblas_internal_gemmt_kernelIiLi16ELi32ELi8ELc78ELc78ELc85ELb0ELb0EffPKPKfPKPfEviT_T9_T10_S7_lS9_S7_lS8_T11_S7_li.has_dyn_sized_stack, 0
	.set _ZL29rocblas_internal_gemmt_kernelIiLi16ELi32ELi8ELc78ELc78ELc85ELb0ELb0EffPKPKfPKPfEviT_T9_T10_S7_lS9_S7_lS8_T11_S7_li.has_recursion, 0
	.set _ZL29rocblas_internal_gemmt_kernelIiLi16ELi32ELi8ELc78ELc78ELc85ELb0ELb0EffPKPKfPKPfEviT_T9_T10_S7_lS9_S7_lS8_T11_S7_li.has_indirect_call, 0
	.section	.AMDGPU.csdata,"",@progbits
; Kernel info:
; codeLenInByte = 1884
; TotalNumSgprs: 36
; NumVgprs: 55
; ScratchSize: 0
; MemoryBound: 0
; FloatMode: 240
; IeeeMode: 1
; LDSByteSize: 2048 bytes/workgroup (compile time only)
; SGPRBlocks: 0
; VGPRBlocks: 6
; NumSGPRsForWavesPerEU: 36
; NumVGPRsForWavesPerEU: 55
; Occupancy: 16
; WaveLimiterHint : 1
; COMPUTE_PGM_RSRC2:SCRATCH_EN: 0
; COMPUTE_PGM_RSRC2:USER_SGPR: 2
; COMPUTE_PGM_RSRC2:TRAP_HANDLER: 0
; COMPUTE_PGM_RSRC2:TGID_X_EN: 1
; COMPUTE_PGM_RSRC2:TGID_Y_EN: 1
; COMPUTE_PGM_RSRC2:TGID_Z_EN: 1
; COMPUTE_PGM_RSRC2:TIDIG_COMP_CNT: 1
	.section	.text._ZL29rocblas_internal_gemmt_kernelIiLi16ELi32ELi8ELc78ELc84ELc85ELb0ELb0EffPKPKfPKPfEviT_T9_T10_S7_lS9_S7_lS8_T11_S7_li,"axG",@progbits,_ZL29rocblas_internal_gemmt_kernelIiLi16ELi32ELi8ELc78ELc84ELc85ELb0ELb0EffPKPKfPKPfEviT_T9_T10_S7_lS9_S7_lS8_T11_S7_li,comdat
	.globl	_ZL29rocblas_internal_gemmt_kernelIiLi16ELi32ELi8ELc78ELc84ELc85ELb0ELb0EffPKPKfPKPfEviT_T9_T10_S7_lS9_S7_lS8_T11_S7_li ; -- Begin function _ZL29rocblas_internal_gemmt_kernelIiLi16ELi32ELi8ELc78ELc84ELc85ELb0ELb0EffPKPKfPKPfEviT_T9_T10_S7_lS9_S7_lS8_T11_S7_li
	.p2align	8
	.type	_ZL29rocblas_internal_gemmt_kernelIiLi16ELi32ELi8ELc78ELc84ELc85ELb0ELb0EffPKPKfPKPfEviT_T9_T10_S7_lS9_S7_lS8_T11_S7_li,@function
_ZL29rocblas_internal_gemmt_kernelIiLi16ELi32ELi8ELc78ELc84ELc85ELb0ELb0EffPKPKfPKPfEviT_T9_T10_S7_lS9_S7_lS8_T11_S7_li: ; @_ZL29rocblas_internal_gemmt_kernelIiLi16ELi32ELi8ELc78ELc84ELc85ELb0ELb0EffPKPKfPKPfEviT_T9_T10_S7_lS9_S7_lS8_T11_S7_li
; %bb.0:
	s_clause 0x1
	s_load_b32 s7, s[0:1], 0x40
	s_load_b96 s[4:6], s[0:1], 0x0
	s_wait_kmcnt 0x0
	s_cmp_neq_f32 s7, 1.0
	s_cselect_b32 s2, -1, 0
	s_delay_alu instid0(SALU_CYCLE_1)
	s_and_b32 vcc_lo, exec_lo, s2
	s_cbranch_vccnz .LBB307_2
; %bb.1:
	s_cmp_lg_u32 s5, 0
	s_cselect_b32 s2, -1, 0
	s_cmp_neq_f32 s6, 0
	s_cselect_b32 s3, -1, 0
	s_delay_alu instid0(SALU_CYCLE_1)
	s_and_b32 s2, s2, s3
.LBB307_2:
	s_delay_alu instid0(SALU_CYCLE_1)
	s_and_not1_b32 vcc_lo, exec_lo, s2
	s_cbranch_vccnz .LBB307_33
; %bb.3:
	s_load_b32 s28, s[0:1], 0x60
	s_lshr_b32 s20, ttmp7, 16
	s_wait_kmcnt 0x0
	s_cmp_ge_u32 s20, s28
	s_cbranch_scc1 .LBB307_33
; %bb.4:
	s_clause 0x1
	s_load_b96 s[12:14], s[0:1], 0x10
	s_load_b32 s22, s[0:1], 0x30
	v_and_b32_e32 v1, 0x3ff, v0
	v_bfe_u32 v2, v0, 10, 10
	v_and_b32_e32 v14, 7, v0
	s_clause 0x3
	s_load_b128 s[8:11], s[0:1], 0x20
	s_load_b64 s[26:27], s[0:1], 0x38
	s_load_b96 s[16:18], s[0:1], 0x48
	s_load_b64 s[24:25], s[0:1], 0x58
	s_lshl_b32 s0, ttmp7, 5
	v_lshl_add_u32 v0, v2, 4, v1
	v_lshlrev_b32_e32 v5, 2, v14
	s_lshl_b32 s2, ttmp9, 5
	s_and_b32 s3, s0, 0x1fffe0
	v_lshl_add_u32 v19, v2, 5, 0x400
	v_and_b32_e32 v3, 31, v0
	v_lshrrev_b32_e32 v15, 5, v0
	v_lshrrev_b32_e32 v0, 3, v0
	s_mov_b32 s21, 0
	s_delay_alu instid0(VALU_DEP_3) | instskip(SKIP_1) | instid1(VALU_DEP_3)
	v_or_b32_e32 v4, s2, v3
	v_lshlrev_b32_e32 v3, 2, v3
	v_add_nc_u32_e32 v22, s3, v0
	v_lshl_or_b32 v0, v0, 5, v5
	s_wait_kmcnt 0x0
	s_ashr_i32 s35, s14, 31
	s_ashr_i32 s23, s22, 31
	s_cmp_neq_f32 s6, 0
	v_lshl_or_b32 v16, v15, 7, v3
	v_add_nc_u32_e32 v17, 0x400, v0
	v_add_nc_u32_e32 v3, s3, v2
	;; [unrolled: 1-line block ×3, first 2 shown]
	s_cselect_b32 s15, -1, 0
	s_cmp_gt_i32 s5, 0
	v_mad_co_i64_i32 v[8:9], null, v15, s14, 0
	v_cmp_gt_i32_e32 vcc_lo, s4, v3
	v_cmp_le_i32_e64 s2, v0, v3
	v_add_nc_u32_e32 v2, 16, v0
	s_cselect_b32 s19, -1, 0
	s_cmp_neq_f32 s7, 0
	v_add_nc_u32_e32 v5, 16, v3
	v_cmp_gt_i32_e64 s0, s4, v4
	v_cmp_gt_i32_e64 s1, s4, v22
	s_cselect_b32 s29, -1, 0
	s_and_b32 s30, vcc_lo, s2
	v_cmp_le_i32_e64 s2, v2, v3
	v_cmp_gt_i32_e64 s3, s4, v5
	v_cmp_le_i32_e64 s4, v0, v5
	v_lshlrev_b64_e32 v[8:9], 2, v[8:9]
	v_mad_co_i64_i32 v[12:13], null, s22, v14, 0
	s_and_b32 s31, vcc_lo, s2
	v_cmp_le_i32_e32 vcc_lo, v2, v5
	v_mad_co_i64_i32 v[10:11], null, v5, s18, 0
	v_ashrrev_i32_e32 v5, 31, v4
	s_and_b32 s4, s3, s4
	s_and_b32 s33, s3, vcc_lo
	s_lshl_b64 s[2:3], s[8:9], 2
	v_mad_co_i64_i32 v[6:7], null, v3, s18, 0
	v_lshlrev_b64_e32 v[4:5], 2, v[4:5]
	s_wait_alu 0xfffe
	v_add_co_u32 v20, vcc_lo, v8, s2
	s_delay_alu instid0(VALU_DEP_1) | instskip(SKIP_1) | instid1(VALU_DEP_3)
	v_add_co_ci_u32_e64 v21, null, s3, v9, vcc_lo
	v_lshlrev_b64_e32 v[8:9], 2, v[12:13]
	v_add_co_u32 v20, vcc_lo, v20, v4
	s_lshl_b64 s[2:3], s[26:27], 2
	s_wait_alu 0xfffd
	v_add_co_ci_u32_e64 v21, null, v21, v5, vcc_lo
	v_lshlrev_b32_e32 v4, 2, v22
	s_wait_alu 0xfffe
	v_add_co_u32 v5, vcc_lo, v8, s2
	s_wait_alu 0xfffd
	v_add_co_ci_u32_e64 v8, null, s3, v9, vcc_lo
	v_ashrrev_i32_e32 v3, 31, v2
	s_delay_alu instid0(VALU_DEP_3)
	v_add_co_u32 v23, vcc_lo, v5, v4
	v_lshlrev_b64_e32 v[4:5], 2, v[6:7]
	v_lshlrev_b64_e32 v[6:7], 2, v[10:11]
	v_mov_b32_e32 v22, 0
	v_lshlrev_b32_e32 v18, 2, v1
	v_ashrrev_i32_e32 v1, 31, v0
	s_wait_alu 0xfffd
	v_add_co_ci_u32_e64 v24, null, 0, v8, vcc_lo
	s_mov_b32 s34, s14
	s_and_b32 s26, s15, s19
	s_lshl_b64 s[2:3], s[34:35], 5
	s_lshl_b64 s[8:9], s[22:23], 5
	;; [unrolled: 1-line block ×3, first 2 shown]
	s_branch .LBB307_6
.LBB307_5:                              ;   in Loop: Header=BB307_6 Depth=1
	s_wait_alu 0xfffe
	s_or_b32 exec_lo, exec_lo, s18
	s_add_co_i32 s20, s20, 0x10000
	s_delay_alu instid0(SALU_CYCLE_1)
	s_cmp_lt_u32 s20, s28
	s_cbranch_scc0 .LBB307_33
.LBB307_6:                              ; =>This Loop Header: Depth=1
                                        ;     Child Loop BB307_9 Depth 2
	s_lshl_b64 s[18:19], s[20:21], 3
	v_dual_mov_b32 v28, 0 :: v_dual_mov_b32 v27, 0
	s_wait_alu 0xfffe
	s_add_nc_u64 s[22:23], s[16:17], s[18:19]
	v_dual_mov_b32 v26, 0 :: v_dual_mov_b32 v25, 0
	global_load_b64 v[8:9], v22, s[22:23]
	s_and_not1_b32 vcc_lo, exec_lo, s26
	s_wait_alu 0xfffe
	s_cbranch_vccnz .LBB307_13
; %bb.7:                                ;   in Loop: Header=BB307_6 Depth=1
	s_add_nc_u64 s[22:23], s[12:13], s[18:19]
	s_add_nc_u64 s[18:19], s[10:11], s[18:19]
	s_clause 0x1
	global_load_b64 v[10:11], v22, s[22:23]
	global_load_b64 v[12:13], v22, s[18:19]
	v_dual_mov_b32 v25, 0 :: v_dual_mov_b32 v26, 0
	v_dual_mov_b32 v27, 0 :: v_dual_mov_b32 v28, 0
	s_mov_b32 s18, 0
	s_wait_loadcnt 0x1
	v_add_co_u32 v10, vcc_lo, v10, v20
	s_wait_alu 0xfffd
	v_add_co_ci_u32_e64 v11, null, v11, v21, vcc_lo
	s_wait_loadcnt 0x0
	v_add_co_u32 v12, vcc_lo, v12, v23
	s_wait_alu 0xfffd
	v_add_co_ci_u32_e64 v13, null, v13, v24, vcc_lo
	s_branch .LBB307_9
.LBB307_8:                              ;   in Loop: Header=BB307_9 Depth=2
	s_wait_alu 0xfffe
	s_or_b32 exec_lo, exec_lo, s19
	s_wait_loadcnt_dscnt 0x0
	ds_store_b32 v17, v30
	s_wait_dscnt 0x0
	s_barrier_signal -1
	s_barrier_wait -1
	global_inv scope:SCOPE_SE
	ds_load_b128 v[29:32], v19
	ds_load_2addr_b32 v[45:46], v18 offset1:16
	ds_load_b128 v[33:36], v19 offset:512
	ds_load_2addr_b32 v[47:48], v18 offset0:32 offset1:48
	ds_load_2addr_b32 v[49:50], v18 offset0:64 offset1:80
	;; [unrolled: 1-line block ×3, first 2 shown]
	ds_load_b128 v[37:40], v19 offset:16
	ds_load_2addr_b32 v[53:54], v18 offset0:128 offset1:144
	ds_load_b128 v[41:44], v19 offset:528
	v_add_co_u32 v10, vcc_lo, v10, s2
	s_wait_alu 0xfffd
	v_add_co_ci_u32_e64 v11, null, s3, v11, vcc_lo
	v_add_co_u32 v12, vcc_lo, v12, s8
	s_wait_alu 0xfffd
	v_add_co_ci_u32_e64 v13, null, s9, v13, vcc_lo
	s_add_co_i32 s18, s18, 8
	s_wait_alu 0xfffe
	s_cmp_lt_i32 s18, s5
	s_wait_dscnt 0x7
	v_fmac_f32_e32 v27, v46, v29
	v_fmac_f32_e32 v28, v45, v29
	s_wait_dscnt 0x6
	v_fmac_f32_e32 v25, v46, v33
	v_fmac_f32_e32 v26, v45, v33
	ds_load_2addr_b32 v[45:46], v18 offset0:160 offset1:176
	s_wait_dscnt 0x6
	v_fmac_f32_e32 v27, v48, v30
	v_fmac_f32_e32 v28, v47, v30
	v_fmac_f32_e32 v25, v48, v34
	v_fmac_f32_e32 v26, v47, v34
	ds_load_2addr_b32 v[29:30], v18 offset0:192 offset1:208
	s_wait_dscnt 0x6
	v_fmac_f32_e32 v27, v50, v31
	v_fmac_f32_e32 v28, v49, v31
	v_fmac_f32_e32 v25, v50, v35
	v_fmac_f32_e32 v26, v49, v35
	ds_load_2addr_b32 v[33:34], v18 offset0:224 offset1:240
	s_wait_dscnt 0x6
	v_fmac_f32_e32 v27, v52, v32
	v_fmac_f32_e32 v28, v51, v32
	v_fmac_f32_e32 v25, v52, v36
	v_fmac_f32_e32 v26, v51, v36
	s_wait_loadcnt_dscnt 0x0
	v_fmac_f32_e32 v27, v54, v37
	v_fmac_f32_e32 v28, v53, v37
	;; [unrolled: 1-line block ×4, first 2 shown]
	s_barrier_signal -1
	v_fmac_f32_e32 v27, v46, v38
	v_fmac_f32_e32 v28, v45, v38
	;; [unrolled: 1-line block ×4, first 2 shown]
	s_barrier_wait -1
	v_fmac_f32_e32 v27, v30, v39
	v_fmac_f32_e32 v28, v29, v39
	;; [unrolled: 1-line block ×4, first 2 shown]
	global_inv scope:SCOPE_SE
	v_fmac_f32_e32 v27, v34, v40
	v_fmac_f32_e32 v28, v33, v40
	;; [unrolled: 1-line block ×4, first 2 shown]
	s_cbranch_scc0 .LBB307_13
.LBB307_9:                              ;   Parent Loop BB307_6 Depth=1
                                        ; =>  This Inner Loop Header: Depth=2
	s_wait_alu 0xfffe
	v_add_nc_u32_e32 v29, s18, v15
	s_delay_alu instid0(VALU_DEP_1)
	v_cmp_gt_i32_e32 vcc_lo, s5, v29
	v_mov_b32_e32 v29, 0
	s_and_b32 s22, s0, vcc_lo
	s_wait_alu 0xfffe
	s_and_saveexec_b32 s19, s22
	s_cbranch_execz .LBB307_11
; %bb.10:                               ;   in Loop: Header=BB307_9 Depth=2
	flat_load_b32 v29, v[10:11]
.LBB307_11:                             ;   in Loop: Header=BB307_9 Depth=2
	s_wait_alu 0xfffe
	s_or_b32 exec_lo, exec_lo, s19
	v_add_nc_u32_e32 v30, s18, v14
	s_wait_loadcnt_dscnt 0x0
	ds_store_b32 v16, v29
	v_cmp_gt_i32_e32 vcc_lo, s5, v30
	v_mov_b32_e32 v30, 0
	s_and_b32 s22, vcc_lo, s1
	s_wait_alu 0xfffe
	s_and_saveexec_b32 s19, s22
	s_cbranch_execz .LBB307_8
; %bb.12:                               ;   in Loop: Header=BB307_9 Depth=2
	flat_load_b32 v30, v[12:13]
	s_branch .LBB307_8
.LBB307_13:                             ;   in Loop: Header=BB307_6 Depth=1
	s_wait_loadcnt 0x0
	v_add_co_u32 v8, vcc_lo, v8, s14
	s_wait_alu 0xfffd
	v_add_co_ci_u32_e64 v9, null, s15, v9, vcc_lo
	s_delay_alu instid0(VALU_DEP_2) | instskip(SKIP_1) | instid1(VALU_DEP_2)
	v_add_co_u32 v10, vcc_lo, v8, v4
	s_wait_alu 0xfffd
	v_add_co_ci_u32_e64 v11, null, v9, v5, vcc_lo
	s_and_saveexec_b32 s18, s30
	s_cbranch_execz .LBB307_17
; %bb.14:                               ;   in Loop: Header=BB307_6 Depth=1
	v_mul_f32_e32 v12, s6, v28
	s_and_b32 vcc_lo, exec_lo, s29
	s_wait_alu 0xfffe
	s_cbranch_vccz .LBB307_28
; %bb.15:                               ;   in Loop: Header=BB307_6 Depth=1
	v_lshlrev_b64_e32 v[28:29], 2, v[0:1]
	s_delay_alu instid0(VALU_DEP_1) | instskip(SKIP_1) | instid1(VALU_DEP_2)
	v_add_co_u32 v28, vcc_lo, v10, v28
	s_wait_alu 0xfffd
	v_add_co_ci_u32_e64 v29, null, v11, v29, vcc_lo
	flat_load_b32 v13, v[28:29]
	s_wait_loadcnt_dscnt 0x0
	v_fma_f32 v13, s7, v13, v12
	flat_store_b32 v[28:29], v13
	s_cbranch_execnz .LBB307_17
.LBB307_16:                             ;   in Loop: Header=BB307_6 Depth=1
	v_lshlrev_b64_e32 v[28:29], 2, v[0:1]
	s_delay_alu instid0(VALU_DEP_1) | instskip(SKIP_1) | instid1(VALU_DEP_2)
	v_add_co_u32 v28, vcc_lo, v10, v28
	s_wait_alu 0xfffd
	v_add_co_ci_u32_e64 v29, null, v11, v29, vcc_lo
	flat_store_b32 v[28:29], v12
.LBB307_17:                             ;   in Loop: Header=BB307_6 Depth=1
	s_wait_alu 0xfffe
	s_or_b32 exec_lo, exec_lo, s18
	s_and_saveexec_b32 s18, s31
	s_cbranch_execz .LBB307_21
; %bb.18:                               ;   in Loop: Header=BB307_6 Depth=1
	v_mul_f32_e32 v12, s6, v27
	s_and_not1_b32 vcc_lo, exec_lo, s29
	s_wait_alu 0xfffe
	s_cbranch_vccnz .LBB307_29
; %bb.19:                               ;   in Loop: Header=BB307_6 Depth=1
	v_lshlrev_b64_e32 v[27:28], 2, v[2:3]
	s_delay_alu instid0(VALU_DEP_1) | instskip(SKIP_1) | instid1(VALU_DEP_2)
	v_add_co_u32 v27, vcc_lo, v10, v27
	s_wait_alu 0xfffd
	v_add_co_ci_u32_e64 v28, null, v11, v28, vcc_lo
	flat_load_b32 v13, v[27:28]
	s_wait_loadcnt_dscnt 0x0
	v_fma_f32 v13, s7, v13, v12
	flat_store_b32 v[27:28], v13
	s_cbranch_execnz .LBB307_21
.LBB307_20:                             ;   in Loop: Header=BB307_6 Depth=1
	v_lshlrev_b64_e32 v[27:28], 2, v[2:3]
	s_delay_alu instid0(VALU_DEP_1) | instskip(SKIP_1) | instid1(VALU_DEP_2)
	v_add_co_u32 v10, vcc_lo, v10, v27
	s_wait_alu 0xfffd
	v_add_co_ci_u32_e64 v11, null, v11, v28, vcc_lo
	flat_store_b32 v[10:11], v12
.LBB307_21:                             ;   in Loop: Header=BB307_6 Depth=1
	s_wait_alu 0xfffe
	s_or_b32 exec_lo, exec_lo, s18
	v_add_co_u32 v10, vcc_lo, v8, v6
	s_wait_alu 0xfffd
	v_add_co_ci_u32_e64 v11, null, v9, v7, vcc_lo
	s_and_saveexec_b32 s18, s4
	s_cbranch_execz .LBB307_25
; %bb.22:                               ;   in Loop: Header=BB307_6 Depth=1
	v_lshlrev_b64_e32 v[8:9], 2, v[0:1]
	v_mul_f32_e32 v12, s6, v26
	s_and_not1_b32 vcc_lo, exec_lo, s29
	s_wait_alu 0xfffe
	s_cbranch_vccnz .LBB307_30
; %bb.23:                               ;   in Loop: Header=BB307_6 Depth=1
	s_delay_alu instid0(VALU_DEP_2)
	v_add_co_u32 v26, vcc_lo, v10, v8
	s_wait_alu 0xfffd
	v_add_co_ci_u32_e64 v27, null, v11, v9, vcc_lo
	flat_load_b32 v13, v[26:27]
	s_wait_loadcnt_dscnt 0x0
	v_fma_f32 v13, s7, v13, v12
	flat_store_b32 v[26:27], v13
	s_cbranch_execnz .LBB307_25
.LBB307_24:                             ;   in Loop: Header=BB307_6 Depth=1
	v_add_co_u32 v8, vcc_lo, v10, v8
	s_wait_alu 0xfffd
	v_add_co_ci_u32_e64 v9, null, v11, v9, vcc_lo
	flat_store_b32 v[8:9], v12
.LBB307_25:                             ;   in Loop: Header=BB307_6 Depth=1
	s_wait_alu 0xfffe
	s_or_b32 exec_lo, exec_lo, s18
	s_and_saveexec_b32 s18, s33
	s_cbranch_execz .LBB307_5
; %bb.26:                               ;   in Loop: Header=BB307_6 Depth=1
	v_lshlrev_b64_e32 v[8:9], 2, v[2:3]
	v_mul_f32_e32 v12, s6, v25
	s_and_not1_b32 vcc_lo, exec_lo, s29
	s_wait_alu 0xfffe
	s_cbranch_vccnz .LBB307_31
; %bb.27:                               ;   in Loop: Header=BB307_6 Depth=1
	s_delay_alu instid0(VALU_DEP_2)
	v_add_co_u32 v25, vcc_lo, v10, v8
	s_wait_alu 0xfffd
	v_add_co_ci_u32_e64 v26, null, v11, v9, vcc_lo
	flat_load_b32 v13, v[25:26]
	s_wait_loadcnt_dscnt 0x0
	v_fma_f32 v13, s7, v13, v12
	flat_store_b32 v[25:26], v13
	s_cbranch_execnz .LBB307_5
	s_branch .LBB307_32
.LBB307_28:                             ;   in Loop: Header=BB307_6 Depth=1
	s_branch .LBB307_16
.LBB307_29:                             ;   in Loop: Header=BB307_6 Depth=1
	s_branch .LBB307_20
.LBB307_30:                             ;   in Loop: Header=BB307_6 Depth=1
	s_branch .LBB307_24
.LBB307_31:                             ;   in Loop: Header=BB307_6 Depth=1
.LBB307_32:                             ;   in Loop: Header=BB307_6 Depth=1
	s_delay_alu instid0(VALU_DEP_2)
	v_add_co_u32 v8, vcc_lo, v10, v8
	s_wait_alu 0xfffd
	v_add_co_ci_u32_e64 v9, null, v11, v9, vcc_lo
	flat_store_b32 v[8:9], v12
	s_branch .LBB307_5
.LBB307_33:
	s_endpgm
	.section	.rodata,"a",@progbits
	.p2align	6, 0x0
	.amdhsa_kernel _ZL29rocblas_internal_gemmt_kernelIiLi16ELi32ELi8ELc78ELc84ELc85ELb0ELb0EffPKPKfPKPfEviT_T9_T10_S7_lS9_S7_lS8_T11_S7_li
		.amdhsa_group_segment_fixed_size 2048
		.amdhsa_private_segment_fixed_size 0
		.amdhsa_kernarg_size 100
		.amdhsa_user_sgpr_count 2
		.amdhsa_user_sgpr_dispatch_ptr 0
		.amdhsa_user_sgpr_queue_ptr 0
		.amdhsa_user_sgpr_kernarg_segment_ptr 1
		.amdhsa_user_sgpr_dispatch_id 0
		.amdhsa_user_sgpr_private_segment_size 0
		.amdhsa_wavefront_size32 1
		.amdhsa_uses_dynamic_stack 0
		.amdhsa_enable_private_segment 0
		.amdhsa_system_sgpr_workgroup_id_x 1
		.amdhsa_system_sgpr_workgroup_id_y 1
		.amdhsa_system_sgpr_workgroup_id_z 1
		.amdhsa_system_sgpr_workgroup_info 0
		.amdhsa_system_vgpr_workitem_id 1
		.amdhsa_next_free_vgpr 55
		.amdhsa_next_free_sgpr 36
		.amdhsa_reserve_vcc 1
		.amdhsa_float_round_mode_32 0
		.amdhsa_float_round_mode_16_64 0
		.amdhsa_float_denorm_mode_32 3
		.amdhsa_float_denorm_mode_16_64 3
		.amdhsa_fp16_overflow 0
		.amdhsa_workgroup_processor_mode 1
		.amdhsa_memory_ordered 1
		.amdhsa_forward_progress 1
		.amdhsa_inst_pref_size 15
		.amdhsa_round_robin_scheduling 0
		.amdhsa_exception_fp_ieee_invalid_op 0
		.amdhsa_exception_fp_denorm_src 0
		.amdhsa_exception_fp_ieee_div_zero 0
		.amdhsa_exception_fp_ieee_overflow 0
		.amdhsa_exception_fp_ieee_underflow 0
		.amdhsa_exception_fp_ieee_inexact 0
		.amdhsa_exception_int_div_zero 0
	.end_amdhsa_kernel
	.section	.text._ZL29rocblas_internal_gemmt_kernelIiLi16ELi32ELi8ELc78ELc84ELc85ELb0ELb0EffPKPKfPKPfEviT_T9_T10_S7_lS9_S7_lS8_T11_S7_li,"axG",@progbits,_ZL29rocblas_internal_gemmt_kernelIiLi16ELi32ELi8ELc78ELc84ELc85ELb0ELb0EffPKPKfPKPfEviT_T9_T10_S7_lS9_S7_lS8_T11_S7_li,comdat
.Lfunc_end307:
	.size	_ZL29rocblas_internal_gemmt_kernelIiLi16ELi32ELi8ELc78ELc84ELc85ELb0ELb0EffPKPKfPKPfEviT_T9_T10_S7_lS9_S7_lS8_T11_S7_li, .Lfunc_end307-_ZL29rocblas_internal_gemmt_kernelIiLi16ELi32ELi8ELc78ELc84ELc85ELb0ELb0EffPKPKfPKPfEviT_T9_T10_S7_lS9_S7_lS8_T11_S7_li
                                        ; -- End function
	.set _ZL29rocblas_internal_gemmt_kernelIiLi16ELi32ELi8ELc78ELc84ELc85ELb0ELb0EffPKPKfPKPfEviT_T9_T10_S7_lS9_S7_lS8_T11_S7_li.num_vgpr, 55
	.set _ZL29rocblas_internal_gemmt_kernelIiLi16ELi32ELi8ELc78ELc84ELc85ELb0ELb0EffPKPKfPKPfEviT_T9_T10_S7_lS9_S7_lS8_T11_S7_li.num_agpr, 0
	.set _ZL29rocblas_internal_gemmt_kernelIiLi16ELi32ELi8ELc78ELc84ELc85ELb0ELb0EffPKPKfPKPfEviT_T9_T10_S7_lS9_S7_lS8_T11_S7_li.numbered_sgpr, 36
	.set _ZL29rocblas_internal_gemmt_kernelIiLi16ELi32ELi8ELc78ELc84ELc85ELb0ELb0EffPKPKfPKPfEviT_T9_T10_S7_lS9_S7_lS8_T11_S7_li.num_named_barrier, 0
	.set _ZL29rocblas_internal_gemmt_kernelIiLi16ELi32ELi8ELc78ELc84ELc85ELb0ELb0EffPKPKfPKPfEviT_T9_T10_S7_lS9_S7_lS8_T11_S7_li.private_seg_size, 0
	.set _ZL29rocblas_internal_gemmt_kernelIiLi16ELi32ELi8ELc78ELc84ELc85ELb0ELb0EffPKPKfPKPfEviT_T9_T10_S7_lS9_S7_lS8_T11_S7_li.uses_vcc, 1
	.set _ZL29rocblas_internal_gemmt_kernelIiLi16ELi32ELi8ELc78ELc84ELc85ELb0ELb0EffPKPKfPKPfEviT_T9_T10_S7_lS9_S7_lS8_T11_S7_li.uses_flat_scratch, 0
	.set _ZL29rocblas_internal_gemmt_kernelIiLi16ELi32ELi8ELc78ELc84ELc85ELb0ELb0EffPKPKfPKPfEviT_T9_T10_S7_lS9_S7_lS8_T11_S7_li.has_dyn_sized_stack, 0
	.set _ZL29rocblas_internal_gemmt_kernelIiLi16ELi32ELi8ELc78ELc84ELc85ELb0ELb0EffPKPKfPKPfEviT_T9_T10_S7_lS9_S7_lS8_T11_S7_li.has_recursion, 0
	.set _ZL29rocblas_internal_gemmt_kernelIiLi16ELi32ELi8ELc78ELc84ELc85ELb0ELb0EffPKPKfPKPfEviT_T9_T10_S7_lS9_S7_lS8_T11_S7_li.has_indirect_call, 0
	.section	.AMDGPU.csdata,"",@progbits
; Kernel info:
; codeLenInByte = 1900
; TotalNumSgprs: 38
; NumVgprs: 55
; ScratchSize: 0
; MemoryBound: 0
; FloatMode: 240
; IeeeMode: 1
; LDSByteSize: 2048 bytes/workgroup (compile time only)
; SGPRBlocks: 0
; VGPRBlocks: 6
; NumSGPRsForWavesPerEU: 38
; NumVGPRsForWavesPerEU: 55
; Occupancy: 16
; WaveLimiterHint : 1
; COMPUTE_PGM_RSRC2:SCRATCH_EN: 0
; COMPUTE_PGM_RSRC2:USER_SGPR: 2
; COMPUTE_PGM_RSRC2:TRAP_HANDLER: 0
; COMPUTE_PGM_RSRC2:TGID_X_EN: 1
; COMPUTE_PGM_RSRC2:TGID_Y_EN: 1
; COMPUTE_PGM_RSRC2:TGID_Z_EN: 1
; COMPUTE_PGM_RSRC2:TIDIG_COMP_CNT: 1
	.section	.text._ZL29rocblas_internal_gemmt_kernelIiLi16ELi32ELi8ELc78ELc67ELc85ELb0ELb0EffPKPKfPKPfEviT_T9_T10_S7_lS9_S7_lS8_T11_S7_li,"axG",@progbits,_ZL29rocblas_internal_gemmt_kernelIiLi16ELi32ELi8ELc78ELc67ELc85ELb0ELb0EffPKPKfPKPfEviT_T9_T10_S7_lS9_S7_lS8_T11_S7_li,comdat
	.globl	_ZL29rocblas_internal_gemmt_kernelIiLi16ELi32ELi8ELc78ELc67ELc85ELb0ELb0EffPKPKfPKPfEviT_T9_T10_S7_lS9_S7_lS8_T11_S7_li ; -- Begin function _ZL29rocblas_internal_gemmt_kernelIiLi16ELi32ELi8ELc78ELc67ELc85ELb0ELb0EffPKPKfPKPfEviT_T9_T10_S7_lS9_S7_lS8_T11_S7_li
	.p2align	8
	.type	_ZL29rocblas_internal_gemmt_kernelIiLi16ELi32ELi8ELc78ELc67ELc85ELb0ELb0EffPKPKfPKPfEviT_T9_T10_S7_lS9_S7_lS8_T11_S7_li,@function
_ZL29rocblas_internal_gemmt_kernelIiLi16ELi32ELi8ELc78ELc67ELc85ELb0ELb0EffPKPKfPKPfEviT_T9_T10_S7_lS9_S7_lS8_T11_S7_li: ; @_ZL29rocblas_internal_gemmt_kernelIiLi16ELi32ELi8ELc78ELc67ELc85ELb0ELb0EffPKPKfPKPfEviT_T9_T10_S7_lS9_S7_lS8_T11_S7_li
; %bb.0:
	s_clause 0x1
	s_load_b32 s7, s[0:1], 0x40
	s_load_b96 s[4:6], s[0:1], 0x0
	s_wait_kmcnt 0x0
	s_cmp_neq_f32 s7, 1.0
	s_cselect_b32 s2, -1, 0
	s_delay_alu instid0(SALU_CYCLE_1)
	s_and_b32 vcc_lo, exec_lo, s2
	s_cbranch_vccnz .LBB308_2
; %bb.1:
	s_cmp_lg_u32 s5, 0
	s_cselect_b32 s2, -1, 0
	s_cmp_neq_f32 s6, 0
	s_cselect_b32 s3, -1, 0
	s_delay_alu instid0(SALU_CYCLE_1)
	s_and_b32 s2, s2, s3
.LBB308_2:
	s_delay_alu instid0(SALU_CYCLE_1)
	s_and_not1_b32 vcc_lo, exec_lo, s2
	s_cbranch_vccnz .LBB308_33
; %bb.3:
	s_load_b32 s28, s[0:1], 0x60
	s_lshr_b32 s20, ttmp7, 16
	s_wait_kmcnt 0x0
	s_cmp_ge_u32 s20, s28
	s_cbranch_scc1 .LBB308_33
; %bb.4:
	s_clause 0x1
	s_load_b96 s[12:14], s[0:1], 0x10
	s_load_b32 s22, s[0:1], 0x30
	v_and_b32_e32 v1, 0x3ff, v0
	v_bfe_u32 v2, v0, 10, 10
	v_and_b32_e32 v14, 7, v0
	s_clause 0x3
	s_load_b128 s[8:11], s[0:1], 0x20
	s_load_b64 s[26:27], s[0:1], 0x38
	s_load_b96 s[16:18], s[0:1], 0x48
	s_load_b64 s[24:25], s[0:1], 0x58
	s_lshl_b32 s0, ttmp7, 5
	v_lshl_add_u32 v0, v2, 4, v1
	v_lshlrev_b32_e32 v5, 2, v14
	s_lshl_b32 s2, ttmp9, 5
	s_and_b32 s3, s0, 0x1fffe0
	v_lshl_add_u32 v19, v2, 5, 0x400
	v_and_b32_e32 v3, 31, v0
	v_lshrrev_b32_e32 v15, 5, v0
	v_lshrrev_b32_e32 v0, 3, v0
	s_mov_b32 s21, 0
	s_delay_alu instid0(VALU_DEP_3) | instskip(SKIP_1) | instid1(VALU_DEP_3)
	v_or_b32_e32 v4, s2, v3
	v_lshlrev_b32_e32 v3, 2, v3
	v_add_nc_u32_e32 v22, s3, v0
	v_lshl_or_b32 v0, v0, 5, v5
	s_wait_kmcnt 0x0
	s_ashr_i32 s35, s14, 31
	s_ashr_i32 s23, s22, 31
	s_cmp_neq_f32 s6, 0
	v_lshl_or_b32 v16, v15, 7, v3
	v_add_nc_u32_e32 v17, 0x400, v0
	v_add_nc_u32_e32 v3, s3, v2
	;; [unrolled: 1-line block ×3, first 2 shown]
	s_cselect_b32 s15, -1, 0
	s_cmp_gt_i32 s5, 0
	v_mad_co_i64_i32 v[8:9], null, v15, s14, 0
	v_cmp_gt_i32_e32 vcc_lo, s4, v3
	v_cmp_le_i32_e64 s2, v0, v3
	v_add_nc_u32_e32 v2, 16, v0
	s_cselect_b32 s19, -1, 0
	s_cmp_neq_f32 s7, 0
	v_add_nc_u32_e32 v5, 16, v3
	v_cmp_gt_i32_e64 s0, s4, v4
	v_cmp_gt_i32_e64 s1, s4, v22
	s_cselect_b32 s29, -1, 0
	s_and_b32 s30, vcc_lo, s2
	v_cmp_le_i32_e64 s2, v2, v3
	v_cmp_gt_i32_e64 s3, s4, v5
	v_cmp_le_i32_e64 s4, v0, v5
	v_lshlrev_b64_e32 v[8:9], 2, v[8:9]
	v_mad_co_i64_i32 v[12:13], null, s22, v14, 0
	s_and_b32 s31, vcc_lo, s2
	v_cmp_le_i32_e32 vcc_lo, v2, v5
	v_mad_co_i64_i32 v[10:11], null, v5, s18, 0
	v_ashrrev_i32_e32 v5, 31, v4
	s_and_b32 s4, s3, s4
	s_and_b32 s33, s3, vcc_lo
	s_lshl_b64 s[2:3], s[8:9], 2
	v_mad_co_i64_i32 v[6:7], null, v3, s18, 0
	v_lshlrev_b64_e32 v[4:5], 2, v[4:5]
	s_wait_alu 0xfffe
	v_add_co_u32 v20, vcc_lo, v8, s2
	s_delay_alu instid0(VALU_DEP_1) | instskip(SKIP_1) | instid1(VALU_DEP_3)
	v_add_co_ci_u32_e64 v21, null, s3, v9, vcc_lo
	v_lshlrev_b64_e32 v[8:9], 2, v[12:13]
	v_add_co_u32 v20, vcc_lo, v20, v4
	s_lshl_b64 s[2:3], s[26:27], 2
	s_wait_alu 0xfffd
	v_add_co_ci_u32_e64 v21, null, v21, v5, vcc_lo
	v_lshlrev_b32_e32 v4, 2, v22
	s_wait_alu 0xfffe
	v_add_co_u32 v5, vcc_lo, v8, s2
	s_wait_alu 0xfffd
	v_add_co_ci_u32_e64 v8, null, s3, v9, vcc_lo
	v_ashrrev_i32_e32 v3, 31, v2
	s_delay_alu instid0(VALU_DEP_3)
	v_add_co_u32 v23, vcc_lo, v5, v4
	v_lshlrev_b64_e32 v[4:5], 2, v[6:7]
	v_lshlrev_b64_e32 v[6:7], 2, v[10:11]
	v_mov_b32_e32 v22, 0
	v_lshlrev_b32_e32 v18, 2, v1
	v_ashrrev_i32_e32 v1, 31, v0
	s_wait_alu 0xfffd
	v_add_co_ci_u32_e64 v24, null, 0, v8, vcc_lo
	s_mov_b32 s34, s14
	s_and_b32 s26, s15, s19
	s_lshl_b64 s[2:3], s[34:35], 5
	s_lshl_b64 s[8:9], s[22:23], 5
	;; [unrolled: 1-line block ×3, first 2 shown]
	s_branch .LBB308_6
.LBB308_5:                              ;   in Loop: Header=BB308_6 Depth=1
	s_wait_alu 0xfffe
	s_or_b32 exec_lo, exec_lo, s18
	s_add_co_i32 s20, s20, 0x10000
	s_delay_alu instid0(SALU_CYCLE_1)
	s_cmp_lt_u32 s20, s28
	s_cbranch_scc0 .LBB308_33
.LBB308_6:                              ; =>This Loop Header: Depth=1
                                        ;     Child Loop BB308_9 Depth 2
	s_lshl_b64 s[18:19], s[20:21], 3
	v_dual_mov_b32 v28, 0 :: v_dual_mov_b32 v27, 0
	s_wait_alu 0xfffe
	s_add_nc_u64 s[22:23], s[16:17], s[18:19]
	v_dual_mov_b32 v26, 0 :: v_dual_mov_b32 v25, 0
	global_load_b64 v[8:9], v22, s[22:23]
	s_and_not1_b32 vcc_lo, exec_lo, s26
	s_wait_alu 0xfffe
	s_cbranch_vccnz .LBB308_13
; %bb.7:                                ;   in Loop: Header=BB308_6 Depth=1
	s_add_nc_u64 s[22:23], s[12:13], s[18:19]
	s_add_nc_u64 s[18:19], s[10:11], s[18:19]
	s_clause 0x1
	global_load_b64 v[10:11], v22, s[22:23]
	global_load_b64 v[12:13], v22, s[18:19]
	v_dual_mov_b32 v25, 0 :: v_dual_mov_b32 v26, 0
	v_dual_mov_b32 v27, 0 :: v_dual_mov_b32 v28, 0
	s_mov_b32 s18, 0
	s_wait_loadcnt 0x1
	v_add_co_u32 v10, vcc_lo, v10, v20
	s_wait_alu 0xfffd
	v_add_co_ci_u32_e64 v11, null, v11, v21, vcc_lo
	s_wait_loadcnt 0x0
	v_add_co_u32 v12, vcc_lo, v12, v23
	s_wait_alu 0xfffd
	v_add_co_ci_u32_e64 v13, null, v13, v24, vcc_lo
	s_branch .LBB308_9
.LBB308_8:                              ;   in Loop: Header=BB308_9 Depth=2
	s_wait_alu 0xfffe
	s_or_b32 exec_lo, exec_lo, s19
	s_wait_loadcnt_dscnt 0x0
	ds_store_b32 v17, v30
	s_wait_dscnt 0x0
	s_barrier_signal -1
	s_barrier_wait -1
	global_inv scope:SCOPE_SE
	ds_load_b128 v[29:32], v19
	ds_load_2addr_b32 v[45:46], v18 offset1:16
	ds_load_b128 v[33:36], v19 offset:512
	ds_load_2addr_b32 v[47:48], v18 offset0:32 offset1:48
	ds_load_2addr_b32 v[49:50], v18 offset0:64 offset1:80
	;; [unrolled: 1-line block ×3, first 2 shown]
	ds_load_b128 v[37:40], v19 offset:16
	ds_load_2addr_b32 v[53:54], v18 offset0:128 offset1:144
	ds_load_b128 v[41:44], v19 offset:528
	v_add_co_u32 v10, vcc_lo, v10, s2
	s_wait_alu 0xfffd
	v_add_co_ci_u32_e64 v11, null, s3, v11, vcc_lo
	v_add_co_u32 v12, vcc_lo, v12, s8
	s_wait_alu 0xfffd
	v_add_co_ci_u32_e64 v13, null, s9, v13, vcc_lo
	s_add_co_i32 s18, s18, 8
	s_wait_alu 0xfffe
	s_cmp_lt_i32 s18, s5
	s_wait_dscnt 0x7
	v_fmac_f32_e32 v27, v46, v29
	v_fmac_f32_e32 v28, v45, v29
	s_wait_dscnt 0x6
	v_fmac_f32_e32 v25, v46, v33
	v_fmac_f32_e32 v26, v45, v33
	ds_load_2addr_b32 v[45:46], v18 offset0:160 offset1:176
	s_wait_dscnt 0x6
	v_fmac_f32_e32 v27, v48, v30
	v_fmac_f32_e32 v28, v47, v30
	v_fmac_f32_e32 v25, v48, v34
	v_fmac_f32_e32 v26, v47, v34
	ds_load_2addr_b32 v[29:30], v18 offset0:192 offset1:208
	s_wait_dscnt 0x6
	v_fmac_f32_e32 v27, v50, v31
	v_fmac_f32_e32 v28, v49, v31
	;; [unrolled: 6-line block ×3, first 2 shown]
	v_fmac_f32_e32 v25, v52, v36
	v_fmac_f32_e32 v26, v51, v36
	s_wait_loadcnt_dscnt 0x0
	v_fmac_f32_e32 v27, v54, v37
	v_fmac_f32_e32 v28, v53, v37
	;; [unrolled: 1-line block ×4, first 2 shown]
	s_barrier_signal -1
	v_fmac_f32_e32 v27, v46, v38
	v_fmac_f32_e32 v28, v45, v38
	;; [unrolled: 1-line block ×4, first 2 shown]
	s_barrier_wait -1
	v_fmac_f32_e32 v27, v30, v39
	v_fmac_f32_e32 v28, v29, v39
	;; [unrolled: 1-line block ×4, first 2 shown]
	global_inv scope:SCOPE_SE
	v_fmac_f32_e32 v27, v34, v40
	v_fmac_f32_e32 v28, v33, v40
	;; [unrolled: 1-line block ×4, first 2 shown]
	s_cbranch_scc0 .LBB308_13
.LBB308_9:                              ;   Parent Loop BB308_6 Depth=1
                                        ; =>  This Inner Loop Header: Depth=2
	s_wait_alu 0xfffe
	v_add_nc_u32_e32 v29, s18, v15
	s_delay_alu instid0(VALU_DEP_1)
	v_cmp_gt_i32_e32 vcc_lo, s5, v29
	v_mov_b32_e32 v29, 0
	s_and_b32 s22, s0, vcc_lo
	s_wait_alu 0xfffe
	s_and_saveexec_b32 s19, s22
	s_cbranch_execz .LBB308_11
; %bb.10:                               ;   in Loop: Header=BB308_9 Depth=2
	flat_load_b32 v29, v[10:11]
.LBB308_11:                             ;   in Loop: Header=BB308_9 Depth=2
	s_wait_alu 0xfffe
	s_or_b32 exec_lo, exec_lo, s19
	v_add_nc_u32_e32 v30, s18, v14
	s_wait_loadcnt_dscnt 0x0
	ds_store_b32 v16, v29
	v_cmp_gt_i32_e32 vcc_lo, s5, v30
	v_mov_b32_e32 v30, 0
	s_and_b32 s22, vcc_lo, s1
	s_wait_alu 0xfffe
	s_and_saveexec_b32 s19, s22
	s_cbranch_execz .LBB308_8
; %bb.12:                               ;   in Loop: Header=BB308_9 Depth=2
	flat_load_b32 v30, v[12:13]
	s_branch .LBB308_8
.LBB308_13:                             ;   in Loop: Header=BB308_6 Depth=1
	s_wait_loadcnt 0x0
	v_add_co_u32 v8, vcc_lo, v8, s14
	s_wait_alu 0xfffd
	v_add_co_ci_u32_e64 v9, null, s15, v9, vcc_lo
	s_delay_alu instid0(VALU_DEP_2) | instskip(SKIP_1) | instid1(VALU_DEP_2)
	v_add_co_u32 v10, vcc_lo, v8, v4
	s_wait_alu 0xfffd
	v_add_co_ci_u32_e64 v11, null, v9, v5, vcc_lo
	s_and_saveexec_b32 s18, s30
	s_cbranch_execz .LBB308_17
; %bb.14:                               ;   in Loop: Header=BB308_6 Depth=1
	v_mul_f32_e32 v12, s6, v28
	s_and_b32 vcc_lo, exec_lo, s29
	s_wait_alu 0xfffe
	s_cbranch_vccz .LBB308_28
; %bb.15:                               ;   in Loop: Header=BB308_6 Depth=1
	v_lshlrev_b64_e32 v[28:29], 2, v[0:1]
	s_delay_alu instid0(VALU_DEP_1) | instskip(SKIP_1) | instid1(VALU_DEP_2)
	v_add_co_u32 v28, vcc_lo, v10, v28
	s_wait_alu 0xfffd
	v_add_co_ci_u32_e64 v29, null, v11, v29, vcc_lo
	flat_load_b32 v13, v[28:29]
	s_wait_loadcnt_dscnt 0x0
	v_fma_f32 v13, s7, v13, v12
	flat_store_b32 v[28:29], v13
	s_cbranch_execnz .LBB308_17
.LBB308_16:                             ;   in Loop: Header=BB308_6 Depth=1
	v_lshlrev_b64_e32 v[28:29], 2, v[0:1]
	s_delay_alu instid0(VALU_DEP_1) | instskip(SKIP_1) | instid1(VALU_DEP_2)
	v_add_co_u32 v28, vcc_lo, v10, v28
	s_wait_alu 0xfffd
	v_add_co_ci_u32_e64 v29, null, v11, v29, vcc_lo
	flat_store_b32 v[28:29], v12
.LBB308_17:                             ;   in Loop: Header=BB308_6 Depth=1
	s_wait_alu 0xfffe
	s_or_b32 exec_lo, exec_lo, s18
	s_and_saveexec_b32 s18, s31
	s_cbranch_execz .LBB308_21
; %bb.18:                               ;   in Loop: Header=BB308_6 Depth=1
	v_mul_f32_e32 v12, s6, v27
	s_and_not1_b32 vcc_lo, exec_lo, s29
	s_wait_alu 0xfffe
	s_cbranch_vccnz .LBB308_29
; %bb.19:                               ;   in Loop: Header=BB308_6 Depth=1
	v_lshlrev_b64_e32 v[27:28], 2, v[2:3]
	s_delay_alu instid0(VALU_DEP_1) | instskip(SKIP_1) | instid1(VALU_DEP_2)
	v_add_co_u32 v27, vcc_lo, v10, v27
	s_wait_alu 0xfffd
	v_add_co_ci_u32_e64 v28, null, v11, v28, vcc_lo
	flat_load_b32 v13, v[27:28]
	s_wait_loadcnt_dscnt 0x0
	v_fma_f32 v13, s7, v13, v12
	flat_store_b32 v[27:28], v13
	s_cbranch_execnz .LBB308_21
.LBB308_20:                             ;   in Loop: Header=BB308_6 Depth=1
	v_lshlrev_b64_e32 v[27:28], 2, v[2:3]
	s_delay_alu instid0(VALU_DEP_1) | instskip(SKIP_1) | instid1(VALU_DEP_2)
	v_add_co_u32 v10, vcc_lo, v10, v27
	s_wait_alu 0xfffd
	v_add_co_ci_u32_e64 v11, null, v11, v28, vcc_lo
	flat_store_b32 v[10:11], v12
.LBB308_21:                             ;   in Loop: Header=BB308_6 Depth=1
	s_wait_alu 0xfffe
	s_or_b32 exec_lo, exec_lo, s18
	v_add_co_u32 v10, vcc_lo, v8, v6
	s_wait_alu 0xfffd
	v_add_co_ci_u32_e64 v11, null, v9, v7, vcc_lo
	s_and_saveexec_b32 s18, s4
	s_cbranch_execz .LBB308_25
; %bb.22:                               ;   in Loop: Header=BB308_6 Depth=1
	v_lshlrev_b64_e32 v[8:9], 2, v[0:1]
	v_mul_f32_e32 v12, s6, v26
	s_and_not1_b32 vcc_lo, exec_lo, s29
	s_wait_alu 0xfffe
	s_cbranch_vccnz .LBB308_30
; %bb.23:                               ;   in Loop: Header=BB308_6 Depth=1
	s_delay_alu instid0(VALU_DEP_2)
	v_add_co_u32 v26, vcc_lo, v10, v8
	s_wait_alu 0xfffd
	v_add_co_ci_u32_e64 v27, null, v11, v9, vcc_lo
	flat_load_b32 v13, v[26:27]
	s_wait_loadcnt_dscnt 0x0
	v_fma_f32 v13, s7, v13, v12
	flat_store_b32 v[26:27], v13
	s_cbranch_execnz .LBB308_25
.LBB308_24:                             ;   in Loop: Header=BB308_6 Depth=1
	v_add_co_u32 v8, vcc_lo, v10, v8
	s_wait_alu 0xfffd
	v_add_co_ci_u32_e64 v9, null, v11, v9, vcc_lo
	flat_store_b32 v[8:9], v12
.LBB308_25:                             ;   in Loop: Header=BB308_6 Depth=1
	s_wait_alu 0xfffe
	s_or_b32 exec_lo, exec_lo, s18
	s_and_saveexec_b32 s18, s33
	s_cbranch_execz .LBB308_5
; %bb.26:                               ;   in Loop: Header=BB308_6 Depth=1
	v_lshlrev_b64_e32 v[8:9], 2, v[2:3]
	v_mul_f32_e32 v12, s6, v25
	s_and_not1_b32 vcc_lo, exec_lo, s29
	s_wait_alu 0xfffe
	s_cbranch_vccnz .LBB308_31
; %bb.27:                               ;   in Loop: Header=BB308_6 Depth=1
	s_delay_alu instid0(VALU_DEP_2)
	v_add_co_u32 v25, vcc_lo, v10, v8
	s_wait_alu 0xfffd
	v_add_co_ci_u32_e64 v26, null, v11, v9, vcc_lo
	flat_load_b32 v13, v[25:26]
	s_wait_loadcnt_dscnt 0x0
	v_fma_f32 v13, s7, v13, v12
	flat_store_b32 v[25:26], v13
	s_cbranch_execnz .LBB308_5
	s_branch .LBB308_32
.LBB308_28:                             ;   in Loop: Header=BB308_6 Depth=1
	s_branch .LBB308_16
.LBB308_29:                             ;   in Loop: Header=BB308_6 Depth=1
	s_branch .LBB308_20
.LBB308_30:                             ;   in Loop: Header=BB308_6 Depth=1
	s_branch .LBB308_24
.LBB308_31:                             ;   in Loop: Header=BB308_6 Depth=1
.LBB308_32:                             ;   in Loop: Header=BB308_6 Depth=1
	s_delay_alu instid0(VALU_DEP_2)
	v_add_co_u32 v8, vcc_lo, v10, v8
	s_wait_alu 0xfffd
	v_add_co_ci_u32_e64 v9, null, v11, v9, vcc_lo
	flat_store_b32 v[8:9], v12
	s_branch .LBB308_5
.LBB308_33:
	s_endpgm
	.section	.rodata,"a",@progbits
	.p2align	6, 0x0
	.amdhsa_kernel _ZL29rocblas_internal_gemmt_kernelIiLi16ELi32ELi8ELc78ELc67ELc85ELb0ELb0EffPKPKfPKPfEviT_T9_T10_S7_lS9_S7_lS8_T11_S7_li
		.amdhsa_group_segment_fixed_size 2048
		.amdhsa_private_segment_fixed_size 0
		.amdhsa_kernarg_size 100
		.amdhsa_user_sgpr_count 2
		.amdhsa_user_sgpr_dispatch_ptr 0
		.amdhsa_user_sgpr_queue_ptr 0
		.amdhsa_user_sgpr_kernarg_segment_ptr 1
		.amdhsa_user_sgpr_dispatch_id 0
		.amdhsa_user_sgpr_private_segment_size 0
		.amdhsa_wavefront_size32 1
		.amdhsa_uses_dynamic_stack 0
		.amdhsa_enable_private_segment 0
		.amdhsa_system_sgpr_workgroup_id_x 1
		.amdhsa_system_sgpr_workgroup_id_y 1
		.amdhsa_system_sgpr_workgroup_id_z 1
		.amdhsa_system_sgpr_workgroup_info 0
		.amdhsa_system_vgpr_workitem_id 1
		.amdhsa_next_free_vgpr 55
		.amdhsa_next_free_sgpr 36
		.amdhsa_reserve_vcc 1
		.amdhsa_float_round_mode_32 0
		.amdhsa_float_round_mode_16_64 0
		.amdhsa_float_denorm_mode_32 3
		.amdhsa_float_denorm_mode_16_64 3
		.amdhsa_fp16_overflow 0
		.amdhsa_workgroup_processor_mode 1
		.amdhsa_memory_ordered 1
		.amdhsa_forward_progress 1
		.amdhsa_inst_pref_size 15
		.amdhsa_round_robin_scheduling 0
		.amdhsa_exception_fp_ieee_invalid_op 0
		.amdhsa_exception_fp_denorm_src 0
		.amdhsa_exception_fp_ieee_div_zero 0
		.amdhsa_exception_fp_ieee_overflow 0
		.amdhsa_exception_fp_ieee_underflow 0
		.amdhsa_exception_fp_ieee_inexact 0
		.amdhsa_exception_int_div_zero 0
	.end_amdhsa_kernel
	.section	.text._ZL29rocblas_internal_gemmt_kernelIiLi16ELi32ELi8ELc78ELc67ELc85ELb0ELb0EffPKPKfPKPfEviT_T9_T10_S7_lS9_S7_lS8_T11_S7_li,"axG",@progbits,_ZL29rocblas_internal_gemmt_kernelIiLi16ELi32ELi8ELc78ELc67ELc85ELb0ELb0EffPKPKfPKPfEviT_T9_T10_S7_lS9_S7_lS8_T11_S7_li,comdat
.Lfunc_end308:
	.size	_ZL29rocblas_internal_gemmt_kernelIiLi16ELi32ELi8ELc78ELc67ELc85ELb0ELb0EffPKPKfPKPfEviT_T9_T10_S7_lS9_S7_lS8_T11_S7_li, .Lfunc_end308-_ZL29rocblas_internal_gemmt_kernelIiLi16ELi32ELi8ELc78ELc67ELc85ELb0ELb0EffPKPKfPKPfEviT_T9_T10_S7_lS9_S7_lS8_T11_S7_li
                                        ; -- End function
	.set _ZL29rocblas_internal_gemmt_kernelIiLi16ELi32ELi8ELc78ELc67ELc85ELb0ELb0EffPKPKfPKPfEviT_T9_T10_S7_lS9_S7_lS8_T11_S7_li.num_vgpr, 55
	.set _ZL29rocblas_internal_gemmt_kernelIiLi16ELi32ELi8ELc78ELc67ELc85ELb0ELb0EffPKPKfPKPfEviT_T9_T10_S7_lS9_S7_lS8_T11_S7_li.num_agpr, 0
	.set _ZL29rocblas_internal_gemmt_kernelIiLi16ELi32ELi8ELc78ELc67ELc85ELb0ELb0EffPKPKfPKPfEviT_T9_T10_S7_lS9_S7_lS8_T11_S7_li.numbered_sgpr, 36
	.set _ZL29rocblas_internal_gemmt_kernelIiLi16ELi32ELi8ELc78ELc67ELc85ELb0ELb0EffPKPKfPKPfEviT_T9_T10_S7_lS9_S7_lS8_T11_S7_li.num_named_barrier, 0
	.set _ZL29rocblas_internal_gemmt_kernelIiLi16ELi32ELi8ELc78ELc67ELc85ELb0ELb0EffPKPKfPKPfEviT_T9_T10_S7_lS9_S7_lS8_T11_S7_li.private_seg_size, 0
	.set _ZL29rocblas_internal_gemmt_kernelIiLi16ELi32ELi8ELc78ELc67ELc85ELb0ELb0EffPKPKfPKPfEviT_T9_T10_S7_lS9_S7_lS8_T11_S7_li.uses_vcc, 1
	.set _ZL29rocblas_internal_gemmt_kernelIiLi16ELi32ELi8ELc78ELc67ELc85ELb0ELb0EffPKPKfPKPfEviT_T9_T10_S7_lS9_S7_lS8_T11_S7_li.uses_flat_scratch, 0
	.set _ZL29rocblas_internal_gemmt_kernelIiLi16ELi32ELi8ELc78ELc67ELc85ELb0ELb0EffPKPKfPKPfEviT_T9_T10_S7_lS9_S7_lS8_T11_S7_li.has_dyn_sized_stack, 0
	.set _ZL29rocblas_internal_gemmt_kernelIiLi16ELi32ELi8ELc78ELc67ELc85ELb0ELb0EffPKPKfPKPfEviT_T9_T10_S7_lS9_S7_lS8_T11_S7_li.has_recursion, 0
	.set _ZL29rocblas_internal_gemmt_kernelIiLi16ELi32ELi8ELc78ELc67ELc85ELb0ELb0EffPKPKfPKPfEviT_T9_T10_S7_lS9_S7_lS8_T11_S7_li.has_indirect_call, 0
	.section	.AMDGPU.csdata,"",@progbits
; Kernel info:
; codeLenInByte = 1900
; TotalNumSgprs: 38
; NumVgprs: 55
; ScratchSize: 0
; MemoryBound: 0
; FloatMode: 240
; IeeeMode: 1
; LDSByteSize: 2048 bytes/workgroup (compile time only)
; SGPRBlocks: 0
; VGPRBlocks: 6
; NumSGPRsForWavesPerEU: 38
; NumVGPRsForWavesPerEU: 55
; Occupancy: 16
; WaveLimiterHint : 1
; COMPUTE_PGM_RSRC2:SCRATCH_EN: 0
; COMPUTE_PGM_RSRC2:USER_SGPR: 2
; COMPUTE_PGM_RSRC2:TRAP_HANDLER: 0
; COMPUTE_PGM_RSRC2:TGID_X_EN: 1
; COMPUTE_PGM_RSRC2:TGID_Y_EN: 1
; COMPUTE_PGM_RSRC2:TGID_Z_EN: 1
; COMPUTE_PGM_RSRC2:TIDIG_COMP_CNT: 1
	.section	.text._ZL29rocblas_internal_gemmt_kernelIiLi16ELi32ELi8ELc84ELc78ELc85ELb0ELb0EffPKPKfPKPfEviT_T9_T10_S7_lS9_S7_lS8_T11_S7_li,"axG",@progbits,_ZL29rocblas_internal_gemmt_kernelIiLi16ELi32ELi8ELc84ELc78ELc85ELb0ELb0EffPKPKfPKPfEviT_T9_T10_S7_lS9_S7_lS8_T11_S7_li,comdat
	.globl	_ZL29rocblas_internal_gemmt_kernelIiLi16ELi32ELi8ELc84ELc78ELc85ELb0ELb0EffPKPKfPKPfEviT_T9_T10_S7_lS9_S7_lS8_T11_S7_li ; -- Begin function _ZL29rocblas_internal_gemmt_kernelIiLi16ELi32ELi8ELc84ELc78ELc85ELb0ELb0EffPKPKfPKPfEviT_T9_T10_S7_lS9_S7_lS8_T11_S7_li
	.p2align	8
	.type	_ZL29rocblas_internal_gemmt_kernelIiLi16ELi32ELi8ELc84ELc78ELc85ELb0ELb0EffPKPKfPKPfEviT_T9_T10_S7_lS9_S7_lS8_T11_S7_li,@function
_ZL29rocblas_internal_gemmt_kernelIiLi16ELi32ELi8ELc84ELc78ELc85ELb0ELb0EffPKPKfPKPfEviT_T9_T10_S7_lS9_S7_lS8_T11_S7_li: ; @_ZL29rocblas_internal_gemmt_kernelIiLi16ELi32ELi8ELc84ELc78ELc85ELb0ELb0EffPKPKfPKPfEviT_T9_T10_S7_lS9_S7_lS8_T11_S7_li
; %bb.0:
	s_clause 0x1
	s_load_b32 s11, s[0:1], 0x40
	s_load_b96 s[8:10], s[0:1], 0x0
	s_wait_kmcnt 0x0
	s_cmp_neq_f32 s11, 1.0
	s_cselect_b32 s2, -1, 0
	s_delay_alu instid0(SALU_CYCLE_1)
	s_and_b32 vcc_lo, exec_lo, s2
	s_cbranch_vccnz .LBB309_2
; %bb.1:
	s_cmp_lg_u32 s9, 0
	s_cselect_b32 s2, -1, 0
	s_cmp_neq_f32 s10, 0
	s_cselect_b32 s3, -1, 0
	s_delay_alu instid0(SALU_CYCLE_1)
	s_and_b32 s2, s2, s3
.LBB309_2:
	s_delay_alu instid0(SALU_CYCLE_1)
	s_and_not1_b32 vcc_lo, exec_lo, s2
	s_cbranch_vccnz .LBB309_33
; %bb.3:
	s_load_b32 s15, s[0:1], 0x60
	s_lshr_b32 s20, ttmp7, 16
	s_wait_kmcnt 0x0
	s_cmp_ge_u32 s20, s15
	s_cbranch_scc1 .LBB309_33
; %bb.4:
	v_dual_mov_b32 v20, 0 :: v_dual_and_b32 v1, 0x3ff, v0
	v_bfe_u32 v2, v0, 10, 10
	s_clause 0x1
	s_load_b96 s[12:14], s[0:1], 0x10
	s_load_b128 s[4:7], s[0:1], 0x20
	v_and_b32_e32 v14, 7, v0
	s_clause 0x3
	s_load_b32 s3, s[0:1], 0x30
	s_load_b64 s[26:27], s[0:1], 0x38
	s_load_b96 s[16:18], s[0:1], 0x48
	s_load_b64 s[22:23], s[0:1], 0x58
	s_lshl_b32 s2, ttmp9, 5
	v_lshl_add_u32 v0, v2, 4, v1
	s_lshl_b32 s0, ttmp7, 5
	v_lshlrev_b32_e32 v12, 2, v14
	s_and_b32 s19, s0, 0x1fffe0
	s_cmp_neq_f32 s10, 0
	v_and_b32_e32 v3, 31, v0
	v_lshrrev_b32_e32 v4, 3, v0
	v_lshrrev_b32_e32 v15, 5, v0
	s_cselect_b32 s25, -1, 0
	s_cmp_gt_i32 s9, 0
	v_or_b32_e32 v6, s2, v3
	v_lshlrev_b32_e32 v0, 2, v3
	v_lshl_or_b32 v3, v4, 5, v12
	v_add_nc_u32_e32 v8, s19, v4
	v_lshl_add_u32 v19, v2, 5, 0x400
	v_cmp_gt_i32_e64 s0, s8, v6
	s_wait_kmcnt 0x0
	v_mad_co_i64_i32 v[6:7], null, s14, v6, 0
	v_lshl_or_b32 v16, v15, 7, v0
	v_add_nc_u32_e32 v17, 0x400, v3
	v_add_nc_u32_e32 v3, s19, v2
	;; [unrolled: 1-line block ×3, first 2 shown]
	v_cmp_gt_i32_e64 s1, s8, v8
	v_mad_co_i64_i32 v[8:9], null, s3, v8, 0
	s_delay_alu instid0(VALU_DEP_4) | instskip(NEXT) | instid1(VALU_DEP_4)
	v_cmp_gt_i32_e32 vcc_lo, s8, v3
	v_cmp_le_i32_e64 s2, v0, v3
	v_add_nc_u32_e32 v2, 16, v0
	s_cselect_b32 s28, -1, 0
	s_cmp_neq_f32 s11, 0
	v_lshlrev_b64_e32 v[6:7], 2, v[6:7]
	v_add_nc_u32_e32 v13, 16, v3
	v_lshlrev_b64_e32 v[8:9], 2, v[8:9]
	s_cselect_b32 s19, -1, 0
	s_and_b32 s24, vcc_lo, s2
	v_cmp_le_i32_e64 s2, v2, v3
	s_lshl_b64 s[4:5], s[4:5], 2
	v_mad_co_i64_i32 v[4:5], null, v3, s18, 0
	v_add_co_u32 v6, s4, v6, s4
	s_and_b32 s14, vcc_lo, s2
	v_cmp_gt_i32_e32 vcc_lo, s8, v13
	v_mad_co_i64_i32 v[10:11], null, v13, s18, 0
	v_cmp_le_i32_e64 s2, v0, v13
	v_cmp_le_i32_e64 s3, v2, v13
	v_add_co_ci_u32_e64 v7, null, s5, v7, s4
	v_lshlrev_b32_e32 v13, 2, v15
	s_lshl_b64 s[4:5], s[26:27], 2
	v_lshlrev_b64_e32 v[4:5], 2, v[4:5]
	s_wait_alu 0xfffe
	v_add_co_u32 v8, s4, v8, s4
	s_wait_alu 0xf1ff
	v_add_co_ci_u32_e64 v9, null, s5, v9, s4
	v_add_co_u32 v21, s4, v6, v13
	s_wait_alu 0xf1ff
	v_add_co_ci_u32_e64 v22, null, 0, v7, s4
	v_add_co_u32 v23, s4, v8, v12
	v_lshlrev_b64_e32 v[6:7], 2, v[10:11]
	v_lshlrev_b32_e32 v18, 2, v1
	v_ashrrev_i32_e32 v1, 31, v0
	v_ashrrev_i32_e32 v3, 31, v2
	s_wait_alu 0xf1ff
	v_add_co_ci_u32_e64 v24, null, 0, v9, s4
	s_mov_b32 s21, 0
	s_and_b32 s8, s25, s28
	s_and_b32 s18, vcc_lo, s2
	s_and_b32 s25, vcc_lo, s3
	s_lshl_b64 s[2:3], s[22:23], 2
	s_branch .LBB309_6
.LBB309_5:                              ;   in Loop: Header=BB309_6 Depth=1
	s_wait_alu 0xfffe
	s_or_b32 exec_lo, exec_lo, s4
	s_add_co_i32 s20, s20, 0x10000
	s_delay_alu instid0(SALU_CYCLE_1)
	s_cmp_lt_u32 s20, s15
	s_cbranch_scc0 .LBB309_33
.LBB309_6:                              ; =>This Loop Header: Depth=1
                                        ;     Child Loop BB309_9 Depth 2
	s_lshl_b64 s[4:5], s[20:21], 3
	v_dual_mov_b32 v28, 0 :: v_dual_mov_b32 v27, 0
	s_wait_alu 0xfffe
	s_add_nc_u64 s[22:23], s[16:17], s[4:5]
	v_dual_mov_b32 v26, 0 :: v_dual_mov_b32 v25, 0
	global_load_b64 v[8:9], v20, s[22:23]
	s_and_not1_b32 vcc_lo, exec_lo, s8
	s_wait_alu 0xfffe
	s_cbranch_vccnz .LBB309_13
; %bb.7:                                ;   in Loop: Header=BB309_6 Depth=1
	s_add_nc_u64 s[22:23], s[12:13], s[4:5]
	s_add_nc_u64 s[4:5], s[6:7], s[4:5]
	s_clause 0x1
	global_load_b64 v[10:11], v20, s[22:23]
	global_load_b64 v[12:13], v20, s[4:5]
	v_dual_mov_b32 v25, 0 :: v_dual_mov_b32 v26, 0
	v_dual_mov_b32 v27, 0 :: v_dual_mov_b32 v28, 0
	s_mov_b32 s4, 0
	s_wait_loadcnt 0x1
	v_add_co_u32 v10, vcc_lo, v10, v21
	s_wait_alu 0xfffd
	v_add_co_ci_u32_e64 v11, null, v11, v22, vcc_lo
	s_wait_loadcnt 0x0
	v_add_co_u32 v12, vcc_lo, v12, v23
	s_wait_alu 0xfffd
	v_add_co_ci_u32_e64 v13, null, v13, v24, vcc_lo
	s_branch .LBB309_9
.LBB309_8:                              ;   in Loop: Header=BB309_9 Depth=2
	s_wait_alu 0xfffe
	s_or_b32 exec_lo, exec_lo, s5
	s_wait_loadcnt_dscnt 0x0
	ds_store_b32 v17, v30
	s_wait_dscnt 0x0
	s_barrier_signal -1
	s_barrier_wait -1
	global_inv scope:SCOPE_SE
	ds_load_b128 v[29:32], v19
	ds_load_2addr_b32 v[45:46], v18 offset1:16
	ds_load_b128 v[33:36], v19 offset:512
	ds_load_2addr_b32 v[47:48], v18 offset0:32 offset1:48
	ds_load_2addr_b32 v[49:50], v18 offset0:64 offset1:80
	;; [unrolled: 1-line block ×3, first 2 shown]
	ds_load_b128 v[37:40], v19 offset:16
	ds_load_2addr_b32 v[53:54], v18 offset0:128 offset1:144
	ds_load_b128 v[41:44], v19 offset:528
	v_add_co_u32 v10, vcc_lo, v10, 32
	s_wait_alu 0xfffd
	v_add_co_ci_u32_e64 v11, null, 0, v11, vcc_lo
	v_add_co_u32 v12, vcc_lo, v12, 32
	s_wait_alu 0xfffd
	v_add_co_ci_u32_e64 v13, null, 0, v13, vcc_lo
	s_add_co_i32 s4, s4, 8
	s_wait_alu 0xfffe
	s_cmp_lt_i32 s4, s9
	s_wait_dscnt 0x7
	v_fmac_f32_e32 v27, v46, v29
	v_fmac_f32_e32 v28, v45, v29
	s_wait_dscnt 0x6
	v_fmac_f32_e32 v25, v46, v33
	v_fmac_f32_e32 v26, v45, v33
	ds_load_2addr_b32 v[45:46], v18 offset0:160 offset1:176
	s_wait_dscnt 0x6
	v_fmac_f32_e32 v27, v48, v30
	v_fmac_f32_e32 v28, v47, v30
	v_fmac_f32_e32 v25, v48, v34
	v_fmac_f32_e32 v26, v47, v34
	ds_load_2addr_b32 v[29:30], v18 offset0:192 offset1:208
	s_wait_dscnt 0x6
	v_fmac_f32_e32 v27, v50, v31
	v_fmac_f32_e32 v28, v49, v31
	;; [unrolled: 6-line block ×3, first 2 shown]
	v_fmac_f32_e32 v25, v52, v36
	v_fmac_f32_e32 v26, v51, v36
	s_wait_loadcnt_dscnt 0x0
	v_fmac_f32_e32 v27, v54, v37
	v_fmac_f32_e32 v28, v53, v37
	;; [unrolled: 1-line block ×4, first 2 shown]
	s_barrier_signal -1
	v_fmac_f32_e32 v27, v46, v38
	v_fmac_f32_e32 v28, v45, v38
	;; [unrolled: 1-line block ×4, first 2 shown]
	s_barrier_wait -1
	v_fmac_f32_e32 v27, v30, v39
	v_fmac_f32_e32 v28, v29, v39
	;; [unrolled: 1-line block ×4, first 2 shown]
	global_inv scope:SCOPE_SE
	v_fmac_f32_e32 v27, v34, v40
	v_fmac_f32_e32 v28, v33, v40
	;; [unrolled: 1-line block ×4, first 2 shown]
	s_cbranch_scc0 .LBB309_13
.LBB309_9:                              ;   Parent Loop BB309_6 Depth=1
                                        ; =>  This Inner Loop Header: Depth=2
	s_wait_alu 0xfffe
	v_add_nc_u32_e32 v29, s4, v15
	s_delay_alu instid0(VALU_DEP_1) | instskip(SKIP_2) | instid1(SALU_CYCLE_1)
	v_cmp_gt_i32_e32 vcc_lo, s9, v29
	v_mov_b32_e32 v29, 0
	s_and_b32 s22, s0, vcc_lo
	s_and_saveexec_b32 s5, s22
	s_cbranch_execz .LBB309_11
; %bb.10:                               ;   in Loop: Header=BB309_9 Depth=2
	flat_load_b32 v29, v[10:11]
.LBB309_11:                             ;   in Loop: Header=BB309_9 Depth=2
	s_wait_alu 0xfffe
	s_or_b32 exec_lo, exec_lo, s5
	v_add_nc_u32_e32 v30, s4, v14
	s_wait_loadcnt_dscnt 0x0
	ds_store_b32 v16, v29
	v_cmp_gt_i32_e32 vcc_lo, s9, v30
	v_mov_b32_e32 v30, 0
	s_and_b32 s22, vcc_lo, s1
	s_delay_alu instid0(SALU_CYCLE_1)
	s_and_saveexec_b32 s5, s22
	s_cbranch_execz .LBB309_8
; %bb.12:                               ;   in Loop: Header=BB309_9 Depth=2
	flat_load_b32 v30, v[12:13]
	s_branch .LBB309_8
.LBB309_13:                             ;   in Loop: Header=BB309_6 Depth=1
	s_wait_loadcnt 0x0
	v_add_co_u32 v8, vcc_lo, v8, s2
	s_wait_alu 0xfffd
	v_add_co_ci_u32_e64 v9, null, s3, v9, vcc_lo
	s_delay_alu instid0(VALU_DEP_2) | instskip(SKIP_1) | instid1(VALU_DEP_2)
	v_add_co_u32 v10, vcc_lo, v8, v4
	s_wait_alu 0xfffd
	v_add_co_ci_u32_e64 v11, null, v9, v5, vcc_lo
	s_and_saveexec_b32 s4, s24
	s_cbranch_execz .LBB309_17
; %bb.14:                               ;   in Loop: Header=BB309_6 Depth=1
	v_mul_f32_e32 v12, s10, v28
	s_and_b32 vcc_lo, exec_lo, s19
	s_wait_alu 0xfffe
	s_cbranch_vccz .LBB309_28
; %bb.15:                               ;   in Loop: Header=BB309_6 Depth=1
	v_lshlrev_b64_e32 v[28:29], 2, v[0:1]
	s_delay_alu instid0(VALU_DEP_1) | instskip(SKIP_1) | instid1(VALU_DEP_2)
	v_add_co_u32 v28, vcc_lo, v10, v28
	s_wait_alu 0xfffd
	v_add_co_ci_u32_e64 v29, null, v11, v29, vcc_lo
	flat_load_b32 v13, v[28:29]
	s_wait_loadcnt_dscnt 0x0
	v_fma_f32 v13, s11, v13, v12
	flat_store_b32 v[28:29], v13
	s_cbranch_execnz .LBB309_17
.LBB309_16:                             ;   in Loop: Header=BB309_6 Depth=1
	v_lshlrev_b64_e32 v[28:29], 2, v[0:1]
	s_delay_alu instid0(VALU_DEP_1) | instskip(SKIP_1) | instid1(VALU_DEP_2)
	v_add_co_u32 v28, vcc_lo, v10, v28
	s_wait_alu 0xfffd
	v_add_co_ci_u32_e64 v29, null, v11, v29, vcc_lo
	flat_store_b32 v[28:29], v12
.LBB309_17:                             ;   in Loop: Header=BB309_6 Depth=1
	s_wait_alu 0xfffe
	s_or_b32 exec_lo, exec_lo, s4
	s_and_saveexec_b32 s4, s14
	s_cbranch_execz .LBB309_21
; %bb.18:                               ;   in Loop: Header=BB309_6 Depth=1
	v_mul_f32_e32 v12, s10, v27
	s_and_not1_b32 vcc_lo, exec_lo, s19
	s_wait_alu 0xfffe
	s_cbranch_vccnz .LBB309_29
; %bb.19:                               ;   in Loop: Header=BB309_6 Depth=1
	v_lshlrev_b64_e32 v[27:28], 2, v[2:3]
	s_delay_alu instid0(VALU_DEP_1) | instskip(SKIP_1) | instid1(VALU_DEP_2)
	v_add_co_u32 v27, vcc_lo, v10, v27
	s_wait_alu 0xfffd
	v_add_co_ci_u32_e64 v28, null, v11, v28, vcc_lo
	flat_load_b32 v13, v[27:28]
	s_wait_loadcnt_dscnt 0x0
	v_fma_f32 v13, s11, v13, v12
	flat_store_b32 v[27:28], v13
	s_cbranch_execnz .LBB309_21
.LBB309_20:                             ;   in Loop: Header=BB309_6 Depth=1
	v_lshlrev_b64_e32 v[27:28], 2, v[2:3]
	s_delay_alu instid0(VALU_DEP_1) | instskip(SKIP_1) | instid1(VALU_DEP_2)
	v_add_co_u32 v10, vcc_lo, v10, v27
	s_wait_alu 0xfffd
	v_add_co_ci_u32_e64 v11, null, v11, v28, vcc_lo
	flat_store_b32 v[10:11], v12
.LBB309_21:                             ;   in Loop: Header=BB309_6 Depth=1
	s_wait_alu 0xfffe
	s_or_b32 exec_lo, exec_lo, s4
	v_add_co_u32 v10, vcc_lo, v8, v6
	s_wait_alu 0xfffd
	v_add_co_ci_u32_e64 v11, null, v9, v7, vcc_lo
	s_and_saveexec_b32 s4, s18
	s_cbranch_execz .LBB309_25
; %bb.22:                               ;   in Loop: Header=BB309_6 Depth=1
	v_lshlrev_b64_e32 v[8:9], 2, v[0:1]
	v_mul_f32_e32 v12, s10, v26
	s_and_not1_b32 vcc_lo, exec_lo, s19
	s_wait_alu 0xfffe
	s_cbranch_vccnz .LBB309_30
; %bb.23:                               ;   in Loop: Header=BB309_6 Depth=1
	s_delay_alu instid0(VALU_DEP_2)
	v_add_co_u32 v26, vcc_lo, v10, v8
	s_wait_alu 0xfffd
	v_add_co_ci_u32_e64 v27, null, v11, v9, vcc_lo
	flat_load_b32 v13, v[26:27]
	s_wait_loadcnt_dscnt 0x0
	v_fma_f32 v13, s11, v13, v12
	flat_store_b32 v[26:27], v13
	s_cbranch_execnz .LBB309_25
.LBB309_24:                             ;   in Loop: Header=BB309_6 Depth=1
	v_add_co_u32 v8, vcc_lo, v10, v8
	s_wait_alu 0xfffd
	v_add_co_ci_u32_e64 v9, null, v11, v9, vcc_lo
	flat_store_b32 v[8:9], v12
.LBB309_25:                             ;   in Loop: Header=BB309_6 Depth=1
	s_wait_alu 0xfffe
	s_or_b32 exec_lo, exec_lo, s4
	s_and_saveexec_b32 s4, s25
	s_cbranch_execz .LBB309_5
; %bb.26:                               ;   in Loop: Header=BB309_6 Depth=1
	v_lshlrev_b64_e32 v[8:9], 2, v[2:3]
	v_mul_f32_e32 v12, s10, v25
	s_and_not1_b32 vcc_lo, exec_lo, s19
	s_wait_alu 0xfffe
	s_cbranch_vccnz .LBB309_31
; %bb.27:                               ;   in Loop: Header=BB309_6 Depth=1
	s_delay_alu instid0(VALU_DEP_2)
	v_add_co_u32 v25, vcc_lo, v10, v8
	s_wait_alu 0xfffd
	v_add_co_ci_u32_e64 v26, null, v11, v9, vcc_lo
	flat_load_b32 v13, v[25:26]
	s_wait_loadcnt_dscnt 0x0
	v_fma_f32 v13, s11, v13, v12
	flat_store_b32 v[25:26], v13
	s_cbranch_execnz .LBB309_5
	s_branch .LBB309_32
.LBB309_28:                             ;   in Loop: Header=BB309_6 Depth=1
	s_branch .LBB309_16
.LBB309_29:                             ;   in Loop: Header=BB309_6 Depth=1
	s_branch .LBB309_20
.LBB309_30:                             ;   in Loop: Header=BB309_6 Depth=1
	s_branch .LBB309_24
.LBB309_31:                             ;   in Loop: Header=BB309_6 Depth=1
.LBB309_32:                             ;   in Loop: Header=BB309_6 Depth=1
	s_delay_alu instid0(VALU_DEP_2)
	v_add_co_u32 v8, vcc_lo, v10, v8
	s_wait_alu 0xfffd
	v_add_co_ci_u32_e64 v9, null, v11, v9, vcc_lo
	flat_store_b32 v[8:9], v12
	s_branch .LBB309_5
.LBB309_33:
	s_endpgm
	.section	.rodata,"a",@progbits
	.p2align	6, 0x0
	.amdhsa_kernel _ZL29rocblas_internal_gemmt_kernelIiLi16ELi32ELi8ELc84ELc78ELc85ELb0ELb0EffPKPKfPKPfEviT_T9_T10_S7_lS9_S7_lS8_T11_S7_li
		.amdhsa_group_segment_fixed_size 2048
		.amdhsa_private_segment_fixed_size 0
		.amdhsa_kernarg_size 100
		.amdhsa_user_sgpr_count 2
		.amdhsa_user_sgpr_dispatch_ptr 0
		.amdhsa_user_sgpr_queue_ptr 0
		.amdhsa_user_sgpr_kernarg_segment_ptr 1
		.amdhsa_user_sgpr_dispatch_id 0
		.amdhsa_user_sgpr_private_segment_size 0
		.amdhsa_wavefront_size32 1
		.amdhsa_uses_dynamic_stack 0
		.amdhsa_enable_private_segment 0
		.amdhsa_system_sgpr_workgroup_id_x 1
		.amdhsa_system_sgpr_workgroup_id_y 1
		.amdhsa_system_sgpr_workgroup_id_z 1
		.amdhsa_system_sgpr_workgroup_info 0
		.amdhsa_system_vgpr_workitem_id 1
		.amdhsa_next_free_vgpr 55
		.amdhsa_next_free_sgpr 29
		.amdhsa_reserve_vcc 1
		.amdhsa_float_round_mode_32 0
		.amdhsa_float_round_mode_16_64 0
		.amdhsa_float_denorm_mode_32 3
		.amdhsa_float_denorm_mode_16_64 3
		.amdhsa_fp16_overflow 0
		.amdhsa_workgroup_processor_mode 1
		.amdhsa_memory_ordered 1
		.amdhsa_forward_progress 1
		.amdhsa_inst_pref_size 15
		.amdhsa_round_robin_scheduling 0
		.amdhsa_exception_fp_ieee_invalid_op 0
		.amdhsa_exception_fp_denorm_src 0
		.amdhsa_exception_fp_ieee_div_zero 0
		.amdhsa_exception_fp_ieee_overflow 0
		.amdhsa_exception_fp_ieee_underflow 0
		.amdhsa_exception_fp_ieee_inexact 0
		.amdhsa_exception_int_div_zero 0
	.end_amdhsa_kernel
	.section	.text._ZL29rocblas_internal_gemmt_kernelIiLi16ELi32ELi8ELc84ELc78ELc85ELb0ELb0EffPKPKfPKPfEviT_T9_T10_S7_lS9_S7_lS8_T11_S7_li,"axG",@progbits,_ZL29rocblas_internal_gemmt_kernelIiLi16ELi32ELi8ELc84ELc78ELc85ELb0ELb0EffPKPKfPKPfEviT_T9_T10_S7_lS9_S7_lS8_T11_S7_li,comdat
.Lfunc_end309:
	.size	_ZL29rocblas_internal_gemmt_kernelIiLi16ELi32ELi8ELc84ELc78ELc85ELb0ELb0EffPKPKfPKPfEviT_T9_T10_S7_lS9_S7_lS8_T11_S7_li, .Lfunc_end309-_ZL29rocblas_internal_gemmt_kernelIiLi16ELi32ELi8ELc84ELc78ELc85ELb0ELb0EffPKPKfPKPfEviT_T9_T10_S7_lS9_S7_lS8_T11_S7_li
                                        ; -- End function
	.set _ZL29rocblas_internal_gemmt_kernelIiLi16ELi32ELi8ELc84ELc78ELc85ELb0ELb0EffPKPKfPKPfEviT_T9_T10_S7_lS9_S7_lS8_T11_S7_li.num_vgpr, 55
	.set _ZL29rocblas_internal_gemmt_kernelIiLi16ELi32ELi8ELc84ELc78ELc85ELb0ELb0EffPKPKfPKPfEviT_T9_T10_S7_lS9_S7_lS8_T11_S7_li.num_agpr, 0
	.set _ZL29rocblas_internal_gemmt_kernelIiLi16ELi32ELi8ELc84ELc78ELc85ELb0ELb0EffPKPKfPKPfEviT_T9_T10_S7_lS9_S7_lS8_T11_S7_li.numbered_sgpr, 29
	.set _ZL29rocblas_internal_gemmt_kernelIiLi16ELi32ELi8ELc84ELc78ELc85ELb0ELb0EffPKPKfPKPfEviT_T9_T10_S7_lS9_S7_lS8_T11_S7_li.num_named_barrier, 0
	.set _ZL29rocblas_internal_gemmt_kernelIiLi16ELi32ELi8ELc84ELc78ELc85ELb0ELb0EffPKPKfPKPfEviT_T9_T10_S7_lS9_S7_lS8_T11_S7_li.private_seg_size, 0
	.set _ZL29rocblas_internal_gemmt_kernelIiLi16ELi32ELi8ELc84ELc78ELc85ELb0ELb0EffPKPKfPKPfEviT_T9_T10_S7_lS9_S7_lS8_T11_S7_li.uses_vcc, 1
	.set _ZL29rocblas_internal_gemmt_kernelIiLi16ELi32ELi8ELc84ELc78ELc85ELb0ELb0EffPKPKfPKPfEviT_T9_T10_S7_lS9_S7_lS8_T11_S7_li.uses_flat_scratch, 0
	.set _ZL29rocblas_internal_gemmt_kernelIiLi16ELi32ELi8ELc84ELc78ELc85ELb0ELb0EffPKPKfPKPfEviT_T9_T10_S7_lS9_S7_lS8_T11_S7_li.has_dyn_sized_stack, 0
	.set _ZL29rocblas_internal_gemmt_kernelIiLi16ELi32ELi8ELc84ELc78ELc85ELb0ELb0EffPKPKfPKPfEviT_T9_T10_S7_lS9_S7_lS8_T11_S7_li.has_recursion, 0
	.set _ZL29rocblas_internal_gemmt_kernelIiLi16ELi32ELi8ELc84ELc78ELc85ELb0ELb0EffPKPKfPKPfEviT_T9_T10_S7_lS9_S7_lS8_T11_S7_li.has_indirect_call, 0
	.section	.AMDGPU.csdata,"",@progbits
; Kernel info:
; codeLenInByte = 1856
; TotalNumSgprs: 31
; NumVgprs: 55
; ScratchSize: 0
; MemoryBound: 0
; FloatMode: 240
; IeeeMode: 1
; LDSByteSize: 2048 bytes/workgroup (compile time only)
; SGPRBlocks: 0
; VGPRBlocks: 6
; NumSGPRsForWavesPerEU: 31
; NumVGPRsForWavesPerEU: 55
; Occupancy: 16
; WaveLimiterHint : 1
; COMPUTE_PGM_RSRC2:SCRATCH_EN: 0
; COMPUTE_PGM_RSRC2:USER_SGPR: 2
; COMPUTE_PGM_RSRC2:TRAP_HANDLER: 0
; COMPUTE_PGM_RSRC2:TGID_X_EN: 1
; COMPUTE_PGM_RSRC2:TGID_Y_EN: 1
; COMPUTE_PGM_RSRC2:TGID_Z_EN: 1
; COMPUTE_PGM_RSRC2:TIDIG_COMP_CNT: 1
	.section	.text._ZL29rocblas_internal_gemmt_kernelIiLi16ELi32ELi8ELc84ELc84ELc85ELb0ELb0EffPKPKfPKPfEviT_T9_T10_S7_lS9_S7_lS8_T11_S7_li,"axG",@progbits,_ZL29rocblas_internal_gemmt_kernelIiLi16ELi32ELi8ELc84ELc84ELc85ELb0ELb0EffPKPKfPKPfEviT_T9_T10_S7_lS9_S7_lS8_T11_S7_li,comdat
	.globl	_ZL29rocblas_internal_gemmt_kernelIiLi16ELi32ELi8ELc84ELc84ELc85ELb0ELb0EffPKPKfPKPfEviT_T9_T10_S7_lS9_S7_lS8_T11_S7_li ; -- Begin function _ZL29rocblas_internal_gemmt_kernelIiLi16ELi32ELi8ELc84ELc84ELc85ELb0ELb0EffPKPKfPKPfEviT_T9_T10_S7_lS9_S7_lS8_T11_S7_li
	.p2align	8
	.type	_ZL29rocblas_internal_gemmt_kernelIiLi16ELi32ELi8ELc84ELc84ELc85ELb0ELb0EffPKPKfPKPfEviT_T9_T10_S7_lS9_S7_lS8_T11_S7_li,@function
_ZL29rocblas_internal_gemmt_kernelIiLi16ELi32ELi8ELc84ELc84ELc85ELb0ELb0EffPKPKfPKPfEviT_T9_T10_S7_lS9_S7_lS8_T11_S7_li: ; @_ZL29rocblas_internal_gemmt_kernelIiLi16ELi32ELi8ELc84ELc84ELc85ELb0ELb0EffPKPKfPKPfEviT_T9_T10_S7_lS9_S7_lS8_T11_S7_li
; %bb.0:
	s_clause 0x1
	s_load_b32 s11, s[0:1], 0x40
	s_load_b96 s[8:10], s[0:1], 0x0
	s_wait_kmcnt 0x0
	s_cmp_neq_f32 s11, 1.0
	s_cselect_b32 s2, -1, 0
	s_delay_alu instid0(SALU_CYCLE_1)
	s_and_b32 vcc_lo, exec_lo, s2
	s_cbranch_vccnz .LBB310_2
; %bb.1:
	s_cmp_lg_u32 s9, 0
	s_cselect_b32 s2, -1, 0
	s_cmp_neq_f32 s10, 0
	s_cselect_b32 s3, -1, 0
	s_delay_alu instid0(SALU_CYCLE_1)
	s_and_b32 s2, s2, s3
.LBB310_2:
	s_delay_alu instid0(SALU_CYCLE_1)
	s_and_not1_b32 vcc_lo, exec_lo, s2
	s_cbranch_vccnz .LBB310_33
; %bb.3:
	s_load_b32 s19, s[0:1], 0x60
	s_lshr_b32 s20, ttmp7, 16
	s_wait_kmcnt 0x0
	s_cmp_ge_u32 s20, s19
	s_cbranch_scc1 .LBB310_33
; %bb.4:
	v_dual_mov_b32 v20, 0 :: v_dual_and_b32 v1, 0x3ff, v0
	v_bfe_u32 v3, v0, 10, 10
	v_and_b32_e32 v14, 7, v0
	s_clause 0x5
	s_load_b32 s22, s[0:1], 0x30
	s_load_b96 s[12:14], s[0:1], 0x10
	s_load_b128 s[4:7], s[0:1], 0x20
	s_load_b64 s[26:27], s[0:1], 0x38
	s_load_b96 s[16:18], s[0:1], 0x48
	s_load_b64 s[24:25], s[0:1], 0x58
	v_lshl_add_u32 v0, v3, 4, v1
	v_lshlrev_b32_e32 v4, 2, v14
	s_lshl_b32 s2, ttmp9, 5
	s_lshl_b32 s0, ttmp7, 5
	v_lshlrev_b32_e32 v18, 2, v1
	v_and_b32_e32 v2, 31, v0
	v_lshrrev_b32_e32 v5, 3, v0
	v_lshrrev_b32_e32 v15, 5, v0
	s_and_b32 s3, s0, 0x1fffe0
	v_lshl_add_u32 v19, v3, 5, 0x400
	v_lshlrev_b32_e32 v0, 2, v2
	v_or_b32_e32 v6, s2, v2
	v_lshl_or_b32 v2, v5, 5, v4
	v_add_nc_u32_e32 v7, s3, v3
	v_add_nc_u32_e32 v12, s3, v5
	v_lshl_or_b32 v16, v15, 7, v0
	v_add_nc_u32_e32 v0, s2, v1
	v_add_nc_u32_e32 v17, 0x400, v2
	s_wait_kmcnt 0x0
	s_ashr_i32 s23, s22, 31
	v_cmp_gt_i32_e64 s0, s8, v6
	v_cmp_gt_i32_e32 vcc_lo, s8, v7
	v_add_nc_u32_e32 v2, 16, v0
	v_cmp_le_i32_e64 s2, v0, v7
	v_mad_co_i64_i32 v[4:5], null, v7, s18, 0
	v_add_nc_u32_e32 v13, 16, v7
	s_delay_alu instid0(VALU_DEP_4)
	v_cmp_le_i32_e64 s3, v2, v7
	v_mad_co_i64_i32 v[6:7], null, s14, v6, 0
	s_cmp_neq_f32 s10, 0
	v_mad_co_i64_i32 v[8:9], null, s22, v14, 0
	v_cmp_gt_i32_e64 s1, s8, v12
	s_cselect_b32 s15, -1, 0
	s_cmp_gt_i32 s9, 0
	v_lshlrev_b64_e32 v[6:7], 2, v[6:7]
	s_cselect_b32 s31, -1, 0
	s_cmp_neq_f32 s11, 0
	v_lshlrev_b64_e32 v[8:9], 2, v[8:9]
	v_mad_co_i64_i32 v[10:11], null, v13, s18, 0
	s_cselect_b32 s28, -1, 0
	s_and_b32 s29, vcc_lo, s2
	s_and_b32 s30, vcc_lo, s3
	v_cmp_gt_i32_e32 vcc_lo, s8, v13
	v_cmp_le_i32_e64 s2, v0, v13
	s_lshl_b64 s[4:5], s[4:5], 2
	v_lshlrev_b32_e32 v12, 2, v12
	v_add_co_u32 v6, s3, v6, s4
	s_and_b32 s8, vcc_lo, s2
	v_cmp_le_i32_e64 s2, v2, v13
	v_add_co_ci_u32_e64 v7, null, s5, v7, s3
	v_lshlrev_b32_e32 v13, 2, v15
	s_lshl_b64 s[4:5], s[26:27], 2
	v_lshlrev_b64_e32 v[4:5], 2, v[4:5]
	s_wait_alu 0xfffe
	v_add_co_u32 v8, s3, v8, s4
	s_wait_alu 0xf1ff
	v_add_co_ci_u32_e64 v9, null, s5, v9, s3
	v_add_co_u32 v21, s3, v6, v13
	s_wait_alu 0xf1ff
	v_add_co_ci_u32_e64 v22, null, 0, v7, s3
	v_add_co_u32 v23, s3, v8, v12
	v_lshlrev_b64_e32 v[6:7], 2, v[10:11]
	v_ashrrev_i32_e32 v1, 31, v0
	v_ashrrev_i32_e32 v3, 31, v2
	s_wait_alu 0xf1ff
	v_add_co_ci_u32_e64 v24, null, 0, v9, s3
	s_mov_b32 s21, 0
	s_and_b32 s18, s15, s31
	s_and_b32 s26, vcc_lo, s2
	s_lshl_b64 s[2:3], s[22:23], 5
	s_lshl_b64 s[4:5], s[24:25], 2
	s_branch .LBB310_6
.LBB310_5:                              ;   in Loop: Header=BB310_6 Depth=1
	s_wait_alu 0xfffe
	s_or_b32 exec_lo, exec_lo, s14
	s_add_co_i32 s20, s20, 0x10000
	s_delay_alu instid0(SALU_CYCLE_1)
	s_cmp_lt_u32 s20, s19
	s_cbranch_scc0 .LBB310_33
.LBB310_6:                              ; =>This Loop Header: Depth=1
                                        ;     Child Loop BB310_9 Depth 2
	s_lshl_b64 s[14:15], s[20:21], 3
	v_dual_mov_b32 v28, 0 :: v_dual_mov_b32 v27, 0
	s_wait_alu 0xfffe
	s_add_nc_u64 s[22:23], s[16:17], s[14:15]
	v_dual_mov_b32 v26, 0 :: v_dual_mov_b32 v25, 0
	global_load_b64 v[8:9], v20, s[22:23]
	s_and_not1_b32 vcc_lo, exec_lo, s18
	s_wait_alu 0xfffe
	s_cbranch_vccnz .LBB310_13
; %bb.7:                                ;   in Loop: Header=BB310_6 Depth=1
	s_add_nc_u64 s[22:23], s[12:13], s[14:15]
	s_add_nc_u64 s[14:15], s[6:7], s[14:15]
	s_clause 0x1
	global_load_b64 v[10:11], v20, s[22:23]
	global_load_b64 v[12:13], v20, s[14:15]
	v_dual_mov_b32 v25, 0 :: v_dual_mov_b32 v26, 0
	v_dual_mov_b32 v27, 0 :: v_dual_mov_b32 v28, 0
	s_mov_b32 s14, 0
	s_wait_loadcnt 0x1
	v_add_co_u32 v10, vcc_lo, v10, v21
	s_wait_alu 0xfffd
	v_add_co_ci_u32_e64 v11, null, v11, v22, vcc_lo
	s_wait_loadcnt 0x0
	v_add_co_u32 v12, vcc_lo, v12, v23
	s_wait_alu 0xfffd
	v_add_co_ci_u32_e64 v13, null, v13, v24, vcc_lo
	s_branch .LBB310_9
.LBB310_8:                              ;   in Loop: Header=BB310_9 Depth=2
	s_wait_alu 0xfffe
	s_or_b32 exec_lo, exec_lo, s15
	s_wait_loadcnt_dscnt 0x0
	ds_store_b32 v17, v30
	s_wait_dscnt 0x0
	s_barrier_signal -1
	s_barrier_wait -1
	global_inv scope:SCOPE_SE
	ds_load_b128 v[29:32], v19
	ds_load_2addr_b32 v[45:46], v18 offset1:16
	ds_load_b128 v[33:36], v19 offset:512
	ds_load_2addr_b32 v[47:48], v18 offset0:32 offset1:48
	ds_load_2addr_b32 v[49:50], v18 offset0:64 offset1:80
	;; [unrolled: 1-line block ×3, first 2 shown]
	ds_load_b128 v[37:40], v19 offset:16
	ds_load_2addr_b32 v[53:54], v18 offset0:128 offset1:144
	ds_load_b128 v[41:44], v19 offset:528
	v_add_co_u32 v10, vcc_lo, v10, 32
	s_wait_alu 0xfffd
	v_add_co_ci_u32_e64 v11, null, 0, v11, vcc_lo
	v_add_co_u32 v12, vcc_lo, v12, s2
	s_wait_alu 0xfffd
	v_add_co_ci_u32_e64 v13, null, s3, v13, vcc_lo
	s_add_co_i32 s14, s14, 8
	s_wait_alu 0xfffe
	s_cmp_lt_i32 s14, s9
	s_wait_dscnt 0x7
	v_fmac_f32_e32 v27, v46, v29
	v_fmac_f32_e32 v28, v45, v29
	s_wait_dscnt 0x6
	v_fmac_f32_e32 v25, v46, v33
	v_fmac_f32_e32 v26, v45, v33
	ds_load_2addr_b32 v[45:46], v18 offset0:160 offset1:176
	s_wait_dscnt 0x6
	v_fmac_f32_e32 v27, v48, v30
	v_fmac_f32_e32 v28, v47, v30
	v_fmac_f32_e32 v25, v48, v34
	v_fmac_f32_e32 v26, v47, v34
	ds_load_2addr_b32 v[29:30], v18 offset0:192 offset1:208
	s_wait_dscnt 0x6
	v_fmac_f32_e32 v27, v50, v31
	v_fmac_f32_e32 v28, v49, v31
	;; [unrolled: 6-line block ×3, first 2 shown]
	v_fmac_f32_e32 v25, v52, v36
	v_fmac_f32_e32 v26, v51, v36
	s_wait_loadcnt_dscnt 0x0
	v_fmac_f32_e32 v27, v54, v37
	v_fmac_f32_e32 v28, v53, v37
	;; [unrolled: 1-line block ×4, first 2 shown]
	s_barrier_signal -1
	v_fmac_f32_e32 v27, v46, v38
	v_fmac_f32_e32 v28, v45, v38
	;; [unrolled: 1-line block ×4, first 2 shown]
	s_barrier_wait -1
	v_fmac_f32_e32 v27, v30, v39
	v_fmac_f32_e32 v28, v29, v39
	;; [unrolled: 1-line block ×4, first 2 shown]
	global_inv scope:SCOPE_SE
	v_fmac_f32_e32 v27, v34, v40
	v_fmac_f32_e32 v28, v33, v40
	v_fmac_f32_e32 v25, v34, v44
	v_fmac_f32_e32 v26, v33, v44
	s_cbranch_scc0 .LBB310_13
.LBB310_9:                              ;   Parent Loop BB310_6 Depth=1
                                        ; =>  This Inner Loop Header: Depth=2
	s_wait_alu 0xfffe
	v_add_nc_u32_e32 v29, s14, v15
	s_delay_alu instid0(VALU_DEP_1)
	v_cmp_gt_i32_e32 vcc_lo, s9, v29
	v_mov_b32_e32 v29, 0
	s_and_b32 s22, s0, vcc_lo
	s_wait_alu 0xfffe
	s_and_saveexec_b32 s15, s22
	s_cbranch_execz .LBB310_11
; %bb.10:                               ;   in Loop: Header=BB310_9 Depth=2
	flat_load_b32 v29, v[10:11]
.LBB310_11:                             ;   in Loop: Header=BB310_9 Depth=2
	s_wait_alu 0xfffe
	s_or_b32 exec_lo, exec_lo, s15
	v_add_nc_u32_e32 v30, s14, v14
	s_wait_loadcnt_dscnt 0x0
	ds_store_b32 v16, v29
	v_cmp_gt_i32_e32 vcc_lo, s9, v30
	v_mov_b32_e32 v30, 0
	s_and_b32 s22, vcc_lo, s1
	s_wait_alu 0xfffe
	s_and_saveexec_b32 s15, s22
	s_cbranch_execz .LBB310_8
; %bb.12:                               ;   in Loop: Header=BB310_9 Depth=2
	flat_load_b32 v30, v[12:13]
	s_branch .LBB310_8
.LBB310_13:                             ;   in Loop: Header=BB310_6 Depth=1
	s_wait_loadcnt 0x0
	v_add_co_u32 v8, vcc_lo, v8, s4
	s_wait_alu 0xfffd
	v_add_co_ci_u32_e64 v9, null, s5, v9, vcc_lo
	s_delay_alu instid0(VALU_DEP_2) | instskip(SKIP_1) | instid1(VALU_DEP_2)
	v_add_co_u32 v10, vcc_lo, v8, v4
	s_wait_alu 0xfffd
	v_add_co_ci_u32_e64 v11, null, v9, v5, vcc_lo
	s_and_saveexec_b32 s14, s29
	s_cbranch_execz .LBB310_17
; %bb.14:                               ;   in Loop: Header=BB310_6 Depth=1
	v_mul_f32_e32 v12, s10, v28
	s_and_b32 vcc_lo, exec_lo, s28
	s_wait_alu 0xfffe
	s_cbranch_vccz .LBB310_28
; %bb.15:                               ;   in Loop: Header=BB310_6 Depth=1
	v_lshlrev_b64_e32 v[28:29], 2, v[0:1]
	s_delay_alu instid0(VALU_DEP_1) | instskip(SKIP_1) | instid1(VALU_DEP_2)
	v_add_co_u32 v28, vcc_lo, v10, v28
	s_wait_alu 0xfffd
	v_add_co_ci_u32_e64 v29, null, v11, v29, vcc_lo
	flat_load_b32 v13, v[28:29]
	s_wait_loadcnt_dscnt 0x0
	v_fma_f32 v13, s11, v13, v12
	flat_store_b32 v[28:29], v13
	s_cbranch_execnz .LBB310_17
.LBB310_16:                             ;   in Loop: Header=BB310_6 Depth=1
	v_lshlrev_b64_e32 v[28:29], 2, v[0:1]
	s_delay_alu instid0(VALU_DEP_1) | instskip(SKIP_1) | instid1(VALU_DEP_2)
	v_add_co_u32 v28, vcc_lo, v10, v28
	s_wait_alu 0xfffd
	v_add_co_ci_u32_e64 v29, null, v11, v29, vcc_lo
	flat_store_b32 v[28:29], v12
.LBB310_17:                             ;   in Loop: Header=BB310_6 Depth=1
	s_wait_alu 0xfffe
	s_or_b32 exec_lo, exec_lo, s14
	s_and_saveexec_b32 s14, s30
	s_cbranch_execz .LBB310_21
; %bb.18:                               ;   in Loop: Header=BB310_6 Depth=1
	v_mul_f32_e32 v12, s10, v27
	s_and_not1_b32 vcc_lo, exec_lo, s28
	s_wait_alu 0xfffe
	s_cbranch_vccnz .LBB310_29
; %bb.19:                               ;   in Loop: Header=BB310_6 Depth=1
	v_lshlrev_b64_e32 v[27:28], 2, v[2:3]
	s_delay_alu instid0(VALU_DEP_1) | instskip(SKIP_1) | instid1(VALU_DEP_2)
	v_add_co_u32 v27, vcc_lo, v10, v27
	s_wait_alu 0xfffd
	v_add_co_ci_u32_e64 v28, null, v11, v28, vcc_lo
	flat_load_b32 v13, v[27:28]
	s_wait_loadcnt_dscnt 0x0
	v_fma_f32 v13, s11, v13, v12
	flat_store_b32 v[27:28], v13
	s_cbranch_execnz .LBB310_21
.LBB310_20:                             ;   in Loop: Header=BB310_6 Depth=1
	v_lshlrev_b64_e32 v[27:28], 2, v[2:3]
	s_delay_alu instid0(VALU_DEP_1) | instskip(SKIP_1) | instid1(VALU_DEP_2)
	v_add_co_u32 v10, vcc_lo, v10, v27
	s_wait_alu 0xfffd
	v_add_co_ci_u32_e64 v11, null, v11, v28, vcc_lo
	flat_store_b32 v[10:11], v12
.LBB310_21:                             ;   in Loop: Header=BB310_6 Depth=1
	s_wait_alu 0xfffe
	s_or_b32 exec_lo, exec_lo, s14
	v_add_co_u32 v10, vcc_lo, v8, v6
	s_wait_alu 0xfffd
	v_add_co_ci_u32_e64 v11, null, v9, v7, vcc_lo
	s_and_saveexec_b32 s14, s8
	s_cbranch_execz .LBB310_25
; %bb.22:                               ;   in Loop: Header=BB310_6 Depth=1
	v_lshlrev_b64_e32 v[8:9], 2, v[0:1]
	v_mul_f32_e32 v12, s10, v26
	s_and_not1_b32 vcc_lo, exec_lo, s28
	s_wait_alu 0xfffe
	s_cbranch_vccnz .LBB310_30
; %bb.23:                               ;   in Loop: Header=BB310_6 Depth=1
	s_delay_alu instid0(VALU_DEP_2)
	v_add_co_u32 v26, vcc_lo, v10, v8
	s_wait_alu 0xfffd
	v_add_co_ci_u32_e64 v27, null, v11, v9, vcc_lo
	flat_load_b32 v13, v[26:27]
	s_wait_loadcnt_dscnt 0x0
	v_fma_f32 v13, s11, v13, v12
	flat_store_b32 v[26:27], v13
	s_cbranch_execnz .LBB310_25
.LBB310_24:                             ;   in Loop: Header=BB310_6 Depth=1
	v_add_co_u32 v8, vcc_lo, v10, v8
	s_wait_alu 0xfffd
	v_add_co_ci_u32_e64 v9, null, v11, v9, vcc_lo
	flat_store_b32 v[8:9], v12
.LBB310_25:                             ;   in Loop: Header=BB310_6 Depth=1
	s_wait_alu 0xfffe
	s_or_b32 exec_lo, exec_lo, s14
	s_and_saveexec_b32 s14, s26
	s_cbranch_execz .LBB310_5
; %bb.26:                               ;   in Loop: Header=BB310_6 Depth=1
	v_lshlrev_b64_e32 v[8:9], 2, v[2:3]
	v_mul_f32_e32 v12, s10, v25
	s_and_not1_b32 vcc_lo, exec_lo, s28
	s_wait_alu 0xfffe
	s_cbranch_vccnz .LBB310_31
; %bb.27:                               ;   in Loop: Header=BB310_6 Depth=1
	s_delay_alu instid0(VALU_DEP_2)
	v_add_co_u32 v25, vcc_lo, v10, v8
	s_wait_alu 0xfffd
	v_add_co_ci_u32_e64 v26, null, v11, v9, vcc_lo
	flat_load_b32 v13, v[25:26]
	s_wait_loadcnt_dscnt 0x0
	v_fma_f32 v13, s11, v13, v12
	flat_store_b32 v[25:26], v13
	s_cbranch_execnz .LBB310_5
	s_branch .LBB310_32
.LBB310_28:                             ;   in Loop: Header=BB310_6 Depth=1
	s_branch .LBB310_16
.LBB310_29:                             ;   in Loop: Header=BB310_6 Depth=1
	s_branch .LBB310_20
.LBB310_30:                             ;   in Loop: Header=BB310_6 Depth=1
	s_branch .LBB310_24
.LBB310_31:                             ;   in Loop: Header=BB310_6 Depth=1
.LBB310_32:                             ;   in Loop: Header=BB310_6 Depth=1
	s_delay_alu instid0(VALU_DEP_2)
	v_add_co_u32 v8, vcc_lo, v10, v8
	s_wait_alu 0xfffd
	v_add_co_ci_u32_e64 v9, null, v11, v9, vcc_lo
	flat_store_b32 v[8:9], v12
	s_branch .LBB310_5
.LBB310_33:
	s_endpgm
	.section	.rodata,"a",@progbits
	.p2align	6, 0x0
	.amdhsa_kernel _ZL29rocblas_internal_gemmt_kernelIiLi16ELi32ELi8ELc84ELc84ELc85ELb0ELb0EffPKPKfPKPfEviT_T9_T10_S7_lS9_S7_lS8_T11_S7_li
		.amdhsa_group_segment_fixed_size 2048
		.amdhsa_private_segment_fixed_size 0
		.amdhsa_kernarg_size 100
		.amdhsa_user_sgpr_count 2
		.amdhsa_user_sgpr_dispatch_ptr 0
		.amdhsa_user_sgpr_queue_ptr 0
		.amdhsa_user_sgpr_kernarg_segment_ptr 1
		.amdhsa_user_sgpr_dispatch_id 0
		.amdhsa_user_sgpr_private_segment_size 0
		.amdhsa_wavefront_size32 1
		.amdhsa_uses_dynamic_stack 0
		.amdhsa_enable_private_segment 0
		.amdhsa_system_sgpr_workgroup_id_x 1
		.amdhsa_system_sgpr_workgroup_id_y 1
		.amdhsa_system_sgpr_workgroup_id_z 1
		.amdhsa_system_sgpr_workgroup_info 0
		.amdhsa_system_vgpr_workitem_id 1
		.amdhsa_next_free_vgpr 55
		.amdhsa_next_free_sgpr 32
		.amdhsa_reserve_vcc 1
		.amdhsa_float_round_mode_32 0
		.amdhsa_float_round_mode_16_64 0
		.amdhsa_float_denorm_mode_32 3
		.amdhsa_float_denorm_mode_16_64 3
		.amdhsa_fp16_overflow 0
		.amdhsa_workgroup_processor_mode 1
		.amdhsa_memory_ordered 1
		.amdhsa_forward_progress 1
		.amdhsa_inst_pref_size 15
		.amdhsa_round_robin_scheduling 0
		.amdhsa_exception_fp_ieee_invalid_op 0
		.amdhsa_exception_fp_denorm_src 0
		.amdhsa_exception_fp_ieee_div_zero 0
		.amdhsa_exception_fp_ieee_overflow 0
		.amdhsa_exception_fp_ieee_underflow 0
		.amdhsa_exception_fp_ieee_inexact 0
		.amdhsa_exception_int_div_zero 0
	.end_amdhsa_kernel
	.section	.text._ZL29rocblas_internal_gemmt_kernelIiLi16ELi32ELi8ELc84ELc84ELc85ELb0ELb0EffPKPKfPKPfEviT_T9_T10_S7_lS9_S7_lS8_T11_S7_li,"axG",@progbits,_ZL29rocblas_internal_gemmt_kernelIiLi16ELi32ELi8ELc84ELc84ELc85ELb0ELb0EffPKPKfPKPfEviT_T9_T10_S7_lS9_S7_lS8_T11_S7_li,comdat
.Lfunc_end310:
	.size	_ZL29rocblas_internal_gemmt_kernelIiLi16ELi32ELi8ELc84ELc84ELc85ELb0ELb0EffPKPKfPKPfEviT_T9_T10_S7_lS9_S7_lS8_T11_S7_li, .Lfunc_end310-_ZL29rocblas_internal_gemmt_kernelIiLi16ELi32ELi8ELc84ELc84ELc85ELb0ELb0EffPKPKfPKPfEviT_T9_T10_S7_lS9_S7_lS8_T11_S7_li
                                        ; -- End function
	.set _ZL29rocblas_internal_gemmt_kernelIiLi16ELi32ELi8ELc84ELc84ELc85ELb0ELb0EffPKPKfPKPfEviT_T9_T10_S7_lS9_S7_lS8_T11_S7_li.num_vgpr, 55
	.set _ZL29rocblas_internal_gemmt_kernelIiLi16ELi32ELi8ELc84ELc84ELc85ELb0ELb0EffPKPKfPKPfEviT_T9_T10_S7_lS9_S7_lS8_T11_S7_li.num_agpr, 0
	.set _ZL29rocblas_internal_gemmt_kernelIiLi16ELi32ELi8ELc84ELc84ELc85ELb0ELb0EffPKPKfPKPfEviT_T9_T10_S7_lS9_S7_lS8_T11_S7_li.numbered_sgpr, 32
	.set _ZL29rocblas_internal_gemmt_kernelIiLi16ELi32ELi8ELc84ELc84ELc85ELb0ELb0EffPKPKfPKPfEviT_T9_T10_S7_lS9_S7_lS8_T11_S7_li.num_named_barrier, 0
	.set _ZL29rocblas_internal_gemmt_kernelIiLi16ELi32ELi8ELc84ELc84ELc85ELb0ELb0EffPKPKfPKPfEviT_T9_T10_S7_lS9_S7_lS8_T11_S7_li.private_seg_size, 0
	.set _ZL29rocblas_internal_gemmt_kernelIiLi16ELi32ELi8ELc84ELc84ELc85ELb0ELb0EffPKPKfPKPfEviT_T9_T10_S7_lS9_S7_lS8_T11_S7_li.uses_vcc, 1
	.set _ZL29rocblas_internal_gemmt_kernelIiLi16ELi32ELi8ELc84ELc84ELc85ELb0ELb0EffPKPKfPKPfEviT_T9_T10_S7_lS9_S7_lS8_T11_S7_li.uses_flat_scratch, 0
	.set _ZL29rocblas_internal_gemmt_kernelIiLi16ELi32ELi8ELc84ELc84ELc85ELb0ELb0EffPKPKfPKPfEviT_T9_T10_S7_lS9_S7_lS8_T11_S7_li.has_dyn_sized_stack, 0
	.set _ZL29rocblas_internal_gemmt_kernelIiLi16ELi32ELi8ELc84ELc84ELc85ELb0ELb0EffPKPKfPKPfEviT_T9_T10_S7_lS9_S7_lS8_T11_S7_li.has_recursion, 0
	.set _ZL29rocblas_internal_gemmt_kernelIiLi16ELi32ELi8ELc84ELc84ELc85ELb0ELb0EffPKPKfPKPfEviT_T9_T10_S7_lS9_S7_lS8_T11_S7_li.has_indirect_call, 0
	.section	.AMDGPU.csdata,"",@progbits
; Kernel info:
; codeLenInByte = 1868
; TotalNumSgprs: 34
; NumVgprs: 55
; ScratchSize: 0
; MemoryBound: 0
; FloatMode: 240
; IeeeMode: 1
; LDSByteSize: 2048 bytes/workgroup (compile time only)
; SGPRBlocks: 0
; VGPRBlocks: 6
; NumSGPRsForWavesPerEU: 34
; NumVGPRsForWavesPerEU: 55
; Occupancy: 16
; WaveLimiterHint : 1
; COMPUTE_PGM_RSRC2:SCRATCH_EN: 0
; COMPUTE_PGM_RSRC2:USER_SGPR: 2
; COMPUTE_PGM_RSRC2:TRAP_HANDLER: 0
; COMPUTE_PGM_RSRC2:TGID_X_EN: 1
; COMPUTE_PGM_RSRC2:TGID_Y_EN: 1
; COMPUTE_PGM_RSRC2:TGID_Z_EN: 1
; COMPUTE_PGM_RSRC2:TIDIG_COMP_CNT: 1
	.section	.text._ZL29rocblas_internal_gemmt_kernelIiLi16ELi32ELi8ELc84ELc67ELc85ELb0ELb0EffPKPKfPKPfEviT_T9_T10_S7_lS9_S7_lS8_T11_S7_li,"axG",@progbits,_ZL29rocblas_internal_gemmt_kernelIiLi16ELi32ELi8ELc84ELc67ELc85ELb0ELb0EffPKPKfPKPfEviT_T9_T10_S7_lS9_S7_lS8_T11_S7_li,comdat
	.globl	_ZL29rocblas_internal_gemmt_kernelIiLi16ELi32ELi8ELc84ELc67ELc85ELb0ELb0EffPKPKfPKPfEviT_T9_T10_S7_lS9_S7_lS8_T11_S7_li ; -- Begin function _ZL29rocblas_internal_gemmt_kernelIiLi16ELi32ELi8ELc84ELc67ELc85ELb0ELb0EffPKPKfPKPfEviT_T9_T10_S7_lS9_S7_lS8_T11_S7_li
	.p2align	8
	.type	_ZL29rocblas_internal_gemmt_kernelIiLi16ELi32ELi8ELc84ELc67ELc85ELb0ELb0EffPKPKfPKPfEviT_T9_T10_S7_lS9_S7_lS8_T11_S7_li,@function
_ZL29rocblas_internal_gemmt_kernelIiLi16ELi32ELi8ELc84ELc67ELc85ELb0ELb0EffPKPKfPKPfEviT_T9_T10_S7_lS9_S7_lS8_T11_S7_li: ; @_ZL29rocblas_internal_gemmt_kernelIiLi16ELi32ELi8ELc84ELc67ELc85ELb0ELb0EffPKPKfPKPfEviT_T9_T10_S7_lS9_S7_lS8_T11_S7_li
; %bb.0:
	s_clause 0x1
	s_load_b32 s11, s[0:1], 0x40
	s_load_b96 s[8:10], s[0:1], 0x0
	s_wait_kmcnt 0x0
	s_cmp_neq_f32 s11, 1.0
	s_cselect_b32 s2, -1, 0
	s_delay_alu instid0(SALU_CYCLE_1)
	s_and_b32 vcc_lo, exec_lo, s2
	s_cbranch_vccnz .LBB311_2
; %bb.1:
	s_cmp_lg_u32 s9, 0
	s_cselect_b32 s2, -1, 0
	s_cmp_neq_f32 s10, 0
	s_cselect_b32 s3, -1, 0
	s_delay_alu instid0(SALU_CYCLE_1)
	s_and_b32 s2, s2, s3
.LBB311_2:
	s_delay_alu instid0(SALU_CYCLE_1)
	s_and_not1_b32 vcc_lo, exec_lo, s2
	s_cbranch_vccnz .LBB311_33
; %bb.3:
	s_load_b32 s19, s[0:1], 0x60
	s_lshr_b32 s20, ttmp7, 16
	s_wait_kmcnt 0x0
	s_cmp_ge_u32 s20, s19
	s_cbranch_scc1 .LBB311_33
; %bb.4:
	v_dual_mov_b32 v20, 0 :: v_dual_and_b32 v1, 0x3ff, v0
	v_bfe_u32 v3, v0, 10, 10
	v_and_b32_e32 v14, 7, v0
	s_clause 0x5
	s_load_b32 s22, s[0:1], 0x30
	s_load_b96 s[12:14], s[0:1], 0x10
	s_load_b128 s[4:7], s[0:1], 0x20
	s_load_b64 s[26:27], s[0:1], 0x38
	s_load_b96 s[16:18], s[0:1], 0x48
	s_load_b64 s[24:25], s[0:1], 0x58
	v_lshl_add_u32 v0, v3, 4, v1
	v_lshlrev_b32_e32 v4, 2, v14
	s_lshl_b32 s2, ttmp9, 5
	s_lshl_b32 s0, ttmp7, 5
	v_lshlrev_b32_e32 v18, 2, v1
	v_and_b32_e32 v2, 31, v0
	v_lshrrev_b32_e32 v5, 3, v0
	v_lshrrev_b32_e32 v15, 5, v0
	s_and_b32 s3, s0, 0x1fffe0
	v_lshl_add_u32 v19, v3, 5, 0x400
	v_lshlrev_b32_e32 v0, 2, v2
	v_or_b32_e32 v6, s2, v2
	v_lshl_or_b32 v2, v5, 5, v4
	v_add_nc_u32_e32 v7, s3, v3
	v_add_nc_u32_e32 v12, s3, v5
	v_lshl_or_b32 v16, v15, 7, v0
	v_add_nc_u32_e32 v0, s2, v1
	v_add_nc_u32_e32 v17, 0x400, v2
	s_wait_kmcnt 0x0
	s_ashr_i32 s23, s22, 31
	v_cmp_gt_i32_e64 s0, s8, v6
	v_cmp_gt_i32_e32 vcc_lo, s8, v7
	v_add_nc_u32_e32 v2, 16, v0
	v_cmp_le_i32_e64 s2, v0, v7
	v_mad_co_i64_i32 v[4:5], null, v7, s18, 0
	v_add_nc_u32_e32 v13, 16, v7
	s_delay_alu instid0(VALU_DEP_4)
	v_cmp_le_i32_e64 s3, v2, v7
	v_mad_co_i64_i32 v[6:7], null, s14, v6, 0
	s_cmp_neq_f32 s10, 0
	v_mad_co_i64_i32 v[8:9], null, s22, v14, 0
	v_cmp_gt_i32_e64 s1, s8, v12
	s_cselect_b32 s15, -1, 0
	s_cmp_gt_i32 s9, 0
	v_lshlrev_b64_e32 v[6:7], 2, v[6:7]
	s_cselect_b32 s31, -1, 0
	s_cmp_neq_f32 s11, 0
	v_lshlrev_b64_e32 v[8:9], 2, v[8:9]
	v_mad_co_i64_i32 v[10:11], null, v13, s18, 0
	s_cselect_b32 s28, -1, 0
	s_and_b32 s29, vcc_lo, s2
	s_and_b32 s30, vcc_lo, s3
	v_cmp_gt_i32_e32 vcc_lo, s8, v13
	v_cmp_le_i32_e64 s2, v0, v13
	s_lshl_b64 s[4:5], s[4:5], 2
	v_lshlrev_b32_e32 v12, 2, v12
	v_add_co_u32 v6, s3, v6, s4
	s_and_b32 s8, vcc_lo, s2
	v_cmp_le_i32_e64 s2, v2, v13
	v_add_co_ci_u32_e64 v7, null, s5, v7, s3
	v_lshlrev_b32_e32 v13, 2, v15
	s_lshl_b64 s[4:5], s[26:27], 2
	v_lshlrev_b64_e32 v[4:5], 2, v[4:5]
	s_wait_alu 0xfffe
	v_add_co_u32 v8, s3, v8, s4
	s_wait_alu 0xf1ff
	v_add_co_ci_u32_e64 v9, null, s5, v9, s3
	v_add_co_u32 v21, s3, v6, v13
	s_wait_alu 0xf1ff
	v_add_co_ci_u32_e64 v22, null, 0, v7, s3
	v_add_co_u32 v23, s3, v8, v12
	v_lshlrev_b64_e32 v[6:7], 2, v[10:11]
	v_ashrrev_i32_e32 v1, 31, v0
	v_ashrrev_i32_e32 v3, 31, v2
	s_wait_alu 0xf1ff
	v_add_co_ci_u32_e64 v24, null, 0, v9, s3
	s_mov_b32 s21, 0
	s_and_b32 s18, s15, s31
	s_and_b32 s26, vcc_lo, s2
	s_lshl_b64 s[2:3], s[22:23], 5
	s_lshl_b64 s[4:5], s[24:25], 2
	s_branch .LBB311_6
.LBB311_5:                              ;   in Loop: Header=BB311_6 Depth=1
	s_wait_alu 0xfffe
	s_or_b32 exec_lo, exec_lo, s14
	s_add_co_i32 s20, s20, 0x10000
	s_delay_alu instid0(SALU_CYCLE_1)
	s_cmp_lt_u32 s20, s19
	s_cbranch_scc0 .LBB311_33
.LBB311_6:                              ; =>This Loop Header: Depth=1
                                        ;     Child Loop BB311_9 Depth 2
	s_lshl_b64 s[14:15], s[20:21], 3
	v_dual_mov_b32 v28, 0 :: v_dual_mov_b32 v27, 0
	s_wait_alu 0xfffe
	s_add_nc_u64 s[22:23], s[16:17], s[14:15]
	v_dual_mov_b32 v26, 0 :: v_dual_mov_b32 v25, 0
	global_load_b64 v[8:9], v20, s[22:23]
	s_and_not1_b32 vcc_lo, exec_lo, s18
	s_wait_alu 0xfffe
	s_cbranch_vccnz .LBB311_13
; %bb.7:                                ;   in Loop: Header=BB311_6 Depth=1
	s_add_nc_u64 s[22:23], s[12:13], s[14:15]
	s_add_nc_u64 s[14:15], s[6:7], s[14:15]
	s_clause 0x1
	global_load_b64 v[10:11], v20, s[22:23]
	global_load_b64 v[12:13], v20, s[14:15]
	v_dual_mov_b32 v25, 0 :: v_dual_mov_b32 v26, 0
	v_dual_mov_b32 v27, 0 :: v_dual_mov_b32 v28, 0
	s_mov_b32 s14, 0
	s_wait_loadcnt 0x1
	v_add_co_u32 v10, vcc_lo, v10, v21
	s_wait_alu 0xfffd
	v_add_co_ci_u32_e64 v11, null, v11, v22, vcc_lo
	s_wait_loadcnt 0x0
	v_add_co_u32 v12, vcc_lo, v12, v23
	s_wait_alu 0xfffd
	v_add_co_ci_u32_e64 v13, null, v13, v24, vcc_lo
	s_branch .LBB311_9
.LBB311_8:                              ;   in Loop: Header=BB311_9 Depth=2
	s_wait_alu 0xfffe
	s_or_b32 exec_lo, exec_lo, s15
	s_wait_loadcnt_dscnt 0x0
	ds_store_b32 v17, v30
	s_wait_dscnt 0x0
	s_barrier_signal -1
	s_barrier_wait -1
	global_inv scope:SCOPE_SE
	ds_load_b128 v[29:32], v19
	ds_load_2addr_b32 v[45:46], v18 offset1:16
	ds_load_b128 v[33:36], v19 offset:512
	ds_load_2addr_b32 v[47:48], v18 offset0:32 offset1:48
	ds_load_2addr_b32 v[49:50], v18 offset0:64 offset1:80
	;; [unrolled: 1-line block ×3, first 2 shown]
	ds_load_b128 v[37:40], v19 offset:16
	ds_load_2addr_b32 v[53:54], v18 offset0:128 offset1:144
	ds_load_b128 v[41:44], v19 offset:528
	v_add_co_u32 v10, vcc_lo, v10, 32
	s_wait_alu 0xfffd
	v_add_co_ci_u32_e64 v11, null, 0, v11, vcc_lo
	v_add_co_u32 v12, vcc_lo, v12, s2
	s_wait_alu 0xfffd
	v_add_co_ci_u32_e64 v13, null, s3, v13, vcc_lo
	s_add_co_i32 s14, s14, 8
	s_wait_alu 0xfffe
	s_cmp_lt_i32 s14, s9
	s_wait_dscnt 0x7
	v_fmac_f32_e32 v27, v46, v29
	v_fmac_f32_e32 v28, v45, v29
	s_wait_dscnt 0x6
	v_fmac_f32_e32 v25, v46, v33
	v_fmac_f32_e32 v26, v45, v33
	ds_load_2addr_b32 v[45:46], v18 offset0:160 offset1:176
	s_wait_dscnt 0x6
	v_fmac_f32_e32 v27, v48, v30
	v_fmac_f32_e32 v28, v47, v30
	v_fmac_f32_e32 v25, v48, v34
	v_fmac_f32_e32 v26, v47, v34
	ds_load_2addr_b32 v[29:30], v18 offset0:192 offset1:208
	s_wait_dscnt 0x6
	v_fmac_f32_e32 v27, v50, v31
	v_fmac_f32_e32 v28, v49, v31
	;; [unrolled: 6-line block ×3, first 2 shown]
	v_fmac_f32_e32 v25, v52, v36
	v_fmac_f32_e32 v26, v51, v36
	s_wait_loadcnt_dscnt 0x0
	v_fmac_f32_e32 v27, v54, v37
	v_fmac_f32_e32 v28, v53, v37
	;; [unrolled: 1-line block ×4, first 2 shown]
	s_barrier_signal -1
	v_fmac_f32_e32 v27, v46, v38
	v_fmac_f32_e32 v28, v45, v38
	;; [unrolled: 1-line block ×4, first 2 shown]
	s_barrier_wait -1
	v_fmac_f32_e32 v27, v30, v39
	v_fmac_f32_e32 v28, v29, v39
	;; [unrolled: 1-line block ×4, first 2 shown]
	global_inv scope:SCOPE_SE
	v_fmac_f32_e32 v27, v34, v40
	v_fmac_f32_e32 v28, v33, v40
	;; [unrolled: 1-line block ×4, first 2 shown]
	s_cbranch_scc0 .LBB311_13
.LBB311_9:                              ;   Parent Loop BB311_6 Depth=1
                                        ; =>  This Inner Loop Header: Depth=2
	s_wait_alu 0xfffe
	v_add_nc_u32_e32 v29, s14, v15
	s_delay_alu instid0(VALU_DEP_1)
	v_cmp_gt_i32_e32 vcc_lo, s9, v29
	v_mov_b32_e32 v29, 0
	s_and_b32 s22, s0, vcc_lo
	s_wait_alu 0xfffe
	s_and_saveexec_b32 s15, s22
	s_cbranch_execz .LBB311_11
; %bb.10:                               ;   in Loop: Header=BB311_9 Depth=2
	flat_load_b32 v29, v[10:11]
.LBB311_11:                             ;   in Loop: Header=BB311_9 Depth=2
	s_wait_alu 0xfffe
	s_or_b32 exec_lo, exec_lo, s15
	v_add_nc_u32_e32 v30, s14, v14
	s_wait_loadcnt_dscnt 0x0
	ds_store_b32 v16, v29
	v_cmp_gt_i32_e32 vcc_lo, s9, v30
	v_mov_b32_e32 v30, 0
	s_and_b32 s22, vcc_lo, s1
	s_wait_alu 0xfffe
	s_and_saveexec_b32 s15, s22
	s_cbranch_execz .LBB311_8
; %bb.12:                               ;   in Loop: Header=BB311_9 Depth=2
	flat_load_b32 v30, v[12:13]
	s_branch .LBB311_8
.LBB311_13:                             ;   in Loop: Header=BB311_6 Depth=1
	s_wait_loadcnt 0x0
	v_add_co_u32 v8, vcc_lo, v8, s4
	s_wait_alu 0xfffd
	v_add_co_ci_u32_e64 v9, null, s5, v9, vcc_lo
	s_delay_alu instid0(VALU_DEP_2) | instskip(SKIP_1) | instid1(VALU_DEP_2)
	v_add_co_u32 v10, vcc_lo, v8, v4
	s_wait_alu 0xfffd
	v_add_co_ci_u32_e64 v11, null, v9, v5, vcc_lo
	s_and_saveexec_b32 s14, s29
	s_cbranch_execz .LBB311_17
; %bb.14:                               ;   in Loop: Header=BB311_6 Depth=1
	v_mul_f32_e32 v12, s10, v28
	s_and_b32 vcc_lo, exec_lo, s28
	s_wait_alu 0xfffe
	s_cbranch_vccz .LBB311_28
; %bb.15:                               ;   in Loop: Header=BB311_6 Depth=1
	v_lshlrev_b64_e32 v[28:29], 2, v[0:1]
	s_delay_alu instid0(VALU_DEP_1) | instskip(SKIP_1) | instid1(VALU_DEP_2)
	v_add_co_u32 v28, vcc_lo, v10, v28
	s_wait_alu 0xfffd
	v_add_co_ci_u32_e64 v29, null, v11, v29, vcc_lo
	flat_load_b32 v13, v[28:29]
	s_wait_loadcnt_dscnt 0x0
	v_fma_f32 v13, s11, v13, v12
	flat_store_b32 v[28:29], v13
	s_cbranch_execnz .LBB311_17
.LBB311_16:                             ;   in Loop: Header=BB311_6 Depth=1
	v_lshlrev_b64_e32 v[28:29], 2, v[0:1]
	s_delay_alu instid0(VALU_DEP_1) | instskip(SKIP_1) | instid1(VALU_DEP_2)
	v_add_co_u32 v28, vcc_lo, v10, v28
	s_wait_alu 0xfffd
	v_add_co_ci_u32_e64 v29, null, v11, v29, vcc_lo
	flat_store_b32 v[28:29], v12
.LBB311_17:                             ;   in Loop: Header=BB311_6 Depth=1
	s_wait_alu 0xfffe
	s_or_b32 exec_lo, exec_lo, s14
	s_and_saveexec_b32 s14, s30
	s_cbranch_execz .LBB311_21
; %bb.18:                               ;   in Loop: Header=BB311_6 Depth=1
	v_mul_f32_e32 v12, s10, v27
	s_and_not1_b32 vcc_lo, exec_lo, s28
	s_wait_alu 0xfffe
	s_cbranch_vccnz .LBB311_29
; %bb.19:                               ;   in Loop: Header=BB311_6 Depth=1
	v_lshlrev_b64_e32 v[27:28], 2, v[2:3]
	s_delay_alu instid0(VALU_DEP_1) | instskip(SKIP_1) | instid1(VALU_DEP_2)
	v_add_co_u32 v27, vcc_lo, v10, v27
	s_wait_alu 0xfffd
	v_add_co_ci_u32_e64 v28, null, v11, v28, vcc_lo
	flat_load_b32 v13, v[27:28]
	s_wait_loadcnt_dscnt 0x0
	v_fma_f32 v13, s11, v13, v12
	flat_store_b32 v[27:28], v13
	s_cbranch_execnz .LBB311_21
.LBB311_20:                             ;   in Loop: Header=BB311_6 Depth=1
	v_lshlrev_b64_e32 v[27:28], 2, v[2:3]
	s_delay_alu instid0(VALU_DEP_1) | instskip(SKIP_1) | instid1(VALU_DEP_2)
	v_add_co_u32 v10, vcc_lo, v10, v27
	s_wait_alu 0xfffd
	v_add_co_ci_u32_e64 v11, null, v11, v28, vcc_lo
	flat_store_b32 v[10:11], v12
.LBB311_21:                             ;   in Loop: Header=BB311_6 Depth=1
	s_wait_alu 0xfffe
	s_or_b32 exec_lo, exec_lo, s14
	v_add_co_u32 v10, vcc_lo, v8, v6
	s_wait_alu 0xfffd
	v_add_co_ci_u32_e64 v11, null, v9, v7, vcc_lo
	s_and_saveexec_b32 s14, s8
	s_cbranch_execz .LBB311_25
; %bb.22:                               ;   in Loop: Header=BB311_6 Depth=1
	v_lshlrev_b64_e32 v[8:9], 2, v[0:1]
	v_mul_f32_e32 v12, s10, v26
	s_and_not1_b32 vcc_lo, exec_lo, s28
	s_wait_alu 0xfffe
	s_cbranch_vccnz .LBB311_30
; %bb.23:                               ;   in Loop: Header=BB311_6 Depth=1
	s_delay_alu instid0(VALU_DEP_2)
	v_add_co_u32 v26, vcc_lo, v10, v8
	s_wait_alu 0xfffd
	v_add_co_ci_u32_e64 v27, null, v11, v9, vcc_lo
	flat_load_b32 v13, v[26:27]
	s_wait_loadcnt_dscnt 0x0
	v_fma_f32 v13, s11, v13, v12
	flat_store_b32 v[26:27], v13
	s_cbranch_execnz .LBB311_25
.LBB311_24:                             ;   in Loop: Header=BB311_6 Depth=1
	v_add_co_u32 v8, vcc_lo, v10, v8
	s_wait_alu 0xfffd
	v_add_co_ci_u32_e64 v9, null, v11, v9, vcc_lo
	flat_store_b32 v[8:9], v12
.LBB311_25:                             ;   in Loop: Header=BB311_6 Depth=1
	s_wait_alu 0xfffe
	s_or_b32 exec_lo, exec_lo, s14
	s_and_saveexec_b32 s14, s26
	s_cbranch_execz .LBB311_5
; %bb.26:                               ;   in Loop: Header=BB311_6 Depth=1
	v_lshlrev_b64_e32 v[8:9], 2, v[2:3]
	v_mul_f32_e32 v12, s10, v25
	s_and_not1_b32 vcc_lo, exec_lo, s28
	s_wait_alu 0xfffe
	s_cbranch_vccnz .LBB311_31
; %bb.27:                               ;   in Loop: Header=BB311_6 Depth=1
	s_delay_alu instid0(VALU_DEP_2)
	v_add_co_u32 v25, vcc_lo, v10, v8
	s_wait_alu 0xfffd
	v_add_co_ci_u32_e64 v26, null, v11, v9, vcc_lo
	flat_load_b32 v13, v[25:26]
	s_wait_loadcnt_dscnt 0x0
	v_fma_f32 v13, s11, v13, v12
	flat_store_b32 v[25:26], v13
	s_cbranch_execnz .LBB311_5
	s_branch .LBB311_32
.LBB311_28:                             ;   in Loop: Header=BB311_6 Depth=1
	s_branch .LBB311_16
.LBB311_29:                             ;   in Loop: Header=BB311_6 Depth=1
	s_branch .LBB311_20
.LBB311_30:                             ;   in Loop: Header=BB311_6 Depth=1
	s_branch .LBB311_24
.LBB311_31:                             ;   in Loop: Header=BB311_6 Depth=1
.LBB311_32:                             ;   in Loop: Header=BB311_6 Depth=1
	s_delay_alu instid0(VALU_DEP_2)
	v_add_co_u32 v8, vcc_lo, v10, v8
	s_wait_alu 0xfffd
	v_add_co_ci_u32_e64 v9, null, v11, v9, vcc_lo
	flat_store_b32 v[8:9], v12
	s_branch .LBB311_5
.LBB311_33:
	s_endpgm
	.section	.rodata,"a",@progbits
	.p2align	6, 0x0
	.amdhsa_kernel _ZL29rocblas_internal_gemmt_kernelIiLi16ELi32ELi8ELc84ELc67ELc85ELb0ELb0EffPKPKfPKPfEviT_T9_T10_S7_lS9_S7_lS8_T11_S7_li
		.amdhsa_group_segment_fixed_size 2048
		.amdhsa_private_segment_fixed_size 0
		.amdhsa_kernarg_size 100
		.amdhsa_user_sgpr_count 2
		.amdhsa_user_sgpr_dispatch_ptr 0
		.amdhsa_user_sgpr_queue_ptr 0
		.amdhsa_user_sgpr_kernarg_segment_ptr 1
		.amdhsa_user_sgpr_dispatch_id 0
		.amdhsa_user_sgpr_private_segment_size 0
		.amdhsa_wavefront_size32 1
		.amdhsa_uses_dynamic_stack 0
		.amdhsa_enable_private_segment 0
		.amdhsa_system_sgpr_workgroup_id_x 1
		.amdhsa_system_sgpr_workgroup_id_y 1
		.amdhsa_system_sgpr_workgroup_id_z 1
		.amdhsa_system_sgpr_workgroup_info 0
		.amdhsa_system_vgpr_workitem_id 1
		.amdhsa_next_free_vgpr 55
		.amdhsa_next_free_sgpr 32
		.amdhsa_reserve_vcc 1
		.amdhsa_float_round_mode_32 0
		.amdhsa_float_round_mode_16_64 0
		.amdhsa_float_denorm_mode_32 3
		.amdhsa_float_denorm_mode_16_64 3
		.amdhsa_fp16_overflow 0
		.amdhsa_workgroup_processor_mode 1
		.amdhsa_memory_ordered 1
		.amdhsa_forward_progress 1
		.amdhsa_inst_pref_size 15
		.amdhsa_round_robin_scheduling 0
		.amdhsa_exception_fp_ieee_invalid_op 0
		.amdhsa_exception_fp_denorm_src 0
		.amdhsa_exception_fp_ieee_div_zero 0
		.amdhsa_exception_fp_ieee_overflow 0
		.amdhsa_exception_fp_ieee_underflow 0
		.amdhsa_exception_fp_ieee_inexact 0
		.amdhsa_exception_int_div_zero 0
	.end_amdhsa_kernel
	.section	.text._ZL29rocblas_internal_gemmt_kernelIiLi16ELi32ELi8ELc84ELc67ELc85ELb0ELb0EffPKPKfPKPfEviT_T9_T10_S7_lS9_S7_lS8_T11_S7_li,"axG",@progbits,_ZL29rocblas_internal_gemmt_kernelIiLi16ELi32ELi8ELc84ELc67ELc85ELb0ELb0EffPKPKfPKPfEviT_T9_T10_S7_lS9_S7_lS8_T11_S7_li,comdat
.Lfunc_end311:
	.size	_ZL29rocblas_internal_gemmt_kernelIiLi16ELi32ELi8ELc84ELc67ELc85ELb0ELb0EffPKPKfPKPfEviT_T9_T10_S7_lS9_S7_lS8_T11_S7_li, .Lfunc_end311-_ZL29rocblas_internal_gemmt_kernelIiLi16ELi32ELi8ELc84ELc67ELc85ELb0ELb0EffPKPKfPKPfEviT_T9_T10_S7_lS9_S7_lS8_T11_S7_li
                                        ; -- End function
	.set _ZL29rocblas_internal_gemmt_kernelIiLi16ELi32ELi8ELc84ELc67ELc85ELb0ELb0EffPKPKfPKPfEviT_T9_T10_S7_lS9_S7_lS8_T11_S7_li.num_vgpr, 55
	.set _ZL29rocblas_internal_gemmt_kernelIiLi16ELi32ELi8ELc84ELc67ELc85ELb0ELb0EffPKPKfPKPfEviT_T9_T10_S7_lS9_S7_lS8_T11_S7_li.num_agpr, 0
	.set _ZL29rocblas_internal_gemmt_kernelIiLi16ELi32ELi8ELc84ELc67ELc85ELb0ELb0EffPKPKfPKPfEviT_T9_T10_S7_lS9_S7_lS8_T11_S7_li.numbered_sgpr, 32
	.set _ZL29rocblas_internal_gemmt_kernelIiLi16ELi32ELi8ELc84ELc67ELc85ELb0ELb0EffPKPKfPKPfEviT_T9_T10_S7_lS9_S7_lS8_T11_S7_li.num_named_barrier, 0
	.set _ZL29rocblas_internal_gemmt_kernelIiLi16ELi32ELi8ELc84ELc67ELc85ELb0ELb0EffPKPKfPKPfEviT_T9_T10_S7_lS9_S7_lS8_T11_S7_li.private_seg_size, 0
	.set _ZL29rocblas_internal_gemmt_kernelIiLi16ELi32ELi8ELc84ELc67ELc85ELb0ELb0EffPKPKfPKPfEviT_T9_T10_S7_lS9_S7_lS8_T11_S7_li.uses_vcc, 1
	.set _ZL29rocblas_internal_gemmt_kernelIiLi16ELi32ELi8ELc84ELc67ELc85ELb0ELb0EffPKPKfPKPfEviT_T9_T10_S7_lS9_S7_lS8_T11_S7_li.uses_flat_scratch, 0
	.set _ZL29rocblas_internal_gemmt_kernelIiLi16ELi32ELi8ELc84ELc67ELc85ELb0ELb0EffPKPKfPKPfEviT_T9_T10_S7_lS9_S7_lS8_T11_S7_li.has_dyn_sized_stack, 0
	.set _ZL29rocblas_internal_gemmt_kernelIiLi16ELi32ELi8ELc84ELc67ELc85ELb0ELb0EffPKPKfPKPfEviT_T9_T10_S7_lS9_S7_lS8_T11_S7_li.has_recursion, 0
	.set _ZL29rocblas_internal_gemmt_kernelIiLi16ELi32ELi8ELc84ELc67ELc85ELb0ELb0EffPKPKfPKPfEviT_T9_T10_S7_lS9_S7_lS8_T11_S7_li.has_indirect_call, 0
	.section	.AMDGPU.csdata,"",@progbits
; Kernel info:
; codeLenInByte = 1868
; TotalNumSgprs: 34
; NumVgprs: 55
; ScratchSize: 0
; MemoryBound: 0
; FloatMode: 240
; IeeeMode: 1
; LDSByteSize: 2048 bytes/workgroup (compile time only)
; SGPRBlocks: 0
; VGPRBlocks: 6
; NumSGPRsForWavesPerEU: 34
; NumVGPRsForWavesPerEU: 55
; Occupancy: 16
; WaveLimiterHint : 1
; COMPUTE_PGM_RSRC2:SCRATCH_EN: 0
; COMPUTE_PGM_RSRC2:USER_SGPR: 2
; COMPUTE_PGM_RSRC2:TRAP_HANDLER: 0
; COMPUTE_PGM_RSRC2:TGID_X_EN: 1
; COMPUTE_PGM_RSRC2:TGID_Y_EN: 1
; COMPUTE_PGM_RSRC2:TGID_Z_EN: 1
; COMPUTE_PGM_RSRC2:TIDIG_COMP_CNT: 1
	.section	.text._ZL29rocblas_internal_gemmt_kernelIiLi16ELi32ELi8ELc67ELc78ELc85ELb0ELb0EffPKPKfPKPfEviT_T9_T10_S7_lS9_S7_lS8_T11_S7_li,"axG",@progbits,_ZL29rocblas_internal_gemmt_kernelIiLi16ELi32ELi8ELc67ELc78ELc85ELb0ELb0EffPKPKfPKPfEviT_T9_T10_S7_lS9_S7_lS8_T11_S7_li,comdat
	.globl	_ZL29rocblas_internal_gemmt_kernelIiLi16ELi32ELi8ELc67ELc78ELc85ELb0ELb0EffPKPKfPKPfEviT_T9_T10_S7_lS9_S7_lS8_T11_S7_li ; -- Begin function _ZL29rocblas_internal_gemmt_kernelIiLi16ELi32ELi8ELc67ELc78ELc85ELb0ELb0EffPKPKfPKPfEviT_T9_T10_S7_lS9_S7_lS8_T11_S7_li
	.p2align	8
	.type	_ZL29rocblas_internal_gemmt_kernelIiLi16ELi32ELi8ELc67ELc78ELc85ELb0ELb0EffPKPKfPKPfEviT_T9_T10_S7_lS9_S7_lS8_T11_S7_li,@function
_ZL29rocblas_internal_gemmt_kernelIiLi16ELi32ELi8ELc67ELc78ELc85ELb0ELb0EffPKPKfPKPfEviT_T9_T10_S7_lS9_S7_lS8_T11_S7_li: ; @_ZL29rocblas_internal_gemmt_kernelIiLi16ELi32ELi8ELc67ELc78ELc85ELb0ELb0EffPKPKfPKPfEviT_T9_T10_S7_lS9_S7_lS8_T11_S7_li
; %bb.0:
	s_clause 0x1
	s_load_b32 s11, s[0:1], 0x40
	s_load_b96 s[8:10], s[0:1], 0x0
	s_wait_kmcnt 0x0
	s_cmp_neq_f32 s11, 1.0
	s_cselect_b32 s2, -1, 0
	s_delay_alu instid0(SALU_CYCLE_1)
	s_and_b32 vcc_lo, exec_lo, s2
	s_cbranch_vccnz .LBB312_2
; %bb.1:
	s_cmp_lg_u32 s9, 0
	s_cselect_b32 s2, -1, 0
	s_cmp_neq_f32 s10, 0
	s_cselect_b32 s3, -1, 0
	s_delay_alu instid0(SALU_CYCLE_1)
	s_and_b32 s2, s2, s3
.LBB312_2:
	s_delay_alu instid0(SALU_CYCLE_1)
	s_and_not1_b32 vcc_lo, exec_lo, s2
	s_cbranch_vccnz .LBB312_33
; %bb.3:
	s_load_b32 s15, s[0:1], 0x60
	s_lshr_b32 s20, ttmp7, 16
	s_wait_kmcnt 0x0
	s_cmp_ge_u32 s20, s15
	s_cbranch_scc1 .LBB312_33
; %bb.4:
	v_dual_mov_b32 v20, 0 :: v_dual_and_b32 v1, 0x3ff, v0
	v_bfe_u32 v2, v0, 10, 10
	s_clause 0x1
	s_load_b96 s[12:14], s[0:1], 0x10
	s_load_b128 s[4:7], s[0:1], 0x20
	v_and_b32_e32 v14, 7, v0
	s_clause 0x3
	s_load_b32 s3, s[0:1], 0x30
	s_load_b64 s[26:27], s[0:1], 0x38
	s_load_b96 s[16:18], s[0:1], 0x48
	s_load_b64 s[22:23], s[0:1], 0x58
	s_lshl_b32 s2, ttmp9, 5
	v_lshl_add_u32 v0, v2, 4, v1
	s_lshl_b32 s0, ttmp7, 5
	v_lshlrev_b32_e32 v12, 2, v14
	s_and_b32 s19, s0, 0x1fffe0
	s_cmp_neq_f32 s10, 0
	v_and_b32_e32 v3, 31, v0
	v_lshrrev_b32_e32 v4, 3, v0
	v_lshrrev_b32_e32 v15, 5, v0
	s_cselect_b32 s25, -1, 0
	s_cmp_gt_i32 s9, 0
	v_or_b32_e32 v6, s2, v3
	v_lshlrev_b32_e32 v0, 2, v3
	v_lshl_or_b32 v3, v4, 5, v12
	v_add_nc_u32_e32 v8, s19, v4
	v_lshl_add_u32 v19, v2, 5, 0x400
	v_cmp_gt_i32_e64 s0, s8, v6
	s_wait_kmcnt 0x0
	v_mad_co_i64_i32 v[6:7], null, s14, v6, 0
	v_lshl_or_b32 v16, v15, 7, v0
	v_add_nc_u32_e32 v17, 0x400, v3
	v_add_nc_u32_e32 v3, s19, v2
	v_add_nc_u32_e32 v0, s2, v1
	v_cmp_gt_i32_e64 s1, s8, v8
	v_mad_co_i64_i32 v[8:9], null, s3, v8, 0
	s_delay_alu instid0(VALU_DEP_4) | instskip(NEXT) | instid1(VALU_DEP_4)
	v_cmp_gt_i32_e32 vcc_lo, s8, v3
	v_cmp_le_i32_e64 s2, v0, v3
	v_add_nc_u32_e32 v2, 16, v0
	s_cselect_b32 s28, -1, 0
	s_cmp_neq_f32 s11, 0
	v_lshlrev_b64_e32 v[6:7], 2, v[6:7]
	v_add_nc_u32_e32 v13, 16, v3
	v_lshlrev_b64_e32 v[8:9], 2, v[8:9]
	s_cselect_b32 s19, -1, 0
	s_and_b32 s24, vcc_lo, s2
	v_cmp_le_i32_e64 s2, v2, v3
	s_lshl_b64 s[4:5], s[4:5], 2
	v_mad_co_i64_i32 v[4:5], null, v3, s18, 0
	v_add_co_u32 v6, s4, v6, s4
	s_and_b32 s14, vcc_lo, s2
	v_cmp_gt_i32_e32 vcc_lo, s8, v13
	v_mad_co_i64_i32 v[10:11], null, v13, s18, 0
	v_cmp_le_i32_e64 s2, v0, v13
	v_cmp_le_i32_e64 s3, v2, v13
	v_add_co_ci_u32_e64 v7, null, s5, v7, s4
	v_lshlrev_b32_e32 v13, 2, v15
	s_lshl_b64 s[4:5], s[26:27], 2
	v_lshlrev_b64_e32 v[4:5], 2, v[4:5]
	s_wait_alu 0xfffe
	v_add_co_u32 v8, s4, v8, s4
	s_wait_alu 0xf1ff
	v_add_co_ci_u32_e64 v9, null, s5, v9, s4
	v_add_co_u32 v21, s4, v6, v13
	s_wait_alu 0xf1ff
	v_add_co_ci_u32_e64 v22, null, 0, v7, s4
	v_add_co_u32 v23, s4, v8, v12
	v_lshlrev_b64_e32 v[6:7], 2, v[10:11]
	v_lshlrev_b32_e32 v18, 2, v1
	v_ashrrev_i32_e32 v1, 31, v0
	v_ashrrev_i32_e32 v3, 31, v2
	s_wait_alu 0xf1ff
	v_add_co_ci_u32_e64 v24, null, 0, v9, s4
	s_mov_b32 s21, 0
	s_and_b32 s8, s25, s28
	s_and_b32 s18, vcc_lo, s2
	s_and_b32 s25, vcc_lo, s3
	s_lshl_b64 s[2:3], s[22:23], 2
	s_branch .LBB312_6
.LBB312_5:                              ;   in Loop: Header=BB312_6 Depth=1
	s_wait_alu 0xfffe
	s_or_b32 exec_lo, exec_lo, s4
	s_add_co_i32 s20, s20, 0x10000
	s_delay_alu instid0(SALU_CYCLE_1)
	s_cmp_lt_u32 s20, s15
	s_cbranch_scc0 .LBB312_33
.LBB312_6:                              ; =>This Loop Header: Depth=1
                                        ;     Child Loop BB312_9 Depth 2
	s_lshl_b64 s[4:5], s[20:21], 3
	v_dual_mov_b32 v28, 0 :: v_dual_mov_b32 v27, 0
	s_wait_alu 0xfffe
	s_add_nc_u64 s[22:23], s[16:17], s[4:5]
	v_dual_mov_b32 v26, 0 :: v_dual_mov_b32 v25, 0
	global_load_b64 v[8:9], v20, s[22:23]
	s_and_not1_b32 vcc_lo, exec_lo, s8
	s_wait_alu 0xfffe
	s_cbranch_vccnz .LBB312_13
; %bb.7:                                ;   in Loop: Header=BB312_6 Depth=1
	s_add_nc_u64 s[22:23], s[12:13], s[4:5]
	s_add_nc_u64 s[4:5], s[6:7], s[4:5]
	s_clause 0x1
	global_load_b64 v[10:11], v20, s[22:23]
	global_load_b64 v[12:13], v20, s[4:5]
	v_dual_mov_b32 v25, 0 :: v_dual_mov_b32 v26, 0
	v_dual_mov_b32 v27, 0 :: v_dual_mov_b32 v28, 0
	s_mov_b32 s4, 0
	s_wait_loadcnt 0x1
	v_add_co_u32 v10, vcc_lo, v10, v21
	s_wait_alu 0xfffd
	v_add_co_ci_u32_e64 v11, null, v11, v22, vcc_lo
	s_wait_loadcnt 0x0
	v_add_co_u32 v12, vcc_lo, v12, v23
	s_wait_alu 0xfffd
	v_add_co_ci_u32_e64 v13, null, v13, v24, vcc_lo
	s_branch .LBB312_9
.LBB312_8:                              ;   in Loop: Header=BB312_9 Depth=2
	s_wait_alu 0xfffe
	s_or_b32 exec_lo, exec_lo, s5
	s_wait_loadcnt_dscnt 0x0
	ds_store_b32 v17, v30
	s_wait_dscnt 0x0
	s_barrier_signal -1
	s_barrier_wait -1
	global_inv scope:SCOPE_SE
	ds_load_b128 v[29:32], v19
	ds_load_2addr_b32 v[45:46], v18 offset1:16
	ds_load_b128 v[33:36], v19 offset:512
	ds_load_2addr_b32 v[47:48], v18 offset0:32 offset1:48
	ds_load_2addr_b32 v[49:50], v18 offset0:64 offset1:80
	;; [unrolled: 1-line block ×3, first 2 shown]
	ds_load_b128 v[37:40], v19 offset:16
	ds_load_2addr_b32 v[53:54], v18 offset0:128 offset1:144
	ds_load_b128 v[41:44], v19 offset:528
	v_add_co_u32 v10, vcc_lo, v10, 32
	s_wait_alu 0xfffd
	v_add_co_ci_u32_e64 v11, null, 0, v11, vcc_lo
	v_add_co_u32 v12, vcc_lo, v12, 32
	s_wait_alu 0xfffd
	v_add_co_ci_u32_e64 v13, null, 0, v13, vcc_lo
	s_add_co_i32 s4, s4, 8
	s_wait_alu 0xfffe
	s_cmp_lt_i32 s4, s9
	s_wait_dscnt 0x7
	v_fmac_f32_e32 v27, v46, v29
	v_fmac_f32_e32 v28, v45, v29
	s_wait_dscnt 0x6
	v_fmac_f32_e32 v25, v46, v33
	v_fmac_f32_e32 v26, v45, v33
	ds_load_2addr_b32 v[45:46], v18 offset0:160 offset1:176
	s_wait_dscnt 0x6
	v_fmac_f32_e32 v27, v48, v30
	v_fmac_f32_e32 v28, v47, v30
	v_fmac_f32_e32 v25, v48, v34
	v_fmac_f32_e32 v26, v47, v34
	ds_load_2addr_b32 v[29:30], v18 offset0:192 offset1:208
	s_wait_dscnt 0x6
	v_fmac_f32_e32 v27, v50, v31
	v_fmac_f32_e32 v28, v49, v31
	;; [unrolled: 6-line block ×3, first 2 shown]
	v_fmac_f32_e32 v25, v52, v36
	v_fmac_f32_e32 v26, v51, v36
	s_wait_loadcnt_dscnt 0x0
	v_fmac_f32_e32 v27, v54, v37
	v_fmac_f32_e32 v28, v53, v37
	;; [unrolled: 1-line block ×4, first 2 shown]
	s_barrier_signal -1
	v_fmac_f32_e32 v27, v46, v38
	v_fmac_f32_e32 v28, v45, v38
	;; [unrolled: 1-line block ×4, first 2 shown]
	s_barrier_wait -1
	v_fmac_f32_e32 v27, v30, v39
	v_fmac_f32_e32 v28, v29, v39
	;; [unrolled: 1-line block ×4, first 2 shown]
	global_inv scope:SCOPE_SE
	v_fmac_f32_e32 v27, v34, v40
	v_fmac_f32_e32 v28, v33, v40
	;; [unrolled: 1-line block ×4, first 2 shown]
	s_cbranch_scc0 .LBB312_13
.LBB312_9:                              ;   Parent Loop BB312_6 Depth=1
                                        ; =>  This Inner Loop Header: Depth=2
	s_wait_alu 0xfffe
	v_add_nc_u32_e32 v29, s4, v15
	s_delay_alu instid0(VALU_DEP_1) | instskip(SKIP_2) | instid1(SALU_CYCLE_1)
	v_cmp_gt_i32_e32 vcc_lo, s9, v29
	v_mov_b32_e32 v29, 0
	s_and_b32 s22, s0, vcc_lo
	s_and_saveexec_b32 s5, s22
	s_cbranch_execz .LBB312_11
; %bb.10:                               ;   in Loop: Header=BB312_9 Depth=2
	flat_load_b32 v29, v[10:11]
.LBB312_11:                             ;   in Loop: Header=BB312_9 Depth=2
	s_wait_alu 0xfffe
	s_or_b32 exec_lo, exec_lo, s5
	v_add_nc_u32_e32 v30, s4, v14
	s_wait_loadcnt_dscnt 0x0
	ds_store_b32 v16, v29
	v_cmp_gt_i32_e32 vcc_lo, s9, v30
	v_mov_b32_e32 v30, 0
	s_and_b32 s22, vcc_lo, s1
	s_delay_alu instid0(SALU_CYCLE_1)
	s_and_saveexec_b32 s5, s22
	s_cbranch_execz .LBB312_8
; %bb.12:                               ;   in Loop: Header=BB312_9 Depth=2
	flat_load_b32 v30, v[12:13]
	s_branch .LBB312_8
.LBB312_13:                             ;   in Loop: Header=BB312_6 Depth=1
	s_wait_loadcnt 0x0
	v_add_co_u32 v8, vcc_lo, v8, s2
	s_wait_alu 0xfffd
	v_add_co_ci_u32_e64 v9, null, s3, v9, vcc_lo
	s_delay_alu instid0(VALU_DEP_2) | instskip(SKIP_1) | instid1(VALU_DEP_2)
	v_add_co_u32 v10, vcc_lo, v8, v4
	s_wait_alu 0xfffd
	v_add_co_ci_u32_e64 v11, null, v9, v5, vcc_lo
	s_and_saveexec_b32 s4, s24
	s_cbranch_execz .LBB312_17
; %bb.14:                               ;   in Loop: Header=BB312_6 Depth=1
	v_mul_f32_e32 v12, s10, v28
	s_and_b32 vcc_lo, exec_lo, s19
	s_wait_alu 0xfffe
	s_cbranch_vccz .LBB312_28
; %bb.15:                               ;   in Loop: Header=BB312_6 Depth=1
	v_lshlrev_b64_e32 v[28:29], 2, v[0:1]
	s_delay_alu instid0(VALU_DEP_1) | instskip(SKIP_1) | instid1(VALU_DEP_2)
	v_add_co_u32 v28, vcc_lo, v10, v28
	s_wait_alu 0xfffd
	v_add_co_ci_u32_e64 v29, null, v11, v29, vcc_lo
	flat_load_b32 v13, v[28:29]
	s_wait_loadcnt_dscnt 0x0
	v_fma_f32 v13, s11, v13, v12
	flat_store_b32 v[28:29], v13
	s_cbranch_execnz .LBB312_17
.LBB312_16:                             ;   in Loop: Header=BB312_6 Depth=1
	v_lshlrev_b64_e32 v[28:29], 2, v[0:1]
	s_delay_alu instid0(VALU_DEP_1) | instskip(SKIP_1) | instid1(VALU_DEP_2)
	v_add_co_u32 v28, vcc_lo, v10, v28
	s_wait_alu 0xfffd
	v_add_co_ci_u32_e64 v29, null, v11, v29, vcc_lo
	flat_store_b32 v[28:29], v12
.LBB312_17:                             ;   in Loop: Header=BB312_6 Depth=1
	s_wait_alu 0xfffe
	s_or_b32 exec_lo, exec_lo, s4
	s_and_saveexec_b32 s4, s14
	s_cbranch_execz .LBB312_21
; %bb.18:                               ;   in Loop: Header=BB312_6 Depth=1
	v_mul_f32_e32 v12, s10, v27
	s_and_not1_b32 vcc_lo, exec_lo, s19
	s_wait_alu 0xfffe
	s_cbranch_vccnz .LBB312_29
; %bb.19:                               ;   in Loop: Header=BB312_6 Depth=1
	v_lshlrev_b64_e32 v[27:28], 2, v[2:3]
	s_delay_alu instid0(VALU_DEP_1) | instskip(SKIP_1) | instid1(VALU_DEP_2)
	v_add_co_u32 v27, vcc_lo, v10, v27
	s_wait_alu 0xfffd
	v_add_co_ci_u32_e64 v28, null, v11, v28, vcc_lo
	flat_load_b32 v13, v[27:28]
	s_wait_loadcnt_dscnt 0x0
	v_fma_f32 v13, s11, v13, v12
	flat_store_b32 v[27:28], v13
	s_cbranch_execnz .LBB312_21
.LBB312_20:                             ;   in Loop: Header=BB312_6 Depth=1
	v_lshlrev_b64_e32 v[27:28], 2, v[2:3]
	s_delay_alu instid0(VALU_DEP_1) | instskip(SKIP_1) | instid1(VALU_DEP_2)
	v_add_co_u32 v10, vcc_lo, v10, v27
	s_wait_alu 0xfffd
	v_add_co_ci_u32_e64 v11, null, v11, v28, vcc_lo
	flat_store_b32 v[10:11], v12
.LBB312_21:                             ;   in Loop: Header=BB312_6 Depth=1
	s_wait_alu 0xfffe
	s_or_b32 exec_lo, exec_lo, s4
	v_add_co_u32 v10, vcc_lo, v8, v6
	s_wait_alu 0xfffd
	v_add_co_ci_u32_e64 v11, null, v9, v7, vcc_lo
	s_and_saveexec_b32 s4, s18
	s_cbranch_execz .LBB312_25
; %bb.22:                               ;   in Loop: Header=BB312_6 Depth=1
	v_lshlrev_b64_e32 v[8:9], 2, v[0:1]
	v_mul_f32_e32 v12, s10, v26
	s_and_not1_b32 vcc_lo, exec_lo, s19
	s_wait_alu 0xfffe
	s_cbranch_vccnz .LBB312_30
; %bb.23:                               ;   in Loop: Header=BB312_6 Depth=1
	s_delay_alu instid0(VALU_DEP_2)
	v_add_co_u32 v26, vcc_lo, v10, v8
	s_wait_alu 0xfffd
	v_add_co_ci_u32_e64 v27, null, v11, v9, vcc_lo
	flat_load_b32 v13, v[26:27]
	s_wait_loadcnt_dscnt 0x0
	v_fma_f32 v13, s11, v13, v12
	flat_store_b32 v[26:27], v13
	s_cbranch_execnz .LBB312_25
.LBB312_24:                             ;   in Loop: Header=BB312_6 Depth=1
	v_add_co_u32 v8, vcc_lo, v10, v8
	s_wait_alu 0xfffd
	v_add_co_ci_u32_e64 v9, null, v11, v9, vcc_lo
	flat_store_b32 v[8:9], v12
.LBB312_25:                             ;   in Loop: Header=BB312_6 Depth=1
	s_wait_alu 0xfffe
	s_or_b32 exec_lo, exec_lo, s4
	s_and_saveexec_b32 s4, s25
	s_cbranch_execz .LBB312_5
; %bb.26:                               ;   in Loop: Header=BB312_6 Depth=1
	v_lshlrev_b64_e32 v[8:9], 2, v[2:3]
	v_mul_f32_e32 v12, s10, v25
	s_and_not1_b32 vcc_lo, exec_lo, s19
	s_wait_alu 0xfffe
	s_cbranch_vccnz .LBB312_31
; %bb.27:                               ;   in Loop: Header=BB312_6 Depth=1
	s_delay_alu instid0(VALU_DEP_2)
	v_add_co_u32 v25, vcc_lo, v10, v8
	s_wait_alu 0xfffd
	v_add_co_ci_u32_e64 v26, null, v11, v9, vcc_lo
	flat_load_b32 v13, v[25:26]
	s_wait_loadcnt_dscnt 0x0
	v_fma_f32 v13, s11, v13, v12
	flat_store_b32 v[25:26], v13
	s_cbranch_execnz .LBB312_5
	s_branch .LBB312_32
.LBB312_28:                             ;   in Loop: Header=BB312_6 Depth=1
	s_branch .LBB312_16
.LBB312_29:                             ;   in Loop: Header=BB312_6 Depth=1
	s_branch .LBB312_20
.LBB312_30:                             ;   in Loop: Header=BB312_6 Depth=1
	s_branch .LBB312_24
.LBB312_31:                             ;   in Loop: Header=BB312_6 Depth=1
.LBB312_32:                             ;   in Loop: Header=BB312_6 Depth=1
	s_delay_alu instid0(VALU_DEP_2)
	v_add_co_u32 v8, vcc_lo, v10, v8
	s_wait_alu 0xfffd
	v_add_co_ci_u32_e64 v9, null, v11, v9, vcc_lo
	flat_store_b32 v[8:9], v12
	s_branch .LBB312_5
.LBB312_33:
	s_endpgm
	.section	.rodata,"a",@progbits
	.p2align	6, 0x0
	.amdhsa_kernel _ZL29rocblas_internal_gemmt_kernelIiLi16ELi32ELi8ELc67ELc78ELc85ELb0ELb0EffPKPKfPKPfEviT_T9_T10_S7_lS9_S7_lS8_T11_S7_li
		.amdhsa_group_segment_fixed_size 2048
		.amdhsa_private_segment_fixed_size 0
		.amdhsa_kernarg_size 100
		.amdhsa_user_sgpr_count 2
		.amdhsa_user_sgpr_dispatch_ptr 0
		.amdhsa_user_sgpr_queue_ptr 0
		.amdhsa_user_sgpr_kernarg_segment_ptr 1
		.amdhsa_user_sgpr_dispatch_id 0
		.amdhsa_user_sgpr_private_segment_size 0
		.amdhsa_wavefront_size32 1
		.amdhsa_uses_dynamic_stack 0
		.amdhsa_enable_private_segment 0
		.amdhsa_system_sgpr_workgroup_id_x 1
		.amdhsa_system_sgpr_workgroup_id_y 1
		.amdhsa_system_sgpr_workgroup_id_z 1
		.amdhsa_system_sgpr_workgroup_info 0
		.amdhsa_system_vgpr_workitem_id 1
		.amdhsa_next_free_vgpr 55
		.amdhsa_next_free_sgpr 29
		.amdhsa_reserve_vcc 1
		.amdhsa_float_round_mode_32 0
		.amdhsa_float_round_mode_16_64 0
		.amdhsa_float_denorm_mode_32 3
		.amdhsa_float_denorm_mode_16_64 3
		.amdhsa_fp16_overflow 0
		.amdhsa_workgroup_processor_mode 1
		.amdhsa_memory_ordered 1
		.amdhsa_forward_progress 1
		.amdhsa_inst_pref_size 15
		.amdhsa_round_robin_scheduling 0
		.amdhsa_exception_fp_ieee_invalid_op 0
		.amdhsa_exception_fp_denorm_src 0
		.amdhsa_exception_fp_ieee_div_zero 0
		.amdhsa_exception_fp_ieee_overflow 0
		.amdhsa_exception_fp_ieee_underflow 0
		.amdhsa_exception_fp_ieee_inexact 0
		.amdhsa_exception_int_div_zero 0
	.end_amdhsa_kernel
	.section	.text._ZL29rocblas_internal_gemmt_kernelIiLi16ELi32ELi8ELc67ELc78ELc85ELb0ELb0EffPKPKfPKPfEviT_T9_T10_S7_lS9_S7_lS8_T11_S7_li,"axG",@progbits,_ZL29rocblas_internal_gemmt_kernelIiLi16ELi32ELi8ELc67ELc78ELc85ELb0ELb0EffPKPKfPKPfEviT_T9_T10_S7_lS9_S7_lS8_T11_S7_li,comdat
.Lfunc_end312:
	.size	_ZL29rocblas_internal_gemmt_kernelIiLi16ELi32ELi8ELc67ELc78ELc85ELb0ELb0EffPKPKfPKPfEviT_T9_T10_S7_lS9_S7_lS8_T11_S7_li, .Lfunc_end312-_ZL29rocblas_internal_gemmt_kernelIiLi16ELi32ELi8ELc67ELc78ELc85ELb0ELb0EffPKPKfPKPfEviT_T9_T10_S7_lS9_S7_lS8_T11_S7_li
                                        ; -- End function
	.set _ZL29rocblas_internal_gemmt_kernelIiLi16ELi32ELi8ELc67ELc78ELc85ELb0ELb0EffPKPKfPKPfEviT_T9_T10_S7_lS9_S7_lS8_T11_S7_li.num_vgpr, 55
	.set _ZL29rocblas_internal_gemmt_kernelIiLi16ELi32ELi8ELc67ELc78ELc85ELb0ELb0EffPKPKfPKPfEviT_T9_T10_S7_lS9_S7_lS8_T11_S7_li.num_agpr, 0
	.set _ZL29rocblas_internal_gemmt_kernelIiLi16ELi32ELi8ELc67ELc78ELc85ELb0ELb0EffPKPKfPKPfEviT_T9_T10_S7_lS9_S7_lS8_T11_S7_li.numbered_sgpr, 29
	.set _ZL29rocblas_internal_gemmt_kernelIiLi16ELi32ELi8ELc67ELc78ELc85ELb0ELb0EffPKPKfPKPfEviT_T9_T10_S7_lS9_S7_lS8_T11_S7_li.num_named_barrier, 0
	.set _ZL29rocblas_internal_gemmt_kernelIiLi16ELi32ELi8ELc67ELc78ELc85ELb0ELb0EffPKPKfPKPfEviT_T9_T10_S7_lS9_S7_lS8_T11_S7_li.private_seg_size, 0
	.set _ZL29rocblas_internal_gemmt_kernelIiLi16ELi32ELi8ELc67ELc78ELc85ELb0ELb0EffPKPKfPKPfEviT_T9_T10_S7_lS9_S7_lS8_T11_S7_li.uses_vcc, 1
	.set _ZL29rocblas_internal_gemmt_kernelIiLi16ELi32ELi8ELc67ELc78ELc85ELb0ELb0EffPKPKfPKPfEviT_T9_T10_S7_lS9_S7_lS8_T11_S7_li.uses_flat_scratch, 0
	.set _ZL29rocblas_internal_gemmt_kernelIiLi16ELi32ELi8ELc67ELc78ELc85ELb0ELb0EffPKPKfPKPfEviT_T9_T10_S7_lS9_S7_lS8_T11_S7_li.has_dyn_sized_stack, 0
	.set _ZL29rocblas_internal_gemmt_kernelIiLi16ELi32ELi8ELc67ELc78ELc85ELb0ELb0EffPKPKfPKPfEviT_T9_T10_S7_lS9_S7_lS8_T11_S7_li.has_recursion, 0
	.set _ZL29rocblas_internal_gemmt_kernelIiLi16ELi32ELi8ELc67ELc78ELc85ELb0ELb0EffPKPKfPKPfEviT_T9_T10_S7_lS9_S7_lS8_T11_S7_li.has_indirect_call, 0
	.section	.AMDGPU.csdata,"",@progbits
; Kernel info:
; codeLenInByte = 1856
; TotalNumSgprs: 31
; NumVgprs: 55
; ScratchSize: 0
; MemoryBound: 0
; FloatMode: 240
; IeeeMode: 1
; LDSByteSize: 2048 bytes/workgroup (compile time only)
; SGPRBlocks: 0
; VGPRBlocks: 6
; NumSGPRsForWavesPerEU: 31
; NumVGPRsForWavesPerEU: 55
; Occupancy: 16
; WaveLimiterHint : 1
; COMPUTE_PGM_RSRC2:SCRATCH_EN: 0
; COMPUTE_PGM_RSRC2:USER_SGPR: 2
; COMPUTE_PGM_RSRC2:TRAP_HANDLER: 0
; COMPUTE_PGM_RSRC2:TGID_X_EN: 1
; COMPUTE_PGM_RSRC2:TGID_Y_EN: 1
; COMPUTE_PGM_RSRC2:TGID_Z_EN: 1
; COMPUTE_PGM_RSRC2:TIDIG_COMP_CNT: 1
	.section	.text._ZL29rocblas_internal_gemmt_kernelIiLi16ELi32ELi8ELc67ELc84ELc85ELb0ELb0EffPKPKfPKPfEviT_T9_T10_S7_lS9_S7_lS8_T11_S7_li,"axG",@progbits,_ZL29rocblas_internal_gemmt_kernelIiLi16ELi32ELi8ELc67ELc84ELc85ELb0ELb0EffPKPKfPKPfEviT_T9_T10_S7_lS9_S7_lS8_T11_S7_li,comdat
	.globl	_ZL29rocblas_internal_gemmt_kernelIiLi16ELi32ELi8ELc67ELc84ELc85ELb0ELb0EffPKPKfPKPfEviT_T9_T10_S7_lS9_S7_lS8_T11_S7_li ; -- Begin function _ZL29rocblas_internal_gemmt_kernelIiLi16ELi32ELi8ELc67ELc84ELc85ELb0ELb0EffPKPKfPKPfEviT_T9_T10_S7_lS9_S7_lS8_T11_S7_li
	.p2align	8
	.type	_ZL29rocblas_internal_gemmt_kernelIiLi16ELi32ELi8ELc67ELc84ELc85ELb0ELb0EffPKPKfPKPfEviT_T9_T10_S7_lS9_S7_lS8_T11_S7_li,@function
_ZL29rocblas_internal_gemmt_kernelIiLi16ELi32ELi8ELc67ELc84ELc85ELb0ELb0EffPKPKfPKPfEviT_T9_T10_S7_lS9_S7_lS8_T11_S7_li: ; @_ZL29rocblas_internal_gemmt_kernelIiLi16ELi32ELi8ELc67ELc84ELc85ELb0ELb0EffPKPKfPKPfEviT_T9_T10_S7_lS9_S7_lS8_T11_S7_li
; %bb.0:
	s_clause 0x1
	s_load_b32 s11, s[0:1], 0x40
	s_load_b96 s[8:10], s[0:1], 0x0
	s_wait_kmcnt 0x0
	s_cmp_neq_f32 s11, 1.0
	s_cselect_b32 s2, -1, 0
	s_delay_alu instid0(SALU_CYCLE_1)
	s_and_b32 vcc_lo, exec_lo, s2
	s_cbranch_vccnz .LBB313_2
; %bb.1:
	s_cmp_lg_u32 s9, 0
	s_cselect_b32 s2, -1, 0
	s_cmp_neq_f32 s10, 0
	s_cselect_b32 s3, -1, 0
	s_delay_alu instid0(SALU_CYCLE_1)
	s_and_b32 s2, s2, s3
.LBB313_2:
	s_delay_alu instid0(SALU_CYCLE_1)
	s_and_not1_b32 vcc_lo, exec_lo, s2
	s_cbranch_vccnz .LBB313_33
; %bb.3:
	s_load_b32 s19, s[0:1], 0x60
	s_lshr_b32 s20, ttmp7, 16
	s_wait_kmcnt 0x0
	s_cmp_ge_u32 s20, s19
	s_cbranch_scc1 .LBB313_33
; %bb.4:
	v_dual_mov_b32 v20, 0 :: v_dual_and_b32 v1, 0x3ff, v0
	v_bfe_u32 v3, v0, 10, 10
	v_and_b32_e32 v14, 7, v0
	s_clause 0x5
	s_load_b32 s22, s[0:1], 0x30
	s_load_b96 s[12:14], s[0:1], 0x10
	s_load_b128 s[4:7], s[0:1], 0x20
	s_load_b64 s[26:27], s[0:1], 0x38
	s_load_b96 s[16:18], s[0:1], 0x48
	s_load_b64 s[24:25], s[0:1], 0x58
	v_lshl_add_u32 v0, v3, 4, v1
	v_lshlrev_b32_e32 v4, 2, v14
	s_lshl_b32 s2, ttmp9, 5
	s_lshl_b32 s0, ttmp7, 5
	v_lshlrev_b32_e32 v18, 2, v1
	v_and_b32_e32 v2, 31, v0
	v_lshrrev_b32_e32 v5, 3, v0
	v_lshrrev_b32_e32 v15, 5, v0
	s_and_b32 s3, s0, 0x1fffe0
	v_lshl_add_u32 v19, v3, 5, 0x400
	v_lshlrev_b32_e32 v0, 2, v2
	v_or_b32_e32 v6, s2, v2
	v_lshl_or_b32 v2, v5, 5, v4
	v_add_nc_u32_e32 v7, s3, v3
	v_add_nc_u32_e32 v12, s3, v5
	v_lshl_or_b32 v16, v15, 7, v0
	v_add_nc_u32_e32 v0, s2, v1
	v_add_nc_u32_e32 v17, 0x400, v2
	s_wait_kmcnt 0x0
	s_ashr_i32 s23, s22, 31
	v_cmp_gt_i32_e64 s0, s8, v6
	v_cmp_gt_i32_e32 vcc_lo, s8, v7
	v_add_nc_u32_e32 v2, 16, v0
	v_cmp_le_i32_e64 s2, v0, v7
	v_mad_co_i64_i32 v[4:5], null, v7, s18, 0
	v_add_nc_u32_e32 v13, 16, v7
	s_delay_alu instid0(VALU_DEP_4)
	v_cmp_le_i32_e64 s3, v2, v7
	v_mad_co_i64_i32 v[6:7], null, s14, v6, 0
	s_cmp_neq_f32 s10, 0
	v_mad_co_i64_i32 v[8:9], null, s22, v14, 0
	v_cmp_gt_i32_e64 s1, s8, v12
	s_cselect_b32 s15, -1, 0
	s_cmp_gt_i32 s9, 0
	v_lshlrev_b64_e32 v[6:7], 2, v[6:7]
	s_cselect_b32 s31, -1, 0
	s_cmp_neq_f32 s11, 0
	v_lshlrev_b64_e32 v[8:9], 2, v[8:9]
	v_mad_co_i64_i32 v[10:11], null, v13, s18, 0
	s_cselect_b32 s28, -1, 0
	s_and_b32 s29, vcc_lo, s2
	s_and_b32 s30, vcc_lo, s3
	v_cmp_gt_i32_e32 vcc_lo, s8, v13
	v_cmp_le_i32_e64 s2, v0, v13
	s_lshl_b64 s[4:5], s[4:5], 2
	v_lshlrev_b32_e32 v12, 2, v12
	v_add_co_u32 v6, s3, v6, s4
	s_and_b32 s8, vcc_lo, s2
	v_cmp_le_i32_e64 s2, v2, v13
	v_add_co_ci_u32_e64 v7, null, s5, v7, s3
	v_lshlrev_b32_e32 v13, 2, v15
	s_lshl_b64 s[4:5], s[26:27], 2
	v_lshlrev_b64_e32 v[4:5], 2, v[4:5]
	s_wait_alu 0xfffe
	v_add_co_u32 v8, s3, v8, s4
	s_wait_alu 0xf1ff
	v_add_co_ci_u32_e64 v9, null, s5, v9, s3
	v_add_co_u32 v21, s3, v6, v13
	s_wait_alu 0xf1ff
	v_add_co_ci_u32_e64 v22, null, 0, v7, s3
	v_add_co_u32 v23, s3, v8, v12
	v_lshlrev_b64_e32 v[6:7], 2, v[10:11]
	v_ashrrev_i32_e32 v1, 31, v0
	v_ashrrev_i32_e32 v3, 31, v2
	s_wait_alu 0xf1ff
	v_add_co_ci_u32_e64 v24, null, 0, v9, s3
	s_mov_b32 s21, 0
	s_and_b32 s18, s15, s31
	s_and_b32 s26, vcc_lo, s2
	s_lshl_b64 s[2:3], s[22:23], 5
	s_lshl_b64 s[4:5], s[24:25], 2
	s_branch .LBB313_6
.LBB313_5:                              ;   in Loop: Header=BB313_6 Depth=1
	s_wait_alu 0xfffe
	s_or_b32 exec_lo, exec_lo, s14
	s_add_co_i32 s20, s20, 0x10000
	s_delay_alu instid0(SALU_CYCLE_1)
	s_cmp_lt_u32 s20, s19
	s_cbranch_scc0 .LBB313_33
.LBB313_6:                              ; =>This Loop Header: Depth=1
                                        ;     Child Loop BB313_9 Depth 2
	s_lshl_b64 s[14:15], s[20:21], 3
	v_dual_mov_b32 v28, 0 :: v_dual_mov_b32 v27, 0
	s_wait_alu 0xfffe
	s_add_nc_u64 s[22:23], s[16:17], s[14:15]
	v_dual_mov_b32 v26, 0 :: v_dual_mov_b32 v25, 0
	global_load_b64 v[8:9], v20, s[22:23]
	s_and_not1_b32 vcc_lo, exec_lo, s18
	s_wait_alu 0xfffe
	s_cbranch_vccnz .LBB313_13
; %bb.7:                                ;   in Loop: Header=BB313_6 Depth=1
	s_add_nc_u64 s[22:23], s[12:13], s[14:15]
	s_add_nc_u64 s[14:15], s[6:7], s[14:15]
	s_clause 0x1
	global_load_b64 v[10:11], v20, s[22:23]
	global_load_b64 v[12:13], v20, s[14:15]
	v_dual_mov_b32 v25, 0 :: v_dual_mov_b32 v26, 0
	v_dual_mov_b32 v27, 0 :: v_dual_mov_b32 v28, 0
	s_mov_b32 s14, 0
	s_wait_loadcnt 0x1
	v_add_co_u32 v10, vcc_lo, v10, v21
	s_wait_alu 0xfffd
	v_add_co_ci_u32_e64 v11, null, v11, v22, vcc_lo
	s_wait_loadcnt 0x0
	v_add_co_u32 v12, vcc_lo, v12, v23
	s_wait_alu 0xfffd
	v_add_co_ci_u32_e64 v13, null, v13, v24, vcc_lo
	s_branch .LBB313_9
.LBB313_8:                              ;   in Loop: Header=BB313_9 Depth=2
	s_wait_alu 0xfffe
	s_or_b32 exec_lo, exec_lo, s15
	s_wait_loadcnt_dscnt 0x0
	ds_store_b32 v17, v30
	s_wait_dscnt 0x0
	s_barrier_signal -1
	s_barrier_wait -1
	global_inv scope:SCOPE_SE
	ds_load_b128 v[29:32], v19
	ds_load_2addr_b32 v[45:46], v18 offset1:16
	ds_load_b128 v[33:36], v19 offset:512
	ds_load_2addr_b32 v[47:48], v18 offset0:32 offset1:48
	ds_load_2addr_b32 v[49:50], v18 offset0:64 offset1:80
	;; [unrolled: 1-line block ×3, first 2 shown]
	ds_load_b128 v[37:40], v19 offset:16
	ds_load_2addr_b32 v[53:54], v18 offset0:128 offset1:144
	ds_load_b128 v[41:44], v19 offset:528
	v_add_co_u32 v10, vcc_lo, v10, 32
	s_wait_alu 0xfffd
	v_add_co_ci_u32_e64 v11, null, 0, v11, vcc_lo
	v_add_co_u32 v12, vcc_lo, v12, s2
	s_wait_alu 0xfffd
	v_add_co_ci_u32_e64 v13, null, s3, v13, vcc_lo
	s_add_co_i32 s14, s14, 8
	s_wait_alu 0xfffe
	s_cmp_lt_i32 s14, s9
	s_wait_dscnt 0x7
	v_fmac_f32_e32 v27, v46, v29
	v_fmac_f32_e32 v28, v45, v29
	s_wait_dscnt 0x6
	v_fmac_f32_e32 v25, v46, v33
	v_fmac_f32_e32 v26, v45, v33
	ds_load_2addr_b32 v[45:46], v18 offset0:160 offset1:176
	s_wait_dscnt 0x6
	v_fmac_f32_e32 v27, v48, v30
	v_fmac_f32_e32 v28, v47, v30
	v_fmac_f32_e32 v25, v48, v34
	v_fmac_f32_e32 v26, v47, v34
	ds_load_2addr_b32 v[29:30], v18 offset0:192 offset1:208
	s_wait_dscnt 0x6
	v_fmac_f32_e32 v27, v50, v31
	v_fmac_f32_e32 v28, v49, v31
	;; [unrolled: 6-line block ×3, first 2 shown]
	v_fmac_f32_e32 v25, v52, v36
	v_fmac_f32_e32 v26, v51, v36
	s_wait_loadcnt_dscnt 0x0
	v_fmac_f32_e32 v27, v54, v37
	v_fmac_f32_e32 v28, v53, v37
	;; [unrolled: 1-line block ×4, first 2 shown]
	s_barrier_signal -1
	v_fmac_f32_e32 v27, v46, v38
	v_fmac_f32_e32 v28, v45, v38
	;; [unrolled: 1-line block ×4, first 2 shown]
	s_barrier_wait -1
	v_fmac_f32_e32 v27, v30, v39
	v_fmac_f32_e32 v28, v29, v39
	;; [unrolled: 1-line block ×4, first 2 shown]
	global_inv scope:SCOPE_SE
	v_fmac_f32_e32 v27, v34, v40
	v_fmac_f32_e32 v28, v33, v40
	v_fmac_f32_e32 v25, v34, v44
	v_fmac_f32_e32 v26, v33, v44
	s_cbranch_scc0 .LBB313_13
.LBB313_9:                              ;   Parent Loop BB313_6 Depth=1
                                        ; =>  This Inner Loop Header: Depth=2
	s_wait_alu 0xfffe
	v_add_nc_u32_e32 v29, s14, v15
	s_delay_alu instid0(VALU_DEP_1)
	v_cmp_gt_i32_e32 vcc_lo, s9, v29
	v_mov_b32_e32 v29, 0
	s_and_b32 s22, s0, vcc_lo
	s_wait_alu 0xfffe
	s_and_saveexec_b32 s15, s22
	s_cbranch_execz .LBB313_11
; %bb.10:                               ;   in Loop: Header=BB313_9 Depth=2
	flat_load_b32 v29, v[10:11]
.LBB313_11:                             ;   in Loop: Header=BB313_9 Depth=2
	s_wait_alu 0xfffe
	s_or_b32 exec_lo, exec_lo, s15
	v_add_nc_u32_e32 v30, s14, v14
	s_wait_loadcnt_dscnt 0x0
	ds_store_b32 v16, v29
	v_cmp_gt_i32_e32 vcc_lo, s9, v30
	v_mov_b32_e32 v30, 0
	s_and_b32 s22, vcc_lo, s1
	s_wait_alu 0xfffe
	s_and_saveexec_b32 s15, s22
	s_cbranch_execz .LBB313_8
; %bb.12:                               ;   in Loop: Header=BB313_9 Depth=2
	flat_load_b32 v30, v[12:13]
	s_branch .LBB313_8
.LBB313_13:                             ;   in Loop: Header=BB313_6 Depth=1
	s_wait_loadcnt 0x0
	v_add_co_u32 v8, vcc_lo, v8, s4
	s_wait_alu 0xfffd
	v_add_co_ci_u32_e64 v9, null, s5, v9, vcc_lo
	s_delay_alu instid0(VALU_DEP_2) | instskip(SKIP_1) | instid1(VALU_DEP_2)
	v_add_co_u32 v10, vcc_lo, v8, v4
	s_wait_alu 0xfffd
	v_add_co_ci_u32_e64 v11, null, v9, v5, vcc_lo
	s_and_saveexec_b32 s14, s29
	s_cbranch_execz .LBB313_17
; %bb.14:                               ;   in Loop: Header=BB313_6 Depth=1
	v_mul_f32_e32 v12, s10, v28
	s_and_b32 vcc_lo, exec_lo, s28
	s_wait_alu 0xfffe
	s_cbranch_vccz .LBB313_28
; %bb.15:                               ;   in Loop: Header=BB313_6 Depth=1
	v_lshlrev_b64_e32 v[28:29], 2, v[0:1]
	s_delay_alu instid0(VALU_DEP_1) | instskip(SKIP_1) | instid1(VALU_DEP_2)
	v_add_co_u32 v28, vcc_lo, v10, v28
	s_wait_alu 0xfffd
	v_add_co_ci_u32_e64 v29, null, v11, v29, vcc_lo
	flat_load_b32 v13, v[28:29]
	s_wait_loadcnt_dscnt 0x0
	v_fma_f32 v13, s11, v13, v12
	flat_store_b32 v[28:29], v13
	s_cbranch_execnz .LBB313_17
.LBB313_16:                             ;   in Loop: Header=BB313_6 Depth=1
	v_lshlrev_b64_e32 v[28:29], 2, v[0:1]
	s_delay_alu instid0(VALU_DEP_1) | instskip(SKIP_1) | instid1(VALU_DEP_2)
	v_add_co_u32 v28, vcc_lo, v10, v28
	s_wait_alu 0xfffd
	v_add_co_ci_u32_e64 v29, null, v11, v29, vcc_lo
	flat_store_b32 v[28:29], v12
.LBB313_17:                             ;   in Loop: Header=BB313_6 Depth=1
	s_wait_alu 0xfffe
	s_or_b32 exec_lo, exec_lo, s14
	s_and_saveexec_b32 s14, s30
	s_cbranch_execz .LBB313_21
; %bb.18:                               ;   in Loop: Header=BB313_6 Depth=1
	v_mul_f32_e32 v12, s10, v27
	s_and_not1_b32 vcc_lo, exec_lo, s28
	s_wait_alu 0xfffe
	s_cbranch_vccnz .LBB313_29
; %bb.19:                               ;   in Loop: Header=BB313_6 Depth=1
	v_lshlrev_b64_e32 v[27:28], 2, v[2:3]
	s_delay_alu instid0(VALU_DEP_1) | instskip(SKIP_1) | instid1(VALU_DEP_2)
	v_add_co_u32 v27, vcc_lo, v10, v27
	s_wait_alu 0xfffd
	v_add_co_ci_u32_e64 v28, null, v11, v28, vcc_lo
	flat_load_b32 v13, v[27:28]
	s_wait_loadcnt_dscnt 0x0
	v_fma_f32 v13, s11, v13, v12
	flat_store_b32 v[27:28], v13
	s_cbranch_execnz .LBB313_21
.LBB313_20:                             ;   in Loop: Header=BB313_6 Depth=1
	v_lshlrev_b64_e32 v[27:28], 2, v[2:3]
	s_delay_alu instid0(VALU_DEP_1) | instskip(SKIP_1) | instid1(VALU_DEP_2)
	v_add_co_u32 v10, vcc_lo, v10, v27
	s_wait_alu 0xfffd
	v_add_co_ci_u32_e64 v11, null, v11, v28, vcc_lo
	flat_store_b32 v[10:11], v12
.LBB313_21:                             ;   in Loop: Header=BB313_6 Depth=1
	s_wait_alu 0xfffe
	s_or_b32 exec_lo, exec_lo, s14
	v_add_co_u32 v10, vcc_lo, v8, v6
	s_wait_alu 0xfffd
	v_add_co_ci_u32_e64 v11, null, v9, v7, vcc_lo
	s_and_saveexec_b32 s14, s8
	s_cbranch_execz .LBB313_25
; %bb.22:                               ;   in Loop: Header=BB313_6 Depth=1
	v_lshlrev_b64_e32 v[8:9], 2, v[0:1]
	v_mul_f32_e32 v12, s10, v26
	s_and_not1_b32 vcc_lo, exec_lo, s28
	s_wait_alu 0xfffe
	s_cbranch_vccnz .LBB313_30
; %bb.23:                               ;   in Loop: Header=BB313_6 Depth=1
	s_delay_alu instid0(VALU_DEP_2)
	v_add_co_u32 v26, vcc_lo, v10, v8
	s_wait_alu 0xfffd
	v_add_co_ci_u32_e64 v27, null, v11, v9, vcc_lo
	flat_load_b32 v13, v[26:27]
	s_wait_loadcnt_dscnt 0x0
	v_fma_f32 v13, s11, v13, v12
	flat_store_b32 v[26:27], v13
	s_cbranch_execnz .LBB313_25
.LBB313_24:                             ;   in Loop: Header=BB313_6 Depth=1
	v_add_co_u32 v8, vcc_lo, v10, v8
	s_wait_alu 0xfffd
	v_add_co_ci_u32_e64 v9, null, v11, v9, vcc_lo
	flat_store_b32 v[8:9], v12
.LBB313_25:                             ;   in Loop: Header=BB313_6 Depth=1
	s_wait_alu 0xfffe
	s_or_b32 exec_lo, exec_lo, s14
	s_and_saveexec_b32 s14, s26
	s_cbranch_execz .LBB313_5
; %bb.26:                               ;   in Loop: Header=BB313_6 Depth=1
	v_lshlrev_b64_e32 v[8:9], 2, v[2:3]
	v_mul_f32_e32 v12, s10, v25
	s_and_not1_b32 vcc_lo, exec_lo, s28
	s_wait_alu 0xfffe
	s_cbranch_vccnz .LBB313_31
; %bb.27:                               ;   in Loop: Header=BB313_6 Depth=1
	s_delay_alu instid0(VALU_DEP_2)
	v_add_co_u32 v25, vcc_lo, v10, v8
	s_wait_alu 0xfffd
	v_add_co_ci_u32_e64 v26, null, v11, v9, vcc_lo
	flat_load_b32 v13, v[25:26]
	s_wait_loadcnt_dscnt 0x0
	v_fma_f32 v13, s11, v13, v12
	flat_store_b32 v[25:26], v13
	s_cbranch_execnz .LBB313_5
	s_branch .LBB313_32
.LBB313_28:                             ;   in Loop: Header=BB313_6 Depth=1
	s_branch .LBB313_16
.LBB313_29:                             ;   in Loop: Header=BB313_6 Depth=1
	s_branch .LBB313_20
.LBB313_30:                             ;   in Loop: Header=BB313_6 Depth=1
	s_branch .LBB313_24
.LBB313_31:                             ;   in Loop: Header=BB313_6 Depth=1
.LBB313_32:                             ;   in Loop: Header=BB313_6 Depth=1
	s_delay_alu instid0(VALU_DEP_2)
	v_add_co_u32 v8, vcc_lo, v10, v8
	s_wait_alu 0xfffd
	v_add_co_ci_u32_e64 v9, null, v11, v9, vcc_lo
	flat_store_b32 v[8:9], v12
	s_branch .LBB313_5
.LBB313_33:
	s_endpgm
	.section	.rodata,"a",@progbits
	.p2align	6, 0x0
	.amdhsa_kernel _ZL29rocblas_internal_gemmt_kernelIiLi16ELi32ELi8ELc67ELc84ELc85ELb0ELb0EffPKPKfPKPfEviT_T9_T10_S7_lS9_S7_lS8_T11_S7_li
		.amdhsa_group_segment_fixed_size 2048
		.amdhsa_private_segment_fixed_size 0
		.amdhsa_kernarg_size 100
		.amdhsa_user_sgpr_count 2
		.amdhsa_user_sgpr_dispatch_ptr 0
		.amdhsa_user_sgpr_queue_ptr 0
		.amdhsa_user_sgpr_kernarg_segment_ptr 1
		.amdhsa_user_sgpr_dispatch_id 0
		.amdhsa_user_sgpr_private_segment_size 0
		.amdhsa_wavefront_size32 1
		.amdhsa_uses_dynamic_stack 0
		.amdhsa_enable_private_segment 0
		.amdhsa_system_sgpr_workgroup_id_x 1
		.amdhsa_system_sgpr_workgroup_id_y 1
		.amdhsa_system_sgpr_workgroup_id_z 1
		.amdhsa_system_sgpr_workgroup_info 0
		.amdhsa_system_vgpr_workitem_id 1
		.amdhsa_next_free_vgpr 55
		.amdhsa_next_free_sgpr 32
		.amdhsa_reserve_vcc 1
		.amdhsa_float_round_mode_32 0
		.amdhsa_float_round_mode_16_64 0
		.amdhsa_float_denorm_mode_32 3
		.amdhsa_float_denorm_mode_16_64 3
		.amdhsa_fp16_overflow 0
		.amdhsa_workgroup_processor_mode 1
		.amdhsa_memory_ordered 1
		.amdhsa_forward_progress 1
		.amdhsa_inst_pref_size 15
		.amdhsa_round_robin_scheduling 0
		.amdhsa_exception_fp_ieee_invalid_op 0
		.amdhsa_exception_fp_denorm_src 0
		.amdhsa_exception_fp_ieee_div_zero 0
		.amdhsa_exception_fp_ieee_overflow 0
		.amdhsa_exception_fp_ieee_underflow 0
		.amdhsa_exception_fp_ieee_inexact 0
		.amdhsa_exception_int_div_zero 0
	.end_amdhsa_kernel
	.section	.text._ZL29rocblas_internal_gemmt_kernelIiLi16ELi32ELi8ELc67ELc84ELc85ELb0ELb0EffPKPKfPKPfEviT_T9_T10_S7_lS9_S7_lS8_T11_S7_li,"axG",@progbits,_ZL29rocblas_internal_gemmt_kernelIiLi16ELi32ELi8ELc67ELc84ELc85ELb0ELb0EffPKPKfPKPfEviT_T9_T10_S7_lS9_S7_lS8_T11_S7_li,comdat
.Lfunc_end313:
	.size	_ZL29rocblas_internal_gemmt_kernelIiLi16ELi32ELi8ELc67ELc84ELc85ELb0ELb0EffPKPKfPKPfEviT_T9_T10_S7_lS9_S7_lS8_T11_S7_li, .Lfunc_end313-_ZL29rocblas_internal_gemmt_kernelIiLi16ELi32ELi8ELc67ELc84ELc85ELb0ELb0EffPKPKfPKPfEviT_T9_T10_S7_lS9_S7_lS8_T11_S7_li
                                        ; -- End function
	.set _ZL29rocblas_internal_gemmt_kernelIiLi16ELi32ELi8ELc67ELc84ELc85ELb0ELb0EffPKPKfPKPfEviT_T9_T10_S7_lS9_S7_lS8_T11_S7_li.num_vgpr, 55
	.set _ZL29rocblas_internal_gemmt_kernelIiLi16ELi32ELi8ELc67ELc84ELc85ELb0ELb0EffPKPKfPKPfEviT_T9_T10_S7_lS9_S7_lS8_T11_S7_li.num_agpr, 0
	.set _ZL29rocblas_internal_gemmt_kernelIiLi16ELi32ELi8ELc67ELc84ELc85ELb0ELb0EffPKPKfPKPfEviT_T9_T10_S7_lS9_S7_lS8_T11_S7_li.numbered_sgpr, 32
	.set _ZL29rocblas_internal_gemmt_kernelIiLi16ELi32ELi8ELc67ELc84ELc85ELb0ELb0EffPKPKfPKPfEviT_T9_T10_S7_lS9_S7_lS8_T11_S7_li.num_named_barrier, 0
	.set _ZL29rocblas_internal_gemmt_kernelIiLi16ELi32ELi8ELc67ELc84ELc85ELb0ELb0EffPKPKfPKPfEviT_T9_T10_S7_lS9_S7_lS8_T11_S7_li.private_seg_size, 0
	.set _ZL29rocblas_internal_gemmt_kernelIiLi16ELi32ELi8ELc67ELc84ELc85ELb0ELb0EffPKPKfPKPfEviT_T9_T10_S7_lS9_S7_lS8_T11_S7_li.uses_vcc, 1
	.set _ZL29rocblas_internal_gemmt_kernelIiLi16ELi32ELi8ELc67ELc84ELc85ELb0ELb0EffPKPKfPKPfEviT_T9_T10_S7_lS9_S7_lS8_T11_S7_li.uses_flat_scratch, 0
	.set _ZL29rocblas_internal_gemmt_kernelIiLi16ELi32ELi8ELc67ELc84ELc85ELb0ELb0EffPKPKfPKPfEviT_T9_T10_S7_lS9_S7_lS8_T11_S7_li.has_dyn_sized_stack, 0
	.set _ZL29rocblas_internal_gemmt_kernelIiLi16ELi32ELi8ELc67ELc84ELc85ELb0ELb0EffPKPKfPKPfEviT_T9_T10_S7_lS9_S7_lS8_T11_S7_li.has_recursion, 0
	.set _ZL29rocblas_internal_gemmt_kernelIiLi16ELi32ELi8ELc67ELc84ELc85ELb0ELb0EffPKPKfPKPfEviT_T9_T10_S7_lS9_S7_lS8_T11_S7_li.has_indirect_call, 0
	.section	.AMDGPU.csdata,"",@progbits
; Kernel info:
; codeLenInByte = 1868
; TotalNumSgprs: 34
; NumVgprs: 55
; ScratchSize: 0
; MemoryBound: 0
; FloatMode: 240
; IeeeMode: 1
; LDSByteSize: 2048 bytes/workgroup (compile time only)
; SGPRBlocks: 0
; VGPRBlocks: 6
; NumSGPRsForWavesPerEU: 34
; NumVGPRsForWavesPerEU: 55
; Occupancy: 16
; WaveLimiterHint : 1
; COMPUTE_PGM_RSRC2:SCRATCH_EN: 0
; COMPUTE_PGM_RSRC2:USER_SGPR: 2
; COMPUTE_PGM_RSRC2:TRAP_HANDLER: 0
; COMPUTE_PGM_RSRC2:TGID_X_EN: 1
; COMPUTE_PGM_RSRC2:TGID_Y_EN: 1
; COMPUTE_PGM_RSRC2:TGID_Z_EN: 1
; COMPUTE_PGM_RSRC2:TIDIG_COMP_CNT: 1
	.section	.text._ZL29rocblas_internal_gemmt_kernelIiLi16ELi32ELi8ELc67ELc67ELc85ELb0ELb0EffPKPKfPKPfEviT_T9_T10_S7_lS9_S7_lS8_T11_S7_li,"axG",@progbits,_ZL29rocblas_internal_gemmt_kernelIiLi16ELi32ELi8ELc67ELc67ELc85ELb0ELb0EffPKPKfPKPfEviT_T9_T10_S7_lS9_S7_lS8_T11_S7_li,comdat
	.globl	_ZL29rocblas_internal_gemmt_kernelIiLi16ELi32ELi8ELc67ELc67ELc85ELb0ELb0EffPKPKfPKPfEviT_T9_T10_S7_lS9_S7_lS8_T11_S7_li ; -- Begin function _ZL29rocblas_internal_gemmt_kernelIiLi16ELi32ELi8ELc67ELc67ELc85ELb0ELb0EffPKPKfPKPfEviT_T9_T10_S7_lS9_S7_lS8_T11_S7_li
	.p2align	8
	.type	_ZL29rocblas_internal_gemmt_kernelIiLi16ELi32ELi8ELc67ELc67ELc85ELb0ELb0EffPKPKfPKPfEviT_T9_T10_S7_lS9_S7_lS8_T11_S7_li,@function
_ZL29rocblas_internal_gemmt_kernelIiLi16ELi32ELi8ELc67ELc67ELc85ELb0ELb0EffPKPKfPKPfEviT_T9_T10_S7_lS9_S7_lS8_T11_S7_li: ; @_ZL29rocblas_internal_gemmt_kernelIiLi16ELi32ELi8ELc67ELc67ELc85ELb0ELb0EffPKPKfPKPfEviT_T9_T10_S7_lS9_S7_lS8_T11_S7_li
; %bb.0:
	s_clause 0x1
	s_load_b32 s11, s[0:1], 0x40
	s_load_b96 s[8:10], s[0:1], 0x0
	s_wait_kmcnt 0x0
	s_cmp_neq_f32 s11, 1.0
	s_cselect_b32 s2, -1, 0
	s_delay_alu instid0(SALU_CYCLE_1)
	s_and_b32 vcc_lo, exec_lo, s2
	s_cbranch_vccnz .LBB314_2
; %bb.1:
	s_cmp_lg_u32 s9, 0
	s_cselect_b32 s2, -1, 0
	s_cmp_neq_f32 s10, 0
	s_cselect_b32 s3, -1, 0
	s_delay_alu instid0(SALU_CYCLE_1)
	s_and_b32 s2, s2, s3
.LBB314_2:
	s_delay_alu instid0(SALU_CYCLE_1)
	s_and_not1_b32 vcc_lo, exec_lo, s2
	s_cbranch_vccnz .LBB314_33
; %bb.3:
	s_load_b32 s19, s[0:1], 0x60
	s_lshr_b32 s20, ttmp7, 16
	s_wait_kmcnt 0x0
	s_cmp_ge_u32 s20, s19
	s_cbranch_scc1 .LBB314_33
; %bb.4:
	v_dual_mov_b32 v20, 0 :: v_dual_and_b32 v1, 0x3ff, v0
	v_bfe_u32 v3, v0, 10, 10
	v_and_b32_e32 v14, 7, v0
	s_clause 0x5
	s_load_b32 s22, s[0:1], 0x30
	s_load_b96 s[12:14], s[0:1], 0x10
	s_load_b128 s[4:7], s[0:1], 0x20
	s_load_b64 s[26:27], s[0:1], 0x38
	s_load_b96 s[16:18], s[0:1], 0x48
	s_load_b64 s[24:25], s[0:1], 0x58
	v_lshl_add_u32 v0, v3, 4, v1
	v_lshlrev_b32_e32 v4, 2, v14
	s_lshl_b32 s2, ttmp9, 5
	s_lshl_b32 s0, ttmp7, 5
	v_lshlrev_b32_e32 v18, 2, v1
	v_and_b32_e32 v2, 31, v0
	v_lshrrev_b32_e32 v5, 3, v0
	v_lshrrev_b32_e32 v15, 5, v0
	s_and_b32 s3, s0, 0x1fffe0
	v_lshl_add_u32 v19, v3, 5, 0x400
	v_lshlrev_b32_e32 v0, 2, v2
	v_or_b32_e32 v6, s2, v2
	v_lshl_or_b32 v2, v5, 5, v4
	v_add_nc_u32_e32 v7, s3, v3
	v_add_nc_u32_e32 v12, s3, v5
	v_lshl_or_b32 v16, v15, 7, v0
	v_add_nc_u32_e32 v0, s2, v1
	v_add_nc_u32_e32 v17, 0x400, v2
	s_wait_kmcnt 0x0
	s_ashr_i32 s23, s22, 31
	v_cmp_gt_i32_e64 s0, s8, v6
	v_cmp_gt_i32_e32 vcc_lo, s8, v7
	v_add_nc_u32_e32 v2, 16, v0
	v_cmp_le_i32_e64 s2, v0, v7
	v_mad_co_i64_i32 v[4:5], null, v7, s18, 0
	v_add_nc_u32_e32 v13, 16, v7
	s_delay_alu instid0(VALU_DEP_4)
	v_cmp_le_i32_e64 s3, v2, v7
	v_mad_co_i64_i32 v[6:7], null, s14, v6, 0
	s_cmp_neq_f32 s10, 0
	v_mad_co_i64_i32 v[8:9], null, s22, v14, 0
	v_cmp_gt_i32_e64 s1, s8, v12
	s_cselect_b32 s15, -1, 0
	s_cmp_gt_i32 s9, 0
	v_lshlrev_b64_e32 v[6:7], 2, v[6:7]
	s_cselect_b32 s31, -1, 0
	s_cmp_neq_f32 s11, 0
	v_lshlrev_b64_e32 v[8:9], 2, v[8:9]
	v_mad_co_i64_i32 v[10:11], null, v13, s18, 0
	s_cselect_b32 s28, -1, 0
	s_and_b32 s29, vcc_lo, s2
	s_and_b32 s30, vcc_lo, s3
	v_cmp_gt_i32_e32 vcc_lo, s8, v13
	v_cmp_le_i32_e64 s2, v0, v13
	s_lshl_b64 s[4:5], s[4:5], 2
	v_lshlrev_b32_e32 v12, 2, v12
	v_add_co_u32 v6, s3, v6, s4
	s_and_b32 s8, vcc_lo, s2
	v_cmp_le_i32_e64 s2, v2, v13
	v_add_co_ci_u32_e64 v7, null, s5, v7, s3
	v_lshlrev_b32_e32 v13, 2, v15
	s_lshl_b64 s[4:5], s[26:27], 2
	v_lshlrev_b64_e32 v[4:5], 2, v[4:5]
	s_wait_alu 0xfffe
	v_add_co_u32 v8, s3, v8, s4
	s_wait_alu 0xf1ff
	v_add_co_ci_u32_e64 v9, null, s5, v9, s3
	v_add_co_u32 v21, s3, v6, v13
	s_wait_alu 0xf1ff
	v_add_co_ci_u32_e64 v22, null, 0, v7, s3
	v_add_co_u32 v23, s3, v8, v12
	v_lshlrev_b64_e32 v[6:7], 2, v[10:11]
	v_ashrrev_i32_e32 v1, 31, v0
	v_ashrrev_i32_e32 v3, 31, v2
	s_wait_alu 0xf1ff
	v_add_co_ci_u32_e64 v24, null, 0, v9, s3
	s_mov_b32 s21, 0
	s_and_b32 s18, s15, s31
	s_and_b32 s26, vcc_lo, s2
	s_lshl_b64 s[2:3], s[22:23], 5
	s_lshl_b64 s[4:5], s[24:25], 2
	s_branch .LBB314_6
.LBB314_5:                              ;   in Loop: Header=BB314_6 Depth=1
	s_wait_alu 0xfffe
	s_or_b32 exec_lo, exec_lo, s14
	s_add_co_i32 s20, s20, 0x10000
	s_delay_alu instid0(SALU_CYCLE_1)
	s_cmp_lt_u32 s20, s19
	s_cbranch_scc0 .LBB314_33
.LBB314_6:                              ; =>This Loop Header: Depth=1
                                        ;     Child Loop BB314_9 Depth 2
	s_lshl_b64 s[14:15], s[20:21], 3
	v_dual_mov_b32 v28, 0 :: v_dual_mov_b32 v27, 0
	s_wait_alu 0xfffe
	s_add_nc_u64 s[22:23], s[16:17], s[14:15]
	v_dual_mov_b32 v26, 0 :: v_dual_mov_b32 v25, 0
	global_load_b64 v[8:9], v20, s[22:23]
	s_and_not1_b32 vcc_lo, exec_lo, s18
	s_wait_alu 0xfffe
	s_cbranch_vccnz .LBB314_13
; %bb.7:                                ;   in Loop: Header=BB314_6 Depth=1
	s_add_nc_u64 s[22:23], s[12:13], s[14:15]
	s_add_nc_u64 s[14:15], s[6:7], s[14:15]
	s_clause 0x1
	global_load_b64 v[10:11], v20, s[22:23]
	global_load_b64 v[12:13], v20, s[14:15]
	v_dual_mov_b32 v25, 0 :: v_dual_mov_b32 v26, 0
	v_dual_mov_b32 v27, 0 :: v_dual_mov_b32 v28, 0
	s_mov_b32 s14, 0
	s_wait_loadcnt 0x1
	v_add_co_u32 v10, vcc_lo, v10, v21
	s_wait_alu 0xfffd
	v_add_co_ci_u32_e64 v11, null, v11, v22, vcc_lo
	s_wait_loadcnt 0x0
	v_add_co_u32 v12, vcc_lo, v12, v23
	s_wait_alu 0xfffd
	v_add_co_ci_u32_e64 v13, null, v13, v24, vcc_lo
	s_branch .LBB314_9
.LBB314_8:                              ;   in Loop: Header=BB314_9 Depth=2
	s_wait_alu 0xfffe
	s_or_b32 exec_lo, exec_lo, s15
	s_wait_loadcnt_dscnt 0x0
	ds_store_b32 v17, v30
	s_wait_dscnt 0x0
	s_barrier_signal -1
	s_barrier_wait -1
	global_inv scope:SCOPE_SE
	ds_load_b128 v[29:32], v19
	ds_load_2addr_b32 v[45:46], v18 offset1:16
	ds_load_b128 v[33:36], v19 offset:512
	ds_load_2addr_b32 v[47:48], v18 offset0:32 offset1:48
	ds_load_2addr_b32 v[49:50], v18 offset0:64 offset1:80
	;; [unrolled: 1-line block ×3, first 2 shown]
	ds_load_b128 v[37:40], v19 offset:16
	ds_load_2addr_b32 v[53:54], v18 offset0:128 offset1:144
	ds_load_b128 v[41:44], v19 offset:528
	v_add_co_u32 v10, vcc_lo, v10, 32
	s_wait_alu 0xfffd
	v_add_co_ci_u32_e64 v11, null, 0, v11, vcc_lo
	v_add_co_u32 v12, vcc_lo, v12, s2
	s_wait_alu 0xfffd
	v_add_co_ci_u32_e64 v13, null, s3, v13, vcc_lo
	s_add_co_i32 s14, s14, 8
	s_wait_alu 0xfffe
	s_cmp_lt_i32 s14, s9
	s_wait_dscnt 0x7
	v_fmac_f32_e32 v27, v46, v29
	v_fmac_f32_e32 v28, v45, v29
	s_wait_dscnt 0x6
	v_fmac_f32_e32 v25, v46, v33
	v_fmac_f32_e32 v26, v45, v33
	ds_load_2addr_b32 v[45:46], v18 offset0:160 offset1:176
	s_wait_dscnt 0x6
	v_fmac_f32_e32 v27, v48, v30
	v_fmac_f32_e32 v28, v47, v30
	v_fmac_f32_e32 v25, v48, v34
	v_fmac_f32_e32 v26, v47, v34
	ds_load_2addr_b32 v[29:30], v18 offset0:192 offset1:208
	s_wait_dscnt 0x6
	v_fmac_f32_e32 v27, v50, v31
	v_fmac_f32_e32 v28, v49, v31
	v_fmac_f32_e32 v25, v50, v35
	v_fmac_f32_e32 v26, v49, v35
	ds_load_2addr_b32 v[33:34], v18 offset0:224 offset1:240
	s_wait_dscnt 0x6
	v_fmac_f32_e32 v27, v52, v32
	v_fmac_f32_e32 v28, v51, v32
	v_fmac_f32_e32 v25, v52, v36
	v_fmac_f32_e32 v26, v51, v36
	s_wait_loadcnt_dscnt 0x0
	v_fmac_f32_e32 v27, v54, v37
	v_fmac_f32_e32 v28, v53, v37
	;; [unrolled: 1-line block ×4, first 2 shown]
	s_barrier_signal -1
	v_fmac_f32_e32 v27, v46, v38
	v_fmac_f32_e32 v28, v45, v38
	;; [unrolled: 1-line block ×4, first 2 shown]
	s_barrier_wait -1
	v_fmac_f32_e32 v27, v30, v39
	v_fmac_f32_e32 v28, v29, v39
	;; [unrolled: 1-line block ×4, first 2 shown]
	global_inv scope:SCOPE_SE
	v_fmac_f32_e32 v27, v34, v40
	v_fmac_f32_e32 v28, v33, v40
	;; [unrolled: 1-line block ×4, first 2 shown]
	s_cbranch_scc0 .LBB314_13
.LBB314_9:                              ;   Parent Loop BB314_6 Depth=1
                                        ; =>  This Inner Loop Header: Depth=2
	s_wait_alu 0xfffe
	v_add_nc_u32_e32 v29, s14, v15
	s_delay_alu instid0(VALU_DEP_1)
	v_cmp_gt_i32_e32 vcc_lo, s9, v29
	v_mov_b32_e32 v29, 0
	s_and_b32 s22, s0, vcc_lo
	s_wait_alu 0xfffe
	s_and_saveexec_b32 s15, s22
	s_cbranch_execz .LBB314_11
; %bb.10:                               ;   in Loop: Header=BB314_9 Depth=2
	flat_load_b32 v29, v[10:11]
.LBB314_11:                             ;   in Loop: Header=BB314_9 Depth=2
	s_wait_alu 0xfffe
	s_or_b32 exec_lo, exec_lo, s15
	v_add_nc_u32_e32 v30, s14, v14
	s_wait_loadcnt_dscnt 0x0
	ds_store_b32 v16, v29
	v_cmp_gt_i32_e32 vcc_lo, s9, v30
	v_mov_b32_e32 v30, 0
	s_and_b32 s22, vcc_lo, s1
	s_wait_alu 0xfffe
	s_and_saveexec_b32 s15, s22
	s_cbranch_execz .LBB314_8
; %bb.12:                               ;   in Loop: Header=BB314_9 Depth=2
	flat_load_b32 v30, v[12:13]
	s_branch .LBB314_8
.LBB314_13:                             ;   in Loop: Header=BB314_6 Depth=1
	s_wait_loadcnt 0x0
	v_add_co_u32 v8, vcc_lo, v8, s4
	s_wait_alu 0xfffd
	v_add_co_ci_u32_e64 v9, null, s5, v9, vcc_lo
	s_delay_alu instid0(VALU_DEP_2) | instskip(SKIP_1) | instid1(VALU_DEP_2)
	v_add_co_u32 v10, vcc_lo, v8, v4
	s_wait_alu 0xfffd
	v_add_co_ci_u32_e64 v11, null, v9, v5, vcc_lo
	s_and_saveexec_b32 s14, s29
	s_cbranch_execz .LBB314_17
; %bb.14:                               ;   in Loop: Header=BB314_6 Depth=1
	v_mul_f32_e32 v12, s10, v28
	s_and_b32 vcc_lo, exec_lo, s28
	s_wait_alu 0xfffe
	s_cbranch_vccz .LBB314_28
; %bb.15:                               ;   in Loop: Header=BB314_6 Depth=1
	v_lshlrev_b64_e32 v[28:29], 2, v[0:1]
	s_delay_alu instid0(VALU_DEP_1) | instskip(SKIP_1) | instid1(VALU_DEP_2)
	v_add_co_u32 v28, vcc_lo, v10, v28
	s_wait_alu 0xfffd
	v_add_co_ci_u32_e64 v29, null, v11, v29, vcc_lo
	flat_load_b32 v13, v[28:29]
	s_wait_loadcnt_dscnt 0x0
	v_fma_f32 v13, s11, v13, v12
	flat_store_b32 v[28:29], v13
	s_cbranch_execnz .LBB314_17
.LBB314_16:                             ;   in Loop: Header=BB314_6 Depth=1
	v_lshlrev_b64_e32 v[28:29], 2, v[0:1]
	s_delay_alu instid0(VALU_DEP_1) | instskip(SKIP_1) | instid1(VALU_DEP_2)
	v_add_co_u32 v28, vcc_lo, v10, v28
	s_wait_alu 0xfffd
	v_add_co_ci_u32_e64 v29, null, v11, v29, vcc_lo
	flat_store_b32 v[28:29], v12
.LBB314_17:                             ;   in Loop: Header=BB314_6 Depth=1
	s_wait_alu 0xfffe
	s_or_b32 exec_lo, exec_lo, s14
	s_and_saveexec_b32 s14, s30
	s_cbranch_execz .LBB314_21
; %bb.18:                               ;   in Loop: Header=BB314_6 Depth=1
	v_mul_f32_e32 v12, s10, v27
	s_and_not1_b32 vcc_lo, exec_lo, s28
	s_wait_alu 0xfffe
	s_cbranch_vccnz .LBB314_29
; %bb.19:                               ;   in Loop: Header=BB314_6 Depth=1
	v_lshlrev_b64_e32 v[27:28], 2, v[2:3]
	s_delay_alu instid0(VALU_DEP_1) | instskip(SKIP_1) | instid1(VALU_DEP_2)
	v_add_co_u32 v27, vcc_lo, v10, v27
	s_wait_alu 0xfffd
	v_add_co_ci_u32_e64 v28, null, v11, v28, vcc_lo
	flat_load_b32 v13, v[27:28]
	s_wait_loadcnt_dscnt 0x0
	v_fma_f32 v13, s11, v13, v12
	flat_store_b32 v[27:28], v13
	s_cbranch_execnz .LBB314_21
.LBB314_20:                             ;   in Loop: Header=BB314_6 Depth=1
	v_lshlrev_b64_e32 v[27:28], 2, v[2:3]
	s_delay_alu instid0(VALU_DEP_1) | instskip(SKIP_1) | instid1(VALU_DEP_2)
	v_add_co_u32 v10, vcc_lo, v10, v27
	s_wait_alu 0xfffd
	v_add_co_ci_u32_e64 v11, null, v11, v28, vcc_lo
	flat_store_b32 v[10:11], v12
.LBB314_21:                             ;   in Loop: Header=BB314_6 Depth=1
	s_wait_alu 0xfffe
	s_or_b32 exec_lo, exec_lo, s14
	v_add_co_u32 v10, vcc_lo, v8, v6
	s_wait_alu 0xfffd
	v_add_co_ci_u32_e64 v11, null, v9, v7, vcc_lo
	s_and_saveexec_b32 s14, s8
	s_cbranch_execz .LBB314_25
; %bb.22:                               ;   in Loop: Header=BB314_6 Depth=1
	v_lshlrev_b64_e32 v[8:9], 2, v[0:1]
	v_mul_f32_e32 v12, s10, v26
	s_and_not1_b32 vcc_lo, exec_lo, s28
	s_wait_alu 0xfffe
	s_cbranch_vccnz .LBB314_30
; %bb.23:                               ;   in Loop: Header=BB314_6 Depth=1
	s_delay_alu instid0(VALU_DEP_2)
	v_add_co_u32 v26, vcc_lo, v10, v8
	s_wait_alu 0xfffd
	v_add_co_ci_u32_e64 v27, null, v11, v9, vcc_lo
	flat_load_b32 v13, v[26:27]
	s_wait_loadcnt_dscnt 0x0
	v_fma_f32 v13, s11, v13, v12
	flat_store_b32 v[26:27], v13
	s_cbranch_execnz .LBB314_25
.LBB314_24:                             ;   in Loop: Header=BB314_6 Depth=1
	v_add_co_u32 v8, vcc_lo, v10, v8
	s_wait_alu 0xfffd
	v_add_co_ci_u32_e64 v9, null, v11, v9, vcc_lo
	flat_store_b32 v[8:9], v12
.LBB314_25:                             ;   in Loop: Header=BB314_6 Depth=1
	s_wait_alu 0xfffe
	s_or_b32 exec_lo, exec_lo, s14
	s_and_saveexec_b32 s14, s26
	s_cbranch_execz .LBB314_5
; %bb.26:                               ;   in Loop: Header=BB314_6 Depth=1
	v_lshlrev_b64_e32 v[8:9], 2, v[2:3]
	v_mul_f32_e32 v12, s10, v25
	s_and_not1_b32 vcc_lo, exec_lo, s28
	s_wait_alu 0xfffe
	s_cbranch_vccnz .LBB314_31
; %bb.27:                               ;   in Loop: Header=BB314_6 Depth=1
	s_delay_alu instid0(VALU_DEP_2)
	v_add_co_u32 v25, vcc_lo, v10, v8
	s_wait_alu 0xfffd
	v_add_co_ci_u32_e64 v26, null, v11, v9, vcc_lo
	flat_load_b32 v13, v[25:26]
	s_wait_loadcnt_dscnt 0x0
	v_fma_f32 v13, s11, v13, v12
	flat_store_b32 v[25:26], v13
	s_cbranch_execnz .LBB314_5
	s_branch .LBB314_32
.LBB314_28:                             ;   in Loop: Header=BB314_6 Depth=1
	s_branch .LBB314_16
.LBB314_29:                             ;   in Loop: Header=BB314_6 Depth=1
	s_branch .LBB314_20
.LBB314_30:                             ;   in Loop: Header=BB314_6 Depth=1
	s_branch .LBB314_24
.LBB314_31:                             ;   in Loop: Header=BB314_6 Depth=1
.LBB314_32:                             ;   in Loop: Header=BB314_6 Depth=1
	s_delay_alu instid0(VALU_DEP_2)
	v_add_co_u32 v8, vcc_lo, v10, v8
	s_wait_alu 0xfffd
	v_add_co_ci_u32_e64 v9, null, v11, v9, vcc_lo
	flat_store_b32 v[8:9], v12
	s_branch .LBB314_5
.LBB314_33:
	s_endpgm
	.section	.rodata,"a",@progbits
	.p2align	6, 0x0
	.amdhsa_kernel _ZL29rocblas_internal_gemmt_kernelIiLi16ELi32ELi8ELc67ELc67ELc85ELb0ELb0EffPKPKfPKPfEviT_T9_T10_S7_lS9_S7_lS8_T11_S7_li
		.amdhsa_group_segment_fixed_size 2048
		.amdhsa_private_segment_fixed_size 0
		.amdhsa_kernarg_size 100
		.amdhsa_user_sgpr_count 2
		.amdhsa_user_sgpr_dispatch_ptr 0
		.amdhsa_user_sgpr_queue_ptr 0
		.amdhsa_user_sgpr_kernarg_segment_ptr 1
		.amdhsa_user_sgpr_dispatch_id 0
		.amdhsa_user_sgpr_private_segment_size 0
		.amdhsa_wavefront_size32 1
		.amdhsa_uses_dynamic_stack 0
		.amdhsa_enable_private_segment 0
		.amdhsa_system_sgpr_workgroup_id_x 1
		.amdhsa_system_sgpr_workgroup_id_y 1
		.amdhsa_system_sgpr_workgroup_id_z 1
		.amdhsa_system_sgpr_workgroup_info 0
		.amdhsa_system_vgpr_workitem_id 1
		.amdhsa_next_free_vgpr 55
		.amdhsa_next_free_sgpr 32
		.amdhsa_reserve_vcc 1
		.amdhsa_float_round_mode_32 0
		.amdhsa_float_round_mode_16_64 0
		.amdhsa_float_denorm_mode_32 3
		.amdhsa_float_denorm_mode_16_64 3
		.amdhsa_fp16_overflow 0
		.amdhsa_workgroup_processor_mode 1
		.amdhsa_memory_ordered 1
		.amdhsa_forward_progress 1
		.amdhsa_inst_pref_size 15
		.amdhsa_round_robin_scheduling 0
		.amdhsa_exception_fp_ieee_invalid_op 0
		.amdhsa_exception_fp_denorm_src 0
		.amdhsa_exception_fp_ieee_div_zero 0
		.amdhsa_exception_fp_ieee_overflow 0
		.amdhsa_exception_fp_ieee_underflow 0
		.amdhsa_exception_fp_ieee_inexact 0
		.amdhsa_exception_int_div_zero 0
	.end_amdhsa_kernel
	.section	.text._ZL29rocblas_internal_gemmt_kernelIiLi16ELi32ELi8ELc67ELc67ELc85ELb0ELb0EffPKPKfPKPfEviT_T9_T10_S7_lS9_S7_lS8_T11_S7_li,"axG",@progbits,_ZL29rocblas_internal_gemmt_kernelIiLi16ELi32ELi8ELc67ELc67ELc85ELb0ELb0EffPKPKfPKPfEviT_T9_T10_S7_lS9_S7_lS8_T11_S7_li,comdat
.Lfunc_end314:
	.size	_ZL29rocblas_internal_gemmt_kernelIiLi16ELi32ELi8ELc67ELc67ELc85ELb0ELb0EffPKPKfPKPfEviT_T9_T10_S7_lS9_S7_lS8_T11_S7_li, .Lfunc_end314-_ZL29rocblas_internal_gemmt_kernelIiLi16ELi32ELi8ELc67ELc67ELc85ELb0ELb0EffPKPKfPKPfEviT_T9_T10_S7_lS9_S7_lS8_T11_S7_li
                                        ; -- End function
	.set _ZL29rocblas_internal_gemmt_kernelIiLi16ELi32ELi8ELc67ELc67ELc85ELb0ELb0EffPKPKfPKPfEviT_T9_T10_S7_lS9_S7_lS8_T11_S7_li.num_vgpr, 55
	.set _ZL29rocblas_internal_gemmt_kernelIiLi16ELi32ELi8ELc67ELc67ELc85ELb0ELb0EffPKPKfPKPfEviT_T9_T10_S7_lS9_S7_lS8_T11_S7_li.num_agpr, 0
	.set _ZL29rocblas_internal_gemmt_kernelIiLi16ELi32ELi8ELc67ELc67ELc85ELb0ELb0EffPKPKfPKPfEviT_T9_T10_S7_lS9_S7_lS8_T11_S7_li.numbered_sgpr, 32
	.set _ZL29rocblas_internal_gemmt_kernelIiLi16ELi32ELi8ELc67ELc67ELc85ELb0ELb0EffPKPKfPKPfEviT_T9_T10_S7_lS9_S7_lS8_T11_S7_li.num_named_barrier, 0
	.set _ZL29rocblas_internal_gemmt_kernelIiLi16ELi32ELi8ELc67ELc67ELc85ELb0ELb0EffPKPKfPKPfEviT_T9_T10_S7_lS9_S7_lS8_T11_S7_li.private_seg_size, 0
	.set _ZL29rocblas_internal_gemmt_kernelIiLi16ELi32ELi8ELc67ELc67ELc85ELb0ELb0EffPKPKfPKPfEviT_T9_T10_S7_lS9_S7_lS8_T11_S7_li.uses_vcc, 1
	.set _ZL29rocblas_internal_gemmt_kernelIiLi16ELi32ELi8ELc67ELc67ELc85ELb0ELb0EffPKPKfPKPfEviT_T9_T10_S7_lS9_S7_lS8_T11_S7_li.uses_flat_scratch, 0
	.set _ZL29rocblas_internal_gemmt_kernelIiLi16ELi32ELi8ELc67ELc67ELc85ELb0ELb0EffPKPKfPKPfEviT_T9_T10_S7_lS9_S7_lS8_T11_S7_li.has_dyn_sized_stack, 0
	.set _ZL29rocblas_internal_gemmt_kernelIiLi16ELi32ELi8ELc67ELc67ELc85ELb0ELb0EffPKPKfPKPfEviT_T9_T10_S7_lS9_S7_lS8_T11_S7_li.has_recursion, 0
	.set _ZL29rocblas_internal_gemmt_kernelIiLi16ELi32ELi8ELc67ELc67ELc85ELb0ELb0EffPKPKfPKPfEviT_T9_T10_S7_lS9_S7_lS8_T11_S7_li.has_indirect_call, 0
	.section	.AMDGPU.csdata,"",@progbits
; Kernel info:
; codeLenInByte = 1868
; TotalNumSgprs: 34
; NumVgprs: 55
; ScratchSize: 0
; MemoryBound: 0
; FloatMode: 240
; IeeeMode: 1
; LDSByteSize: 2048 bytes/workgroup (compile time only)
; SGPRBlocks: 0
; VGPRBlocks: 6
; NumSGPRsForWavesPerEU: 34
; NumVGPRsForWavesPerEU: 55
; Occupancy: 16
; WaveLimiterHint : 1
; COMPUTE_PGM_RSRC2:SCRATCH_EN: 0
; COMPUTE_PGM_RSRC2:USER_SGPR: 2
; COMPUTE_PGM_RSRC2:TRAP_HANDLER: 0
; COMPUTE_PGM_RSRC2:TGID_X_EN: 1
; COMPUTE_PGM_RSRC2:TGID_Y_EN: 1
; COMPUTE_PGM_RSRC2:TGID_Z_EN: 1
; COMPUTE_PGM_RSRC2:TIDIG_COMP_CNT: 1
	.section	.text._ZL29rocblas_internal_gemmt_kernelIiLi16ELi32ELi8ELc78ELc78ELc76ELb0ELb0EffPKPKfPKPfEviT_T9_T10_S7_lS9_S7_lS8_T11_S7_li,"axG",@progbits,_ZL29rocblas_internal_gemmt_kernelIiLi16ELi32ELi8ELc78ELc78ELc76ELb0ELb0EffPKPKfPKPfEviT_T9_T10_S7_lS9_S7_lS8_T11_S7_li,comdat
	.globl	_ZL29rocblas_internal_gemmt_kernelIiLi16ELi32ELi8ELc78ELc78ELc76ELb0ELb0EffPKPKfPKPfEviT_T9_T10_S7_lS9_S7_lS8_T11_S7_li ; -- Begin function _ZL29rocblas_internal_gemmt_kernelIiLi16ELi32ELi8ELc78ELc78ELc76ELb0ELb0EffPKPKfPKPfEviT_T9_T10_S7_lS9_S7_lS8_T11_S7_li
	.p2align	8
	.type	_ZL29rocblas_internal_gemmt_kernelIiLi16ELi32ELi8ELc78ELc78ELc76ELb0ELb0EffPKPKfPKPfEviT_T9_T10_S7_lS9_S7_lS8_T11_S7_li,@function
_ZL29rocblas_internal_gemmt_kernelIiLi16ELi32ELi8ELc78ELc78ELc76ELb0ELb0EffPKPKfPKPfEviT_T9_T10_S7_lS9_S7_lS8_T11_S7_li: ; @_ZL29rocblas_internal_gemmt_kernelIiLi16ELi32ELi8ELc78ELc78ELc76ELb0ELb0EffPKPKfPKPfEviT_T9_T10_S7_lS9_S7_lS8_T11_S7_li
; %bb.0:
	s_clause 0x1
	s_load_b32 s7, s[0:1], 0x40
	s_load_b96 s[4:6], s[0:1], 0x0
	s_wait_kmcnt 0x0
	s_cmp_neq_f32 s7, 1.0
	s_cselect_b32 s2, -1, 0
	s_delay_alu instid0(SALU_CYCLE_1)
	s_and_b32 vcc_lo, exec_lo, s2
	s_cbranch_vccnz .LBB315_2
; %bb.1:
	s_cmp_lg_u32 s5, 0
	s_cselect_b32 s2, -1, 0
	s_cmp_neq_f32 s6, 0
	s_cselect_b32 s3, -1, 0
	s_delay_alu instid0(SALU_CYCLE_1)
	s_and_b32 s2, s2, s3
.LBB315_2:
	s_delay_alu instid0(SALU_CYCLE_1)
	s_and_not1_b32 vcc_lo, exec_lo, s2
	s_cbranch_vccnz .LBB315_33
; %bb.3:
	s_load_b32 s19, s[0:1], 0x60
	s_lshr_b32 s20, ttmp7, 16
	s_wait_kmcnt 0x0
	s_cmp_ge_u32 s20, s19
	s_cbranch_scc1 .LBB315_33
; %bb.4:
	s_clause 0x1
	s_load_b96 s[12:14], s[0:1], 0x10
	s_load_b128 s[8:11], s[0:1], 0x20
	v_dual_mov_b32 v22, 0 :: v_dual_and_b32 v1, 0x3ff, v0
	v_bfe_u32 v2, v0, 10, 10
	v_and_b32_e32 v14, 7, v0
	s_clause 0x3
	s_load_b32 s15, s[0:1], 0x30
	s_load_b64 s[24:25], s[0:1], 0x38
	s_load_b96 s[16:18], s[0:1], 0x48
	s_load_b64 s[22:23], s[0:1], 0x58
	s_lshl_b32 s0, ttmp7, 5
	s_lshl_b32 s2, ttmp9, 5
	v_lshl_add_u32 v0, v2, 4, v1
	v_lshlrev_b32_e32 v23, 2, v14
	s_and_b32 s3, s0, 0x1fffe0
	v_lshl_add_u32 v19, v2, 5, 0x400
	v_lshlrev_b32_e32 v18, 2, v1
	v_and_b32_e32 v3, 31, v0
	v_lshrrev_b32_e32 v5, 3, v0
	v_lshrrev_b32_e32 v15, 5, v0
	s_mov_b32 s21, 0
	s_delay_alu instid0(VALU_DEP_3)
	v_lshlrev_b32_e32 v0, 2, v3
	s_wait_kmcnt 0x0
	s_ashr_i32 s31, s14, 31
	v_or_b32_e32 v4, s2, v3
	s_cmp_neq_f32 s6, 0
	v_add_nc_u32_e32 v12, s3, v5
	v_lshl_or_b32 v3, v5, 5, v23
	v_lshl_or_b32 v16, v15, 7, v0
	v_add_nc_u32_e32 v0, s2, v1
	v_add_nc_u32_e32 v5, s3, v2
	v_mad_co_i64_i32 v[8:9], null, v15, s14, 0
	s_cselect_b32 s29, -1, 0
	s_cmp_gt_i32 s5, 0
	v_cmp_le_i32_e32 vcc_lo, v5, v0
	v_cmp_gt_i32_e64 s2, s4, v0
	v_add_nc_u32_e32 v2, 16, v0
	v_add_nc_u32_e32 v20, 16, v5
	s_cselect_b32 s33, -1, 0
	s_cmp_neq_f32 s7, 0
	v_cmp_gt_i32_e64 s1, s4, v12
	v_lshlrev_b64_e32 v[8:9], 2, v[8:9]
	v_mad_co_i64_i32 v[12:13], null, s15, v12, 0
	v_cmp_gt_i32_e64 s0, s4, v4
	s_cselect_b32 s26, -1, 0
	v_mad_co_i64_i32 v[6:7], null, v5, s18, 0
	s_and_b32 s27, vcc_lo, s2
	v_cmp_le_i32_e32 vcc_lo, v5, v2
	v_cmp_gt_i32_e64 s3, s4, v2
	v_cmp_le_i32_e64 s4, v20, v0
	v_ashrrev_i32_e32 v5, 31, v4
	s_lshl_b64 s[8:9], s[8:9], 2
	v_mad_co_i64_i32 v[10:11], null, v20, s18, 0
	s_and_b32 s28, vcc_lo, s3
	s_and_b32 s4, s4, s2
	v_cmp_le_i32_e32 vcc_lo, v20, v2
	v_lshlrev_b64_e32 v[4:5], 2, v[4:5]
	v_add_co_u32 v20, s2, v8, s8
	s_wait_alu 0xf1ff
	v_add_co_ci_u32_e64 v21, null, s9, v9, s2
	v_lshlrev_b64_e32 v[8:9], 2, v[12:13]
	s_delay_alu instid0(VALU_DEP_3)
	v_add_co_u32 v20, s2, v20, v4
	s_lshl_b64 s[8:9], s[24:25], 2
	s_wait_alu 0xf1ff
	v_add_co_ci_u32_e64 v21, null, v21, v5, s2
	s_wait_alu 0xfffe
	v_add_co_u32 v4, s2, v8, s8
	s_wait_alu 0xf1ff
	v_add_co_ci_u32_e64 v5, null, s9, v9, s2
	v_add_nc_u32_e32 v17, 0x400, v3
	s_delay_alu instid0(VALU_DEP_3) | instskip(SKIP_1) | instid1(VALU_DEP_3)
	v_add_co_u32 v23, s2, v4, v23
	s_wait_alu 0xf1ff
	v_add_co_ci_u32_e64 v24, null, 0, v5, s2
	v_lshlrev_b64_e32 v[4:5], 2, v[6:7]
	v_lshlrev_b64_e32 v[6:7], 2, v[10:11]
	v_ashrrev_i32_e32 v1, 31, v0
	v_ashrrev_i32_e32 v3, 31, v2
	s_mov_b32 s30, s14
	s_and_b32 s18, s29, s33
	s_and_b32 s24, vcc_lo, s3
	s_lshl_b64 s[2:3], s[30:31], 5
	s_lshl_b64 s[8:9], s[22:23], 2
	s_branch .LBB315_6
.LBB315_5:                              ;   in Loop: Header=BB315_6 Depth=1
	s_wait_alu 0xfffe
	s_or_b32 exec_lo, exec_lo, s14
	s_add_co_i32 s20, s20, 0x10000
	s_delay_alu instid0(SALU_CYCLE_1)
	s_cmp_lt_u32 s20, s19
	s_cbranch_scc0 .LBB315_33
.LBB315_6:                              ; =>This Loop Header: Depth=1
                                        ;     Child Loop BB315_9 Depth 2
	s_lshl_b64 s[14:15], s[20:21], 3
	v_dual_mov_b32 v28, 0 :: v_dual_mov_b32 v27, 0
	s_wait_alu 0xfffe
	s_add_nc_u64 s[22:23], s[16:17], s[14:15]
	v_dual_mov_b32 v26, 0 :: v_dual_mov_b32 v25, 0
	global_load_b64 v[8:9], v22, s[22:23]
	s_and_not1_b32 vcc_lo, exec_lo, s18
	s_wait_alu 0xfffe
	s_cbranch_vccnz .LBB315_13
; %bb.7:                                ;   in Loop: Header=BB315_6 Depth=1
	s_add_nc_u64 s[22:23], s[12:13], s[14:15]
	s_add_nc_u64 s[14:15], s[10:11], s[14:15]
	s_clause 0x1
	global_load_b64 v[10:11], v22, s[22:23]
	global_load_b64 v[12:13], v22, s[14:15]
	v_dual_mov_b32 v25, 0 :: v_dual_mov_b32 v26, 0
	v_dual_mov_b32 v27, 0 :: v_dual_mov_b32 v28, 0
	s_mov_b32 s14, 0
	s_wait_loadcnt 0x1
	v_add_co_u32 v10, vcc_lo, v10, v20
	s_wait_alu 0xfffd
	v_add_co_ci_u32_e64 v11, null, v11, v21, vcc_lo
	s_wait_loadcnt 0x0
	v_add_co_u32 v12, vcc_lo, v12, v23
	s_wait_alu 0xfffd
	v_add_co_ci_u32_e64 v13, null, v13, v24, vcc_lo
	s_branch .LBB315_9
.LBB315_8:                              ;   in Loop: Header=BB315_9 Depth=2
	s_wait_alu 0xfffe
	s_or_b32 exec_lo, exec_lo, s15
	s_wait_loadcnt_dscnt 0x0
	ds_store_b32 v17, v30
	s_wait_dscnt 0x0
	s_barrier_signal -1
	s_barrier_wait -1
	global_inv scope:SCOPE_SE
	ds_load_b128 v[29:32], v19
	ds_load_2addr_b32 v[45:46], v18 offset1:16
	ds_load_b128 v[33:36], v19 offset:512
	ds_load_2addr_b32 v[47:48], v18 offset0:32 offset1:48
	ds_load_2addr_b32 v[49:50], v18 offset0:64 offset1:80
	;; [unrolled: 1-line block ×3, first 2 shown]
	ds_load_b128 v[37:40], v19 offset:16
	ds_load_2addr_b32 v[53:54], v18 offset0:128 offset1:144
	ds_load_b128 v[41:44], v19 offset:528
	v_add_co_u32 v10, vcc_lo, v10, s2
	s_wait_alu 0xfffd
	v_add_co_ci_u32_e64 v11, null, s3, v11, vcc_lo
	v_add_co_u32 v12, vcc_lo, v12, 32
	s_wait_alu 0xfffd
	v_add_co_ci_u32_e64 v13, null, 0, v13, vcc_lo
	s_add_co_i32 s14, s14, 8
	s_wait_alu 0xfffe
	s_cmp_lt_i32 s14, s5
	s_wait_dscnt 0x7
	v_fmac_f32_e32 v27, v46, v29
	v_fmac_f32_e32 v28, v45, v29
	s_wait_dscnt 0x6
	v_fmac_f32_e32 v25, v46, v33
	v_fmac_f32_e32 v26, v45, v33
	ds_load_2addr_b32 v[45:46], v18 offset0:160 offset1:176
	s_wait_dscnt 0x6
	v_fmac_f32_e32 v27, v48, v30
	v_fmac_f32_e32 v28, v47, v30
	v_fmac_f32_e32 v25, v48, v34
	v_fmac_f32_e32 v26, v47, v34
	ds_load_2addr_b32 v[29:30], v18 offset0:192 offset1:208
	s_wait_dscnt 0x6
	v_fmac_f32_e32 v27, v50, v31
	v_fmac_f32_e32 v28, v49, v31
	;; [unrolled: 6-line block ×3, first 2 shown]
	v_fmac_f32_e32 v25, v52, v36
	v_fmac_f32_e32 v26, v51, v36
	s_wait_loadcnt_dscnt 0x0
	v_fmac_f32_e32 v27, v54, v37
	v_fmac_f32_e32 v28, v53, v37
	;; [unrolled: 1-line block ×4, first 2 shown]
	s_barrier_signal -1
	v_fmac_f32_e32 v27, v46, v38
	v_fmac_f32_e32 v28, v45, v38
	v_fmac_f32_e32 v25, v46, v42
	v_fmac_f32_e32 v26, v45, v42
	s_barrier_wait -1
	v_fmac_f32_e32 v27, v30, v39
	v_fmac_f32_e32 v28, v29, v39
	;; [unrolled: 1-line block ×4, first 2 shown]
	global_inv scope:SCOPE_SE
	v_fmac_f32_e32 v27, v34, v40
	v_fmac_f32_e32 v28, v33, v40
	;; [unrolled: 1-line block ×4, first 2 shown]
	s_cbranch_scc0 .LBB315_13
.LBB315_9:                              ;   Parent Loop BB315_6 Depth=1
                                        ; =>  This Inner Loop Header: Depth=2
	s_wait_alu 0xfffe
	v_add_nc_u32_e32 v29, s14, v15
	s_delay_alu instid0(VALU_DEP_1) | instskip(SKIP_2) | instid1(SALU_CYCLE_1)
	v_cmp_gt_i32_e32 vcc_lo, s5, v29
	v_mov_b32_e32 v29, 0
	s_and_b32 s22, s0, vcc_lo
	s_and_saveexec_b32 s15, s22
	s_cbranch_execz .LBB315_11
; %bb.10:                               ;   in Loop: Header=BB315_9 Depth=2
	flat_load_b32 v29, v[10:11]
.LBB315_11:                             ;   in Loop: Header=BB315_9 Depth=2
	s_wait_alu 0xfffe
	s_or_b32 exec_lo, exec_lo, s15
	v_add_nc_u32_e32 v30, s14, v14
	s_wait_loadcnt_dscnt 0x0
	ds_store_b32 v16, v29
	v_cmp_gt_i32_e32 vcc_lo, s5, v30
	v_mov_b32_e32 v30, 0
	s_and_b32 s22, vcc_lo, s1
	s_delay_alu instid0(SALU_CYCLE_1)
	s_and_saveexec_b32 s15, s22
	s_cbranch_execz .LBB315_8
; %bb.12:                               ;   in Loop: Header=BB315_9 Depth=2
	flat_load_b32 v30, v[12:13]
	s_branch .LBB315_8
.LBB315_13:                             ;   in Loop: Header=BB315_6 Depth=1
	s_wait_loadcnt 0x0
	v_add_co_u32 v8, vcc_lo, v8, s8
	s_wait_alu 0xfffd
	v_add_co_ci_u32_e64 v9, null, s9, v9, vcc_lo
	s_delay_alu instid0(VALU_DEP_2) | instskip(SKIP_1) | instid1(VALU_DEP_2)
	v_add_co_u32 v10, vcc_lo, v8, v4
	s_wait_alu 0xfffd
	v_add_co_ci_u32_e64 v11, null, v9, v5, vcc_lo
	s_and_saveexec_b32 s14, s27
	s_cbranch_execz .LBB315_17
; %bb.14:                               ;   in Loop: Header=BB315_6 Depth=1
	v_mul_f32_e32 v12, s6, v28
	s_and_b32 vcc_lo, exec_lo, s26
	s_wait_alu 0xfffe
	s_cbranch_vccz .LBB315_28
; %bb.15:                               ;   in Loop: Header=BB315_6 Depth=1
	v_lshlrev_b64_e32 v[28:29], 2, v[0:1]
	s_delay_alu instid0(VALU_DEP_1) | instskip(SKIP_1) | instid1(VALU_DEP_2)
	v_add_co_u32 v28, vcc_lo, v10, v28
	s_wait_alu 0xfffd
	v_add_co_ci_u32_e64 v29, null, v11, v29, vcc_lo
	flat_load_b32 v13, v[28:29]
	s_wait_loadcnt_dscnt 0x0
	v_fma_f32 v13, s7, v13, v12
	flat_store_b32 v[28:29], v13
	s_cbranch_execnz .LBB315_17
.LBB315_16:                             ;   in Loop: Header=BB315_6 Depth=1
	v_lshlrev_b64_e32 v[28:29], 2, v[0:1]
	s_delay_alu instid0(VALU_DEP_1) | instskip(SKIP_1) | instid1(VALU_DEP_2)
	v_add_co_u32 v28, vcc_lo, v10, v28
	s_wait_alu 0xfffd
	v_add_co_ci_u32_e64 v29, null, v11, v29, vcc_lo
	flat_store_b32 v[28:29], v12
.LBB315_17:                             ;   in Loop: Header=BB315_6 Depth=1
	s_wait_alu 0xfffe
	s_or_b32 exec_lo, exec_lo, s14
	s_and_saveexec_b32 s14, s28
	s_cbranch_execz .LBB315_21
; %bb.18:                               ;   in Loop: Header=BB315_6 Depth=1
	v_mul_f32_e32 v12, s6, v27
	s_and_not1_b32 vcc_lo, exec_lo, s26
	s_wait_alu 0xfffe
	s_cbranch_vccnz .LBB315_29
; %bb.19:                               ;   in Loop: Header=BB315_6 Depth=1
	v_lshlrev_b64_e32 v[27:28], 2, v[2:3]
	s_delay_alu instid0(VALU_DEP_1) | instskip(SKIP_1) | instid1(VALU_DEP_2)
	v_add_co_u32 v27, vcc_lo, v10, v27
	s_wait_alu 0xfffd
	v_add_co_ci_u32_e64 v28, null, v11, v28, vcc_lo
	flat_load_b32 v13, v[27:28]
	s_wait_loadcnt_dscnt 0x0
	v_fma_f32 v13, s7, v13, v12
	flat_store_b32 v[27:28], v13
	s_cbranch_execnz .LBB315_21
.LBB315_20:                             ;   in Loop: Header=BB315_6 Depth=1
	v_lshlrev_b64_e32 v[27:28], 2, v[2:3]
	s_delay_alu instid0(VALU_DEP_1) | instskip(SKIP_1) | instid1(VALU_DEP_2)
	v_add_co_u32 v10, vcc_lo, v10, v27
	s_wait_alu 0xfffd
	v_add_co_ci_u32_e64 v11, null, v11, v28, vcc_lo
	flat_store_b32 v[10:11], v12
.LBB315_21:                             ;   in Loop: Header=BB315_6 Depth=1
	s_wait_alu 0xfffe
	s_or_b32 exec_lo, exec_lo, s14
	v_add_co_u32 v10, vcc_lo, v8, v6
	s_wait_alu 0xfffd
	v_add_co_ci_u32_e64 v11, null, v9, v7, vcc_lo
	s_and_saveexec_b32 s14, s4
	s_cbranch_execz .LBB315_25
; %bb.22:                               ;   in Loop: Header=BB315_6 Depth=1
	v_lshlrev_b64_e32 v[8:9], 2, v[0:1]
	v_mul_f32_e32 v12, s6, v26
	s_and_not1_b32 vcc_lo, exec_lo, s26
	s_wait_alu 0xfffe
	s_cbranch_vccnz .LBB315_30
; %bb.23:                               ;   in Loop: Header=BB315_6 Depth=1
	s_delay_alu instid0(VALU_DEP_2)
	v_add_co_u32 v26, vcc_lo, v10, v8
	s_wait_alu 0xfffd
	v_add_co_ci_u32_e64 v27, null, v11, v9, vcc_lo
	flat_load_b32 v13, v[26:27]
	s_wait_loadcnt_dscnt 0x0
	v_fma_f32 v13, s7, v13, v12
	flat_store_b32 v[26:27], v13
	s_cbranch_execnz .LBB315_25
.LBB315_24:                             ;   in Loop: Header=BB315_6 Depth=1
	v_add_co_u32 v8, vcc_lo, v10, v8
	s_wait_alu 0xfffd
	v_add_co_ci_u32_e64 v9, null, v11, v9, vcc_lo
	flat_store_b32 v[8:9], v12
.LBB315_25:                             ;   in Loop: Header=BB315_6 Depth=1
	s_wait_alu 0xfffe
	s_or_b32 exec_lo, exec_lo, s14
	s_and_saveexec_b32 s14, s24
	s_cbranch_execz .LBB315_5
; %bb.26:                               ;   in Loop: Header=BB315_6 Depth=1
	v_lshlrev_b64_e32 v[8:9], 2, v[2:3]
	v_mul_f32_e32 v12, s6, v25
	s_and_not1_b32 vcc_lo, exec_lo, s26
	s_wait_alu 0xfffe
	s_cbranch_vccnz .LBB315_31
; %bb.27:                               ;   in Loop: Header=BB315_6 Depth=1
	s_delay_alu instid0(VALU_DEP_2)
	v_add_co_u32 v25, vcc_lo, v10, v8
	s_wait_alu 0xfffd
	v_add_co_ci_u32_e64 v26, null, v11, v9, vcc_lo
	flat_load_b32 v13, v[25:26]
	s_wait_loadcnt_dscnt 0x0
	v_fma_f32 v13, s7, v13, v12
	flat_store_b32 v[25:26], v13
	s_cbranch_execnz .LBB315_5
	s_branch .LBB315_32
.LBB315_28:                             ;   in Loop: Header=BB315_6 Depth=1
	s_branch .LBB315_16
.LBB315_29:                             ;   in Loop: Header=BB315_6 Depth=1
	s_branch .LBB315_20
.LBB315_30:                             ;   in Loop: Header=BB315_6 Depth=1
	s_branch .LBB315_24
.LBB315_31:                             ;   in Loop: Header=BB315_6 Depth=1
.LBB315_32:                             ;   in Loop: Header=BB315_6 Depth=1
	s_delay_alu instid0(VALU_DEP_2)
	v_add_co_u32 v8, vcc_lo, v10, v8
	s_wait_alu 0xfffd
	v_add_co_ci_u32_e64 v9, null, v11, v9, vcc_lo
	flat_store_b32 v[8:9], v12
	s_branch .LBB315_5
.LBB315_33:
	s_endpgm
	.section	.rodata,"a",@progbits
	.p2align	6, 0x0
	.amdhsa_kernel _ZL29rocblas_internal_gemmt_kernelIiLi16ELi32ELi8ELc78ELc78ELc76ELb0ELb0EffPKPKfPKPfEviT_T9_T10_S7_lS9_S7_lS8_T11_S7_li
		.amdhsa_group_segment_fixed_size 2048
		.amdhsa_private_segment_fixed_size 0
		.amdhsa_kernarg_size 100
		.amdhsa_user_sgpr_count 2
		.amdhsa_user_sgpr_dispatch_ptr 0
		.amdhsa_user_sgpr_queue_ptr 0
		.amdhsa_user_sgpr_kernarg_segment_ptr 1
		.amdhsa_user_sgpr_dispatch_id 0
		.amdhsa_user_sgpr_private_segment_size 0
		.amdhsa_wavefront_size32 1
		.amdhsa_uses_dynamic_stack 0
		.amdhsa_enable_private_segment 0
		.amdhsa_system_sgpr_workgroup_id_x 1
		.amdhsa_system_sgpr_workgroup_id_y 1
		.amdhsa_system_sgpr_workgroup_id_z 1
		.amdhsa_system_sgpr_workgroup_info 0
		.amdhsa_system_vgpr_workitem_id 1
		.amdhsa_next_free_vgpr 55
		.amdhsa_next_free_sgpr 34
		.amdhsa_reserve_vcc 1
		.amdhsa_float_round_mode_32 0
		.amdhsa_float_round_mode_16_64 0
		.amdhsa_float_denorm_mode_32 3
		.amdhsa_float_denorm_mode_16_64 3
		.amdhsa_fp16_overflow 0
		.amdhsa_workgroup_processor_mode 1
		.amdhsa_memory_ordered 1
		.amdhsa_forward_progress 1
		.amdhsa_inst_pref_size 15
		.amdhsa_round_robin_scheduling 0
		.amdhsa_exception_fp_ieee_invalid_op 0
		.amdhsa_exception_fp_denorm_src 0
		.amdhsa_exception_fp_ieee_div_zero 0
		.amdhsa_exception_fp_ieee_overflow 0
		.amdhsa_exception_fp_ieee_underflow 0
		.amdhsa_exception_fp_ieee_inexact 0
		.amdhsa_exception_int_div_zero 0
	.end_amdhsa_kernel
	.section	.text._ZL29rocblas_internal_gemmt_kernelIiLi16ELi32ELi8ELc78ELc78ELc76ELb0ELb0EffPKPKfPKPfEviT_T9_T10_S7_lS9_S7_lS8_T11_S7_li,"axG",@progbits,_ZL29rocblas_internal_gemmt_kernelIiLi16ELi32ELi8ELc78ELc78ELc76ELb0ELb0EffPKPKfPKPfEviT_T9_T10_S7_lS9_S7_lS8_T11_S7_li,comdat
.Lfunc_end315:
	.size	_ZL29rocblas_internal_gemmt_kernelIiLi16ELi32ELi8ELc78ELc78ELc76ELb0ELb0EffPKPKfPKPfEviT_T9_T10_S7_lS9_S7_lS8_T11_S7_li, .Lfunc_end315-_ZL29rocblas_internal_gemmt_kernelIiLi16ELi32ELi8ELc78ELc78ELc76ELb0ELb0EffPKPKfPKPfEviT_T9_T10_S7_lS9_S7_lS8_T11_S7_li
                                        ; -- End function
	.set _ZL29rocblas_internal_gemmt_kernelIiLi16ELi32ELi8ELc78ELc78ELc76ELb0ELb0EffPKPKfPKPfEviT_T9_T10_S7_lS9_S7_lS8_T11_S7_li.num_vgpr, 55
	.set _ZL29rocblas_internal_gemmt_kernelIiLi16ELi32ELi8ELc78ELc78ELc76ELb0ELb0EffPKPKfPKPfEviT_T9_T10_S7_lS9_S7_lS8_T11_S7_li.num_agpr, 0
	.set _ZL29rocblas_internal_gemmt_kernelIiLi16ELi32ELi8ELc78ELc78ELc76ELb0ELb0EffPKPKfPKPfEviT_T9_T10_S7_lS9_S7_lS8_T11_S7_li.numbered_sgpr, 34
	.set _ZL29rocblas_internal_gemmt_kernelIiLi16ELi32ELi8ELc78ELc78ELc76ELb0ELb0EffPKPKfPKPfEviT_T9_T10_S7_lS9_S7_lS8_T11_S7_li.num_named_barrier, 0
	.set _ZL29rocblas_internal_gemmt_kernelIiLi16ELi32ELi8ELc78ELc78ELc76ELb0ELb0EffPKPKfPKPfEviT_T9_T10_S7_lS9_S7_lS8_T11_S7_li.private_seg_size, 0
	.set _ZL29rocblas_internal_gemmt_kernelIiLi16ELi32ELi8ELc78ELc78ELc76ELb0ELb0EffPKPKfPKPfEviT_T9_T10_S7_lS9_S7_lS8_T11_S7_li.uses_vcc, 1
	.set _ZL29rocblas_internal_gemmt_kernelIiLi16ELi32ELi8ELc78ELc78ELc76ELb0ELb0EffPKPKfPKPfEviT_T9_T10_S7_lS9_S7_lS8_T11_S7_li.uses_flat_scratch, 0
	.set _ZL29rocblas_internal_gemmt_kernelIiLi16ELi32ELi8ELc78ELc78ELc76ELb0ELb0EffPKPKfPKPfEviT_T9_T10_S7_lS9_S7_lS8_T11_S7_li.has_dyn_sized_stack, 0
	.set _ZL29rocblas_internal_gemmt_kernelIiLi16ELi32ELi8ELc78ELc78ELc76ELb0ELb0EffPKPKfPKPfEviT_T9_T10_S7_lS9_S7_lS8_T11_S7_li.has_recursion, 0
	.set _ZL29rocblas_internal_gemmt_kernelIiLi16ELi32ELi8ELc78ELc78ELc76ELb0ELb0EffPKPKfPKPfEviT_T9_T10_S7_lS9_S7_lS8_T11_S7_li.has_indirect_call, 0
	.section	.AMDGPU.csdata,"",@progbits
; Kernel info:
; codeLenInByte = 1880
; TotalNumSgprs: 36
; NumVgprs: 55
; ScratchSize: 0
; MemoryBound: 0
; FloatMode: 240
; IeeeMode: 1
; LDSByteSize: 2048 bytes/workgroup (compile time only)
; SGPRBlocks: 0
; VGPRBlocks: 6
; NumSGPRsForWavesPerEU: 36
; NumVGPRsForWavesPerEU: 55
; Occupancy: 16
; WaveLimiterHint : 1
; COMPUTE_PGM_RSRC2:SCRATCH_EN: 0
; COMPUTE_PGM_RSRC2:USER_SGPR: 2
; COMPUTE_PGM_RSRC2:TRAP_HANDLER: 0
; COMPUTE_PGM_RSRC2:TGID_X_EN: 1
; COMPUTE_PGM_RSRC2:TGID_Y_EN: 1
; COMPUTE_PGM_RSRC2:TGID_Z_EN: 1
; COMPUTE_PGM_RSRC2:TIDIG_COMP_CNT: 1
	.section	.text._ZL29rocblas_internal_gemmt_kernelIiLi16ELi32ELi8ELc78ELc84ELc76ELb0ELb0EffPKPKfPKPfEviT_T9_T10_S7_lS9_S7_lS8_T11_S7_li,"axG",@progbits,_ZL29rocblas_internal_gemmt_kernelIiLi16ELi32ELi8ELc78ELc84ELc76ELb0ELb0EffPKPKfPKPfEviT_T9_T10_S7_lS9_S7_lS8_T11_S7_li,comdat
	.globl	_ZL29rocblas_internal_gemmt_kernelIiLi16ELi32ELi8ELc78ELc84ELc76ELb0ELb0EffPKPKfPKPfEviT_T9_T10_S7_lS9_S7_lS8_T11_S7_li ; -- Begin function _ZL29rocblas_internal_gemmt_kernelIiLi16ELi32ELi8ELc78ELc84ELc76ELb0ELb0EffPKPKfPKPfEviT_T9_T10_S7_lS9_S7_lS8_T11_S7_li
	.p2align	8
	.type	_ZL29rocblas_internal_gemmt_kernelIiLi16ELi32ELi8ELc78ELc84ELc76ELb0ELb0EffPKPKfPKPfEviT_T9_T10_S7_lS9_S7_lS8_T11_S7_li,@function
_ZL29rocblas_internal_gemmt_kernelIiLi16ELi32ELi8ELc78ELc84ELc76ELb0ELb0EffPKPKfPKPfEviT_T9_T10_S7_lS9_S7_lS8_T11_S7_li: ; @_ZL29rocblas_internal_gemmt_kernelIiLi16ELi32ELi8ELc78ELc84ELc76ELb0ELb0EffPKPKfPKPfEviT_T9_T10_S7_lS9_S7_lS8_T11_S7_li
; %bb.0:
	s_clause 0x1
	s_load_b32 s7, s[0:1], 0x40
	s_load_b96 s[4:6], s[0:1], 0x0
	s_wait_kmcnt 0x0
	s_cmp_neq_f32 s7, 1.0
	s_cselect_b32 s2, -1, 0
	s_delay_alu instid0(SALU_CYCLE_1)
	s_and_b32 vcc_lo, exec_lo, s2
	s_cbranch_vccnz .LBB316_2
; %bb.1:
	s_cmp_lg_u32 s5, 0
	s_cselect_b32 s2, -1, 0
	s_cmp_neq_f32 s6, 0
	s_cselect_b32 s3, -1, 0
	s_delay_alu instid0(SALU_CYCLE_1)
	s_and_b32 s2, s2, s3
.LBB316_2:
	s_delay_alu instid0(SALU_CYCLE_1)
	s_and_not1_b32 vcc_lo, exec_lo, s2
	s_cbranch_vccnz .LBB316_33
; %bb.3:
	s_load_b32 s28, s[0:1], 0x60
	s_lshr_b32 s20, ttmp7, 16
	s_wait_kmcnt 0x0
	s_cmp_ge_u32 s20, s28
	s_cbranch_scc1 .LBB316_33
; %bb.4:
	s_clause 0x1
	s_load_b96 s[12:14], s[0:1], 0x10
	s_load_b32 s22, s[0:1], 0x30
	v_and_b32_e32 v1, 0x3ff, v0
	v_bfe_u32 v2, v0, 10, 10
	v_and_b32_e32 v14, 7, v0
	s_clause 0x3
	s_load_b128 s[8:11], s[0:1], 0x20
	s_load_b64 s[26:27], s[0:1], 0x38
	s_load_b96 s[16:18], s[0:1], 0x48
	s_load_b64 s[24:25], s[0:1], 0x58
	s_lshl_b32 s2, ttmp9, 5
	s_lshl_b32 s0, ttmp7, 5
	v_lshl_add_u32 v0, v2, 4, v1
	v_lshlrev_b32_e32 v3, 2, v14
	s_and_b32 s3, s0, 0x1fffe0
	v_lshl_add_u32 v19, v2, 5, 0x400
	s_mov_b32 s21, 0
	v_and_b32_e32 v5, 31, v0
	v_lshrrev_b32_e32 v15, 5, v0
	v_lshrrev_b32_e32 v0, 3, v0
	s_delay_alu instid0(VALU_DEP_3)
	v_or_b32_e32 v4, s2, v5
	v_lshlrev_b32_e32 v5, 2, v5
	s_wait_kmcnt 0x0
	s_ashr_i32 s35, s14, 31
	s_ashr_i32 s23, s22, 31
	s_cmp_neq_f32 s6, 0
	v_add_nc_u32_e32 v22, s3, v0
	v_lshl_or_b32 v3, v0, 5, v3
	v_lshl_or_b32 v16, v15, 7, v5
	v_add_nc_u32_e32 v0, s2, v1
	v_add_nc_u32_e32 v5, s3, v2
	s_cselect_b32 s15, -1, 0
	s_cmp_gt_i32 s5, 0
	v_mad_co_i64_i32 v[8:9], null, v15, s14, 0
	s_delay_alu instid0(VALU_DEP_2)
	v_cmp_le_i32_e32 vcc_lo, v5, v0
	v_cmp_gt_i32_e64 s2, s4, v0
	v_add_nc_u32_e32 v2, 16, v0
	s_cselect_b32 s19, -1, 0
	s_cmp_neq_f32 s7, 0
	v_mad_co_i64_i32 v[6:7], null, v5, s18, 0
	s_delay_alu instid0(VALU_DEP_2)
	v_cmp_gt_i32_e64 s3, s4, v2
	s_cselect_b32 s29, -1, 0
	s_and_b32 s30, vcc_lo, s2
	v_cmp_le_i32_e32 vcc_lo, v5, v2
	v_add_nc_u32_e32 v5, 16, v5
	v_cmp_gt_i32_e64 s0, s4, v4
	v_cmp_gt_i32_e64 s1, s4, v22
	v_lshlrev_b64_e32 v[8:9], 2, v[8:9]
	s_and_b32 s31, vcc_lo, s3
	v_cmp_le_i32_e64 s4, v5, v0
	v_cmp_le_i32_e32 vcc_lo, v5, v2
	v_mad_co_i64_i32 v[12:13], null, s22, v14, 0
	v_mad_co_i64_i32 v[10:11], null, v5, s18, 0
	v_ashrrev_i32_e32 v5, 31, v4
	s_and_b32 s4, s4, s2
	s_and_b32 s33, vcc_lo, s3
	s_lshl_b64 s[2:3], s[8:9], 2
	v_add_nc_u32_e32 v17, 0x400, v3
	v_lshlrev_b64_e32 v[4:5], 2, v[4:5]
	s_wait_alu 0xfffe
	v_add_co_u32 v20, vcc_lo, v8, s2
	s_delay_alu instid0(VALU_DEP_1) | instskip(SKIP_1) | instid1(VALU_DEP_3)
	v_add_co_ci_u32_e64 v21, null, s3, v9, vcc_lo
	v_lshlrev_b64_e32 v[8:9], 2, v[12:13]
	v_add_co_u32 v20, vcc_lo, v20, v4
	s_lshl_b64 s[2:3], s[26:27], 2
	s_wait_alu 0xfffd
	v_add_co_ci_u32_e64 v21, null, v21, v5, vcc_lo
	v_lshlrev_b32_e32 v4, 2, v22
	s_wait_alu 0xfffe
	v_add_co_u32 v5, vcc_lo, v8, s2
	s_wait_alu 0xfffd
	v_add_co_ci_u32_e64 v8, null, s3, v9, vcc_lo
	v_ashrrev_i32_e32 v3, 31, v2
	s_delay_alu instid0(VALU_DEP_3)
	v_add_co_u32 v23, vcc_lo, v5, v4
	v_lshlrev_b64_e32 v[4:5], 2, v[6:7]
	v_lshlrev_b64_e32 v[6:7], 2, v[10:11]
	v_mov_b32_e32 v22, 0
	v_lshlrev_b32_e32 v18, 2, v1
	v_ashrrev_i32_e32 v1, 31, v0
	s_wait_alu 0xfffd
	v_add_co_ci_u32_e64 v24, null, 0, v8, vcc_lo
	s_mov_b32 s34, s14
	s_and_b32 s26, s15, s19
	s_lshl_b64 s[2:3], s[34:35], 5
	s_lshl_b64 s[8:9], s[22:23], 5
	;; [unrolled: 1-line block ×3, first 2 shown]
	s_branch .LBB316_6
.LBB316_5:                              ;   in Loop: Header=BB316_6 Depth=1
	s_wait_alu 0xfffe
	s_or_b32 exec_lo, exec_lo, s18
	s_add_co_i32 s20, s20, 0x10000
	s_delay_alu instid0(SALU_CYCLE_1)
	s_cmp_lt_u32 s20, s28
	s_cbranch_scc0 .LBB316_33
.LBB316_6:                              ; =>This Loop Header: Depth=1
                                        ;     Child Loop BB316_9 Depth 2
	s_lshl_b64 s[18:19], s[20:21], 3
	v_dual_mov_b32 v28, 0 :: v_dual_mov_b32 v27, 0
	s_wait_alu 0xfffe
	s_add_nc_u64 s[22:23], s[16:17], s[18:19]
	v_dual_mov_b32 v26, 0 :: v_dual_mov_b32 v25, 0
	global_load_b64 v[8:9], v22, s[22:23]
	s_and_not1_b32 vcc_lo, exec_lo, s26
	s_wait_alu 0xfffe
	s_cbranch_vccnz .LBB316_13
; %bb.7:                                ;   in Loop: Header=BB316_6 Depth=1
	s_add_nc_u64 s[22:23], s[12:13], s[18:19]
	s_add_nc_u64 s[18:19], s[10:11], s[18:19]
	s_clause 0x1
	global_load_b64 v[10:11], v22, s[22:23]
	global_load_b64 v[12:13], v22, s[18:19]
	v_dual_mov_b32 v25, 0 :: v_dual_mov_b32 v26, 0
	v_dual_mov_b32 v27, 0 :: v_dual_mov_b32 v28, 0
	s_mov_b32 s18, 0
	s_wait_loadcnt 0x1
	v_add_co_u32 v10, vcc_lo, v10, v20
	s_wait_alu 0xfffd
	v_add_co_ci_u32_e64 v11, null, v11, v21, vcc_lo
	s_wait_loadcnt 0x0
	v_add_co_u32 v12, vcc_lo, v12, v23
	s_wait_alu 0xfffd
	v_add_co_ci_u32_e64 v13, null, v13, v24, vcc_lo
	s_branch .LBB316_9
.LBB316_8:                              ;   in Loop: Header=BB316_9 Depth=2
	s_wait_alu 0xfffe
	s_or_b32 exec_lo, exec_lo, s19
	s_wait_loadcnt_dscnt 0x0
	ds_store_b32 v17, v30
	s_wait_dscnt 0x0
	s_barrier_signal -1
	s_barrier_wait -1
	global_inv scope:SCOPE_SE
	ds_load_b128 v[29:32], v19
	ds_load_2addr_b32 v[45:46], v18 offset1:16
	ds_load_b128 v[33:36], v19 offset:512
	ds_load_2addr_b32 v[47:48], v18 offset0:32 offset1:48
	ds_load_2addr_b32 v[49:50], v18 offset0:64 offset1:80
	;; [unrolled: 1-line block ×3, first 2 shown]
	ds_load_b128 v[37:40], v19 offset:16
	ds_load_2addr_b32 v[53:54], v18 offset0:128 offset1:144
	ds_load_b128 v[41:44], v19 offset:528
	v_add_co_u32 v10, vcc_lo, v10, s2
	s_wait_alu 0xfffd
	v_add_co_ci_u32_e64 v11, null, s3, v11, vcc_lo
	v_add_co_u32 v12, vcc_lo, v12, s8
	s_wait_alu 0xfffd
	v_add_co_ci_u32_e64 v13, null, s9, v13, vcc_lo
	s_add_co_i32 s18, s18, 8
	s_wait_alu 0xfffe
	s_cmp_lt_i32 s18, s5
	s_wait_dscnt 0x7
	v_fmac_f32_e32 v27, v46, v29
	v_fmac_f32_e32 v28, v45, v29
	s_wait_dscnt 0x6
	v_fmac_f32_e32 v25, v46, v33
	v_fmac_f32_e32 v26, v45, v33
	ds_load_2addr_b32 v[45:46], v18 offset0:160 offset1:176
	s_wait_dscnt 0x6
	v_fmac_f32_e32 v27, v48, v30
	v_fmac_f32_e32 v28, v47, v30
	v_fmac_f32_e32 v25, v48, v34
	v_fmac_f32_e32 v26, v47, v34
	ds_load_2addr_b32 v[29:30], v18 offset0:192 offset1:208
	s_wait_dscnt 0x6
	v_fmac_f32_e32 v27, v50, v31
	v_fmac_f32_e32 v28, v49, v31
	;; [unrolled: 6-line block ×3, first 2 shown]
	v_fmac_f32_e32 v25, v52, v36
	v_fmac_f32_e32 v26, v51, v36
	s_wait_loadcnt_dscnt 0x0
	v_fmac_f32_e32 v27, v54, v37
	v_fmac_f32_e32 v28, v53, v37
	;; [unrolled: 1-line block ×4, first 2 shown]
	s_barrier_signal -1
	v_fmac_f32_e32 v27, v46, v38
	v_fmac_f32_e32 v28, v45, v38
	;; [unrolled: 1-line block ×4, first 2 shown]
	s_barrier_wait -1
	v_fmac_f32_e32 v27, v30, v39
	v_fmac_f32_e32 v28, v29, v39
	;; [unrolled: 1-line block ×4, first 2 shown]
	global_inv scope:SCOPE_SE
	v_fmac_f32_e32 v27, v34, v40
	v_fmac_f32_e32 v28, v33, v40
	;; [unrolled: 1-line block ×4, first 2 shown]
	s_cbranch_scc0 .LBB316_13
.LBB316_9:                              ;   Parent Loop BB316_6 Depth=1
                                        ; =>  This Inner Loop Header: Depth=2
	s_wait_alu 0xfffe
	v_add_nc_u32_e32 v29, s18, v15
	s_delay_alu instid0(VALU_DEP_1)
	v_cmp_gt_i32_e32 vcc_lo, s5, v29
	v_mov_b32_e32 v29, 0
	s_and_b32 s22, s0, vcc_lo
	s_wait_alu 0xfffe
	s_and_saveexec_b32 s19, s22
	s_cbranch_execz .LBB316_11
; %bb.10:                               ;   in Loop: Header=BB316_9 Depth=2
	flat_load_b32 v29, v[10:11]
.LBB316_11:                             ;   in Loop: Header=BB316_9 Depth=2
	s_wait_alu 0xfffe
	s_or_b32 exec_lo, exec_lo, s19
	v_add_nc_u32_e32 v30, s18, v14
	s_wait_loadcnt_dscnt 0x0
	ds_store_b32 v16, v29
	v_cmp_gt_i32_e32 vcc_lo, s5, v30
	v_mov_b32_e32 v30, 0
	s_and_b32 s22, vcc_lo, s1
	s_wait_alu 0xfffe
	s_and_saveexec_b32 s19, s22
	s_cbranch_execz .LBB316_8
; %bb.12:                               ;   in Loop: Header=BB316_9 Depth=2
	flat_load_b32 v30, v[12:13]
	s_branch .LBB316_8
.LBB316_13:                             ;   in Loop: Header=BB316_6 Depth=1
	s_wait_loadcnt 0x0
	v_add_co_u32 v8, vcc_lo, v8, s14
	s_wait_alu 0xfffd
	v_add_co_ci_u32_e64 v9, null, s15, v9, vcc_lo
	s_delay_alu instid0(VALU_DEP_2) | instskip(SKIP_1) | instid1(VALU_DEP_2)
	v_add_co_u32 v10, vcc_lo, v8, v4
	s_wait_alu 0xfffd
	v_add_co_ci_u32_e64 v11, null, v9, v5, vcc_lo
	s_and_saveexec_b32 s18, s30
	s_cbranch_execz .LBB316_17
; %bb.14:                               ;   in Loop: Header=BB316_6 Depth=1
	v_mul_f32_e32 v12, s6, v28
	s_and_b32 vcc_lo, exec_lo, s29
	s_wait_alu 0xfffe
	s_cbranch_vccz .LBB316_28
; %bb.15:                               ;   in Loop: Header=BB316_6 Depth=1
	v_lshlrev_b64_e32 v[28:29], 2, v[0:1]
	s_delay_alu instid0(VALU_DEP_1) | instskip(SKIP_1) | instid1(VALU_DEP_2)
	v_add_co_u32 v28, vcc_lo, v10, v28
	s_wait_alu 0xfffd
	v_add_co_ci_u32_e64 v29, null, v11, v29, vcc_lo
	flat_load_b32 v13, v[28:29]
	s_wait_loadcnt_dscnt 0x0
	v_fma_f32 v13, s7, v13, v12
	flat_store_b32 v[28:29], v13
	s_cbranch_execnz .LBB316_17
.LBB316_16:                             ;   in Loop: Header=BB316_6 Depth=1
	v_lshlrev_b64_e32 v[28:29], 2, v[0:1]
	s_delay_alu instid0(VALU_DEP_1) | instskip(SKIP_1) | instid1(VALU_DEP_2)
	v_add_co_u32 v28, vcc_lo, v10, v28
	s_wait_alu 0xfffd
	v_add_co_ci_u32_e64 v29, null, v11, v29, vcc_lo
	flat_store_b32 v[28:29], v12
.LBB316_17:                             ;   in Loop: Header=BB316_6 Depth=1
	s_wait_alu 0xfffe
	s_or_b32 exec_lo, exec_lo, s18
	s_and_saveexec_b32 s18, s31
	s_cbranch_execz .LBB316_21
; %bb.18:                               ;   in Loop: Header=BB316_6 Depth=1
	v_mul_f32_e32 v12, s6, v27
	s_and_not1_b32 vcc_lo, exec_lo, s29
	s_wait_alu 0xfffe
	s_cbranch_vccnz .LBB316_29
; %bb.19:                               ;   in Loop: Header=BB316_6 Depth=1
	v_lshlrev_b64_e32 v[27:28], 2, v[2:3]
	s_delay_alu instid0(VALU_DEP_1) | instskip(SKIP_1) | instid1(VALU_DEP_2)
	v_add_co_u32 v27, vcc_lo, v10, v27
	s_wait_alu 0xfffd
	v_add_co_ci_u32_e64 v28, null, v11, v28, vcc_lo
	flat_load_b32 v13, v[27:28]
	s_wait_loadcnt_dscnt 0x0
	v_fma_f32 v13, s7, v13, v12
	flat_store_b32 v[27:28], v13
	s_cbranch_execnz .LBB316_21
.LBB316_20:                             ;   in Loop: Header=BB316_6 Depth=1
	v_lshlrev_b64_e32 v[27:28], 2, v[2:3]
	s_delay_alu instid0(VALU_DEP_1) | instskip(SKIP_1) | instid1(VALU_DEP_2)
	v_add_co_u32 v10, vcc_lo, v10, v27
	s_wait_alu 0xfffd
	v_add_co_ci_u32_e64 v11, null, v11, v28, vcc_lo
	flat_store_b32 v[10:11], v12
.LBB316_21:                             ;   in Loop: Header=BB316_6 Depth=1
	s_wait_alu 0xfffe
	s_or_b32 exec_lo, exec_lo, s18
	v_add_co_u32 v10, vcc_lo, v8, v6
	s_wait_alu 0xfffd
	v_add_co_ci_u32_e64 v11, null, v9, v7, vcc_lo
	s_and_saveexec_b32 s18, s4
	s_cbranch_execz .LBB316_25
; %bb.22:                               ;   in Loop: Header=BB316_6 Depth=1
	v_lshlrev_b64_e32 v[8:9], 2, v[0:1]
	v_mul_f32_e32 v12, s6, v26
	s_and_not1_b32 vcc_lo, exec_lo, s29
	s_wait_alu 0xfffe
	s_cbranch_vccnz .LBB316_30
; %bb.23:                               ;   in Loop: Header=BB316_6 Depth=1
	s_delay_alu instid0(VALU_DEP_2)
	v_add_co_u32 v26, vcc_lo, v10, v8
	s_wait_alu 0xfffd
	v_add_co_ci_u32_e64 v27, null, v11, v9, vcc_lo
	flat_load_b32 v13, v[26:27]
	s_wait_loadcnt_dscnt 0x0
	v_fma_f32 v13, s7, v13, v12
	flat_store_b32 v[26:27], v13
	s_cbranch_execnz .LBB316_25
.LBB316_24:                             ;   in Loop: Header=BB316_6 Depth=1
	v_add_co_u32 v8, vcc_lo, v10, v8
	s_wait_alu 0xfffd
	v_add_co_ci_u32_e64 v9, null, v11, v9, vcc_lo
	flat_store_b32 v[8:9], v12
.LBB316_25:                             ;   in Loop: Header=BB316_6 Depth=1
	s_wait_alu 0xfffe
	s_or_b32 exec_lo, exec_lo, s18
	s_and_saveexec_b32 s18, s33
	s_cbranch_execz .LBB316_5
; %bb.26:                               ;   in Loop: Header=BB316_6 Depth=1
	v_lshlrev_b64_e32 v[8:9], 2, v[2:3]
	v_mul_f32_e32 v12, s6, v25
	s_and_not1_b32 vcc_lo, exec_lo, s29
	s_wait_alu 0xfffe
	s_cbranch_vccnz .LBB316_31
; %bb.27:                               ;   in Loop: Header=BB316_6 Depth=1
	s_delay_alu instid0(VALU_DEP_2)
	v_add_co_u32 v25, vcc_lo, v10, v8
	s_wait_alu 0xfffd
	v_add_co_ci_u32_e64 v26, null, v11, v9, vcc_lo
	flat_load_b32 v13, v[25:26]
	s_wait_loadcnt_dscnt 0x0
	v_fma_f32 v13, s7, v13, v12
	flat_store_b32 v[25:26], v13
	s_cbranch_execnz .LBB316_5
	s_branch .LBB316_32
.LBB316_28:                             ;   in Loop: Header=BB316_6 Depth=1
	s_branch .LBB316_16
.LBB316_29:                             ;   in Loop: Header=BB316_6 Depth=1
	s_branch .LBB316_20
.LBB316_30:                             ;   in Loop: Header=BB316_6 Depth=1
	s_branch .LBB316_24
.LBB316_31:                             ;   in Loop: Header=BB316_6 Depth=1
.LBB316_32:                             ;   in Loop: Header=BB316_6 Depth=1
	s_delay_alu instid0(VALU_DEP_2)
	v_add_co_u32 v8, vcc_lo, v10, v8
	s_wait_alu 0xfffd
	v_add_co_ci_u32_e64 v9, null, v11, v9, vcc_lo
	flat_store_b32 v[8:9], v12
	s_branch .LBB316_5
.LBB316_33:
	s_endpgm
	.section	.rodata,"a",@progbits
	.p2align	6, 0x0
	.amdhsa_kernel _ZL29rocblas_internal_gemmt_kernelIiLi16ELi32ELi8ELc78ELc84ELc76ELb0ELb0EffPKPKfPKPfEviT_T9_T10_S7_lS9_S7_lS8_T11_S7_li
		.amdhsa_group_segment_fixed_size 2048
		.amdhsa_private_segment_fixed_size 0
		.amdhsa_kernarg_size 100
		.amdhsa_user_sgpr_count 2
		.amdhsa_user_sgpr_dispatch_ptr 0
		.amdhsa_user_sgpr_queue_ptr 0
		.amdhsa_user_sgpr_kernarg_segment_ptr 1
		.amdhsa_user_sgpr_dispatch_id 0
		.amdhsa_user_sgpr_private_segment_size 0
		.amdhsa_wavefront_size32 1
		.amdhsa_uses_dynamic_stack 0
		.amdhsa_enable_private_segment 0
		.amdhsa_system_sgpr_workgroup_id_x 1
		.amdhsa_system_sgpr_workgroup_id_y 1
		.amdhsa_system_sgpr_workgroup_id_z 1
		.amdhsa_system_sgpr_workgroup_info 0
		.amdhsa_system_vgpr_workitem_id 1
		.amdhsa_next_free_vgpr 55
		.amdhsa_next_free_sgpr 36
		.amdhsa_reserve_vcc 1
		.amdhsa_float_round_mode_32 0
		.amdhsa_float_round_mode_16_64 0
		.amdhsa_float_denorm_mode_32 3
		.amdhsa_float_denorm_mode_16_64 3
		.amdhsa_fp16_overflow 0
		.amdhsa_workgroup_processor_mode 1
		.amdhsa_memory_ordered 1
		.amdhsa_forward_progress 1
		.amdhsa_inst_pref_size 15
		.amdhsa_round_robin_scheduling 0
		.amdhsa_exception_fp_ieee_invalid_op 0
		.amdhsa_exception_fp_denorm_src 0
		.amdhsa_exception_fp_ieee_div_zero 0
		.amdhsa_exception_fp_ieee_overflow 0
		.amdhsa_exception_fp_ieee_underflow 0
		.amdhsa_exception_fp_ieee_inexact 0
		.amdhsa_exception_int_div_zero 0
	.end_amdhsa_kernel
	.section	.text._ZL29rocblas_internal_gemmt_kernelIiLi16ELi32ELi8ELc78ELc84ELc76ELb0ELb0EffPKPKfPKPfEviT_T9_T10_S7_lS9_S7_lS8_T11_S7_li,"axG",@progbits,_ZL29rocblas_internal_gemmt_kernelIiLi16ELi32ELi8ELc78ELc84ELc76ELb0ELb0EffPKPKfPKPfEviT_T9_T10_S7_lS9_S7_lS8_T11_S7_li,comdat
.Lfunc_end316:
	.size	_ZL29rocblas_internal_gemmt_kernelIiLi16ELi32ELi8ELc78ELc84ELc76ELb0ELb0EffPKPKfPKPfEviT_T9_T10_S7_lS9_S7_lS8_T11_S7_li, .Lfunc_end316-_ZL29rocblas_internal_gemmt_kernelIiLi16ELi32ELi8ELc78ELc84ELc76ELb0ELb0EffPKPKfPKPfEviT_T9_T10_S7_lS9_S7_lS8_T11_S7_li
                                        ; -- End function
	.set _ZL29rocblas_internal_gemmt_kernelIiLi16ELi32ELi8ELc78ELc84ELc76ELb0ELb0EffPKPKfPKPfEviT_T9_T10_S7_lS9_S7_lS8_T11_S7_li.num_vgpr, 55
	.set _ZL29rocblas_internal_gemmt_kernelIiLi16ELi32ELi8ELc78ELc84ELc76ELb0ELb0EffPKPKfPKPfEviT_T9_T10_S7_lS9_S7_lS8_T11_S7_li.num_agpr, 0
	.set _ZL29rocblas_internal_gemmt_kernelIiLi16ELi32ELi8ELc78ELc84ELc76ELb0ELb0EffPKPKfPKPfEviT_T9_T10_S7_lS9_S7_lS8_T11_S7_li.numbered_sgpr, 36
	.set _ZL29rocblas_internal_gemmt_kernelIiLi16ELi32ELi8ELc78ELc84ELc76ELb0ELb0EffPKPKfPKPfEviT_T9_T10_S7_lS9_S7_lS8_T11_S7_li.num_named_barrier, 0
	.set _ZL29rocblas_internal_gemmt_kernelIiLi16ELi32ELi8ELc78ELc84ELc76ELb0ELb0EffPKPKfPKPfEviT_T9_T10_S7_lS9_S7_lS8_T11_S7_li.private_seg_size, 0
	.set _ZL29rocblas_internal_gemmt_kernelIiLi16ELi32ELi8ELc78ELc84ELc76ELb0ELb0EffPKPKfPKPfEviT_T9_T10_S7_lS9_S7_lS8_T11_S7_li.uses_vcc, 1
	.set _ZL29rocblas_internal_gemmt_kernelIiLi16ELi32ELi8ELc78ELc84ELc76ELb0ELb0EffPKPKfPKPfEviT_T9_T10_S7_lS9_S7_lS8_T11_S7_li.uses_flat_scratch, 0
	.set _ZL29rocblas_internal_gemmt_kernelIiLi16ELi32ELi8ELc78ELc84ELc76ELb0ELb0EffPKPKfPKPfEviT_T9_T10_S7_lS9_S7_lS8_T11_S7_li.has_dyn_sized_stack, 0
	.set _ZL29rocblas_internal_gemmt_kernelIiLi16ELi32ELi8ELc78ELc84ELc76ELb0ELb0EffPKPKfPKPfEviT_T9_T10_S7_lS9_S7_lS8_T11_S7_li.has_recursion, 0
	.set _ZL29rocblas_internal_gemmt_kernelIiLi16ELi32ELi8ELc78ELc84ELc76ELb0ELb0EffPKPKfPKPfEviT_T9_T10_S7_lS9_S7_lS8_T11_S7_li.has_indirect_call, 0
	.section	.AMDGPU.csdata,"",@progbits
; Kernel info:
; codeLenInByte = 1904
; TotalNumSgprs: 38
; NumVgprs: 55
; ScratchSize: 0
; MemoryBound: 0
; FloatMode: 240
; IeeeMode: 1
; LDSByteSize: 2048 bytes/workgroup (compile time only)
; SGPRBlocks: 0
; VGPRBlocks: 6
; NumSGPRsForWavesPerEU: 38
; NumVGPRsForWavesPerEU: 55
; Occupancy: 16
; WaveLimiterHint : 1
; COMPUTE_PGM_RSRC2:SCRATCH_EN: 0
; COMPUTE_PGM_RSRC2:USER_SGPR: 2
; COMPUTE_PGM_RSRC2:TRAP_HANDLER: 0
; COMPUTE_PGM_RSRC2:TGID_X_EN: 1
; COMPUTE_PGM_RSRC2:TGID_Y_EN: 1
; COMPUTE_PGM_RSRC2:TGID_Z_EN: 1
; COMPUTE_PGM_RSRC2:TIDIG_COMP_CNT: 1
	.section	.text._ZL29rocblas_internal_gemmt_kernelIiLi16ELi32ELi8ELc78ELc67ELc76ELb0ELb0EffPKPKfPKPfEviT_T9_T10_S7_lS9_S7_lS8_T11_S7_li,"axG",@progbits,_ZL29rocblas_internal_gemmt_kernelIiLi16ELi32ELi8ELc78ELc67ELc76ELb0ELb0EffPKPKfPKPfEviT_T9_T10_S7_lS9_S7_lS8_T11_S7_li,comdat
	.globl	_ZL29rocblas_internal_gemmt_kernelIiLi16ELi32ELi8ELc78ELc67ELc76ELb0ELb0EffPKPKfPKPfEviT_T9_T10_S7_lS9_S7_lS8_T11_S7_li ; -- Begin function _ZL29rocblas_internal_gemmt_kernelIiLi16ELi32ELi8ELc78ELc67ELc76ELb0ELb0EffPKPKfPKPfEviT_T9_T10_S7_lS9_S7_lS8_T11_S7_li
	.p2align	8
	.type	_ZL29rocblas_internal_gemmt_kernelIiLi16ELi32ELi8ELc78ELc67ELc76ELb0ELb0EffPKPKfPKPfEviT_T9_T10_S7_lS9_S7_lS8_T11_S7_li,@function
_ZL29rocblas_internal_gemmt_kernelIiLi16ELi32ELi8ELc78ELc67ELc76ELb0ELb0EffPKPKfPKPfEviT_T9_T10_S7_lS9_S7_lS8_T11_S7_li: ; @_ZL29rocblas_internal_gemmt_kernelIiLi16ELi32ELi8ELc78ELc67ELc76ELb0ELb0EffPKPKfPKPfEviT_T9_T10_S7_lS9_S7_lS8_T11_S7_li
; %bb.0:
	s_clause 0x1
	s_load_b32 s7, s[0:1], 0x40
	s_load_b96 s[4:6], s[0:1], 0x0
	s_wait_kmcnt 0x0
	s_cmp_neq_f32 s7, 1.0
	s_cselect_b32 s2, -1, 0
	s_delay_alu instid0(SALU_CYCLE_1)
	s_and_b32 vcc_lo, exec_lo, s2
	s_cbranch_vccnz .LBB317_2
; %bb.1:
	s_cmp_lg_u32 s5, 0
	s_cselect_b32 s2, -1, 0
	s_cmp_neq_f32 s6, 0
	s_cselect_b32 s3, -1, 0
	s_delay_alu instid0(SALU_CYCLE_1)
	s_and_b32 s2, s2, s3
.LBB317_2:
	s_delay_alu instid0(SALU_CYCLE_1)
	s_and_not1_b32 vcc_lo, exec_lo, s2
	s_cbranch_vccnz .LBB317_33
; %bb.3:
	s_load_b32 s28, s[0:1], 0x60
	s_lshr_b32 s20, ttmp7, 16
	s_wait_kmcnt 0x0
	s_cmp_ge_u32 s20, s28
	s_cbranch_scc1 .LBB317_33
; %bb.4:
	s_clause 0x1
	s_load_b96 s[12:14], s[0:1], 0x10
	s_load_b32 s22, s[0:1], 0x30
	v_and_b32_e32 v1, 0x3ff, v0
	v_bfe_u32 v2, v0, 10, 10
	v_and_b32_e32 v14, 7, v0
	s_clause 0x3
	s_load_b128 s[8:11], s[0:1], 0x20
	s_load_b64 s[26:27], s[0:1], 0x38
	s_load_b96 s[16:18], s[0:1], 0x48
	s_load_b64 s[24:25], s[0:1], 0x58
	s_lshl_b32 s2, ttmp9, 5
	s_lshl_b32 s0, ttmp7, 5
	v_lshl_add_u32 v0, v2, 4, v1
	v_lshlrev_b32_e32 v3, 2, v14
	s_and_b32 s3, s0, 0x1fffe0
	v_lshl_add_u32 v19, v2, 5, 0x400
	s_mov_b32 s21, 0
	v_and_b32_e32 v5, 31, v0
	v_lshrrev_b32_e32 v15, 5, v0
	v_lshrrev_b32_e32 v0, 3, v0
	s_delay_alu instid0(VALU_DEP_3)
	v_or_b32_e32 v4, s2, v5
	v_lshlrev_b32_e32 v5, 2, v5
	s_wait_kmcnt 0x0
	s_ashr_i32 s35, s14, 31
	s_ashr_i32 s23, s22, 31
	s_cmp_neq_f32 s6, 0
	v_add_nc_u32_e32 v22, s3, v0
	v_lshl_or_b32 v3, v0, 5, v3
	v_lshl_or_b32 v16, v15, 7, v5
	v_add_nc_u32_e32 v0, s2, v1
	v_add_nc_u32_e32 v5, s3, v2
	s_cselect_b32 s15, -1, 0
	s_cmp_gt_i32 s5, 0
	v_mad_co_i64_i32 v[8:9], null, v15, s14, 0
	s_delay_alu instid0(VALU_DEP_2)
	v_cmp_le_i32_e32 vcc_lo, v5, v0
	v_cmp_gt_i32_e64 s2, s4, v0
	v_add_nc_u32_e32 v2, 16, v0
	s_cselect_b32 s19, -1, 0
	s_cmp_neq_f32 s7, 0
	v_mad_co_i64_i32 v[6:7], null, v5, s18, 0
	s_delay_alu instid0(VALU_DEP_2)
	v_cmp_gt_i32_e64 s3, s4, v2
	s_cselect_b32 s29, -1, 0
	s_and_b32 s30, vcc_lo, s2
	v_cmp_le_i32_e32 vcc_lo, v5, v2
	v_add_nc_u32_e32 v5, 16, v5
	v_cmp_gt_i32_e64 s0, s4, v4
	v_cmp_gt_i32_e64 s1, s4, v22
	v_lshlrev_b64_e32 v[8:9], 2, v[8:9]
	s_and_b32 s31, vcc_lo, s3
	v_cmp_le_i32_e64 s4, v5, v0
	v_cmp_le_i32_e32 vcc_lo, v5, v2
	v_mad_co_i64_i32 v[12:13], null, s22, v14, 0
	v_mad_co_i64_i32 v[10:11], null, v5, s18, 0
	v_ashrrev_i32_e32 v5, 31, v4
	s_and_b32 s4, s4, s2
	s_and_b32 s33, vcc_lo, s3
	s_lshl_b64 s[2:3], s[8:9], 2
	v_add_nc_u32_e32 v17, 0x400, v3
	v_lshlrev_b64_e32 v[4:5], 2, v[4:5]
	s_wait_alu 0xfffe
	v_add_co_u32 v20, vcc_lo, v8, s2
	s_delay_alu instid0(VALU_DEP_1) | instskip(SKIP_1) | instid1(VALU_DEP_3)
	v_add_co_ci_u32_e64 v21, null, s3, v9, vcc_lo
	v_lshlrev_b64_e32 v[8:9], 2, v[12:13]
	v_add_co_u32 v20, vcc_lo, v20, v4
	s_lshl_b64 s[2:3], s[26:27], 2
	s_wait_alu 0xfffd
	v_add_co_ci_u32_e64 v21, null, v21, v5, vcc_lo
	v_lshlrev_b32_e32 v4, 2, v22
	s_wait_alu 0xfffe
	v_add_co_u32 v5, vcc_lo, v8, s2
	s_wait_alu 0xfffd
	v_add_co_ci_u32_e64 v8, null, s3, v9, vcc_lo
	v_ashrrev_i32_e32 v3, 31, v2
	s_delay_alu instid0(VALU_DEP_3)
	v_add_co_u32 v23, vcc_lo, v5, v4
	v_lshlrev_b64_e32 v[4:5], 2, v[6:7]
	v_lshlrev_b64_e32 v[6:7], 2, v[10:11]
	v_mov_b32_e32 v22, 0
	v_lshlrev_b32_e32 v18, 2, v1
	v_ashrrev_i32_e32 v1, 31, v0
	s_wait_alu 0xfffd
	v_add_co_ci_u32_e64 v24, null, 0, v8, vcc_lo
	s_mov_b32 s34, s14
	s_and_b32 s26, s15, s19
	s_lshl_b64 s[2:3], s[34:35], 5
	s_lshl_b64 s[8:9], s[22:23], 5
	s_lshl_b64 s[14:15], s[24:25], 2
	s_branch .LBB317_6
.LBB317_5:                              ;   in Loop: Header=BB317_6 Depth=1
	s_wait_alu 0xfffe
	s_or_b32 exec_lo, exec_lo, s18
	s_add_co_i32 s20, s20, 0x10000
	s_delay_alu instid0(SALU_CYCLE_1)
	s_cmp_lt_u32 s20, s28
	s_cbranch_scc0 .LBB317_33
.LBB317_6:                              ; =>This Loop Header: Depth=1
                                        ;     Child Loop BB317_9 Depth 2
	s_lshl_b64 s[18:19], s[20:21], 3
	v_dual_mov_b32 v28, 0 :: v_dual_mov_b32 v27, 0
	s_wait_alu 0xfffe
	s_add_nc_u64 s[22:23], s[16:17], s[18:19]
	v_dual_mov_b32 v26, 0 :: v_dual_mov_b32 v25, 0
	global_load_b64 v[8:9], v22, s[22:23]
	s_and_not1_b32 vcc_lo, exec_lo, s26
	s_wait_alu 0xfffe
	s_cbranch_vccnz .LBB317_13
; %bb.7:                                ;   in Loop: Header=BB317_6 Depth=1
	s_add_nc_u64 s[22:23], s[12:13], s[18:19]
	s_add_nc_u64 s[18:19], s[10:11], s[18:19]
	s_clause 0x1
	global_load_b64 v[10:11], v22, s[22:23]
	global_load_b64 v[12:13], v22, s[18:19]
	v_dual_mov_b32 v25, 0 :: v_dual_mov_b32 v26, 0
	v_dual_mov_b32 v27, 0 :: v_dual_mov_b32 v28, 0
	s_mov_b32 s18, 0
	s_wait_loadcnt 0x1
	v_add_co_u32 v10, vcc_lo, v10, v20
	s_wait_alu 0xfffd
	v_add_co_ci_u32_e64 v11, null, v11, v21, vcc_lo
	s_wait_loadcnt 0x0
	v_add_co_u32 v12, vcc_lo, v12, v23
	s_wait_alu 0xfffd
	v_add_co_ci_u32_e64 v13, null, v13, v24, vcc_lo
	s_branch .LBB317_9
.LBB317_8:                              ;   in Loop: Header=BB317_9 Depth=2
	s_wait_alu 0xfffe
	s_or_b32 exec_lo, exec_lo, s19
	s_wait_loadcnt_dscnt 0x0
	ds_store_b32 v17, v30
	s_wait_dscnt 0x0
	s_barrier_signal -1
	s_barrier_wait -1
	global_inv scope:SCOPE_SE
	ds_load_b128 v[29:32], v19
	ds_load_2addr_b32 v[45:46], v18 offset1:16
	ds_load_b128 v[33:36], v19 offset:512
	ds_load_2addr_b32 v[47:48], v18 offset0:32 offset1:48
	ds_load_2addr_b32 v[49:50], v18 offset0:64 offset1:80
	;; [unrolled: 1-line block ×3, first 2 shown]
	ds_load_b128 v[37:40], v19 offset:16
	ds_load_2addr_b32 v[53:54], v18 offset0:128 offset1:144
	ds_load_b128 v[41:44], v19 offset:528
	v_add_co_u32 v10, vcc_lo, v10, s2
	s_wait_alu 0xfffd
	v_add_co_ci_u32_e64 v11, null, s3, v11, vcc_lo
	v_add_co_u32 v12, vcc_lo, v12, s8
	s_wait_alu 0xfffd
	v_add_co_ci_u32_e64 v13, null, s9, v13, vcc_lo
	s_add_co_i32 s18, s18, 8
	s_wait_alu 0xfffe
	s_cmp_lt_i32 s18, s5
	s_wait_dscnt 0x7
	v_fmac_f32_e32 v27, v46, v29
	v_fmac_f32_e32 v28, v45, v29
	s_wait_dscnt 0x6
	v_fmac_f32_e32 v25, v46, v33
	v_fmac_f32_e32 v26, v45, v33
	ds_load_2addr_b32 v[45:46], v18 offset0:160 offset1:176
	s_wait_dscnt 0x6
	v_fmac_f32_e32 v27, v48, v30
	v_fmac_f32_e32 v28, v47, v30
	v_fmac_f32_e32 v25, v48, v34
	v_fmac_f32_e32 v26, v47, v34
	ds_load_2addr_b32 v[29:30], v18 offset0:192 offset1:208
	s_wait_dscnt 0x6
	v_fmac_f32_e32 v27, v50, v31
	v_fmac_f32_e32 v28, v49, v31
	;; [unrolled: 6-line block ×3, first 2 shown]
	v_fmac_f32_e32 v25, v52, v36
	v_fmac_f32_e32 v26, v51, v36
	s_wait_loadcnt_dscnt 0x0
	v_fmac_f32_e32 v27, v54, v37
	v_fmac_f32_e32 v28, v53, v37
	;; [unrolled: 1-line block ×4, first 2 shown]
	s_barrier_signal -1
	v_fmac_f32_e32 v27, v46, v38
	v_fmac_f32_e32 v28, v45, v38
	;; [unrolled: 1-line block ×4, first 2 shown]
	s_barrier_wait -1
	v_fmac_f32_e32 v27, v30, v39
	v_fmac_f32_e32 v28, v29, v39
	;; [unrolled: 1-line block ×4, first 2 shown]
	global_inv scope:SCOPE_SE
	v_fmac_f32_e32 v27, v34, v40
	v_fmac_f32_e32 v28, v33, v40
	;; [unrolled: 1-line block ×4, first 2 shown]
	s_cbranch_scc0 .LBB317_13
.LBB317_9:                              ;   Parent Loop BB317_6 Depth=1
                                        ; =>  This Inner Loop Header: Depth=2
	s_wait_alu 0xfffe
	v_add_nc_u32_e32 v29, s18, v15
	s_delay_alu instid0(VALU_DEP_1)
	v_cmp_gt_i32_e32 vcc_lo, s5, v29
	v_mov_b32_e32 v29, 0
	s_and_b32 s22, s0, vcc_lo
	s_wait_alu 0xfffe
	s_and_saveexec_b32 s19, s22
	s_cbranch_execz .LBB317_11
; %bb.10:                               ;   in Loop: Header=BB317_9 Depth=2
	flat_load_b32 v29, v[10:11]
.LBB317_11:                             ;   in Loop: Header=BB317_9 Depth=2
	s_wait_alu 0xfffe
	s_or_b32 exec_lo, exec_lo, s19
	v_add_nc_u32_e32 v30, s18, v14
	s_wait_loadcnt_dscnt 0x0
	ds_store_b32 v16, v29
	v_cmp_gt_i32_e32 vcc_lo, s5, v30
	v_mov_b32_e32 v30, 0
	s_and_b32 s22, vcc_lo, s1
	s_wait_alu 0xfffe
	s_and_saveexec_b32 s19, s22
	s_cbranch_execz .LBB317_8
; %bb.12:                               ;   in Loop: Header=BB317_9 Depth=2
	flat_load_b32 v30, v[12:13]
	s_branch .LBB317_8
.LBB317_13:                             ;   in Loop: Header=BB317_6 Depth=1
	s_wait_loadcnt 0x0
	v_add_co_u32 v8, vcc_lo, v8, s14
	s_wait_alu 0xfffd
	v_add_co_ci_u32_e64 v9, null, s15, v9, vcc_lo
	s_delay_alu instid0(VALU_DEP_2) | instskip(SKIP_1) | instid1(VALU_DEP_2)
	v_add_co_u32 v10, vcc_lo, v8, v4
	s_wait_alu 0xfffd
	v_add_co_ci_u32_e64 v11, null, v9, v5, vcc_lo
	s_and_saveexec_b32 s18, s30
	s_cbranch_execz .LBB317_17
; %bb.14:                               ;   in Loop: Header=BB317_6 Depth=1
	v_mul_f32_e32 v12, s6, v28
	s_and_b32 vcc_lo, exec_lo, s29
	s_wait_alu 0xfffe
	s_cbranch_vccz .LBB317_28
; %bb.15:                               ;   in Loop: Header=BB317_6 Depth=1
	v_lshlrev_b64_e32 v[28:29], 2, v[0:1]
	s_delay_alu instid0(VALU_DEP_1) | instskip(SKIP_1) | instid1(VALU_DEP_2)
	v_add_co_u32 v28, vcc_lo, v10, v28
	s_wait_alu 0xfffd
	v_add_co_ci_u32_e64 v29, null, v11, v29, vcc_lo
	flat_load_b32 v13, v[28:29]
	s_wait_loadcnt_dscnt 0x0
	v_fma_f32 v13, s7, v13, v12
	flat_store_b32 v[28:29], v13
	s_cbranch_execnz .LBB317_17
.LBB317_16:                             ;   in Loop: Header=BB317_6 Depth=1
	v_lshlrev_b64_e32 v[28:29], 2, v[0:1]
	s_delay_alu instid0(VALU_DEP_1) | instskip(SKIP_1) | instid1(VALU_DEP_2)
	v_add_co_u32 v28, vcc_lo, v10, v28
	s_wait_alu 0xfffd
	v_add_co_ci_u32_e64 v29, null, v11, v29, vcc_lo
	flat_store_b32 v[28:29], v12
.LBB317_17:                             ;   in Loop: Header=BB317_6 Depth=1
	s_wait_alu 0xfffe
	s_or_b32 exec_lo, exec_lo, s18
	s_and_saveexec_b32 s18, s31
	s_cbranch_execz .LBB317_21
; %bb.18:                               ;   in Loop: Header=BB317_6 Depth=1
	v_mul_f32_e32 v12, s6, v27
	s_and_not1_b32 vcc_lo, exec_lo, s29
	s_wait_alu 0xfffe
	s_cbranch_vccnz .LBB317_29
; %bb.19:                               ;   in Loop: Header=BB317_6 Depth=1
	v_lshlrev_b64_e32 v[27:28], 2, v[2:3]
	s_delay_alu instid0(VALU_DEP_1) | instskip(SKIP_1) | instid1(VALU_DEP_2)
	v_add_co_u32 v27, vcc_lo, v10, v27
	s_wait_alu 0xfffd
	v_add_co_ci_u32_e64 v28, null, v11, v28, vcc_lo
	flat_load_b32 v13, v[27:28]
	s_wait_loadcnt_dscnt 0x0
	v_fma_f32 v13, s7, v13, v12
	flat_store_b32 v[27:28], v13
	s_cbranch_execnz .LBB317_21
.LBB317_20:                             ;   in Loop: Header=BB317_6 Depth=1
	v_lshlrev_b64_e32 v[27:28], 2, v[2:3]
	s_delay_alu instid0(VALU_DEP_1) | instskip(SKIP_1) | instid1(VALU_DEP_2)
	v_add_co_u32 v10, vcc_lo, v10, v27
	s_wait_alu 0xfffd
	v_add_co_ci_u32_e64 v11, null, v11, v28, vcc_lo
	flat_store_b32 v[10:11], v12
.LBB317_21:                             ;   in Loop: Header=BB317_6 Depth=1
	s_wait_alu 0xfffe
	s_or_b32 exec_lo, exec_lo, s18
	v_add_co_u32 v10, vcc_lo, v8, v6
	s_wait_alu 0xfffd
	v_add_co_ci_u32_e64 v11, null, v9, v7, vcc_lo
	s_and_saveexec_b32 s18, s4
	s_cbranch_execz .LBB317_25
; %bb.22:                               ;   in Loop: Header=BB317_6 Depth=1
	v_lshlrev_b64_e32 v[8:9], 2, v[0:1]
	v_mul_f32_e32 v12, s6, v26
	s_and_not1_b32 vcc_lo, exec_lo, s29
	s_wait_alu 0xfffe
	s_cbranch_vccnz .LBB317_30
; %bb.23:                               ;   in Loop: Header=BB317_6 Depth=1
	s_delay_alu instid0(VALU_DEP_2)
	v_add_co_u32 v26, vcc_lo, v10, v8
	s_wait_alu 0xfffd
	v_add_co_ci_u32_e64 v27, null, v11, v9, vcc_lo
	flat_load_b32 v13, v[26:27]
	s_wait_loadcnt_dscnt 0x0
	v_fma_f32 v13, s7, v13, v12
	flat_store_b32 v[26:27], v13
	s_cbranch_execnz .LBB317_25
.LBB317_24:                             ;   in Loop: Header=BB317_6 Depth=1
	v_add_co_u32 v8, vcc_lo, v10, v8
	s_wait_alu 0xfffd
	v_add_co_ci_u32_e64 v9, null, v11, v9, vcc_lo
	flat_store_b32 v[8:9], v12
.LBB317_25:                             ;   in Loop: Header=BB317_6 Depth=1
	s_wait_alu 0xfffe
	s_or_b32 exec_lo, exec_lo, s18
	s_and_saveexec_b32 s18, s33
	s_cbranch_execz .LBB317_5
; %bb.26:                               ;   in Loop: Header=BB317_6 Depth=1
	v_lshlrev_b64_e32 v[8:9], 2, v[2:3]
	v_mul_f32_e32 v12, s6, v25
	s_and_not1_b32 vcc_lo, exec_lo, s29
	s_wait_alu 0xfffe
	s_cbranch_vccnz .LBB317_31
; %bb.27:                               ;   in Loop: Header=BB317_6 Depth=1
	s_delay_alu instid0(VALU_DEP_2)
	v_add_co_u32 v25, vcc_lo, v10, v8
	s_wait_alu 0xfffd
	v_add_co_ci_u32_e64 v26, null, v11, v9, vcc_lo
	flat_load_b32 v13, v[25:26]
	s_wait_loadcnt_dscnt 0x0
	v_fma_f32 v13, s7, v13, v12
	flat_store_b32 v[25:26], v13
	s_cbranch_execnz .LBB317_5
	s_branch .LBB317_32
.LBB317_28:                             ;   in Loop: Header=BB317_6 Depth=1
	s_branch .LBB317_16
.LBB317_29:                             ;   in Loop: Header=BB317_6 Depth=1
	s_branch .LBB317_20
.LBB317_30:                             ;   in Loop: Header=BB317_6 Depth=1
	s_branch .LBB317_24
.LBB317_31:                             ;   in Loop: Header=BB317_6 Depth=1
.LBB317_32:                             ;   in Loop: Header=BB317_6 Depth=1
	s_delay_alu instid0(VALU_DEP_2)
	v_add_co_u32 v8, vcc_lo, v10, v8
	s_wait_alu 0xfffd
	v_add_co_ci_u32_e64 v9, null, v11, v9, vcc_lo
	flat_store_b32 v[8:9], v12
	s_branch .LBB317_5
.LBB317_33:
	s_endpgm
	.section	.rodata,"a",@progbits
	.p2align	6, 0x0
	.amdhsa_kernel _ZL29rocblas_internal_gemmt_kernelIiLi16ELi32ELi8ELc78ELc67ELc76ELb0ELb0EffPKPKfPKPfEviT_T9_T10_S7_lS9_S7_lS8_T11_S7_li
		.amdhsa_group_segment_fixed_size 2048
		.amdhsa_private_segment_fixed_size 0
		.amdhsa_kernarg_size 100
		.amdhsa_user_sgpr_count 2
		.amdhsa_user_sgpr_dispatch_ptr 0
		.amdhsa_user_sgpr_queue_ptr 0
		.amdhsa_user_sgpr_kernarg_segment_ptr 1
		.amdhsa_user_sgpr_dispatch_id 0
		.amdhsa_user_sgpr_private_segment_size 0
		.amdhsa_wavefront_size32 1
		.amdhsa_uses_dynamic_stack 0
		.amdhsa_enable_private_segment 0
		.amdhsa_system_sgpr_workgroup_id_x 1
		.amdhsa_system_sgpr_workgroup_id_y 1
		.amdhsa_system_sgpr_workgroup_id_z 1
		.amdhsa_system_sgpr_workgroup_info 0
		.amdhsa_system_vgpr_workitem_id 1
		.amdhsa_next_free_vgpr 55
		.amdhsa_next_free_sgpr 36
		.amdhsa_reserve_vcc 1
		.amdhsa_float_round_mode_32 0
		.amdhsa_float_round_mode_16_64 0
		.amdhsa_float_denorm_mode_32 3
		.amdhsa_float_denorm_mode_16_64 3
		.amdhsa_fp16_overflow 0
		.amdhsa_workgroup_processor_mode 1
		.amdhsa_memory_ordered 1
		.amdhsa_forward_progress 1
		.amdhsa_inst_pref_size 15
		.amdhsa_round_robin_scheduling 0
		.amdhsa_exception_fp_ieee_invalid_op 0
		.amdhsa_exception_fp_denorm_src 0
		.amdhsa_exception_fp_ieee_div_zero 0
		.amdhsa_exception_fp_ieee_overflow 0
		.amdhsa_exception_fp_ieee_underflow 0
		.amdhsa_exception_fp_ieee_inexact 0
		.amdhsa_exception_int_div_zero 0
	.end_amdhsa_kernel
	.section	.text._ZL29rocblas_internal_gemmt_kernelIiLi16ELi32ELi8ELc78ELc67ELc76ELb0ELb0EffPKPKfPKPfEviT_T9_T10_S7_lS9_S7_lS8_T11_S7_li,"axG",@progbits,_ZL29rocblas_internal_gemmt_kernelIiLi16ELi32ELi8ELc78ELc67ELc76ELb0ELb0EffPKPKfPKPfEviT_T9_T10_S7_lS9_S7_lS8_T11_S7_li,comdat
.Lfunc_end317:
	.size	_ZL29rocblas_internal_gemmt_kernelIiLi16ELi32ELi8ELc78ELc67ELc76ELb0ELb0EffPKPKfPKPfEviT_T9_T10_S7_lS9_S7_lS8_T11_S7_li, .Lfunc_end317-_ZL29rocblas_internal_gemmt_kernelIiLi16ELi32ELi8ELc78ELc67ELc76ELb0ELb0EffPKPKfPKPfEviT_T9_T10_S7_lS9_S7_lS8_T11_S7_li
                                        ; -- End function
	.set _ZL29rocblas_internal_gemmt_kernelIiLi16ELi32ELi8ELc78ELc67ELc76ELb0ELb0EffPKPKfPKPfEviT_T9_T10_S7_lS9_S7_lS8_T11_S7_li.num_vgpr, 55
	.set _ZL29rocblas_internal_gemmt_kernelIiLi16ELi32ELi8ELc78ELc67ELc76ELb0ELb0EffPKPKfPKPfEviT_T9_T10_S7_lS9_S7_lS8_T11_S7_li.num_agpr, 0
	.set _ZL29rocblas_internal_gemmt_kernelIiLi16ELi32ELi8ELc78ELc67ELc76ELb0ELb0EffPKPKfPKPfEviT_T9_T10_S7_lS9_S7_lS8_T11_S7_li.numbered_sgpr, 36
	.set _ZL29rocblas_internal_gemmt_kernelIiLi16ELi32ELi8ELc78ELc67ELc76ELb0ELb0EffPKPKfPKPfEviT_T9_T10_S7_lS9_S7_lS8_T11_S7_li.num_named_barrier, 0
	.set _ZL29rocblas_internal_gemmt_kernelIiLi16ELi32ELi8ELc78ELc67ELc76ELb0ELb0EffPKPKfPKPfEviT_T9_T10_S7_lS9_S7_lS8_T11_S7_li.private_seg_size, 0
	.set _ZL29rocblas_internal_gemmt_kernelIiLi16ELi32ELi8ELc78ELc67ELc76ELb0ELb0EffPKPKfPKPfEviT_T9_T10_S7_lS9_S7_lS8_T11_S7_li.uses_vcc, 1
	.set _ZL29rocblas_internal_gemmt_kernelIiLi16ELi32ELi8ELc78ELc67ELc76ELb0ELb0EffPKPKfPKPfEviT_T9_T10_S7_lS9_S7_lS8_T11_S7_li.uses_flat_scratch, 0
	.set _ZL29rocblas_internal_gemmt_kernelIiLi16ELi32ELi8ELc78ELc67ELc76ELb0ELb0EffPKPKfPKPfEviT_T9_T10_S7_lS9_S7_lS8_T11_S7_li.has_dyn_sized_stack, 0
	.set _ZL29rocblas_internal_gemmt_kernelIiLi16ELi32ELi8ELc78ELc67ELc76ELb0ELb0EffPKPKfPKPfEviT_T9_T10_S7_lS9_S7_lS8_T11_S7_li.has_recursion, 0
	.set _ZL29rocblas_internal_gemmt_kernelIiLi16ELi32ELi8ELc78ELc67ELc76ELb0ELb0EffPKPKfPKPfEviT_T9_T10_S7_lS9_S7_lS8_T11_S7_li.has_indirect_call, 0
	.section	.AMDGPU.csdata,"",@progbits
; Kernel info:
; codeLenInByte = 1904
; TotalNumSgprs: 38
; NumVgprs: 55
; ScratchSize: 0
; MemoryBound: 0
; FloatMode: 240
; IeeeMode: 1
; LDSByteSize: 2048 bytes/workgroup (compile time only)
; SGPRBlocks: 0
; VGPRBlocks: 6
; NumSGPRsForWavesPerEU: 38
; NumVGPRsForWavesPerEU: 55
; Occupancy: 16
; WaveLimiterHint : 1
; COMPUTE_PGM_RSRC2:SCRATCH_EN: 0
; COMPUTE_PGM_RSRC2:USER_SGPR: 2
; COMPUTE_PGM_RSRC2:TRAP_HANDLER: 0
; COMPUTE_PGM_RSRC2:TGID_X_EN: 1
; COMPUTE_PGM_RSRC2:TGID_Y_EN: 1
; COMPUTE_PGM_RSRC2:TGID_Z_EN: 1
; COMPUTE_PGM_RSRC2:TIDIG_COMP_CNT: 1
	.section	.text._ZL29rocblas_internal_gemmt_kernelIiLi16ELi32ELi8ELc84ELc78ELc76ELb0ELb0EffPKPKfPKPfEviT_T9_T10_S7_lS9_S7_lS8_T11_S7_li,"axG",@progbits,_ZL29rocblas_internal_gemmt_kernelIiLi16ELi32ELi8ELc84ELc78ELc76ELb0ELb0EffPKPKfPKPfEviT_T9_T10_S7_lS9_S7_lS8_T11_S7_li,comdat
	.globl	_ZL29rocblas_internal_gemmt_kernelIiLi16ELi32ELi8ELc84ELc78ELc76ELb0ELb0EffPKPKfPKPfEviT_T9_T10_S7_lS9_S7_lS8_T11_S7_li ; -- Begin function _ZL29rocblas_internal_gemmt_kernelIiLi16ELi32ELi8ELc84ELc78ELc76ELb0ELb0EffPKPKfPKPfEviT_T9_T10_S7_lS9_S7_lS8_T11_S7_li
	.p2align	8
	.type	_ZL29rocblas_internal_gemmt_kernelIiLi16ELi32ELi8ELc84ELc78ELc76ELb0ELb0EffPKPKfPKPfEviT_T9_T10_S7_lS9_S7_lS8_T11_S7_li,@function
_ZL29rocblas_internal_gemmt_kernelIiLi16ELi32ELi8ELc84ELc78ELc76ELb0ELb0EffPKPKfPKPfEviT_T9_T10_S7_lS9_S7_lS8_T11_S7_li: ; @_ZL29rocblas_internal_gemmt_kernelIiLi16ELi32ELi8ELc84ELc78ELc76ELb0ELb0EffPKPKfPKPfEviT_T9_T10_S7_lS9_S7_lS8_T11_S7_li
; %bb.0:
	s_clause 0x1
	s_load_b32 s15, s[0:1], 0x40
	s_load_b96 s[12:14], s[0:1], 0x0
	s_wait_kmcnt 0x0
	s_cmp_neq_f32 s15, 1.0
	s_cselect_b32 s2, -1, 0
	s_delay_alu instid0(SALU_CYCLE_1)
	s_and_b32 vcc_lo, exec_lo, s2
	s_cbranch_vccnz .LBB318_2
; %bb.1:
	s_cmp_lg_u32 s13, 0
	s_cselect_b32 s2, -1, 0
	s_cmp_neq_f32 s14, 0
	s_cselect_b32 s3, -1, 0
	s_delay_alu instid0(SALU_CYCLE_1)
	s_and_b32 s2, s2, s3
.LBB318_2:
	s_delay_alu instid0(SALU_CYCLE_1)
	s_and_not1_b32 vcc_lo, exec_lo, s2
	s_cbranch_vccnz .LBB318_33
; %bb.3:
	s_load_b32 s19, s[0:1], 0x60
	s_lshr_b32 s6, ttmp7, 16
	s_wait_kmcnt 0x0
	s_cmp_ge_u32 s6, s19
	s_cbranch_scc1 .LBB318_33
; %bb.4:
	v_dual_mov_b32 v20, 0 :: v_dual_and_b32 v1, 0x3ff, v0
	v_bfe_u32 v2, v0, 10, 10
	s_clause 0x1
	s_load_b96 s[16:18], s[0:1], 0x10
	s_load_b128 s[8:11], s[0:1], 0x20
	v_and_b32_e32 v14, 7, v0
	s_clause 0x3
	s_load_b32 s5, s[0:1], 0x30
	s_load_b64 s[26:27], s[0:1], 0x38
	s_load_b96 s[20:22], s[0:1], 0x48
	s_load_b64 s[24:25], s[0:1], 0x58
	s_lshl_b32 s2, ttmp9, 5
	v_lshl_add_u32 v0, v2, 4, v1
	s_lshl_b32 s0, ttmp7, 5
	v_lshlrev_b32_e32 v12, 2, v14
	s_and_b32 s3, s0, 0x1fffe0
	s_cmp_neq_f32 s14, 0
	v_and_b32_e32 v3, 31, v0
	v_lshrrev_b32_e32 v4, 3, v0
	v_lshrrev_b32_e32 v15, 5, v0
	s_cselect_b32 s28, -1, 0
	s_cmp_gt_i32 s13, 0
	v_or_b32_e32 v6, s2, v3
	v_lshlrev_b32_e32 v0, 2, v3
	v_add_nc_u32_e32 v8, s3, v4
	v_lshl_or_b32 v3, v4, 5, v12
	v_lshl_add_u32 v19, v2, 5, 0x400
	v_cmp_gt_i32_e64 s0, s12, v6
	s_wait_kmcnt 0x0
	v_mad_co_i64_i32 v[6:7], null, s18, v6, 0
	v_lshl_or_b32 v16, v15, 7, v0
	v_add_nc_u32_e32 v0, s2, v1
	v_cmp_gt_i32_e64 s1, s12, v8
	v_mad_co_i64_i32 v[8:9], null, s5, v8, 0
	v_add_nc_u32_e32 v17, 0x400, v3
	v_add_nc_u32_e32 v3, s3, v2
	;; [unrolled: 1-line block ×3, first 2 shown]
	s_cselect_b32 s29, -1, 0
	s_cmp_neq_f32 s15, 0
	v_lshlrev_b64_e32 v[6:7], 2, v[6:7]
	v_cmp_le_i32_e32 vcc_lo, v3, v0
	v_cmp_gt_i32_e64 s2, s12, v0
	v_cmp_le_i32_e64 s3, v3, v2
	v_cmp_gt_i32_e64 s4, s12, v2
	v_add_nc_u32_e32 v13, 16, v3
	s_cselect_b32 s23, -1, 0
	s_lshl_b64 s[8:9], s[8:9], 2
	v_lshlrev_b64_e32 v[8:9], 2, v[8:9]
	v_add_co_u32 v6, s5, v6, s8
	v_mad_co_i64_i32 v[4:5], null, v3, s22, 0
	s_and_b32 s12, vcc_lo, s2
	s_and_b32 s18, s3, s4
	v_mad_co_i64_i32 v[10:11], null, v13, s22, 0
	v_cmp_le_i32_e32 vcc_lo, v13, v0
	v_cmp_le_i32_e64 s3, v13, v2
	v_add_co_ci_u32_e64 v7, null, s9, v7, s5
	v_lshlrev_b32_e32 v13, 2, v15
	s_lshl_b64 s[8:9], s[26:27], 2
	v_lshlrev_b64_e32 v[4:5], 2, v[4:5]
	s_wait_alu 0xfffe
	v_add_co_u32 v8, s5, v8, s8
	s_wait_alu 0xf1ff
	v_add_co_ci_u32_e64 v9, null, s9, v9, s5
	v_add_co_u32 v21, s5, v6, v13
	s_wait_alu 0xf1ff
	v_add_co_ci_u32_e64 v22, null, 0, v7, s5
	v_add_co_u32 v23, s5, v8, v12
	v_lshlrev_b64_e32 v[6:7], 2, v[10:11]
	v_lshlrev_b32_e32 v18, 2, v1
	v_ashrrev_i32_e32 v1, 31, v0
	v_ashrrev_i32_e32 v3, 31, v2
	s_wait_alu 0xf1ff
	v_add_co_ci_u32_e64 v24, null, 0, v9, s5
	s_mov_b32 s7, 0
	s_and_b32 s8, s28, s29
	s_and_b32 s9, vcc_lo, s2
	s_and_b32 s22, s3, s4
	s_lshl_b64 s[2:3], s[24:25], 2
	s_branch .LBB318_6
.LBB318_5:                              ;   in Loop: Header=BB318_6 Depth=1
	s_wait_alu 0xfffe
	s_or_b32 exec_lo, exec_lo, s4
	s_add_co_i32 s6, s6, 0x10000
	s_delay_alu instid0(SALU_CYCLE_1)
	s_cmp_lt_u32 s6, s19
	s_cbranch_scc0 .LBB318_33
.LBB318_6:                              ; =>This Loop Header: Depth=1
                                        ;     Child Loop BB318_9 Depth 2
	s_lshl_b64 s[4:5], s[6:7], 3
	v_dual_mov_b32 v28, 0 :: v_dual_mov_b32 v27, 0
	s_wait_alu 0xfffe
	s_add_nc_u64 s[24:25], s[20:21], s[4:5]
	v_dual_mov_b32 v26, 0 :: v_dual_mov_b32 v25, 0
	global_load_b64 v[8:9], v20, s[24:25]
	s_and_not1_b32 vcc_lo, exec_lo, s8
	s_wait_alu 0xfffe
	s_cbranch_vccnz .LBB318_13
; %bb.7:                                ;   in Loop: Header=BB318_6 Depth=1
	s_add_nc_u64 s[24:25], s[16:17], s[4:5]
	s_add_nc_u64 s[4:5], s[10:11], s[4:5]
	s_clause 0x1
	global_load_b64 v[10:11], v20, s[24:25]
	global_load_b64 v[12:13], v20, s[4:5]
	v_dual_mov_b32 v25, 0 :: v_dual_mov_b32 v26, 0
	v_dual_mov_b32 v27, 0 :: v_dual_mov_b32 v28, 0
	s_mov_b32 s4, 0
	s_wait_loadcnt 0x1
	v_add_co_u32 v10, vcc_lo, v10, v21
	s_wait_alu 0xfffd
	v_add_co_ci_u32_e64 v11, null, v11, v22, vcc_lo
	s_wait_loadcnt 0x0
	v_add_co_u32 v12, vcc_lo, v12, v23
	s_wait_alu 0xfffd
	v_add_co_ci_u32_e64 v13, null, v13, v24, vcc_lo
	s_branch .LBB318_9
.LBB318_8:                              ;   in Loop: Header=BB318_9 Depth=2
	s_wait_alu 0xfffe
	s_or_b32 exec_lo, exec_lo, s5
	s_wait_loadcnt_dscnt 0x0
	ds_store_b32 v17, v30
	s_wait_dscnt 0x0
	s_barrier_signal -1
	s_barrier_wait -1
	global_inv scope:SCOPE_SE
	ds_load_b128 v[29:32], v19
	ds_load_2addr_b32 v[45:46], v18 offset1:16
	ds_load_b128 v[33:36], v19 offset:512
	ds_load_2addr_b32 v[47:48], v18 offset0:32 offset1:48
	ds_load_2addr_b32 v[49:50], v18 offset0:64 offset1:80
	;; [unrolled: 1-line block ×3, first 2 shown]
	ds_load_b128 v[37:40], v19 offset:16
	ds_load_2addr_b32 v[53:54], v18 offset0:128 offset1:144
	ds_load_b128 v[41:44], v19 offset:528
	v_add_co_u32 v10, vcc_lo, v10, 32
	s_wait_alu 0xfffd
	v_add_co_ci_u32_e64 v11, null, 0, v11, vcc_lo
	v_add_co_u32 v12, vcc_lo, v12, 32
	s_wait_alu 0xfffd
	v_add_co_ci_u32_e64 v13, null, 0, v13, vcc_lo
	s_add_co_i32 s4, s4, 8
	s_wait_alu 0xfffe
	s_cmp_lt_i32 s4, s13
	s_wait_dscnt 0x7
	v_fmac_f32_e32 v27, v46, v29
	v_fmac_f32_e32 v28, v45, v29
	s_wait_dscnt 0x6
	v_fmac_f32_e32 v25, v46, v33
	v_fmac_f32_e32 v26, v45, v33
	ds_load_2addr_b32 v[45:46], v18 offset0:160 offset1:176
	s_wait_dscnt 0x6
	v_fmac_f32_e32 v27, v48, v30
	v_fmac_f32_e32 v28, v47, v30
	v_fmac_f32_e32 v25, v48, v34
	v_fmac_f32_e32 v26, v47, v34
	ds_load_2addr_b32 v[29:30], v18 offset0:192 offset1:208
	s_wait_dscnt 0x6
	v_fmac_f32_e32 v27, v50, v31
	v_fmac_f32_e32 v28, v49, v31
	;; [unrolled: 6-line block ×3, first 2 shown]
	v_fmac_f32_e32 v25, v52, v36
	v_fmac_f32_e32 v26, v51, v36
	s_wait_loadcnt_dscnt 0x0
	v_fmac_f32_e32 v27, v54, v37
	v_fmac_f32_e32 v28, v53, v37
	v_fmac_f32_e32 v25, v54, v41
	v_fmac_f32_e32 v26, v53, v41
	s_barrier_signal -1
	v_fmac_f32_e32 v27, v46, v38
	v_fmac_f32_e32 v28, v45, v38
	;; [unrolled: 1-line block ×4, first 2 shown]
	s_barrier_wait -1
	v_fmac_f32_e32 v27, v30, v39
	v_fmac_f32_e32 v28, v29, v39
	;; [unrolled: 1-line block ×4, first 2 shown]
	global_inv scope:SCOPE_SE
	v_fmac_f32_e32 v27, v34, v40
	v_fmac_f32_e32 v28, v33, v40
	;; [unrolled: 1-line block ×4, first 2 shown]
	s_cbranch_scc0 .LBB318_13
.LBB318_9:                              ;   Parent Loop BB318_6 Depth=1
                                        ; =>  This Inner Loop Header: Depth=2
	s_wait_alu 0xfffe
	v_add_nc_u32_e32 v29, s4, v15
	s_delay_alu instid0(VALU_DEP_1) | instskip(SKIP_2) | instid1(SALU_CYCLE_1)
	v_cmp_gt_i32_e32 vcc_lo, s13, v29
	v_mov_b32_e32 v29, 0
	s_and_b32 s24, s0, vcc_lo
	s_and_saveexec_b32 s5, s24
	s_cbranch_execz .LBB318_11
; %bb.10:                               ;   in Loop: Header=BB318_9 Depth=2
	flat_load_b32 v29, v[10:11]
.LBB318_11:                             ;   in Loop: Header=BB318_9 Depth=2
	s_wait_alu 0xfffe
	s_or_b32 exec_lo, exec_lo, s5
	v_add_nc_u32_e32 v30, s4, v14
	s_wait_loadcnt_dscnt 0x0
	ds_store_b32 v16, v29
	v_cmp_gt_i32_e32 vcc_lo, s13, v30
	v_mov_b32_e32 v30, 0
	s_and_b32 s24, vcc_lo, s1
	s_delay_alu instid0(SALU_CYCLE_1)
	s_and_saveexec_b32 s5, s24
	s_cbranch_execz .LBB318_8
; %bb.12:                               ;   in Loop: Header=BB318_9 Depth=2
	flat_load_b32 v30, v[12:13]
	s_branch .LBB318_8
.LBB318_13:                             ;   in Loop: Header=BB318_6 Depth=1
	s_wait_loadcnt 0x0
	v_add_co_u32 v8, vcc_lo, v8, s2
	s_wait_alu 0xfffd
	v_add_co_ci_u32_e64 v9, null, s3, v9, vcc_lo
	s_delay_alu instid0(VALU_DEP_2) | instskip(SKIP_1) | instid1(VALU_DEP_2)
	v_add_co_u32 v10, vcc_lo, v8, v4
	s_wait_alu 0xfffd
	v_add_co_ci_u32_e64 v11, null, v9, v5, vcc_lo
	s_and_saveexec_b32 s4, s12
	s_cbranch_execz .LBB318_17
; %bb.14:                               ;   in Loop: Header=BB318_6 Depth=1
	v_mul_f32_e32 v12, s14, v28
	s_and_b32 vcc_lo, exec_lo, s23
	s_wait_alu 0xfffe
	s_cbranch_vccz .LBB318_28
; %bb.15:                               ;   in Loop: Header=BB318_6 Depth=1
	v_lshlrev_b64_e32 v[28:29], 2, v[0:1]
	s_delay_alu instid0(VALU_DEP_1) | instskip(SKIP_1) | instid1(VALU_DEP_2)
	v_add_co_u32 v28, vcc_lo, v10, v28
	s_wait_alu 0xfffd
	v_add_co_ci_u32_e64 v29, null, v11, v29, vcc_lo
	flat_load_b32 v13, v[28:29]
	s_wait_loadcnt_dscnt 0x0
	v_fma_f32 v13, s15, v13, v12
	flat_store_b32 v[28:29], v13
	s_cbranch_execnz .LBB318_17
.LBB318_16:                             ;   in Loop: Header=BB318_6 Depth=1
	v_lshlrev_b64_e32 v[28:29], 2, v[0:1]
	s_delay_alu instid0(VALU_DEP_1) | instskip(SKIP_1) | instid1(VALU_DEP_2)
	v_add_co_u32 v28, vcc_lo, v10, v28
	s_wait_alu 0xfffd
	v_add_co_ci_u32_e64 v29, null, v11, v29, vcc_lo
	flat_store_b32 v[28:29], v12
.LBB318_17:                             ;   in Loop: Header=BB318_6 Depth=1
	s_wait_alu 0xfffe
	s_or_b32 exec_lo, exec_lo, s4
	s_and_saveexec_b32 s4, s18
	s_cbranch_execz .LBB318_21
; %bb.18:                               ;   in Loop: Header=BB318_6 Depth=1
	v_mul_f32_e32 v12, s14, v27
	s_and_not1_b32 vcc_lo, exec_lo, s23
	s_wait_alu 0xfffe
	s_cbranch_vccnz .LBB318_29
; %bb.19:                               ;   in Loop: Header=BB318_6 Depth=1
	v_lshlrev_b64_e32 v[27:28], 2, v[2:3]
	s_delay_alu instid0(VALU_DEP_1) | instskip(SKIP_1) | instid1(VALU_DEP_2)
	v_add_co_u32 v27, vcc_lo, v10, v27
	s_wait_alu 0xfffd
	v_add_co_ci_u32_e64 v28, null, v11, v28, vcc_lo
	flat_load_b32 v13, v[27:28]
	s_wait_loadcnt_dscnt 0x0
	v_fma_f32 v13, s15, v13, v12
	flat_store_b32 v[27:28], v13
	s_cbranch_execnz .LBB318_21
.LBB318_20:                             ;   in Loop: Header=BB318_6 Depth=1
	v_lshlrev_b64_e32 v[27:28], 2, v[2:3]
	s_delay_alu instid0(VALU_DEP_1) | instskip(SKIP_1) | instid1(VALU_DEP_2)
	v_add_co_u32 v10, vcc_lo, v10, v27
	s_wait_alu 0xfffd
	v_add_co_ci_u32_e64 v11, null, v11, v28, vcc_lo
	flat_store_b32 v[10:11], v12
.LBB318_21:                             ;   in Loop: Header=BB318_6 Depth=1
	s_wait_alu 0xfffe
	s_or_b32 exec_lo, exec_lo, s4
	v_add_co_u32 v10, vcc_lo, v8, v6
	s_wait_alu 0xfffd
	v_add_co_ci_u32_e64 v11, null, v9, v7, vcc_lo
	s_and_saveexec_b32 s4, s9
	s_cbranch_execz .LBB318_25
; %bb.22:                               ;   in Loop: Header=BB318_6 Depth=1
	v_lshlrev_b64_e32 v[8:9], 2, v[0:1]
	v_mul_f32_e32 v12, s14, v26
	s_and_not1_b32 vcc_lo, exec_lo, s23
	s_wait_alu 0xfffe
	s_cbranch_vccnz .LBB318_30
; %bb.23:                               ;   in Loop: Header=BB318_6 Depth=1
	s_delay_alu instid0(VALU_DEP_2)
	v_add_co_u32 v26, vcc_lo, v10, v8
	s_wait_alu 0xfffd
	v_add_co_ci_u32_e64 v27, null, v11, v9, vcc_lo
	flat_load_b32 v13, v[26:27]
	s_wait_loadcnt_dscnt 0x0
	v_fma_f32 v13, s15, v13, v12
	flat_store_b32 v[26:27], v13
	s_cbranch_execnz .LBB318_25
.LBB318_24:                             ;   in Loop: Header=BB318_6 Depth=1
	v_add_co_u32 v8, vcc_lo, v10, v8
	s_wait_alu 0xfffd
	v_add_co_ci_u32_e64 v9, null, v11, v9, vcc_lo
	flat_store_b32 v[8:9], v12
.LBB318_25:                             ;   in Loop: Header=BB318_6 Depth=1
	s_wait_alu 0xfffe
	s_or_b32 exec_lo, exec_lo, s4
	s_and_saveexec_b32 s4, s22
	s_cbranch_execz .LBB318_5
; %bb.26:                               ;   in Loop: Header=BB318_6 Depth=1
	v_lshlrev_b64_e32 v[8:9], 2, v[2:3]
	v_mul_f32_e32 v12, s14, v25
	s_and_not1_b32 vcc_lo, exec_lo, s23
	s_wait_alu 0xfffe
	s_cbranch_vccnz .LBB318_31
; %bb.27:                               ;   in Loop: Header=BB318_6 Depth=1
	s_delay_alu instid0(VALU_DEP_2)
	v_add_co_u32 v25, vcc_lo, v10, v8
	s_wait_alu 0xfffd
	v_add_co_ci_u32_e64 v26, null, v11, v9, vcc_lo
	flat_load_b32 v13, v[25:26]
	s_wait_loadcnt_dscnt 0x0
	v_fma_f32 v13, s15, v13, v12
	flat_store_b32 v[25:26], v13
	s_cbranch_execnz .LBB318_5
	s_branch .LBB318_32
.LBB318_28:                             ;   in Loop: Header=BB318_6 Depth=1
	s_branch .LBB318_16
.LBB318_29:                             ;   in Loop: Header=BB318_6 Depth=1
	s_branch .LBB318_20
.LBB318_30:                             ;   in Loop: Header=BB318_6 Depth=1
	s_branch .LBB318_24
.LBB318_31:                             ;   in Loop: Header=BB318_6 Depth=1
.LBB318_32:                             ;   in Loop: Header=BB318_6 Depth=1
	s_delay_alu instid0(VALU_DEP_2)
	v_add_co_u32 v8, vcc_lo, v10, v8
	s_wait_alu 0xfffd
	v_add_co_ci_u32_e64 v9, null, v11, v9, vcc_lo
	flat_store_b32 v[8:9], v12
	s_branch .LBB318_5
.LBB318_33:
	s_endpgm
	.section	.rodata,"a",@progbits
	.p2align	6, 0x0
	.amdhsa_kernel _ZL29rocblas_internal_gemmt_kernelIiLi16ELi32ELi8ELc84ELc78ELc76ELb0ELb0EffPKPKfPKPfEviT_T9_T10_S7_lS9_S7_lS8_T11_S7_li
		.amdhsa_group_segment_fixed_size 2048
		.amdhsa_private_segment_fixed_size 0
		.amdhsa_kernarg_size 100
		.amdhsa_user_sgpr_count 2
		.amdhsa_user_sgpr_dispatch_ptr 0
		.amdhsa_user_sgpr_queue_ptr 0
		.amdhsa_user_sgpr_kernarg_segment_ptr 1
		.amdhsa_user_sgpr_dispatch_id 0
		.amdhsa_user_sgpr_private_segment_size 0
		.amdhsa_wavefront_size32 1
		.amdhsa_uses_dynamic_stack 0
		.amdhsa_enable_private_segment 0
		.amdhsa_system_sgpr_workgroup_id_x 1
		.amdhsa_system_sgpr_workgroup_id_y 1
		.amdhsa_system_sgpr_workgroup_id_z 1
		.amdhsa_system_sgpr_workgroup_info 0
		.amdhsa_system_vgpr_workitem_id 1
		.amdhsa_next_free_vgpr 55
		.amdhsa_next_free_sgpr 30
		.amdhsa_reserve_vcc 1
		.amdhsa_float_round_mode_32 0
		.amdhsa_float_round_mode_16_64 0
		.amdhsa_float_denorm_mode_32 3
		.amdhsa_float_denorm_mode_16_64 3
		.amdhsa_fp16_overflow 0
		.amdhsa_workgroup_processor_mode 1
		.amdhsa_memory_ordered 1
		.amdhsa_forward_progress 1
		.amdhsa_inst_pref_size 15
		.amdhsa_round_robin_scheduling 0
		.amdhsa_exception_fp_ieee_invalid_op 0
		.amdhsa_exception_fp_denorm_src 0
		.amdhsa_exception_fp_ieee_div_zero 0
		.amdhsa_exception_fp_ieee_overflow 0
		.amdhsa_exception_fp_ieee_underflow 0
		.amdhsa_exception_fp_ieee_inexact 0
		.amdhsa_exception_int_div_zero 0
	.end_amdhsa_kernel
	.section	.text._ZL29rocblas_internal_gemmt_kernelIiLi16ELi32ELi8ELc84ELc78ELc76ELb0ELb0EffPKPKfPKPfEviT_T9_T10_S7_lS9_S7_lS8_T11_S7_li,"axG",@progbits,_ZL29rocblas_internal_gemmt_kernelIiLi16ELi32ELi8ELc84ELc78ELc76ELb0ELb0EffPKPKfPKPfEviT_T9_T10_S7_lS9_S7_lS8_T11_S7_li,comdat
.Lfunc_end318:
	.size	_ZL29rocblas_internal_gemmt_kernelIiLi16ELi32ELi8ELc84ELc78ELc76ELb0ELb0EffPKPKfPKPfEviT_T9_T10_S7_lS9_S7_lS8_T11_S7_li, .Lfunc_end318-_ZL29rocblas_internal_gemmt_kernelIiLi16ELi32ELi8ELc84ELc78ELc76ELb0ELb0EffPKPKfPKPfEviT_T9_T10_S7_lS9_S7_lS8_T11_S7_li
                                        ; -- End function
	.set _ZL29rocblas_internal_gemmt_kernelIiLi16ELi32ELi8ELc84ELc78ELc76ELb0ELb0EffPKPKfPKPfEviT_T9_T10_S7_lS9_S7_lS8_T11_S7_li.num_vgpr, 55
	.set _ZL29rocblas_internal_gemmt_kernelIiLi16ELi32ELi8ELc84ELc78ELc76ELb0ELb0EffPKPKfPKPfEviT_T9_T10_S7_lS9_S7_lS8_T11_S7_li.num_agpr, 0
	.set _ZL29rocblas_internal_gemmt_kernelIiLi16ELi32ELi8ELc84ELc78ELc76ELb0ELb0EffPKPKfPKPfEviT_T9_T10_S7_lS9_S7_lS8_T11_S7_li.numbered_sgpr, 30
	.set _ZL29rocblas_internal_gemmt_kernelIiLi16ELi32ELi8ELc84ELc78ELc76ELb0ELb0EffPKPKfPKPfEviT_T9_T10_S7_lS9_S7_lS8_T11_S7_li.num_named_barrier, 0
	.set _ZL29rocblas_internal_gemmt_kernelIiLi16ELi32ELi8ELc84ELc78ELc76ELb0ELb0EffPKPKfPKPfEviT_T9_T10_S7_lS9_S7_lS8_T11_S7_li.private_seg_size, 0
	.set _ZL29rocblas_internal_gemmt_kernelIiLi16ELi32ELi8ELc84ELc78ELc76ELb0ELb0EffPKPKfPKPfEviT_T9_T10_S7_lS9_S7_lS8_T11_S7_li.uses_vcc, 1
	.set _ZL29rocblas_internal_gemmt_kernelIiLi16ELi32ELi8ELc84ELc78ELc76ELb0ELb0EffPKPKfPKPfEviT_T9_T10_S7_lS9_S7_lS8_T11_S7_li.uses_flat_scratch, 0
	.set _ZL29rocblas_internal_gemmt_kernelIiLi16ELi32ELi8ELc84ELc78ELc76ELb0ELb0EffPKPKfPKPfEviT_T9_T10_S7_lS9_S7_lS8_T11_S7_li.has_dyn_sized_stack, 0
	.set _ZL29rocblas_internal_gemmt_kernelIiLi16ELi32ELi8ELc84ELc78ELc76ELb0ELb0EffPKPKfPKPfEviT_T9_T10_S7_lS9_S7_lS8_T11_S7_li.has_recursion, 0
	.set _ZL29rocblas_internal_gemmt_kernelIiLi16ELi32ELi8ELc84ELc78ELc76ELb0ELb0EffPKPKfPKPfEviT_T9_T10_S7_lS9_S7_lS8_T11_S7_li.has_indirect_call, 0
	.section	.AMDGPU.csdata,"",@progbits
; Kernel info:
; codeLenInByte = 1852
; TotalNumSgprs: 32
; NumVgprs: 55
; ScratchSize: 0
; MemoryBound: 0
; FloatMode: 240
; IeeeMode: 1
; LDSByteSize: 2048 bytes/workgroup (compile time only)
; SGPRBlocks: 0
; VGPRBlocks: 6
; NumSGPRsForWavesPerEU: 32
; NumVGPRsForWavesPerEU: 55
; Occupancy: 16
; WaveLimiterHint : 1
; COMPUTE_PGM_RSRC2:SCRATCH_EN: 0
; COMPUTE_PGM_RSRC2:USER_SGPR: 2
; COMPUTE_PGM_RSRC2:TRAP_HANDLER: 0
; COMPUTE_PGM_RSRC2:TGID_X_EN: 1
; COMPUTE_PGM_RSRC2:TGID_Y_EN: 1
; COMPUTE_PGM_RSRC2:TGID_Z_EN: 1
; COMPUTE_PGM_RSRC2:TIDIG_COMP_CNT: 1
	.section	.text._ZL29rocblas_internal_gemmt_kernelIiLi16ELi32ELi8ELc84ELc84ELc76ELb0ELb0EffPKPKfPKPfEviT_T9_T10_S7_lS9_S7_lS8_T11_S7_li,"axG",@progbits,_ZL29rocblas_internal_gemmt_kernelIiLi16ELi32ELi8ELc84ELc84ELc76ELb0ELb0EffPKPKfPKPfEviT_T9_T10_S7_lS9_S7_lS8_T11_S7_li,comdat
	.globl	_ZL29rocblas_internal_gemmt_kernelIiLi16ELi32ELi8ELc84ELc84ELc76ELb0ELb0EffPKPKfPKPfEviT_T9_T10_S7_lS9_S7_lS8_T11_S7_li ; -- Begin function _ZL29rocblas_internal_gemmt_kernelIiLi16ELi32ELi8ELc84ELc84ELc76ELb0ELb0EffPKPKfPKPfEviT_T9_T10_S7_lS9_S7_lS8_T11_S7_li
	.p2align	8
	.type	_ZL29rocblas_internal_gemmt_kernelIiLi16ELi32ELi8ELc84ELc84ELc76ELb0ELb0EffPKPKfPKPfEviT_T9_T10_S7_lS9_S7_lS8_T11_S7_li,@function
_ZL29rocblas_internal_gemmt_kernelIiLi16ELi32ELi8ELc84ELc84ELc76ELb0ELb0EffPKPKfPKPfEviT_T9_T10_S7_lS9_S7_lS8_T11_S7_li: ; @_ZL29rocblas_internal_gemmt_kernelIiLi16ELi32ELi8ELc84ELc84ELc76ELb0ELb0EffPKPKfPKPfEviT_T9_T10_S7_lS9_S7_lS8_T11_S7_li
; %bb.0:
	s_clause 0x1
	s_load_b32 s11, s[0:1], 0x40
	s_load_b96 s[8:10], s[0:1], 0x0
	s_wait_kmcnt 0x0
	s_cmp_neq_f32 s11, 1.0
	s_cselect_b32 s2, -1, 0
	s_delay_alu instid0(SALU_CYCLE_1)
	s_and_b32 vcc_lo, exec_lo, s2
	s_cbranch_vccnz .LBB319_2
; %bb.1:
	s_cmp_lg_u32 s9, 0
	s_cselect_b32 s2, -1, 0
	s_cmp_neq_f32 s10, 0
	s_cselect_b32 s3, -1, 0
	s_delay_alu instid0(SALU_CYCLE_1)
	s_and_b32 s2, s2, s3
.LBB319_2:
	s_delay_alu instid0(SALU_CYCLE_1)
	s_and_not1_b32 vcc_lo, exec_lo, s2
	s_cbranch_vccnz .LBB319_33
; %bb.3:
	s_load_b32 s19, s[0:1], 0x60
	s_lshr_b32 s20, ttmp7, 16
	s_wait_kmcnt 0x0
	s_cmp_ge_u32 s20, s19
	s_cbranch_scc1 .LBB319_33
; %bb.4:
	s_load_b32 s22, s[0:1], 0x30
	v_dual_mov_b32 v20, 0 :: v_dual_and_b32 v1, 0x3ff, v0
	v_bfe_u32 v2, v0, 10, 10
	v_and_b32_e32 v14, 7, v0
	s_clause 0x4
	s_load_b96 s[12:14], s[0:1], 0x10
	s_load_b128 s[4:7], s[0:1], 0x20
	s_load_b64 s[26:27], s[0:1], 0x38
	s_load_b96 s[16:18], s[0:1], 0x48
	s_load_b64 s[24:25], s[0:1], 0x58
	s_lshl_b32 s0, ttmp7, 5
	v_lshl_add_u32 v0, v2, 4, v1
	s_lshl_b32 s2, ttmp9, 5
	s_and_b32 s3, s0, 0x1fffe0
	v_lshlrev_b32_e32 v4, 2, v14
	v_add_nc_u32_e32 v7, s3, v2
	v_and_b32_e32 v3, 31, v0
	v_lshrrev_b32_e32 v5, 3, v0
	v_lshrrev_b32_e32 v15, 5, v0
	v_lshl_add_u32 v19, v2, 5, 0x400
	v_add_nc_u32_e32 v13, 16, v7
	v_lshlrev_b32_e32 v0, 2, v3
	v_or_b32_e32 v6, s2, v3
	s_wait_kmcnt 0x0
	s_ashr_i32 s23, s22, 31
	s_cmp_neq_f32 s10, 0
	v_add_nc_u32_e32 v12, s3, v5
	v_lshl_or_b32 v16, v15, 7, v0
	v_add_nc_u32_e32 v0, s2, v1
	s_cselect_b32 s15, -1, 0
	s_cmp_gt_i32 s9, 0
	v_lshl_or_b32 v3, v5, 5, v4
	s_cselect_b32 s30, -1, 0
	v_cmp_le_i32_e32 vcc_lo, v7, v0
	v_cmp_gt_i32_e64 s2, s8, v0
	v_add_nc_u32_e32 v2, 16, v0
	s_cmp_neq_f32 s11, 0
	v_cmp_gt_i32_e64 s0, s8, v6
	v_mad_co_i64_i32 v[4:5], null, v7, s18, 0
	s_cselect_b32 s28, -1, 0
	s_and_b32 s29, vcc_lo, s2
	v_cmp_le_i32_e32 vcc_lo, v7, v2
	v_mad_co_i64_i32 v[6:7], null, s14, v6, 0
	v_cmp_gt_i32_e64 s3, s8, v2
	v_mad_co_i64_i32 v[8:9], null, s22, v14, 0
	v_cmp_gt_i32_e64 s1, s8, v12
	s_lshl_b64 s[4:5], s[4:5], 2
	s_and_b32 s8, vcc_lo, s3
	v_lshlrev_b64_e32 v[6:7], 2, v[6:7]
	v_cmp_le_i32_e32 vcc_lo, v13, v0
	v_mad_co_i64_i32 v[10:11], null, v13, s18, 0
	v_lshlrev_b64_e32 v[8:9], 2, v[8:9]
	v_lshlrev_b32_e32 v12, 2, v12
	s_and_b32 s18, vcc_lo, s2
	v_add_co_u32 v6, s2, v6, s4
	v_cmp_le_i32_e32 vcc_lo, v13, v2
	s_wait_alu 0xf1ff
	v_add_co_ci_u32_e64 v7, null, s5, v7, s2
	v_lshlrev_b32_e32 v13, 2, v15
	s_lshl_b64 s[4:5], s[26:27], 2
	v_lshlrev_b64_e32 v[4:5], 2, v[4:5]
	s_wait_alu 0xfffe
	v_add_co_u32 v8, s2, v8, s4
	s_wait_alu 0xf1ff
	v_add_co_ci_u32_e64 v9, null, s5, v9, s2
	v_add_co_u32 v21, s2, v6, v13
	s_wait_alu 0xf1ff
	v_add_co_ci_u32_e64 v22, null, 0, v7, s2
	v_add_co_u32 v23, s2, v8, v12
	v_lshlrev_b64_e32 v[6:7], 2, v[10:11]
	v_add_nc_u32_e32 v17, 0x400, v3
	v_lshlrev_b32_e32 v18, 2, v1
	v_ashrrev_i32_e32 v1, 31, v0
	v_ashrrev_i32_e32 v3, 31, v2
	s_wait_alu 0xf1ff
	v_add_co_ci_u32_e64 v24, null, 0, v9, s2
	s_mov_b32 s21, 0
	s_and_b32 s26, s15, s30
	s_and_b32 s27, vcc_lo, s3
	s_lshl_b64 s[2:3], s[22:23], 5
	s_lshl_b64 s[4:5], s[24:25], 2
	s_branch .LBB319_6
.LBB319_5:                              ;   in Loop: Header=BB319_6 Depth=1
	s_wait_alu 0xfffe
	s_or_b32 exec_lo, exec_lo, s14
	s_add_co_i32 s20, s20, 0x10000
	s_delay_alu instid0(SALU_CYCLE_1)
	s_cmp_lt_u32 s20, s19
	s_cbranch_scc0 .LBB319_33
.LBB319_6:                              ; =>This Loop Header: Depth=1
                                        ;     Child Loop BB319_9 Depth 2
	s_lshl_b64 s[14:15], s[20:21], 3
	v_dual_mov_b32 v28, 0 :: v_dual_mov_b32 v27, 0
	s_wait_alu 0xfffe
	s_add_nc_u64 s[22:23], s[16:17], s[14:15]
	v_dual_mov_b32 v26, 0 :: v_dual_mov_b32 v25, 0
	global_load_b64 v[8:9], v20, s[22:23]
	s_and_not1_b32 vcc_lo, exec_lo, s26
	s_wait_alu 0xfffe
	s_cbranch_vccnz .LBB319_13
; %bb.7:                                ;   in Loop: Header=BB319_6 Depth=1
	s_add_nc_u64 s[22:23], s[12:13], s[14:15]
	s_add_nc_u64 s[14:15], s[6:7], s[14:15]
	s_clause 0x1
	global_load_b64 v[10:11], v20, s[22:23]
	global_load_b64 v[12:13], v20, s[14:15]
	v_dual_mov_b32 v25, 0 :: v_dual_mov_b32 v26, 0
	v_dual_mov_b32 v27, 0 :: v_dual_mov_b32 v28, 0
	s_mov_b32 s14, 0
	s_wait_loadcnt 0x1
	v_add_co_u32 v10, vcc_lo, v10, v21
	s_wait_alu 0xfffd
	v_add_co_ci_u32_e64 v11, null, v11, v22, vcc_lo
	s_wait_loadcnt 0x0
	v_add_co_u32 v12, vcc_lo, v12, v23
	s_wait_alu 0xfffd
	v_add_co_ci_u32_e64 v13, null, v13, v24, vcc_lo
	s_branch .LBB319_9
.LBB319_8:                              ;   in Loop: Header=BB319_9 Depth=2
	s_wait_alu 0xfffe
	s_or_b32 exec_lo, exec_lo, s15
	s_wait_loadcnt_dscnt 0x0
	ds_store_b32 v17, v30
	s_wait_dscnt 0x0
	s_barrier_signal -1
	s_barrier_wait -1
	global_inv scope:SCOPE_SE
	ds_load_b128 v[29:32], v19
	ds_load_2addr_b32 v[45:46], v18 offset1:16
	ds_load_b128 v[33:36], v19 offset:512
	ds_load_2addr_b32 v[47:48], v18 offset0:32 offset1:48
	ds_load_2addr_b32 v[49:50], v18 offset0:64 offset1:80
	;; [unrolled: 1-line block ×3, first 2 shown]
	ds_load_b128 v[37:40], v19 offset:16
	ds_load_2addr_b32 v[53:54], v18 offset0:128 offset1:144
	ds_load_b128 v[41:44], v19 offset:528
	v_add_co_u32 v10, vcc_lo, v10, 32
	s_wait_alu 0xfffd
	v_add_co_ci_u32_e64 v11, null, 0, v11, vcc_lo
	v_add_co_u32 v12, vcc_lo, v12, s2
	s_wait_alu 0xfffd
	v_add_co_ci_u32_e64 v13, null, s3, v13, vcc_lo
	s_add_co_i32 s14, s14, 8
	s_wait_alu 0xfffe
	s_cmp_lt_i32 s14, s9
	s_wait_dscnt 0x7
	v_fmac_f32_e32 v27, v46, v29
	v_fmac_f32_e32 v28, v45, v29
	s_wait_dscnt 0x6
	v_fmac_f32_e32 v25, v46, v33
	v_fmac_f32_e32 v26, v45, v33
	ds_load_2addr_b32 v[45:46], v18 offset0:160 offset1:176
	s_wait_dscnt 0x6
	v_fmac_f32_e32 v27, v48, v30
	v_fmac_f32_e32 v28, v47, v30
	v_fmac_f32_e32 v25, v48, v34
	v_fmac_f32_e32 v26, v47, v34
	ds_load_2addr_b32 v[29:30], v18 offset0:192 offset1:208
	s_wait_dscnt 0x6
	v_fmac_f32_e32 v27, v50, v31
	v_fmac_f32_e32 v28, v49, v31
	v_fmac_f32_e32 v25, v50, v35
	v_fmac_f32_e32 v26, v49, v35
	ds_load_2addr_b32 v[33:34], v18 offset0:224 offset1:240
	s_wait_dscnt 0x6
	v_fmac_f32_e32 v27, v52, v32
	v_fmac_f32_e32 v28, v51, v32
	v_fmac_f32_e32 v25, v52, v36
	v_fmac_f32_e32 v26, v51, v36
	s_wait_loadcnt_dscnt 0x0
	v_fmac_f32_e32 v27, v54, v37
	v_fmac_f32_e32 v28, v53, v37
	;; [unrolled: 1-line block ×4, first 2 shown]
	s_barrier_signal -1
	v_fmac_f32_e32 v27, v46, v38
	v_fmac_f32_e32 v28, v45, v38
	;; [unrolled: 1-line block ×4, first 2 shown]
	s_barrier_wait -1
	v_fmac_f32_e32 v27, v30, v39
	v_fmac_f32_e32 v28, v29, v39
	;; [unrolled: 1-line block ×4, first 2 shown]
	global_inv scope:SCOPE_SE
	v_fmac_f32_e32 v27, v34, v40
	v_fmac_f32_e32 v28, v33, v40
	;; [unrolled: 1-line block ×4, first 2 shown]
	s_cbranch_scc0 .LBB319_13
.LBB319_9:                              ;   Parent Loop BB319_6 Depth=1
                                        ; =>  This Inner Loop Header: Depth=2
	s_wait_alu 0xfffe
	v_add_nc_u32_e32 v29, s14, v15
	s_delay_alu instid0(VALU_DEP_1)
	v_cmp_gt_i32_e32 vcc_lo, s9, v29
	v_mov_b32_e32 v29, 0
	s_and_b32 s22, s0, vcc_lo
	s_wait_alu 0xfffe
	s_and_saveexec_b32 s15, s22
	s_cbranch_execz .LBB319_11
; %bb.10:                               ;   in Loop: Header=BB319_9 Depth=2
	flat_load_b32 v29, v[10:11]
.LBB319_11:                             ;   in Loop: Header=BB319_9 Depth=2
	s_wait_alu 0xfffe
	s_or_b32 exec_lo, exec_lo, s15
	v_add_nc_u32_e32 v30, s14, v14
	s_wait_loadcnt_dscnt 0x0
	ds_store_b32 v16, v29
	v_cmp_gt_i32_e32 vcc_lo, s9, v30
	v_mov_b32_e32 v30, 0
	s_and_b32 s22, vcc_lo, s1
	s_wait_alu 0xfffe
	s_and_saveexec_b32 s15, s22
	s_cbranch_execz .LBB319_8
; %bb.12:                               ;   in Loop: Header=BB319_9 Depth=2
	flat_load_b32 v30, v[12:13]
	s_branch .LBB319_8
.LBB319_13:                             ;   in Loop: Header=BB319_6 Depth=1
	s_wait_loadcnt 0x0
	v_add_co_u32 v8, vcc_lo, v8, s4
	s_wait_alu 0xfffd
	v_add_co_ci_u32_e64 v9, null, s5, v9, vcc_lo
	s_delay_alu instid0(VALU_DEP_2) | instskip(SKIP_1) | instid1(VALU_DEP_2)
	v_add_co_u32 v10, vcc_lo, v8, v4
	s_wait_alu 0xfffd
	v_add_co_ci_u32_e64 v11, null, v9, v5, vcc_lo
	s_and_saveexec_b32 s14, s29
	s_cbranch_execz .LBB319_17
; %bb.14:                               ;   in Loop: Header=BB319_6 Depth=1
	v_mul_f32_e32 v12, s10, v28
	s_and_b32 vcc_lo, exec_lo, s28
	s_wait_alu 0xfffe
	s_cbranch_vccz .LBB319_28
; %bb.15:                               ;   in Loop: Header=BB319_6 Depth=1
	v_lshlrev_b64_e32 v[28:29], 2, v[0:1]
	s_delay_alu instid0(VALU_DEP_1) | instskip(SKIP_1) | instid1(VALU_DEP_2)
	v_add_co_u32 v28, vcc_lo, v10, v28
	s_wait_alu 0xfffd
	v_add_co_ci_u32_e64 v29, null, v11, v29, vcc_lo
	flat_load_b32 v13, v[28:29]
	s_wait_loadcnt_dscnt 0x0
	v_fma_f32 v13, s11, v13, v12
	flat_store_b32 v[28:29], v13
	s_cbranch_execnz .LBB319_17
.LBB319_16:                             ;   in Loop: Header=BB319_6 Depth=1
	v_lshlrev_b64_e32 v[28:29], 2, v[0:1]
	s_delay_alu instid0(VALU_DEP_1) | instskip(SKIP_1) | instid1(VALU_DEP_2)
	v_add_co_u32 v28, vcc_lo, v10, v28
	s_wait_alu 0xfffd
	v_add_co_ci_u32_e64 v29, null, v11, v29, vcc_lo
	flat_store_b32 v[28:29], v12
.LBB319_17:                             ;   in Loop: Header=BB319_6 Depth=1
	s_wait_alu 0xfffe
	s_or_b32 exec_lo, exec_lo, s14
	s_and_saveexec_b32 s14, s8
	s_cbranch_execz .LBB319_21
; %bb.18:                               ;   in Loop: Header=BB319_6 Depth=1
	v_mul_f32_e32 v12, s10, v27
	s_and_not1_b32 vcc_lo, exec_lo, s28
	s_wait_alu 0xfffe
	s_cbranch_vccnz .LBB319_29
; %bb.19:                               ;   in Loop: Header=BB319_6 Depth=1
	v_lshlrev_b64_e32 v[27:28], 2, v[2:3]
	s_delay_alu instid0(VALU_DEP_1) | instskip(SKIP_1) | instid1(VALU_DEP_2)
	v_add_co_u32 v27, vcc_lo, v10, v27
	s_wait_alu 0xfffd
	v_add_co_ci_u32_e64 v28, null, v11, v28, vcc_lo
	flat_load_b32 v13, v[27:28]
	s_wait_loadcnt_dscnt 0x0
	v_fma_f32 v13, s11, v13, v12
	flat_store_b32 v[27:28], v13
	s_cbranch_execnz .LBB319_21
.LBB319_20:                             ;   in Loop: Header=BB319_6 Depth=1
	v_lshlrev_b64_e32 v[27:28], 2, v[2:3]
	s_delay_alu instid0(VALU_DEP_1) | instskip(SKIP_1) | instid1(VALU_DEP_2)
	v_add_co_u32 v10, vcc_lo, v10, v27
	s_wait_alu 0xfffd
	v_add_co_ci_u32_e64 v11, null, v11, v28, vcc_lo
	flat_store_b32 v[10:11], v12
.LBB319_21:                             ;   in Loop: Header=BB319_6 Depth=1
	s_wait_alu 0xfffe
	s_or_b32 exec_lo, exec_lo, s14
	v_add_co_u32 v10, vcc_lo, v8, v6
	s_wait_alu 0xfffd
	v_add_co_ci_u32_e64 v11, null, v9, v7, vcc_lo
	s_and_saveexec_b32 s14, s18
	s_cbranch_execz .LBB319_25
; %bb.22:                               ;   in Loop: Header=BB319_6 Depth=1
	v_lshlrev_b64_e32 v[8:9], 2, v[0:1]
	v_mul_f32_e32 v12, s10, v26
	s_and_not1_b32 vcc_lo, exec_lo, s28
	s_wait_alu 0xfffe
	s_cbranch_vccnz .LBB319_30
; %bb.23:                               ;   in Loop: Header=BB319_6 Depth=1
	s_delay_alu instid0(VALU_DEP_2)
	v_add_co_u32 v26, vcc_lo, v10, v8
	s_wait_alu 0xfffd
	v_add_co_ci_u32_e64 v27, null, v11, v9, vcc_lo
	flat_load_b32 v13, v[26:27]
	s_wait_loadcnt_dscnt 0x0
	v_fma_f32 v13, s11, v13, v12
	flat_store_b32 v[26:27], v13
	s_cbranch_execnz .LBB319_25
.LBB319_24:                             ;   in Loop: Header=BB319_6 Depth=1
	v_add_co_u32 v8, vcc_lo, v10, v8
	s_wait_alu 0xfffd
	v_add_co_ci_u32_e64 v9, null, v11, v9, vcc_lo
	flat_store_b32 v[8:9], v12
.LBB319_25:                             ;   in Loop: Header=BB319_6 Depth=1
	s_wait_alu 0xfffe
	s_or_b32 exec_lo, exec_lo, s14
	s_and_saveexec_b32 s14, s27
	s_cbranch_execz .LBB319_5
; %bb.26:                               ;   in Loop: Header=BB319_6 Depth=1
	v_lshlrev_b64_e32 v[8:9], 2, v[2:3]
	v_mul_f32_e32 v12, s10, v25
	s_and_not1_b32 vcc_lo, exec_lo, s28
	s_wait_alu 0xfffe
	s_cbranch_vccnz .LBB319_31
; %bb.27:                               ;   in Loop: Header=BB319_6 Depth=1
	s_delay_alu instid0(VALU_DEP_2)
	v_add_co_u32 v25, vcc_lo, v10, v8
	s_wait_alu 0xfffd
	v_add_co_ci_u32_e64 v26, null, v11, v9, vcc_lo
	flat_load_b32 v13, v[25:26]
	s_wait_loadcnt_dscnt 0x0
	v_fma_f32 v13, s11, v13, v12
	flat_store_b32 v[25:26], v13
	s_cbranch_execnz .LBB319_5
	s_branch .LBB319_32
.LBB319_28:                             ;   in Loop: Header=BB319_6 Depth=1
	s_branch .LBB319_16
.LBB319_29:                             ;   in Loop: Header=BB319_6 Depth=1
	s_branch .LBB319_20
.LBB319_30:                             ;   in Loop: Header=BB319_6 Depth=1
	s_branch .LBB319_24
.LBB319_31:                             ;   in Loop: Header=BB319_6 Depth=1
.LBB319_32:                             ;   in Loop: Header=BB319_6 Depth=1
	s_delay_alu instid0(VALU_DEP_2)
	v_add_co_u32 v8, vcc_lo, v10, v8
	s_wait_alu 0xfffd
	v_add_co_ci_u32_e64 v9, null, v11, v9, vcc_lo
	flat_store_b32 v[8:9], v12
	s_branch .LBB319_5
.LBB319_33:
	s_endpgm
	.section	.rodata,"a",@progbits
	.p2align	6, 0x0
	.amdhsa_kernel _ZL29rocblas_internal_gemmt_kernelIiLi16ELi32ELi8ELc84ELc84ELc76ELb0ELb0EffPKPKfPKPfEviT_T9_T10_S7_lS9_S7_lS8_T11_S7_li
		.amdhsa_group_segment_fixed_size 2048
		.amdhsa_private_segment_fixed_size 0
		.amdhsa_kernarg_size 100
		.amdhsa_user_sgpr_count 2
		.amdhsa_user_sgpr_dispatch_ptr 0
		.amdhsa_user_sgpr_queue_ptr 0
		.amdhsa_user_sgpr_kernarg_segment_ptr 1
		.amdhsa_user_sgpr_dispatch_id 0
		.amdhsa_user_sgpr_private_segment_size 0
		.amdhsa_wavefront_size32 1
		.amdhsa_uses_dynamic_stack 0
		.amdhsa_enable_private_segment 0
		.amdhsa_system_sgpr_workgroup_id_x 1
		.amdhsa_system_sgpr_workgroup_id_y 1
		.amdhsa_system_sgpr_workgroup_id_z 1
		.amdhsa_system_sgpr_workgroup_info 0
		.amdhsa_system_vgpr_workitem_id 1
		.amdhsa_next_free_vgpr 55
		.amdhsa_next_free_sgpr 31
		.amdhsa_reserve_vcc 1
		.amdhsa_float_round_mode_32 0
		.amdhsa_float_round_mode_16_64 0
		.amdhsa_float_denorm_mode_32 3
		.amdhsa_float_denorm_mode_16_64 3
		.amdhsa_fp16_overflow 0
		.amdhsa_workgroup_processor_mode 1
		.amdhsa_memory_ordered 1
		.amdhsa_forward_progress 1
		.amdhsa_inst_pref_size 15
		.amdhsa_round_robin_scheduling 0
		.amdhsa_exception_fp_ieee_invalid_op 0
		.amdhsa_exception_fp_denorm_src 0
		.amdhsa_exception_fp_ieee_div_zero 0
		.amdhsa_exception_fp_ieee_overflow 0
		.amdhsa_exception_fp_ieee_underflow 0
		.amdhsa_exception_fp_ieee_inexact 0
		.amdhsa_exception_int_div_zero 0
	.end_amdhsa_kernel
	.section	.text._ZL29rocblas_internal_gemmt_kernelIiLi16ELi32ELi8ELc84ELc84ELc76ELb0ELb0EffPKPKfPKPfEviT_T9_T10_S7_lS9_S7_lS8_T11_S7_li,"axG",@progbits,_ZL29rocblas_internal_gemmt_kernelIiLi16ELi32ELi8ELc84ELc84ELc76ELb0ELb0EffPKPKfPKPfEviT_T9_T10_S7_lS9_S7_lS8_T11_S7_li,comdat
.Lfunc_end319:
	.size	_ZL29rocblas_internal_gemmt_kernelIiLi16ELi32ELi8ELc84ELc84ELc76ELb0ELb0EffPKPKfPKPfEviT_T9_T10_S7_lS9_S7_lS8_T11_S7_li, .Lfunc_end319-_ZL29rocblas_internal_gemmt_kernelIiLi16ELi32ELi8ELc84ELc84ELc76ELb0ELb0EffPKPKfPKPfEviT_T9_T10_S7_lS9_S7_lS8_T11_S7_li
                                        ; -- End function
	.set _ZL29rocblas_internal_gemmt_kernelIiLi16ELi32ELi8ELc84ELc84ELc76ELb0ELb0EffPKPKfPKPfEviT_T9_T10_S7_lS9_S7_lS8_T11_S7_li.num_vgpr, 55
	.set _ZL29rocblas_internal_gemmt_kernelIiLi16ELi32ELi8ELc84ELc84ELc76ELb0ELb0EffPKPKfPKPfEviT_T9_T10_S7_lS9_S7_lS8_T11_S7_li.num_agpr, 0
	.set _ZL29rocblas_internal_gemmt_kernelIiLi16ELi32ELi8ELc84ELc84ELc76ELb0ELb0EffPKPKfPKPfEviT_T9_T10_S7_lS9_S7_lS8_T11_S7_li.numbered_sgpr, 31
	.set _ZL29rocblas_internal_gemmt_kernelIiLi16ELi32ELi8ELc84ELc84ELc76ELb0ELb0EffPKPKfPKPfEviT_T9_T10_S7_lS9_S7_lS8_T11_S7_li.num_named_barrier, 0
	.set _ZL29rocblas_internal_gemmt_kernelIiLi16ELi32ELi8ELc84ELc84ELc76ELb0ELb0EffPKPKfPKPfEviT_T9_T10_S7_lS9_S7_lS8_T11_S7_li.private_seg_size, 0
	.set _ZL29rocblas_internal_gemmt_kernelIiLi16ELi32ELi8ELc84ELc84ELc76ELb0ELb0EffPKPKfPKPfEviT_T9_T10_S7_lS9_S7_lS8_T11_S7_li.uses_vcc, 1
	.set _ZL29rocblas_internal_gemmt_kernelIiLi16ELi32ELi8ELc84ELc84ELc76ELb0ELb0EffPKPKfPKPfEviT_T9_T10_S7_lS9_S7_lS8_T11_S7_li.uses_flat_scratch, 0
	.set _ZL29rocblas_internal_gemmt_kernelIiLi16ELi32ELi8ELc84ELc84ELc76ELb0ELb0EffPKPKfPKPfEviT_T9_T10_S7_lS9_S7_lS8_T11_S7_li.has_dyn_sized_stack, 0
	.set _ZL29rocblas_internal_gemmt_kernelIiLi16ELi32ELi8ELc84ELc84ELc76ELb0ELb0EffPKPKfPKPfEviT_T9_T10_S7_lS9_S7_lS8_T11_S7_li.has_recursion, 0
	.set _ZL29rocblas_internal_gemmt_kernelIiLi16ELi32ELi8ELc84ELc84ELc76ELb0ELb0EffPKPKfPKPfEviT_T9_T10_S7_lS9_S7_lS8_T11_S7_li.has_indirect_call, 0
	.section	.AMDGPU.csdata,"",@progbits
; Kernel info:
; codeLenInByte = 1860
; TotalNumSgprs: 33
; NumVgprs: 55
; ScratchSize: 0
; MemoryBound: 0
; FloatMode: 240
; IeeeMode: 1
; LDSByteSize: 2048 bytes/workgroup (compile time only)
; SGPRBlocks: 0
; VGPRBlocks: 6
; NumSGPRsForWavesPerEU: 33
; NumVGPRsForWavesPerEU: 55
; Occupancy: 16
; WaveLimiterHint : 1
; COMPUTE_PGM_RSRC2:SCRATCH_EN: 0
; COMPUTE_PGM_RSRC2:USER_SGPR: 2
; COMPUTE_PGM_RSRC2:TRAP_HANDLER: 0
; COMPUTE_PGM_RSRC2:TGID_X_EN: 1
; COMPUTE_PGM_RSRC2:TGID_Y_EN: 1
; COMPUTE_PGM_RSRC2:TGID_Z_EN: 1
; COMPUTE_PGM_RSRC2:TIDIG_COMP_CNT: 1
	.section	.text._ZL29rocblas_internal_gemmt_kernelIiLi16ELi32ELi8ELc84ELc67ELc76ELb0ELb0EffPKPKfPKPfEviT_T9_T10_S7_lS9_S7_lS8_T11_S7_li,"axG",@progbits,_ZL29rocblas_internal_gemmt_kernelIiLi16ELi32ELi8ELc84ELc67ELc76ELb0ELb0EffPKPKfPKPfEviT_T9_T10_S7_lS9_S7_lS8_T11_S7_li,comdat
	.globl	_ZL29rocblas_internal_gemmt_kernelIiLi16ELi32ELi8ELc84ELc67ELc76ELb0ELb0EffPKPKfPKPfEviT_T9_T10_S7_lS9_S7_lS8_T11_S7_li ; -- Begin function _ZL29rocblas_internal_gemmt_kernelIiLi16ELi32ELi8ELc84ELc67ELc76ELb0ELb0EffPKPKfPKPfEviT_T9_T10_S7_lS9_S7_lS8_T11_S7_li
	.p2align	8
	.type	_ZL29rocblas_internal_gemmt_kernelIiLi16ELi32ELi8ELc84ELc67ELc76ELb0ELb0EffPKPKfPKPfEviT_T9_T10_S7_lS9_S7_lS8_T11_S7_li,@function
_ZL29rocblas_internal_gemmt_kernelIiLi16ELi32ELi8ELc84ELc67ELc76ELb0ELb0EffPKPKfPKPfEviT_T9_T10_S7_lS9_S7_lS8_T11_S7_li: ; @_ZL29rocblas_internal_gemmt_kernelIiLi16ELi32ELi8ELc84ELc67ELc76ELb0ELb0EffPKPKfPKPfEviT_T9_T10_S7_lS9_S7_lS8_T11_S7_li
; %bb.0:
	s_clause 0x1
	s_load_b32 s11, s[0:1], 0x40
	s_load_b96 s[8:10], s[0:1], 0x0
	s_wait_kmcnt 0x0
	s_cmp_neq_f32 s11, 1.0
	s_cselect_b32 s2, -1, 0
	s_delay_alu instid0(SALU_CYCLE_1)
	s_and_b32 vcc_lo, exec_lo, s2
	s_cbranch_vccnz .LBB320_2
; %bb.1:
	s_cmp_lg_u32 s9, 0
	s_cselect_b32 s2, -1, 0
	s_cmp_neq_f32 s10, 0
	s_cselect_b32 s3, -1, 0
	s_delay_alu instid0(SALU_CYCLE_1)
	s_and_b32 s2, s2, s3
.LBB320_2:
	s_delay_alu instid0(SALU_CYCLE_1)
	s_and_not1_b32 vcc_lo, exec_lo, s2
	s_cbranch_vccnz .LBB320_33
; %bb.3:
	s_load_b32 s19, s[0:1], 0x60
	s_lshr_b32 s20, ttmp7, 16
	s_wait_kmcnt 0x0
	s_cmp_ge_u32 s20, s19
	s_cbranch_scc1 .LBB320_33
; %bb.4:
	s_load_b32 s22, s[0:1], 0x30
	v_dual_mov_b32 v20, 0 :: v_dual_and_b32 v1, 0x3ff, v0
	v_bfe_u32 v2, v0, 10, 10
	v_and_b32_e32 v14, 7, v0
	s_clause 0x4
	s_load_b96 s[12:14], s[0:1], 0x10
	s_load_b128 s[4:7], s[0:1], 0x20
	s_load_b64 s[26:27], s[0:1], 0x38
	s_load_b96 s[16:18], s[0:1], 0x48
	s_load_b64 s[24:25], s[0:1], 0x58
	s_lshl_b32 s0, ttmp7, 5
	v_lshl_add_u32 v0, v2, 4, v1
	s_lshl_b32 s2, ttmp9, 5
	s_and_b32 s3, s0, 0x1fffe0
	v_lshlrev_b32_e32 v4, 2, v14
	v_add_nc_u32_e32 v7, s3, v2
	v_and_b32_e32 v3, 31, v0
	v_lshrrev_b32_e32 v5, 3, v0
	v_lshrrev_b32_e32 v15, 5, v0
	v_lshl_add_u32 v19, v2, 5, 0x400
	v_add_nc_u32_e32 v13, 16, v7
	v_lshlrev_b32_e32 v0, 2, v3
	v_or_b32_e32 v6, s2, v3
	s_wait_kmcnt 0x0
	s_ashr_i32 s23, s22, 31
	s_cmp_neq_f32 s10, 0
	v_add_nc_u32_e32 v12, s3, v5
	v_lshl_or_b32 v16, v15, 7, v0
	v_add_nc_u32_e32 v0, s2, v1
	s_cselect_b32 s15, -1, 0
	s_cmp_gt_i32 s9, 0
	v_lshl_or_b32 v3, v5, 5, v4
	s_cselect_b32 s30, -1, 0
	v_cmp_le_i32_e32 vcc_lo, v7, v0
	v_cmp_gt_i32_e64 s2, s8, v0
	v_add_nc_u32_e32 v2, 16, v0
	s_cmp_neq_f32 s11, 0
	v_cmp_gt_i32_e64 s0, s8, v6
	v_mad_co_i64_i32 v[4:5], null, v7, s18, 0
	s_cselect_b32 s28, -1, 0
	s_and_b32 s29, vcc_lo, s2
	v_cmp_le_i32_e32 vcc_lo, v7, v2
	v_mad_co_i64_i32 v[6:7], null, s14, v6, 0
	v_cmp_gt_i32_e64 s3, s8, v2
	v_mad_co_i64_i32 v[8:9], null, s22, v14, 0
	v_cmp_gt_i32_e64 s1, s8, v12
	s_lshl_b64 s[4:5], s[4:5], 2
	s_and_b32 s8, vcc_lo, s3
	v_lshlrev_b64_e32 v[6:7], 2, v[6:7]
	v_cmp_le_i32_e32 vcc_lo, v13, v0
	v_mad_co_i64_i32 v[10:11], null, v13, s18, 0
	v_lshlrev_b64_e32 v[8:9], 2, v[8:9]
	v_lshlrev_b32_e32 v12, 2, v12
	s_and_b32 s18, vcc_lo, s2
	v_add_co_u32 v6, s2, v6, s4
	v_cmp_le_i32_e32 vcc_lo, v13, v2
	s_wait_alu 0xf1ff
	v_add_co_ci_u32_e64 v7, null, s5, v7, s2
	v_lshlrev_b32_e32 v13, 2, v15
	s_lshl_b64 s[4:5], s[26:27], 2
	v_lshlrev_b64_e32 v[4:5], 2, v[4:5]
	s_wait_alu 0xfffe
	v_add_co_u32 v8, s2, v8, s4
	s_wait_alu 0xf1ff
	v_add_co_ci_u32_e64 v9, null, s5, v9, s2
	v_add_co_u32 v21, s2, v6, v13
	s_wait_alu 0xf1ff
	v_add_co_ci_u32_e64 v22, null, 0, v7, s2
	v_add_co_u32 v23, s2, v8, v12
	v_lshlrev_b64_e32 v[6:7], 2, v[10:11]
	v_add_nc_u32_e32 v17, 0x400, v3
	v_lshlrev_b32_e32 v18, 2, v1
	v_ashrrev_i32_e32 v1, 31, v0
	v_ashrrev_i32_e32 v3, 31, v2
	s_wait_alu 0xf1ff
	v_add_co_ci_u32_e64 v24, null, 0, v9, s2
	s_mov_b32 s21, 0
	s_and_b32 s26, s15, s30
	s_and_b32 s27, vcc_lo, s3
	s_lshl_b64 s[2:3], s[22:23], 5
	s_lshl_b64 s[4:5], s[24:25], 2
	s_branch .LBB320_6
.LBB320_5:                              ;   in Loop: Header=BB320_6 Depth=1
	s_wait_alu 0xfffe
	s_or_b32 exec_lo, exec_lo, s14
	s_add_co_i32 s20, s20, 0x10000
	s_delay_alu instid0(SALU_CYCLE_1)
	s_cmp_lt_u32 s20, s19
	s_cbranch_scc0 .LBB320_33
.LBB320_6:                              ; =>This Loop Header: Depth=1
                                        ;     Child Loop BB320_9 Depth 2
	s_lshl_b64 s[14:15], s[20:21], 3
	v_dual_mov_b32 v28, 0 :: v_dual_mov_b32 v27, 0
	s_wait_alu 0xfffe
	s_add_nc_u64 s[22:23], s[16:17], s[14:15]
	v_dual_mov_b32 v26, 0 :: v_dual_mov_b32 v25, 0
	global_load_b64 v[8:9], v20, s[22:23]
	s_and_not1_b32 vcc_lo, exec_lo, s26
	s_wait_alu 0xfffe
	s_cbranch_vccnz .LBB320_13
; %bb.7:                                ;   in Loop: Header=BB320_6 Depth=1
	s_add_nc_u64 s[22:23], s[12:13], s[14:15]
	s_add_nc_u64 s[14:15], s[6:7], s[14:15]
	s_clause 0x1
	global_load_b64 v[10:11], v20, s[22:23]
	global_load_b64 v[12:13], v20, s[14:15]
	v_dual_mov_b32 v25, 0 :: v_dual_mov_b32 v26, 0
	v_dual_mov_b32 v27, 0 :: v_dual_mov_b32 v28, 0
	s_mov_b32 s14, 0
	s_wait_loadcnt 0x1
	v_add_co_u32 v10, vcc_lo, v10, v21
	s_wait_alu 0xfffd
	v_add_co_ci_u32_e64 v11, null, v11, v22, vcc_lo
	s_wait_loadcnt 0x0
	v_add_co_u32 v12, vcc_lo, v12, v23
	s_wait_alu 0xfffd
	v_add_co_ci_u32_e64 v13, null, v13, v24, vcc_lo
	s_branch .LBB320_9
.LBB320_8:                              ;   in Loop: Header=BB320_9 Depth=2
	s_wait_alu 0xfffe
	s_or_b32 exec_lo, exec_lo, s15
	s_wait_loadcnt_dscnt 0x0
	ds_store_b32 v17, v30
	s_wait_dscnt 0x0
	s_barrier_signal -1
	s_barrier_wait -1
	global_inv scope:SCOPE_SE
	ds_load_b128 v[29:32], v19
	ds_load_2addr_b32 v[45:46], v18 offset1:16
	ds_load_b128 v[33:36], v19 offset:512
	ds_load_2addr_b32 v[47:48], v18 offset0:32 offset1:48
	ds_load_2addr_b32 v[49:50], v18 offset0:64 offset1:80
	;; [unrolled: 1-line block ×3, first 2 shown]
	ds_load_b128 v[37:40], v19 offset:16
	ds_load_2addr_b32 v[53:54], v18 offset0:128 offset1:144
	ds_load_b128 v[41:44], v19 offset:528
	v_add_co_u32 v10, vcc_lo, v10, 32
	s_wait_alu 0xfffd
	v_add_co_ci_u32_e64 v11, null, 0, v11, vcc_lo
	v_add_co_u32 v12, vcc_lo, v12, s2
	s_wait_alu 0xfffd
	v_add_co_ci_u32_e64 v13, null, s3, v13, vcc_lo
	s_add_co_i32 s14, s14, 8
	s_wait_alu 0xfffe
	s_cmp_lt_i32 s14, s9
	s_wait_dscnt 0x7
	v_fmac_f32_e32 v27, v46, v29
	v_fmac_f32_e32 v28, v45, v29
	s_wait_dscnt 0x6
	v_fmac_f32_e32 v25, v46, v33
	v_fmac_f32_e32 v26, v45, v33
	ds_load_2addr_b32 v[45:46], v18 offset0:160 offset1:176
	s_wait_dscnt 0x6
	v_fmac_f32_e32 v27, v48, v30
	v_fmac_f32_e32 v28, v47, v30
	v_fmac_f32_e32 v25, v48, v34
	v_fmac_f32_e32 v26, v47, v34
	ds_load_2addr_b32 v[29:30], v18 offset0:192 offset1:208
	s_wait_dscnt 0x6
	v_fmac_f32_e32 v27, v50, v31
	v_fmac_f32_e32 v28, v49, v31
	;; [unrolled: 6-line block ×3, first 2 shown]
	v_fmac_f32_e32 v25, v52, v36
	v_fmac_f32_e32 v26, v51, v36
	s_wait_loadcnt_dscnt 0x0
	v_fmac_f32_e32 v27, v54, v37
	v_fmac_f32_e32 v28, v53, v37
	;; [unrolled: 1-line block ×4, first 2 shown]
	s_barrier_signal -1
	v_fmac_f32_e32 v27, v46, v38
	v_fmac_f32_e32 v28, v45, v38
	;; [unrolled: 1-line block ×4, first 2 shown]
	s_barrier_wait -1
	v_fmac_f32_e32 v27, v30, v39
	v_fmac_f32_e32 v28, v29, v39
	;; [unrolled: 1-line block ×4, first 2 shown]
	global_inv scope:SCOPE_SE
	v_fmac_f32_e32 v27, v34, v40
	v_fmac_f32_e32 v28, v33, v40
	;; [unrolled: 1-line block ×4, first 2 shown]
	s_cbranch_scc0 .LBB320_13
.LBB320_9:                              ;   Parent Loop BB320_6 Depth=1
                                        ; =>  This Inner Loop Header: Depth=2
	s_wait_alu 0xfffe
	v_add_nc_u32_e32 v29, s14, v15
	s_delay_alu instid0(VALU_DEP_1)
	v_cmp_gt_i32_e32 vcc_lo, s9, v29
	v_mov_b32_e32 v29, 0
	s_and_b32 s22, s0, vcc_lo
	s_wait_alu 0xfffe
	s_and_saveexec_b32 s15, s22
	s_cbranch_execz .LBB320_11
; %bb.10:                               ;   in Loop: Header=BB320_9 Depth=2
	flat_load_b32 v29, v[10:11]
.LBB320_11:                             ;   in Loop: Header=BB320_9 Depth=2
	s_wait_alu 0xfffe
	s_or_b32 exec_lo, exec_lo, s15
	v_add_nc_u32_e32 v30, s14, v14
	s_wait_loadcnt_dscnt 0x0
	ds_store_b32 v16, v29
	v_cmp_gt_i32_e32 vcc_lo, s9, v30
	v_mov_b32_e32 v30, 0
	s_and_b32 s22, vcc_lo, s1
	s_wait_alu 0xfffe
	s_and_saveexec_b32 s15, s22
	s_cbranch_execz .LBB320_8
; %bb.12:                               ;   in Loop: Header=BB320_9 Depth=2
	flat_load_b32 v30, v[12:13]
	s_branch .LBB320_8
.LBB320_13:                             ;   in Loop: Header=BB320_6 Depth=1
	s_wait_loadcnt 0x0
	v_add_co_u32 v8, vcc_lo, v8, s4
	s_wait_alu 0xfffd
	v_add_co_ci_u32_e64 v9, null, s5, v9, vcc_lo
	s_delay_alu instid0(VALU_DEP_2) | instskip(SKIP_1) | instid1(VALU_DEP_2)
	v_add_co_u32 v10, vcc_lo, v8, v4
	s_wait_alu 0xfffd
	v_add_co_ci_u32_e64 v11, null, v9, v5, vcc_lo
	s_and_saveexec_b32 s14, s29
	s_cbranch_execz .LBB320_17
; %bb.14:                               ;   in Loop: Header=BB320_6 Depth=1
	v_mul_f32_e32 v12, s10, v28
	s_and_b32 vcc_lo, exec_lo, s28
	s_wait_alu 0xfffe
	s_cbranch_vccz .LBB320_28
; %bb.15:                               ;   in Loop: Header=BB320_6 Depth=1
	v_lshlrev_b64_e32 v[28:29], 2, v[0:1]
	s_delay_alu instid0(VALU_DEP_1) | instskip(SKIP_1) | instid1(VALU_DEP_2)
	v_add_co_u32 v28, vcc_lo, v10, v28
	s_wait_alu 0xfffd
	v_add_co_ci_u32_e64 v29, null, v11, v29, vcc_lo
	flat_load_b32 v13, v[28:29]
	s_wait_loadcnt_dscnt 0x0
	v_fma_f32 v13, s11, v13, v12
	flat_store_b32 v[28:29], v13
	s_cbranch_execnz .LBB320_17
.LBB320_16:                             ;   in Loop: Header=BB320_6 Depth=1
	v_lshlrev_b64_e32 v[28:29], 2, v[0:1]
	s_delay_alu instid0(VALU_DEP_1) | instskip(SKIP_1) | instid1(VALU_DEP_2)
	v_add_co_u32 v28, vcc_lo, v10, v28
	s_wait_alu 0xfffd
	v_add_co_ci_u32_e64 v29, null, v11, v29, vcc_lo
	flat_store_b32 v[28:29], v12
.LBB320_17:                             ;   in Loop: Header=BB320_6 Depth=1
	s_wait_alu 0xfffe
	s_or_b32 exec_lo, exec_lo, s14
	s_and_saveexec_b32 s14, s8
	s_cbranch_execz .LBB320_21
; %bb.18:                               ;   in Loop: Header=BB320_6 Depth=1
	v_mul_f32_e32 v12, s10, v27
	s_and_not1_b32 vcc_lo, exec_lo, s28
	s_wait_alu 0xfffe
	s_cbranch_vccnz .LBB320_29
; %bb.19:                               ;   in Loop: Header=BB320_6 Depth=1
	v_lshlrev_b64_e32 v[27:28], 2, v[2:3]
	s_delay_alu instid0(VALU_DEP_1) | instskip(SKIP_1) | instid1(VALU_DEP_2)
	v_add_co_u32 v27, vcc_lo, v10, v27
	s_wait_alu 0xfffd
	v_add_co_ci_u32_e64 v28, null, v11, v28, vcc_lo
	flat_load_b32 v13, v[27:28]
	s_wait_loadcnt_dscnt 0x0
	v_fma_f32 v13, s11, v13, v12
	flat_store_b32 v[27:28], v13
	s_cbranch_execnz .LBB320_21
.LBB320_20:                             ;   in Loop: Header=BB320_6 Depth=1
	v_lshlrev_b64_e32 v[27:28], 2, v[2:3]
	s_delay_alu instid0(VALU_DEP_1) | instskip(SKIP_1) | instid1(VALU_DEP_2)
	v_add_co_u32 v10, vcc_lo, v10, v27
	s_wait_alu 0xfffd
	v_add_co_ci_u32_e64 v11, null, v11, v28, vcc_lo
	flat_store_b32 v[10:11], v12
.LBB320_21:                             ;   in Loop: Header=BB320_6 Depth=1
	s_wait_alu 0xfffe
	s_or_b32 exec_lo, exec_lo, s14
	v_add_co_u32 v10, vcc_lo, v8, v6
	s_wait_alu 0xfffd
	v_add_co_ci_u32_e64 v11, null, v9, v7, vcc_lo
	s_and_saveexec_b32 s14, s18
	s_cbranch_execz .LBB320_25
; %bb.22:                               ;   in Loop: Header=BB320_6 Depth=1
	v_lshlrev_b64_e32 v[8:9], 2, v[0:1]
	v_mul_f32_e32 v12, s10, v26
	s_and_not1_b32 vcc_lo, exec_lo, s28
	s_wait_alu 0xfffe
	s_cbranch_vccnz .LBB320_30
; %bb.23:                               ;   in Loop: Header=BB320_6 Depth=1
	s_delay_alu instid0(VALU_DEP_2)
	v_add_co_u32 v26, vcc_lo, v10, v8
	s_wait_alu 0xfffd
	v_add_co_ci_u32_e64 v27, null, v11, v9, vcc_lo
	flat_load_b32 v13, v[26:27]
	s_wait_loadcnt_dscnt 0x0
	v_fma_f32 v13, s11, v13, v12
	flat_store_b32 v[26:27], v13
	s_cbranch_execnz .LBB320_25
.LBB320_24:                             ;   in Loop: Header=BB320_6 Depth=1
	v_add_co_u32 v8, vcc_lo, v10, v8
	s_wait_alu 0xfffd
	v_add_co_ci_u32_e64 v9, null, v11, v9, vcc_lo
	flat_store_b32 v[8:9], v12
.LBB320_25:                             ;   in Loop: Header=BB320_6 Depth=1
	s_wait_alu 0xfffe
	s_or_b32 exec_lo, exec_lo, s14
	s_and_saveexec_b32 s14, s27
	s_cbranch_execz .LBB320_5
; %bb.26:                               ;   in Loop: Header=BB320_6 Depth=1
	v_lshlrev_b64_e32 v[8:9], 2, v[2:3]
	v_mul_f32_e32 v12, s10, v25
	s_and_not1_b32 vcc_lo, exec_lo, s28
	s_wait_alu 0xfffe
	s_cbranch_vccnz .LBB320_31
; %bb.27:                               ;   in Loop: Header=BB320_6 Depth=1
	s_delay_alu instid0(VALU_DEP_2)
	v_add_co_u32 v25, vcc_lo, v10, v8
	s_wait_alu 0xfffd
	v_add_co_ci_u32_e64 v26, null, v11, v9, vcc_lo
	flat_load_b32 v13, v[25:26]
	s_wait_loadcnt_dscnt 0x0
	v_fma_f32 v13, s11, v13, v12
	flat_store_b32 v[25:26], v13
	s_cbranch_execnz .LBB320_5
	s_branch .LBB320_32
.LBB320_28:                             ;   in Loop: Header=BB320_6 Depth=1
	s_branch .LBB320_16
.LBB320_29:                             ;   in Loop: Header=BB320_6 Depth=1
	s_branch .LBB320_20
.LBB320_30:                             ;   in Loop: Header=BB320_6 Depth=1
	s_branch .LBB320_24
.LBB320_31:                             ;   in Loop: Header=BB320_6 Depth=1
.LBB320_32:                             ;   in Loop: Header=BB320_6 Depth=1
	s_delay_alu instid0(VALU_DEP_2)
	v_add_co_u32 v8, vcc_lo, v10, v8
	s_wait_alu 0xfffd
	v_add_co_ci_u32_e64 v9, null, v11, v9, vcc_lo
	flat_store_b32 v[8:9], v12
	s_branch .LBB320_5
.LBB320_33:
	s_endpgm
	.section	.rodata,"a",@progbits
	.p2align	6, 0x0
	.amdhsa_kernel _ZL29rocblas_internal_gemmt_kernelIiLi16ELi32ELi8ELc84ELc67ELc76ELb0ELb0EffPKPKfPKPfEviT_T9_T10_S7_lS9_S7_lS8_T11_S7_li
		.amdhsa_group_segment_fixed_size 2048
		.amdhsa_private_segment_fixed_size 0
		.amdhsa_kernarg_size 100
		.amdhsa_user_sgpr_count 2
		.amdhsa_user_sgpr_dispatch_ptr 0
		.amdhsa_user_sgpr_queue_ptr 0
		.amdhsa_user_sgpr_kernarg_segment_ptr 1
		.amdhsa_user_sgpr_dispatch_id 0
		.amdhsa_user_sgpr_private_segment_size 0
		.amdhsa_wavefront_size32 1
		.amdhsa_uses_dynamic_stack 0
		.amdhsa_enable_private_segment 0
		.amdhsa_system_sgpr_workgroup_id_x 1
		.amdhsa_system_sgpr_workgroup_id_y 1
		.amdhsa_system_sgpr_workgroup_id_z 1
		.amdhsa_system_sgpr_workgroup_info 0
		.amdhsa_system_vgpr_workitem_id 1
		.amdhsa_next_free_vgpr 55
		.amdhsa_next_free_sgpr 31
		.amdhsa_reserve_vcc 1
		.amdhsa_float_round_mode_32 0
		.amdhsa_float_round_mode_16_64 0
		.amdhsa_float_denorm_mode_32 3
		.amdhsa_float_denorm_mode_16_64 3
		.amdhsa_fp16_overflow 0
		.amdhsa_workgroup_processor_mode 1
		.amdhsa_memory_ordered 1
		.amdhsa_forward_progress 1
		.amdhsa_inst_pref_size 15
		.amdhsa_round_robin_scheduling 0
		.amdhsa_exception_fp_ieee_invalid_op 0
		.amdhsa_exception_fp_denorm_src 0
		.amdhsa_exception_fp_ieee_div_zero 0
		.amdhsa_exception_fp_ieee_overflow 0
		.amdhsa_exception_fp_ieee_underflow 0
		.amdhsa_exception_fp_ieee_inexact 0
		.amdhsa_exception_int_div_zero 0
	.end_amdhsa_kernel
	.section	.text._ZL29rocblas_internal_gemmt_kernelIiLi16ELi32ELi8ELc84ELc67ELc76ELb0ELb0EffPKPKfPKPfEviT_T9_T10_S7_lS9_S7_lS8_T11_S7_li,"axG",@progbits,_ZL29rocblas_internal_gemmt_kernelIiLi16ELi32ELi8ELc84ELc67ELc76ELb0ELb0EffPKPKfPKPfEviT_T9_T10_S7_lS9_S7_lS8_T11_S7_li,comdat
.Lfunc_end320:
	.size	_ZL29rocblas_internal_gemmt_kernelIiLi16ELi32ELi8ELc84ELc67ELc76ELb0ELb0EffPKPKfPKPfEviT_T9_T10_S7_lS9_S7_lS8_T11_S7_li, .Lfunc_end320-_ZL29rocblas_internal_gemmt_kernelIiLi16ELi32ELi8ELc84ELc67ELc76ELb0ELb0EffPKPKfPKPfEviT_T9_T10_S7_lS9_S7_lS8_T11_S7_li
                                        ; -- End function
	.set _ZL29rocblas_internal_gemmt_kernelIiLi16ELi32ELi8ELc84ELc67ELc76ELb0ELb0EffPKPKfPKPfEviT_T9_T10_S7_lS9_S7_lS8_T11_S7_li.num_vgpr, 55
	.set _ZL29rocblas_internal_gemmt_kernelIiLi16ELi32ELi8ELc84ELc67ELc76ELb0ELb0EffPKPKfPKPfEviT_T9_T10_S7_lS9_S7_lS8_T11_S7_li.num_agpr, 0
	.set _ZL29rocblas_internal_gemmt_kernelIiLi16ELi32ELi8ELc84ELc67ELc76ELb0ELb0EffPKPKfPKPfEviT_T9_T10_S7_lS9_S7_lS8_T11_S7_li.numbered_sgpr, 31
	.set _ZL29rocblas_internal_gemmt_kernelIiLi16ELi32ELi8ELc84ELc67ELc76ELb0ELb0EffPKPKfPKPfEviT_T9_T10_S7_lS9_S7_lS8_T11_S7_li.num_named_barrier, 0
	.set _ZL29rocblas_internal_gemmt_kernelIiLi16ELi32ELi8ELc84ELc67ELc76ELb0ELb0EffPKPKfPKPfEviT_T9_T10_S7_lS9_S7_lS8_T11_S7_li.private_seg_size, 0
	.set _ZL29rocblas_internal_gemmt_kernelIiLi16ELi32ELi8ELc84ELc67ELc76ELb0ELb0EffPKPKfPKPfEviT_T9_T10_S7_lS9_S7_lS8_T11_S7_li.uses_vcc, 1
	.set _ZL29rocblas_internal_gemmt_kernelIiLi16ELi32ELi8ELc84ELc67ELc76ELb0ELb0EffPKPKfPKPfEviT_T9_T10_S7_lS9_S7_lS8_T11_S7_li.uses_flat_scratch, 0
	.set _ZL29rocblas_internal_gemmt_kernelIiLi16ELi32ELi8ELc84ELc67ELc76ELb0ELb0EffPKPKfPKPfEviT_T9_T10_S7_lS9_S7_lS8_T11_S7_li.has_dyn_sized_stack, 0
	.set _ZL29rocblas_internal_gemmt_kernelIiLi16ELi32ELi8ELc84ELc67ELc76ELb0ELb0EffPKPKfPKPfEviT_T9_T10_S7_lS9_S7_lS8_T11_S7_li.has_recursion, 0
	.set _ZL29rocblas_internal_gemmt_kernelIiLi16ELi32ELi8ELc84ELc67ELc76ELb0ELb0EffPKPKfPKPfEviT_T9_T10_S7_lS9_S7_lS8_T11_S7_li.has_indirect_call, 0
	.section	.AMDGPU.csdata,"",@progbits
; Kernel info:
; codeLenInByte = 1860
; TotalNumSgprs: 33
; NumVgprs: 55
; ScratchSize: 0
; MemoryBound: 0
; FloatMode: 240
; IeeeMode: 1
; LDSByteSize: 2048 bytes/workgroup (compile time only)
; SGPRBlocks: 0
; VGPRBlocks: 6
; NumSGPRsForWavesPerEU: 33
; NumVGPRsForWavesPerEU: 55
; Occupancy: 16
; WaveLimiterHint : 1
; COMPUTE_PGM_RSRC2:SCRATCH_EN: 0
; COMPUTE_PGM_RSRC2:USER_SGPR: 2
; COMPUTE_PGM_RSRC2:TRAP_HANDLER: 0
; COMPUTE_PGM_RSRC2:TGID_X_EN: 1
; COMPUTE_PGM_RSRC2:TGID_Y_EN: 1
; COMPUTE_PGM_RSRC2:TGID_Z_EN: 1
; COMPUTE_PGM_RSRC2:TIDIG_COMP_CNT: 1
	.section	.text._ZL29rocblas_internal_gemmt_kernelIiLi16ELi32ELi8ELc67ELc78ELc76ELb0ELb0EffPKPKfPKPfEviT_T9_T10_S7_lS9_S7_lS8_T11_S7_li,"axG",@progbits,_ZL29rocblas_internal_gemmt_kernelIiLi16ELi32ELi8ELc67ELc78ELc76ELb0ELb0EffPKPKfPKPfEviT_T9_T10_S7_lS9_S7_lS8_T11_S7_li,comdat
	.globl	_ZL29rocblas_internal_gemmt_kernelIiLi16ELi32ELi8ELc67ELc78ELc76ELb0ELb0EffPKPKfPKPfEviT_T9_T10_S7_lS9_S7_lS8_T11_S7_li ; -- Begin function _ZL29rocblas_internal_gemmt_kernelIiLi16ELi32ELi8ELc67ELc78ELc76ELb0ELb0EffPKPKfPKPfEviT_T9_T10_S7_lS9_S7_lS8_T11_S7_li
	.p2align	8
	.type	_ZL29rocblas_internal_gemmt_kernelIiLi16ELi32ELi8ELc67ELc78ELc76ELb0ELb0EffPKPKfPKPfEviT_T9_T10_S7_lS9_S7_lS8_T11_S7_li,@function
_ZL29rocblas_internal_gemmt_kernelIiLi16ELi32ELi8ELc67ELc78ELc76ELb0ELb0EffPKPKfPKPfEviT_T9_T10_S7_lS9_S7_lS8_T11_S7_li: ; @_ZL29rocblas_internal_gemmt_kernelIiLi16ELi32ELi8ELc67ELc78ELc76ELb0ELb0EffPKPKfPKPfEviT_T9_T10_S7_lS9_S7_lS8_T11_S7_li
; %bb.0:
	s_clause 0x1
	s_load_b32 s15, s[0:1], 0x40
	s_load_b96 s[12:14], s[0:1], 0x0
	s_wait_kmcnt 0x0
	s_cmp_neq_f32 s15, 1.0
	s_cselect_b32 s2, -1, 0
	s_delay_alu instid0(SALU_CYCLE_1)
	s_and_b32 vcc_lo, exec_lo, s2
	s_cbranch_vccnz .LBB321_2
; %bb.1:
	s_cmp_lg_u32 s13, 0
	s_cselect_b32 s2, -1, 0
	s_cmp_neq_f32 s14, 0
	s_cselect_b32 s3, -1, 0
	s_delay_alu instid0(SALU_CYCLE_1)
	s_and_b32 s2, s2, s3
.LBB321_2:
	s_delay_alu instid0(SALU_CYCLE_1)
	s_and_not1_b32 vcc_lo, exec_lo, s2
	s_cbranch_vccnz .LBB321_33
; %bb.3:
	s_load_b32 s19, s[0:1], 0x60
	s_lshr_b32 s6, ttmp7, 16
	s_wait_kmcnt 0x0
	s_cmp_ge_u32 s6, s19
	s_cbranch_scc1 .LBB321_33
; %bb.4:
	v_dual_mov_b32 v20, 0 :: v_dual_and_b32 v1, 0x3ff, v0
	v_bfe_u32 v2, v0, 10, 10
	s_clause 0x1
	s_load_b96 s[16:18], s[0:1], 0x10
	s_load_b128 s[8:11], s[0:1], 0x20
	v_and_b32_e32 v14, 7, v0
	s_clause 0x3
	s_load_b32 s5, s[0:1], 0x30
	s_load_b64 s[26:27], s[0:1], 0x38
	s_load_b96 s[20:22], s[0:1], 0x48
	s_load_b64 s[24:25], s[0:1], 0x58
	s_lshl_b32 s2, ttmp9, 5
	v_lshl_add_u32 v0, v2, 4, v1
	s_lshl_b32 s0, ttmp7, 5
	v_lshlrev_b32_e32 v12, 2, v14
	s_and_b32 s3, s0, 0x1fffe0
	s_cmp_neq_f32 s14, 0
	v_and_b32_e32 v3, 31, v0
	v_lshrrev_b32_e32 v4, 3, v0
	v_lshrrev_b32_e32 v15, 5, v0
	s_cselect_b32 s28, -1, 0
	s_cmp_gt_i32 s13, 0
	v_or_b32_e32 v6, s2, v3
	v_lshlrev_b32_e32 v0, 2, v3
	v_add_nc_u32_e32 v8, s3, v4
	v_lshl_or_b32 v3, v4, 5, v12
	v_lshl_add_u32 v19, v2, 5, 0x400
	v_cmp_gt_i32_e64 s0, s12, v6
	s_wait_kmcnt 0x0
	v_mad_co_i64_i32 v[6:7], null, s18, v6, 0
	v_lshl_or_b32 v16, v15, 7, v0
	v_add_nc_u32_e32 v0, s2, v1
	v_cmp_gt_i32_e64 s1, s12, v8
	v_mad_co_i64_i32 v[8:9], null, s5, v8, 0
	v_add_nc_u32_e32 v17, 0x400, v3
	v_add_nc_u32_e32 v3, s3, v2
	;; [unrolled: 1-line block ×3, first 2 shown]
	s_cselect_b32 s29, -1, 0
	s_cmp_neq_f32 s15, 0
	v_lshlrev_b64_e32 v[6:7], 2, v[6:7]
	v_cmp_le_i32_e32 vcc_lo, v3, v0
	v_cmp_gt_i32_e64 s2, s12, v0
	v_cmp_le_i32_e64 s3, v3, v2
	v_cmp_gt_i32_e64 s4, s12, v2
	v_add_nc_u32_e32 v13, 16, v3
	s_cselect_b32 s23, -1, 0
	s_lshl_b64 s[8:9], s[8:9], 2
	v_lshlrev_b64_e32 v[8:9], 2, v[8:9]
	v_add_co_u32 v6, s5, v6, s8
	v_mad_co_i64_i32 v[4:5], null, v3, s22, 0
	s_and_b32 s12, vcc_lo, s2
	s_and_b32 s18, s3, s4
	v_mad_co_i64_i32 v[10:11], null, v13, s22, 0
	v_cmp_le_i32_e32 vcc_lo, v13, v0
	v_cmp_le_i32_e64 s3, v13, v2
	v_add_co_ci_u32_e64 v7, null, s9, v7, s5
	v_lshlrev_b32_e32 v13, 2, v15
	s_lshl_b64 s[8:9], s[26:27], 2
	v_lshlrev_b64_e32 v[4:5], 2, v[4:5]
	s_wait_alu 0xfffe
	v_add_co_u32 v8, s5, v8, s8
	s_wait_alu 0xf1ff
	v_add_co_ci_u32_e64 v9, null, s9, v9, s5
	v_add_co_u32 v21, s5, v6, v13
	s_wait_alu 0xf1ff
	v_add_co_ci_u32_e64 v22, null, 0, v7, s5
	v_add_co_u32 v23, s5, v8, v12
	v_lshlrev_b64_e32 v[6:7], 2, v[10:11]
	v_lshlrev_b32_e32 v18, 2, v1
	v_ashrrev_i32_e32 v1, 31, v0
	v_ashrrev_i32_e32 v3, 31, v2
	s_wait_alu 0xf1ff
	v_add_co_ci_u32_e64 v24, null, 0, v9, s5
	s_mov_b32 s7, 0
	s_and_b32 s8, s28, s29
	s_and_b32 s9, vcc_lo, s2
	s_and_b32 s22, s3, s4
	s_lshl_b64 s[2:3], s[24:25], 2
	s_branch .LBB321_6
.LBB321_5:                              ;   in Loop: Header=BB321_6 Depth=1
	s_wait_alu 0xfffe
	s_or_b32 exec_lo, exec_lo, s4
	s_add_co_i32 s6, s6, 0x10000
	s_delay_alu instid0(SALU_CYCLE_1)
	s_cmp_lt_u32 s6, s19
	s_cbranch_scc0 .LBB321_33
.LBB321_6:                              ; =>This Loop Header: Depth=1
                                        ;     Child Loop BB321_9 Depth 2
	s_lshl_b64 s[4:5], s[6:7], 3
	v_dual_mov_b32 v28, 0 :: v_dual_mov_b32 v27, 0
	s_wait_alu 0xfffe
	s_add_nc_u64 s[24:25], s[20:21], s[4:5]
	v_dual_mov_b32 v26, 0 :: v_dual_mov_b32 v25, 0
	global_load_b64 v[8:9], v20, s[24:25]
	s_and_not1_b32 vcc_lo, exec_lo, s8
	s_wait_alu 0xfffe
	s_cbranch_vccnz .LBB321_13
; %bb.7:                                ;   in Loop: Header=BB321_6 Depth=1
	s_add_nc_u64 s[24:25], s[16:17], s[4:5]
	s_add_nc_u64 s[4:5], s[10:11], s[4:5]
	s_clause 0x1
	global_load_b64 v[10:11], v20, s[24:25]
	global_load_b64 v[12:13], v20, s[4:5]
	v_dual_mov_b32 v25, 0 :: v_dual_mov_b32 v26, 0
	v_dual_mov_b32 v27, 0 :: v_dual_mov_b32 v28, 0
	s_mov_b32 s4, 0
	s_wait_loadcnt 0x1
	v_add_co_u32 v10, vcc_lo, v10, v21
	s_wait_alu 0xfffd
	v_add_co_ci_u32_e64 v11, null, v11, v22, vcc_lo
	s_wait_loadcnt 0x0
	v_add_co_u32 v12, vcc_lo, v12, v23
	s_wait_alu 0xfffd
	v_add_co_ci_u32_e64 v13, null, v13, v24, vcc_lo
	s_branch .LBB321_9
.LBB321_8:                              ;   in Loop: Header=BB321_9 Depth=2
	s_wait_alu 0xfffe
	s_or_b32 exec_lo, exec_lo, s5
	s_wait_loadcnt_dscnt 0x0
	ds_store_b32 v17, v30
	s_wait_dscnt 0x0
	s_barrier_signal -1
	s_barrier_wait -1
	global_inv scope:SCOPE_SE
	ds_load_b128 v[29:32], v19
	ds_load_2addr_b32 v[45:46], v18 offset1:16
	ds_load_b128 v[33:36], v19 offset:512
	ds_load_2addr_b32 v[47:48], v18 offset0:32 offset1:48
	ds_load_2addr_b32 v[49:50], v18 offset0:64 offset1:80
	;; [unrolled: 1-line block ×3, first 2 shown]
	ds_load_b128 v[37:40], v19 offset:16
	ds_load_2addr_b32 v[53:54], v18 offset0:128 offset1:144
	ds_load_b128 v[41:44], v19 offset:528
	v_add_co_u32 v10, vcc_lo, v10, 32
	s_wait_alu 0xfffd
	v_add_co_ci_u32_e64 v11, null, 0, v11, vcc_lo
	v_add_co_u32 v12, vcc_lo, v12, 32
	s_wait_alu 0xfffd
	v_add_co_ci_u32_e64 v13, null, 0, v13, vcc_lo
	s_add_co_i32 s4, s4, 8
	s_wait_alu 0xfffe
	s_cmp_lt_i32 s4, s13
	s_wait_dscnt 0x7
	v_fmac_f32_e32 v27, v46, v29
	v_fmac_f32_e32 v28, v45, v29
	s_wait_dscnt 0x6
	v_fmac_f32_e32 v25, v46, v33
	v_fmac_f32_e32 v26, v45, v33
	ds_load_2addr_b32 v[45:46], v18 offset0:160 offset1:176
	s_wait_dscnt 0x6
	v_fmac_f32_e32 v27, v48, v30
	v_fmac_f32_e32 v28, v47, v30
	v_fmac_f32_e32 v25, v48, v34
	v_fmac_f32_e32 v26, v47, v34
	ds_load_2addr_b32 v[29:30], v18 offset0:192 offset1:208
	s_wait_dscnt 0x6
	v_fmac_f32_e32 v27, v50, v31
	v_fmac_f32_e32 v28, v49, v31
	;; [unrolled: 6-line block ×3, first 2 shown]
	v_fmac_f32_e32 v25, v52, v36
	v_fmac_f32_e32 v26, v51, v36
	s_wait_loadcnt_dscnt 0x0
	v_fmac_f32_e32 v27, v54, v37
	v_fmac_f32_e32 v28, v53, v37
	;; [unrolled: 1-line block ×4, first 2 shown]
	s_barrier_signal -1
	v_fmac_f32_e32 v27, v46, v38
	v_fmac_f32_e32 v28, v45, v38
	;; [unrolled: 1-line block ×4, first 2 shown]
	s_barrier_wait -1
	v_fmac_f32_e32 v27, v30, v39
	v_fmac_f32_e32 v28, v29, v39
	;; [unrolled: 1-line block ×4, first 2 shown]
	global_inv scope:SCOPE_SE
	v_fmac_f32_e32 v27, v34, v40
	v_fmac_f32_e32 v28, v33, v40
	;; [unrolled: 1-line block ×4, first 2 shown]
	s_cbranch_scc0 .LBB321_13
.LBB321_9:                              ;   Parent Loop BB321_6 Depth=1
                                        ; =>  This Inner Loop Header: Depth=2
	s_wait_alu 0xfffe
	v_add_nc_u32_e32 v29, s4, v15
	s_delay_alu instid0(VALU_DEP_1) | instskip(SKIP_2) | instid1(SALU_CYCLE_1)
	v_cmp_gt_i32_e32 vcc_lo, s13, v29
	v_mov_b32_e32 v29, 0
	s_and_b32 s24, s0, vcc_lo
	s_and_saveexec_b32 s5, s24
	s_cbranch_execz .LBB321_11
; %bb.10:                               ;   in Loop: Header=BB321_9 Depth=2
	flat_load_b32 v29, v[10:11]
.LBB321_11:                             ;   in Loop: Header=BB321_9 Depth=2
	s_wait_alu 0xfffe
	s_or_b32 exec_lo, exec_lo, s5
	v_add_nc_u32_e32 v30, s4, v14
	s_wait_loadcnt_dscnt 0x0
	ds_store_b32 v16, v29
	v_cmp_gt_i32_e32 vcc_lo, s13, v30
	v_mov_b32_e32 v30, 0
	s_and_b32 s24, vcc_lo, s1
	s_delay_alu instid0(SALU_CYCLE_1)
	s_and_saveexec_b32 s5, s24
	s_cbranch_execz .LBB321_8
; %bb.12:                               ;   in Loop: Header=BB321_9 Depth=2
	flat_load_b32 v30, v[12:13]
	s_branch .LBB321_8
.LBB321_13:                             ;   in Loop: Header=BB321_6 Depth=1
	s_wait_loadcnt 0x0
	v_add_co_u32 v8, vcc_lo, v8, s2
	s_wait_alu 0xfffd
	v_add_co_ci_u32_e64 v9, null, s3, v9, vcc_lo
	s_delay_alu instid0(VALU_DEP_2) | instskip(SKIP_1) | instid1(VALU_DEP_2)
	v_add_co_u32 v10, vcc_lo, v8, v4
	s_wait_alu 0xfffd
	v_add_co_ci_u32_e64 v11, null, v9, v5, vcc_lo
	s_and_saveexec_b32 s4, s12
	s_cbranch_execz .LBB321_17
; %bb.14:                               ;   in Loop: Header=BB321_6 Depth=1
	v_mul_f32_e32 v12, s14, v28
	s_and_b32 vcc_lo, exec_lo, s23
	s_wait_alu 0xfffe
	s_cbranch_vccz .LBB321_28
; %bb.15:                               ;   in Loop: Header=BB321_6 Depth=1
	v_lshlrev_b64_e32 v[28:29], 2, v[0:1]
	s_delay_alu instid0(VALU_DEP_1) | instskip(SKIP_1) | instid1(VALU_DEP_2)
	v_add_co_u32 v28, vcc_lo, v10, v28
	s_wait_alu 0xfffd
	v_add_co_ci_u32_e64 v29, null, v11, v29, vcc_lo
	flat_load_b32 v13, v[28:29]
	s_wait_loadcnt_dscnt 0x0
	v_fma_f32 v13, s15, v13, v12
	flat_store_b32 v[28:29], v13
	s_cbranch_execnz .LBB321_17
.LBB321_16:                             ;   in Loop: Header=BB321_6 Depth=1
	v_lshlrev_b64_e32 v[28:29], 2, v[0:1]
	s_delay_alu instid0(VALU_DEP_1) | instskip(SKIP_1) | instid1(VALU_DEP_2)
	v_add_co_u32 v28, vcc_lo, v10, v28
	s_wait_alu 0xfffd
	v_add_co_ci_u32_e64 v29, null, v11, v29, vcc_lo
	flat_store_b32 v[28:29], v12
.LBB321_17:                             ;   in Loop: Header=BB321_6 Depth=1
	s_wait_alu 0xfffe
	s_or_b32 exec_lo, exec_lo, s4
	s_and_saveexec_b32 s4, s18
	s_cbranch_execz .LBB321_21
; %bb.18:                               ;   in Loop: Header=BB321_6 Depth=1
	v_mul_f32_e32 v12, s14, v27
	s_and_not1_b32 vcc_lo, exec_lo, s23
	s_wait_alu 0xfffe
	s_cbranch_vccnz .LBB321_29
; %bb.19:                               ;   in Loop: Header=BB321_6 Depth=1
	v_lshlrev_b64_e32 v[27:28], 2, v[2:3]
	s_delay_alu instid0(VALU_DEP_1) | instskip(SKIP_1) | instid1(VALU_DEP_2)
	v_add_co_u32 v27, vcc_lo, v10, v27
	s_wait_alu 0xfffd
	v_add_co_ci_u32_e64 v28, null, v11, v28, vcc_lo
	flat_load_b32 v13, v[27:28]
	s_wait_loadcnt_dscnt 0x0
	v_fma_f32 v13, s15, v13, v12
	flat_store_b32 v[27:28], v13
	s_cbranch_execnz .LBB321_21
.LBB321_20:                             ;   in Loop: Header=BB321_6 Depth=1
	v_lshlrev_b64_e32 v[27:28], 2, v[2:3]
	s_delay_alu instid0(VALU_DEP_1) | instskip(SKIP_1) | instid1(VALU_DEP_2)
	v_add_co_u32 v10, vcc_lo, v10, v27
	s_wait_alu 0xfffd
	v_add_co_ci_u32_e64 v11, null, v11, v28, vcc_lo
	flat_store_b32 v[10:11], v12
.LBB321_21:                             ;   in Loop: Header=BB321_6 Depth=1
	s_wait_alu 0xfffe
	s_or_b32 exec_lo, exec_lo, s4
	v_add_co_u32 v10, vcc_lo, v8, v6
	s_wait_alu 0xfffd
	v_add_co_ci_u32_e64 v11, null, v9, v7, vcc_lo
	s_and_saveexec_b32 s4, s9
	s_cbranch_execz .LBB321_25
; %bb.22:                               ;   in Loop: Header=BB321_6 Depth=1
	v_lshlrev_b64_e32 v[8:9], 2, v[0:1]
	v_mul_f32_e32 v12, s14, v26
	s_and_not1_b32 vcc_lo, exec_lo, s23
	s_wait_alu 0xfffe
	s_cbranch_vccnz .LBB321_30
; %bb.23:                               ;   in Loop: Header=BB321_6 Depth=1
	s_delay_alu instid0(VALU_DEP_2)
	v_add_co_u32 v26, vcc_lo, v10, v8
	s_wait_alu 0xfffd
	v_add_co_ci_u32_e64 v27, null, v11, v9, vcc_lo
	flat_load_b32 v13, v[26:27]
	s_wait_loadcnt_dscnt 0x0
	v_fma_f32 v13, s15, v13, v12
	flat_store_b32 v[26:27], v13
	s_cbranch_execnz .LBB321_25
.LBB321_24:                             ;   in Loop: Header=BB321_6 Depth=1
	v_add_co_u32 v8, vcc_lo, v10, v8
	s_wait_alu 0xfffd
	v_add_co_ci_u32_e64 v9, null, v11, v9, vcc_lo
	flat_store_b32 v[8:9], v12
.LBB321_25:                             ;   in Loop: Header=BB321_6 Depth=1
	s_wait_alu 0xfffe
	s_or_b32 exec_lo, exec_lo, s4
	s_and_saveexec_b32 s4, s22
	s_cbranch_execz .LBB321_5
; %bb.26:                               ;   in Loop: Header=BB321_6 Depth=1
	v_lshlrev_b64_e32 v[8:9], 2, v[2:3]
	v_mul_f32_e32 v12, s14, v25
	s_and_not1_b32 vcc_lo, exec_lo, s23
	s_wait_alu 0xfffe
	s_cbranch_vccnz .LBB321_31
; %bb.27:                               ;   in Loop: Header=BB321_6 Depth=1
	s_delay_alu instid0(VALU_DEP_2)
	v_add_co_u32 v25, vcc_lo, v10, v8
	s_wait_alu 0xfffd
	v_add_co_ci_u32_e64 v26, null, v11, v9, vcc_lo
	flat_load_b32 v13, v[25:26]
	s_wait_loadcnt_dscnt 0x0
	v_fma_f32 v13, s15, v13, v12
	flat_store_b32 v[25:26], v13
	s_cbranch_execnz .LBB321_5
	s_branch .LBB321_32
.LBB321_28:                             ;   in Loop: Header=BB321_6 Depth=1
	s_branch .LBB321_16
.LBB321_29:                             ;   in Loop: Header=BB321_6 Depth=1
	s_branch .LBB321_20
.LBB321_30:                             ;   in Loop: Header=BB321_6 Depth=1
	s_branch .LBB321_24
.LBB321_31:                             ;   in Loop: Header=BB321_6 Depth=1
.LBB321_32:                             ;   in Loop: Header=BB321_6 Depth=1
	s_delay_alu instid0(VALU_DEP_2)
	v_add_co_u32 v8, vcc_lo, v10, v8
	s_wait_alu 0xfffd
	v_add_co_ci_u32_e64 v9, null, v11, v9, vcc_lo
	flat_store_b32 v[8:9], v12
	s_branch .LBB321_5
.LBB321_33:
	s_endpgm
	.section	.rodata,"a",@progbits
	.p2align	6, 0x0
	.amdhsa_kernel _ZL29rocblas_internal_gemmt_kernelIiLi16ELi32ELi8ELc67ELc78ELc76ELb0ELb0EffPKPKfPKPfEviT_T9_T10_S7_lS9_S7_lS8_T11_S7_li
		.amdhsa_group_segment_fixed_size 2048
		.amdhsa_private_segment_fixed_size 0
		.amdhsa_kernarg_size 100
		.amdhsa_user_sgpr_count 2
		.amdhsa_user_sgpr_dispatch_ptr 0
		.amdhsa_user_sgpr_queue_ptr 0
		.amdhsa_user_sgpr_kernarg_segment_ptr 1
		.amdhsa_user_sgpr_dispatch_id 0
		.amdhsa_user_sgpr_private_segment_size 0
		.amdhsa_wavefront_size32 1
		.amdhsa_uses_dynamic_stack 0
		.amdhsa_enable_private_segment 0
		.amdhsa_system_sgpr_workgroup_id_x 1
		.amdhsa_system_sgpr_workgroup_id_y 1
		.amdhsa_system_sgpr_workgroup_id_z 1
		.amdhsa_system_sgpr_workgroup_info 0
		.amdhsa_system_vgpr_workitem_id 1
		.amdhsa_next_free_vgpr 55
		.amdhsa_next_free_sgpr 30
		.amdhsa_reserve_vcc 1
		.amdhsa_float_round_mode_32 0
		.amdhsa_float_round_mode_16_64 0
		.amdhsa_float_denorm_mode_32 3
		.amdhsa_float_denorm_mode_16_64 3
		.amdhsa_fp16_overflow 0
		.amdhsa_workgroup_processor_mode 1
		.amdhsa_memory_ordered 1
		.amdhsa_forward_progress 1
		.amdhsa_inst_pref_size 15
		.amdhsa_round_robin_scheduling 0
		.amdhsa_exception_fp_ieee_invalid_op 0
		.amdhsa_exception_fp_denorm_src 0
		.amdhsa_exception_fp_ieee_div_zero 0
		.amdhsa_exception_fp_ieee_overflow 0
		.amdhsa_exception_fp_ieee_underflow 0
		.amdhsa_exception_fp_ieee_inexact 0
		.amdhsa_exception_int_div_zero 0
	.end_amdhsa_kernel
	.section	.text._ZL29rocblas_internal_gemmt_kernelIiLi16ELi32ELi8ELc67ELc78ELc76ELb0ELb0EffPKPKfPKPfEviT_T9_T10_S7_lS9_S7_lS8_T11_S7_li,"axG",@progbits,_ZL29rocblas_internal_gemmt_kernelIiLi16ELi32ELi8ELc67ELc78ELc76ELb0ELb0EffPKPKfPKPfEviT_T9_T10_S7_lS9_S7_lS8_T11_S7_li,comdat
.Lfunc_end321:
	.size	_ZL29rocblas_internal_gemmt_kernelIiLi16ELi32ELi8ELc67ELc78ELc76ELb0ELb0EffPKPKfPKPfEviT_T9_T10_S7_lS9_S7_lS8_T11_S7_li, .Lfunc_end321-_ZL29rocblas_internal_gemmt_kernelIiLi16ELi32ELi8ELc67ELc78ELc76ELb0ELb0EffPKPKfPKPfEviT_T9_T10_S7_lS9_S7_lS8_T11_S7_li
                                        ; -- End function
	.set _ZL29rocblas_internal_gemmt_kernelIiLi16ELi32ELi8ELc67ELc78ELc76ELb0ELb0EffPKPKfPKPfEviT_T9_T10_S7_lS9_S7_lS8_T11_S7_li.num_vgpr, 55
	.set _ZL29rocblas_internal_gemmt_kernelIiLi16ELi32ELi8ELc67ELc78ELc76ELb0ELb0EffPKPKfPKPfEviT_T9_T10_S7_lS9_S7_lS8_T11_S7_li.num_agpr, 0
	.set _ZL29rocblas_internal_gemmt_kernelIiLi16ELi32ELi8ELc67ELc78ELc76ELb0ELb0EffPKPKfPKPfEviT_T9_T10_S7_lS9_S7_lS8_T11_S7_li.numbered_sgpr, 30
	.set _ZL29rocblas_internal_gemmt_kernelIiLi16ELi32ELi8ELc67ELc78ELc76ELb0ELb0EffPKPKfPKPfEviT_T9_T10_S7_lS9_S7_lS8_T11_S7_li.num_named_barrier, 0
	.set _ZL29rocblas_internal_gemmt_kernelIiLi16ELi32ELi8ELc67ELc78ELc76ELb0ELb0EffPKPKfPKPfEviT_T9_T10_S7_lS9_S7_lS8_T11_S7_li.private_seg_size, 0
	.set _ZL29rocblas_internal_gemmt_kernelIiLi16ELi32ELi8ELc67ELc78ELc76ELb0ELb0EffPKPKfPKPfEviT_T9_T10_S7_lS9_S7_lS8_T11_S7_li.uses_vcc, 1
	.set _ZL29rocblas_internal_gemmt_kernelIiLi16ELi32ELi8ELc67ELc78ELc76ELb0ELb0EffPKPKfPKPfEviT_T9_T10_S7_lS9_S7_lS8_T11_S7_li.uses_flat_scratch, 0
	.set _ZL29rocblas_internal_gemmt_kernelIiLi16ELi32ELi8ELc67ELc78ELc76ELb0ELb0EffPKPKfPKPfEviT_T9_T10_S7_lS9_S7_lS8_T11_S7_li.has_dyn_sized_stack, 0
	.set _ZL29rocblas_internal_gemmt_kernelIiLi16ELi32ELi8ELc67ELc78ELc76ELb0ELb0EffPKPKfPKPfEviT_T9_T10_S7_lS9_S7_lS8_T11_S7_li.has_recursion, 0
	.set _ZL29rocblas_internal_gemmt_kernelIiLi16ELi32ELi8ELc67ELc78ELc76ELb0ELb0EffPKPKfPKPfEviT_T9_T10_S7_lS9_S7_lS8_T11_S7_li.has_indirect_call, 0
	.section	.AMDGPU.csdata,"",@progbits
; Kernel info:
; codeLenInByte = 1852
; TotalNumSgprs: 32
; NumVgprs: 55
; ScratchSize: 0
; MemoryBound: 0
; FloatMode: 240
; IeeeMode: 1
; LDSByteSize: 2048 bytes/workgroup (compile time only)
; SGPRBlocks: 0
; VGPRBlocks: 6
; NumSGPRsForWavesPerEU: 32
; NumVGPRsForWavesPerEU: 55
; Occupancy: 16
; WaveLimiterHint : 1
; COMPUTE_PGM_RSRC2:SCRATCH_EN: 0
; COMPUTE_PGM_RSRC2:USER_SGPR: 2
; COMPUTE_PGM_RSRC2:TRAP_HANDLER: 0
; COMPUTE_PGM_RSRC2:TGID_X_EN: 1
; COMPUTE_PGM_RSRC2:TGID_Y_EN: 1
; COMPUTE_PGM_RSRC2:TGID_Z_EN: 1
; COMPUTE_PGM_RSRC2:TIDIG_COMP_CNT: 1
	.section	.text._ZL29rocblas_internal_gemmt_kernelIiLi16ELi32ELi8ELc67ELc84ELc76ELb0ELb0EffPKPKfPKPfEviT_T9_T10_S7_lS9_S7_lS8_T11_S7_li,"axG",@progbits,_ZL29rocblas_internal_gemmt_kernelIiLi16ELi32ELi8ELc67ELc84ELc76ELb0ELb0EffPKPKfPKPfEviT_T9_T10_S7_lS9_S7_lS8_T11_S7_li,comdat
	.globl	_ZL29rocblas_internal_gemmt_kernelIiLi16ELi32ELi8ELc67ELc84ELc76ELb0ELb0EffPKPKfPKPfEviT_T9_T10_S7_lS9_S7_lS8_T11_S7_li ; -- Begin function _ZL29rocblas_internal_gemmt_kernelIiLi16ELi32ELi8ELc67ELc84ELc76ELb0ELb0EffPKPKfPKPfEviT_T9_T10_S7_lS9_S7_lS8_T11_S7_li
	.p2align	8
	.type	_ZL29rocblas_internal_gemmt_kernelIiLi16ELi32ELi8ELc67ELc84ELc76ELb0ELb0EffPKPKfPKPfEviT_T9_T10_S7_lS9_S7_lS8_T11_S7_li,@function
_ZL29rocblas_internal_gemmt_kernelIiLi16ELi32ELi8ELc67ELc84ELc76ELb0ELb0EffPKPKfPKPfEviT_T9_T10_S7_lS9_S7_lS8_T11_S7_li: ; @_ZL29rocblas_internal_gemmt_kernelIiLi16ELi32ELi8ELc67ELc84ELc76ELb0ELb0EffPKPKfPKPfEviT_T9_T10_S7_lS9_S7_lS8_T11_S7_li
; %bb.0:
	s_clause 0x1
	s_load_b32 s11, s[0:1], 0x40
	s_load_b96 s[8:10], s[0:1], 0x0
	s_wait_kmcnt 0x0
	s_cmp_neq_f32 s11, 1.0
	s_cselect_b32 s2, -1, 0
	s_delay_alu instid0(SALU_CYCLE_1)
	s_and_b32 vcc_lo, exec_lo, s2
	s_cbranch_vccnz .LBB322_2
; %bb.1:
	s_cmp_lg_u32 s9, 0
	s_cselect_b32 s2, -1, 0
	s_cmp_neq_f32 s10, 0
	s_cselect_b32 s3, -1, 0
	s_delay_alu instid0(SALU_CYCLE_1)
	s_and_b32 s2, s2, s3
.LBB322_2:
	s_delay_alu instid0(SALU_CYCLE_1)
	s_and_not1_b32 vcc_lo, exec_lo, s2
	s_cbranch_vccnz .LBB322_33
; %bb.3:
	s_load_b32 s19, s[0:1], 0x60
	s_lshr_b32 s20, ttmp7, 16
	s_wait_kmcnt 0x0
	s_cmp_ge_u32 s20, s19
	s_cbranch_scc1 .LBB322_33
; %bb.4:
	s_load_b32 s22, s[0:1], 0x30
	v_dual_mov_b32 v20, 0 :: v_dual_and_b32 v1, 0x3ff, v0
	v_bfe_u32 v2, v0, 10, 10
	v_and_b32_e32 v14, 7, v0
	s_clause 0x4
	s_load_b96 s[12:14], s[0:1], 0x10
	s_load_b128 s[4:7], s[0:1], 0x20
	s_load_b64 s[26:27], s[0:1], 0x38
	s_load_b96 s[16:18], s[0:1], 0x48
	s_load_b64 s[24:25], s[0:1], 0x58
	s_lshl_b32 s0, ttmp7, 5
	v_lshl_add_u32 v0, v2, 4, v1
	s_lshl_b32 s2, ttmp9, 5
	s_and_b32 s3, s0, 0x1fffe0
	v_lshlrev_b32_e32 v4, 2, v14
	v_add_nc_u32_e32 v7, s3, v2
	v_and_b32_e32 v3, 31, v0
	v_lshrrev_b32_e32 v5, 3, v0
	v_lshrrev_b32_e32 v15, 5, v0
	v_lshl_add_u32 v19, v2, 5, 0x400
	v_add_nc_u32_e32 v13, 16, v7
	v_lshlrev_b32_e32 v0, 2, v3
	v_or_b32_e32 v6, s2, v3
	s_wait_kmcnt 0x0
	s_ashr_i32 s23, s22, 31
	s_cmp_neq_f32 s10, 0
	v_add_nc_u32_e32 v12, s3, v5
	v_lshl_or_b32 v16, v15, 7, v0
	v_add_nc_u32_e32 v0, s2, v1
	s_cselect_b32 s15, -1, 0
	s_cmp_gt_i32 s9, 0
	v_lshl_or_b32 v3, v5, 5, v4
	s_cselect_b32 s30, -1, 0
	v_cmp_le_i32_e32 vcc_lo, v7, v0
	v_cmp_gt_i32_e64 s2, s8, v0
	v_add_nc_u32_e32 v2, 16, v0
	s_cmp_neq_f32 s11, 0
	v_cmp_gt_i32_e64 s0, s8, v6
	v_mad_co_i64_i32 v[4:5], null, v7, s18, 0
	s_cselect_b32 s28, -1, 0
	s_and_b32 s29, vcc_lo, s2
	v_cmp_le_i32_e32 vcc_lo, v7, v2
	v_mad_co_i64_i32 v[6:7], null, s14, v6, 0
	v_cmp_gt_i32_e64 s3, s8, v2
	v_mad_co_i64_i32 v[8:9], null, s22, v14, 0
	v_cmp_gt_i32_e64 s1, s8, v12
	s_lshl_b64 s[4:5], s[4:5], 2
	s_and_b32 s8, vcc_lo, s3
	v_lshlrev_b64_e32 v[6:7], 2, v[6:7]
	v_cmp_le_i32_e32 vcc_lo, v13, v0
	v_mad_co_i64_i32 v[10:11], null, v13, s18, 0
	v_lshlrev_b64_e32 v[8:9], 2, v[8:9]
	v_lshlrev_b32_e32 v12, 2, v12
	s_and_b32 s18, vcc_lo, s2
	v_add_co_u32 v6, s2, v6, s4
	v_cmp_le_i32_e32 vcc_lo, v13, v2
	s_wait_alu 0xf1ff
	v_add_co_ci_u32_e64 v7, null, s5, v7, s2
	v_lshlrev_b32_e32 v13, 2, v15
	s_lshl_b64 s[4:5], s[26:27], 2
	v_lshlrev_b64_e32 v[4:5], 2, v[4:5]
	s_wait_alu 0xfffe
	v_add_co_u32 v8, s2, v8, s4
	s_wait_alu 0xf1ff
	v_add_co_ci_u32_e64 v9, null, s5, v9, s2
	v_add_co_u32 v21, s2, v6, v13
	s_wait_alu 0xf1ff
	v_add_co_ci_u32_e64 v22, null, 0, v7, s2
	v_add_co_u32 v23, s2, v8, v12
	v_lshlrev_b64_e32 v[6:7], 2, v[10:11]
	v_add_nc_u32_e32 v17, 0x400, v3
	v_lshlrev_b32_e32 v18, 2, v1
	v_ashrrev_i32_e32 v1, 31, v0
	v_ashrrev_i32_e32 v3, 31, v2
	s_wait_alu 0xf1ff
	v_add_co_ci_u32_e64 v24, null, 0, v9, s2
	s_mov_b32 s21, 0
	s_and_b32 s26, s15, s30
	s_and_b32 s27, vcc_lo, s3
	s_lshl_b64 s[2:3], s[22:23], 5
	s_lshl_b64 s[4:5], s[24:25], 2
	s_branch .LBB322_6
.LBB322_5:                              ;   in Loop: Header=BB322_6 Depth=1
	s_wait_alu 0xfffe
	s_or_b32 exec_lo, exec_lo, s14
	s_add_co_i32 s20, s20, 0x10000
	s_delay_alu instid0(SALU_CYCLE_1)
	s_cmp_lt_u32 s20, s19
	s_cbranch_scc0 .LBB322_33
.LBB322_6:                              ; =>This Loop Header: Depth=1
                                        ;     Child Loop BB322_9 Depth 2
	s_lshl_b64 s[14:15], s[20:21], 3
	v_dual_mov_b32 v28, 0 :: v_dual_mov_b32 v27, 0
	s_wait_alu 0xfffe
	s_add_nc_u64 s[22:23], s[16:17], s[14:15]
	v_dual_mov_b32 v26, 0 :: v_dual_mov_b32 v25, 0
	global_load_b64 v[8:9], v20, s[22:23]
	s_and_not1_b32 vcc_lo, exec_lo, s26
	s_wait_alu 0xfffe
	s_cbranch_vccnz .LBB322_13
; %bb.7:                                ;   in Loop: Header=BB322_6 Depth=1
	s_add_nc_u64 s[22:23], s[12:13], s[14:15]
	s_add_nc_u64 s[14:15], s[6:7], s[14:15]
	s_clause 0x1
	global_load_b64 v[10:11], v20, s[22:23]
	global_load_b64 v[12:13], v20, s[14:15]
	v_dual_mov_b32 v25, 0 :: v_dual_mov_b32 v26, 0
	v_dual_mov_b32 v27, 0 :: v_dual_mov_b32 v28, 0
	s_mov_b32 s14, 0
	s_wait_loadcnt 0x1
	v_add_co_u32 v10, vcc_lo, v10, v21
	s_wait_alu 0xfffd
	v_add_co_ci_u32_e64 v11, null, v11, v22, vcc_lo
	s_wait_loadcnt 0x0
	v_add_co_u32 v12, vcc_lo, v12, v23
	s_wait_alu 0xfffd
	v_add_co_ci_u32_e64 v13, null, v13, v24, vcc_lo
	s_branch .LBB322_9
.LBB322_8:                              ;   in Loop: Header=BB322_9 Depth=2
	s_wait_alu 0xfffe
	s_or_b32 exec_lo, exec_lo, s15
	s_wait_loadcnt_dscnt 0x0
	ds_store_b32 v17, v30
	s_wait_dscnt 0x0
	s_barrier_signal -1
	s_barrier_wait -1
	global_inv scope:SCOPE_SE
	ds_load_b128 v[29:32], v19
	ds_load_2addr_b32 v[45:46], v18 offset1:16
	ds_load_b128 v[33:36], v19 offset:512
	ds_load_2addr_b32 v[47:48], v18 offset0:32 offset1:48
	ds_load_2addr_b32 v[49:50], v18 offset0:64 offset1:80
	;; [unrolled: 1-line block ×3, first 2 shown]
	ds_load_b128 v[37:40], v19 offset:16
	ds_load_2addr_b32 v[53:54], v18 offset0:128 offset1:144
	ds_load_b128 v[41:44], v19 offset:528
	v_add_co_u32 v10, vcc_lo, v10, 32
	s_wait_alu 0xfffd
	v_add_co_ci_u32_e64 v11, null, 0, v11, vcc_lo
	v_add_co_u32 v12, vcc_lo, v12, s2
	s_wait_alu 0xfffd
	v_add_co_ci_u32_e64 v13, null, s3, v13, vcc_lo
	s_add_co_i32 s14, s14, 8
	s_wait_alu 0xfffe
	s_cmp_lt_i32 s14, s9
	s_wait_dscnt 0x7
	v_fmac_f32_e32 v27, v46, v29
	v_fmac_f32_e32 v28, v45, v29
	s_wait_dscnt 0x6
	v_fmac_f32_e32 v25, v46, v33
	v_fmac_f32_e32 v26, v45, v33
	ds_load_2addr_b32 v[45:46], v18 offset0:160 offset1:176
	s_wait_dscnt 0x6
	v_fmac_f32_e32 v27, v48, v30
	v_fmac_f32_e32 v28, v47, v30
	v_fmac_f32_e32 v25, v48, v34
	v_fmac_f32_e32 v26, v47, v34
	ds_load_2addr_b32 v[29:30], v18 offset0:192 offset1:208
	s_wait_dscnt 0x6
	v_fmac_f32_e32 v27, v50, v31
	v_fmac_f32_e32 v28, v49, v31
	;; [unrolled: 6-line block ×3, first 2 shown]
	v_fmac_f32_e32 v25, v52, v36
	v_fmac_f32_e32 v26, v51, v36
	s_wait_loadcnt_dscnt 0x0
	v_fmac_f32_e32 v27, v54, v37
	v_fmac_f32_e32 v28, v53, v37
	v_fmac_f32_e32 v25, v54, v41
	v_fmac_f32_e32 v26, v53, v41
	s_barrier_signal -1
	v_fmac_f32_e32 v27, v46, v38
	v_fmac_f32_e32 v28, v45, v38
	;; [unrolled: 1-line block ×4, first 2 shown]
	s_barrier_wait -1
	v_fmac_f32_e32 v27, v30, v39
	v_fmac_f32_e32 v28, v29, v39
	;; [unrolled: 1-line block ×4, first 2 shown]
	global_inv scope:SCOPE_SE
	v_fmac_f32_e32 v27, v34, v40
	v_fmac_f32_e32 v28, v33, v40
	;; [unrolled: 1-line block ×4, first 2 shown]
	s_cbranch_scc0 .LBB322_13
.LBB322_9:                              ;   Parent Loop BB322_6 Depth=1
                                        ; =>  This Inner Loop Header: Depth=2
	s_wait_alu 0xfffe
	v_add_nc_u32_e32 v29, s14, v15
	s_delay_alu instid0(VALU_DEP_1)
	v_cmp_gt_i32_e32 vcc_lo, s9, v29
	v_mov_b32_e32 v29, 0
	s_and_b32 s22, s0, vcc_lo
	s_wait_alu 0xfffe
	s_and_saveexec_b32 s15, s22
	s_cbranch_execz .LBB322_11
; %bb.10:                               ;   in Loop: Header=BB322_9 Depth=2
	flat_load_b32 v29, v[10:11]
.LBB322_11:                             ;   in Loop: Header=BB322_9 Depth=2
	s_wait_alu 0xfffe
	s_or_b32 exec_lo, exec_lo, s15
	v_add_nc_u32_e32 v30, s14, v14
	s_wait_loadcnt_dscnt 0x0
	ds_store_b32 v16, v29
	v_cmp_gt_i32_e32 vcc_lo, s9, v30
	v_mov_b32_e32 v30, 0
	s_and_b32 s22, vcc_lo, s1
	s_wait_alu 0xfffe
	s_and_saveexec_b32 s15, s22
	s_cbranch_execz .LBB322_8
; %bb.12:                               ;   in Loop: Header=BB322_9 Depth=2
	flat_load_b32 v30, v[12:13]
	s_branch .LBB322_8
.LBB322_13:                             ;   in Loop: Header=BB322_6 Depth=1
	s_wait_loadcnt 0x0
	v_add_co_u32 v8, vcc_lo, v8, s4
	s_wait_alu 0xfffd
	v_add_co_ci_u32_e64 v9, null, s5, v9, vcc_lo
	s_delay_alu instid0(VALU_DEP_2) | instskip(SKIP_1) | instid1(VALU_DEP_2)
	v_add_co_u32 v10, vcc_lo, v8, v4
	s_wait_alu 0xfffd
	v_add_co_ci_u32_e64 v11, null, v9, v5, vcc_lo
	s_and_saveexec_b32 s14, s29
	s_cbranch_execz .LBB322_17
; %bb.14:                               ;   in Loop: Header=BB322_6 Depth=1
	v_mul_f32_e32 v12, s10, v28
	s_and_b32 vcc_lo, exec_lo, s28
	s_wait_alu 0xfffe
	s_cbranch_vccz .LBB322_28
; %bb.15:                               ;   in Loop: Header=BB322_6 Depth=1
	v_lshlrev_b64_e32 v[28:29], 2, v[0:1]
	s_delay_alu instid0(VALU_DEP_1) | instskip(SKIP_1) | instid1(VALU_DEP_2)
	v_add_co_u32 v28, vcc_lo, v10, v28
	s_wait_alu 0xfffd
	v_add_co_ci_u32_e64 v29, null, v11, v29, vcc_lo
	flat_load_b32 v13, v[28:29]
	s_wait_loadcnt_dscnt 0x0
	v_fma_f32 v13, s11, v13, v12
	flat_store_b32 v[28:29], v13
	s_cbranch_execnz .LBB322_17
.LBB322_16:                             ;   in Loop: Header=BB322_6 Depth=1
	v_lshlrev_b64_e32 v[28:29], 2, v[0:1]
	s_delay_alu instid0(VALU_DEP_1) | instskip(SKIP_1) | instid1(VALU_DEP_2)
	v_add_co_u32 v28, vcc_lo, v10, v28
	s_wait_alu 0xfffd
	v_add_co_ci_u32_e64 v29, null, v11, v29, vcc_lo
	flat_store_b32 v[28:29], v12
.LBB322_17:                             ;   in Loop: Header=BB322_6 Depth=1
	s_wait_alu 0xfffe
	s_or_b32 exec_lo, exec_lo, s14
	s_and_saveexec_b32 s14, s8
	s_cbranch_execz .LBB322_21
; %bb.18:                               ;   in Loop: Header=BB322_6 Depth=1
	v_mul_f32_e32 v12, s10, v27
	s_and_not1_b32 vcc_lo, exec_lo, s28
	s_wait_alu 0xfffe
	s_cbranch_vccnz .LBB322_29
; %bb.19:                               ;   in Loop: Header=BB322_6 Depth=1
	v_lshlrev_b64_e32 v[27:28], 2, v[2:3]
	s_delay_alu instid0(VALU_DEP_1) | instskip(SKIP_1) | instid1(VALU_DEP_2)
	v_add_co_u32 v27, vcc_lo, v10, v27
	s_wait_alu 0xfffd
	v_add_co_ci_u32_e64 v28, null, v11, v28, vcc_lo
	flat_load_b32 v13, v[27:28]
	s_wait_loadcnt_dscnt 0x0
	v_fma_f32 v13, s11, v13, v12
	flat_store_b32 v[27:28], v13
	s_cbranch_execnz .LBB322_21
.LBB322_20:                             ;   in Loop: Header=BB322_6 Depth=1
	v_lshlrev_b64_e32 v[27:28], 2, v[2:3]
	s_delay_alu instid0(VALU_DEP_1) | instskip(SKIP_1) | instid1(VALU_DEP_2)
	v_add_co_u32 v10, vcc_lo, v10, v27
	s_wait_alu 0xfffd
	v_add_co_ci_u32_e64 v11, null, v11, v28, vcc_lo
	flat_store_b32 v[10:11], v12
.LBB322_21:                             ;   in Loop: Header=BB322_6 Depth=1
	s_wait_alu 0xfffe
	s_or_b32 exec_lo, exec_lo, s14
	v_add_co_u32 v10, vcc_lo, v8, v6
	s_wait_alu 0xfffd
	v_add_co_ci_u32_e64 v11, null, v9, v7, vcc_lo
	s_and_saveexec_b32 s14, s18
	s_cbranch_execz .LBB322_25
; %bb.22:                               ;   in Loop: Header=BB322_6 Depth=1
	v_lshlrev_b64_e32 v[8:9], 2, v[0:1]
	v_mul_f32_e32 v12, s10, v26
	s_and_not1_b32 vcc_lo, exec_lo, s28
	s_wait_alu 0xfffe
	s_cbranch_vccnz .LBB322_30
; %bb.23:                               ;   in Loop: Header=BB322_6 Depth=1
	s_delay_alu instid0(VALU_DEP_2)
	v_add_co_u32 v26, vcc_lo, v10, v8
	s_wait_alu 0xfffd
	v_add_co_ci_u32_e64 v27, null, v11, v9, vcc_lo
	flat_load_b32 v13, v[26:27]
	s_wait_loadcnt_dscnt 0x0
	v_fma_f32 v13, s11, v13, v12
	flat_store_b32 v[26:27], v13
	s_cbranch_execnz .LBB322_25
.LBB322_24:                             ;   in Loop: Header=BB322_6 Depth=1
	v_add_co_u32 v8, vcc_lo, v10, v8
	s_wait_alu 0xfffd
	v_add_co_ci_u32_e64 v9, null, v11, v9, vcc_lo
	flat_store_b32 v[8:9], v12
.LBB322_25:                             ;   in Loop: Header=BB322_6 Depth=1
	s_wait_alu 0xfffe
	s_or_b32 exec_lo, exec_lo, s14
	s_and_saveexec_b32 s14, s27
	s_cbranch_execz .LBB322_5
; %bb.26:                               ;   in Loop: Header=BB322_6 Depth=1
	v_lshlrev_b64_e32 v[8:9], 2, v[2:3]
	v_mul_f32_e32 v12, s10, v25
	s_and_not1_b32 vcc_lo, exec_lo, s28
	s_wait_alu 0xfffe
	s_cbranch_vccnz .LBB322_31
; %bb.27:                               ;   in Loop: Header=BB322_6 Depth=1
	s_delay_alu instid0(VALU_DEP_2)
	v_add_co_u32 v25, vcc_lo, v10, v8
	s_wait_alu 0xfffd
	v_add_co_ci_u32_e64 v26, null, v11, v9, vcc_lo
	flat_load_b32 v13, v[25:26]
	s_wait_loadcnt_dscnt 0x0
	v_fma_f32 v13, s11, v13, v12
	flat_store_b32 v[25:26], v13
	s_cbranch_execnz .LBB322_5
	s_branch .LBB322_32
.LBB322_28:                             ;   in Loop: Header=BB322_6 Depth=1
	s_branch .LBB322_16
.LBB322_29:                             ;   in Loop: Header=BB322_6 Depth=1
	s_branch .LBB322_20
.LBB322_30:                             ;   in Loop: Header=BB322_6 Depth=1
	s_branch .LBB322_24
.LBB322_31:                             ;   in Loop: Header=BB322_6 Depth=1
.LBB322_32:                             ;   in Loop: Header=BB322_6 Depth=1
	s_delay_alu instid0(VALU_DEP_2)
	v_add_co_u32 v8, vcc_lo, v10, v8
	s_wait_alu 0xfffd
	v_add_co_ci_u32_e64 v9, null, v11, v9, vcc_lo
	flat_store_b32 v[8:9], v12
	s_branch .LBB322_5
.LBB322_33:
	s_endpgm
	.section	.rodata,"a",@progbits
	.p2align	6, 0x0
	.amdhsa_kernel _ZL29rocblas_internal_gemmt_kernelIiLi16ELi32ELi8ELc67ELc84ELc76ELb0ELb0EffPKPKfPKPfEviT_T9_T10_S7_lS9_S7_lS8_T11_S7_li
		.amdhsa_group_segment_fixed_size 2048
		.amdhsa_private_segment_fixed_size 0
		.amdhsa_kernarg_size 100
		.amdhsa_user_sgpr_count 2
		.amdhsa_user_sgpr_dispatch_ptr 0
		.amdhsa_user_sgpr_queue_ptr 0
		.amdhsa_user_sgpr_kernarg_segment_ptr 1
		.amdhsa_user_sgpr_dispatch_id 0
		.amdhsa_user_sgpr_private_segment_size 0
		.amdhsa_wavefront_size32 1
		.amdhsa_uses_dynamic_stack 0
		.amdhsa_enable_private_segment 0
		.amdhsa_system_sgpr_workgroup_id_x 1
		.amdhsa_system_sgpr_workgroup_id_y 1
		.amdhsa_system_sgpr_workgroup_id_z 1
		.amdhsa_system_sgpr_workgroup_info 0
		.amdhsa_system_vgpr_workitem_id 1
		.amdhsa_next_free_vgpr 55
		.amdhsa_next_free_sgpr 31
		.amdhsa_reserve_vcc 1
		.amdhsa_float_round_mode_32 0
		.amdhsa_float_round_mode_16_64 0
		.amdhsa_float_denorm_mode_32 3
		.amdhsa_float_denorm_mode_16_64 3
		.amdhsa_fp16_overflow 0
		.amdhsa_workgroup_processor_mode 1
		.amdhsa_memory_ordered 1
		.amdhsa_forward_progress 1
		.amdhsa_inst_pref_size 15
		.amdhsa_round_robin_scheduling 0
		.amdhsa_exception_fp_ieee_invalid_op 0
		.amdhsa_exception_fp_denorm_src 0
		.amdhsa_exception_fp_ieee_div_zero 0
		.amdhsa_exception_fp_ieee_overflow 0
		.amdhsa_exception_fp_ieee_underflow 0
		.amdhsa_exception_fp_ieee_inexact 0
		.amdhsa_exception_int_div_zero 0
	.end_amdhsa_kernel
	.section	.text._ZL29rocblas_internal_gemmt_kernelIiLi16ELi32ELi8ELc67ELc84ELc76ELb0ELb0EffPKPKfPKPfEviT_T9_T10_S7_lS9_S7_lS8_T11_S7_li,"axG",@progbits,_ZL29rocblas_internal_gemmt_kernelIiLi16ELi32ELi8ELc67ELc84ELc76ELb0ELb0EffPKPKfPKPfEviT_T9_T10_S7_lS9_S7_lS8_T11_S7_li,comdat
.Lfunc_end322:
	.size	_ZL29rocblas_internal_gemmt_kernelIiLi16ELi32ELi8ELc67ELc84ELc76ELb0ELb0EffPKPKfPKPfEviT_T9_T10_S7_lS9_S7_lS8_T11_S7_li, .Lfunc_end322-_ZL29rocblas_internal_gemmt_kernelIiLi16ELi32ELi8ELc67ELc84ELc76ELb0ELb0EffPKPKfPKPfEviT_T9_T10_S7_lS9_S7_lS8_T11_S7_li
                                        ; -- End function
	.set _ZL29rocblas_internal_gemmt_kernelIiLi16ELi32ELi8ELc67ELc84ELc76ELb0ELb0EffPKPKfPKPfEviT_T9_T10_S7_lS9_S7_lS8_T11_S7_li.num_vgpr, 55
	.set _ZL29rocblas_internal_gemmt_kernelIiLi16ELi32ELi8ELc67ELc84ELc76ELb0ELb0EffPKPKfPKPfEviT_T9_T10_S7_lS9_S7_lS8_T11_S7_li.num_agpr, 0
	.set _ZL29rocblas_internal_gemmt_kernelIiLi16ELi32ELi8ELc67ELc84ELc76ELb0ELb0EffPKPKfPKPfEviT_T9_T10_S7_lS9_S7_lS8_T11_S7_li.numbered_sgpr, 31
	.set _ZL29rocblas_internal_gemmt_kernelIiLi16ELi32ELi8ELc67ELc84ELc76ELb0ELb0EffPKPKfPKPfEviT_T9_T10_S7_lS9_S7_lS8_T11_S7_li.num_named_barrier, 0
	.set _ZL29rocblas_internal_gemmt_kernelIiLi16ELi32ELi8ELc67ELc84ELc76ELb0ELb0EffPKPKfPKPfEviT_T9_T10_S7_lS9_S7_lS8_T11_S7_li.private_seg_size, 0
	.set _ZL29rocblas_internal_gemmt_kernelIiLi16ELi32ELi8ELc67ELc84ELc76ELb0ELb0EffPKPKfPKPfEviT_T9_T10_S7_lS9_S7_lS8_T11_S7_li.uses_vcc, 1
	.set _ZL29rocblas_internal_gemmt_kernelIiLi16ELi32ELi8ELc67ELc84ELc76ELb0ELb0EffPKPKfPKPfEviT_T9_T10_S7_lS9_S7_lS8_T11_S7_li.uses_flat_scratch, 0
	.set _ZL29rocblas_internal_gemmt_kernelIiLi16ELi32ELi8ELc67ELc84ELc76ELb0ELb0EffPKPKfPKPfEviT_T9_T10_S7_lS9_S7_lS8_T11_S7_li.has_dyn_sized_stack, 0
	.set _ZL29rocblas_internal_gemmt_kernelIiLi16ELi32ELi8ELc67ELc84ELc76ELb0ELb0EffPKPKfPKPfEviT_T9_T10_S7_lS9_S7_lS8_T11_S7_li.has_recursion, 0
	.set _ZL29rocblas_internal_gemmt_kernelIiLi16ELi32ELi8ELc67ELc84ELc76ELb0ELb0EffPKPKfPKPfEviT_T9_T10_S7_lS9_S7_lS8_T11_S7_li.has_indirect_call, 0
	.section	.AMDGPU.csdata,"",@progbits
; Kernel info:
; codeLenInByte = 1860
; TotalNumSgprs: 33
; NumVgprs: 55
; ScratchSize: 0
; MemoryBound: 0
; FloatMode: 240
; IeeeMode: 1
; LDSByteSize: 2048 bytes/workgroup (compile time only)
; SGPRBlocks: 0
; VGPRBlocks: 6
; NumSGPRsForWavesPerEU: 33
; NumVGPRsForWavesPerEU: 55
; Occupancy: 16
; WaveLimiterHint : 1
; COMPUTE_PGM_RSRC2:SCRATCH_EN: 0
; COMPUTE_PGM_RSRC2:USER_SGPR: 2
; COMPUTE_PGM_RSRC2:TRAP_HANDLER: 0
; COMPUTE_PGM_RSRC2:TGID_X_EN: 1
; COMPUTE_PGM_RSRC2:TGID_Y_EN: 1
; COMPUTE_PGM_RSRC2:TGID_Z_EN: 1
; COMPUTE_PGM_RSRC2:TIDIG_COMP_CNT: 1
	.section	.text._ZL29rocblas_internal_gemmt_kernelIiLi16ELi32ELi8ELc67ELc67ELc76ELb0ELb0EffPKPKfPKPfEviT_T9_T10_S7_lS9_S7_lS8_T11_S7_li,"axG",@progbits,_ZL29rocblas_internal_gemmt_kernelIiLi16ELi32ELi8ELc67ELc67ELc76ELb0ELb0EffPKPKfPKPfEviT_T9_T10_S7_lS9_S7_lS8_T11_S7_li,comdat
	.globl	_ZL29rocblas_internal_gemmt_kernelIiLi16ELi32ELi8ELc67ELc67ELc76ELb0ELb0EffPKPKfPKPfEviT_T9_T10_S7_lS9_S7_lS8_T11_S7_li ; -- Begin function _ZL29rocblas_internal_gemmt_kernelIiLi16ELi32ELi8ELc67ELc67ELc76ELb0ELb0EffPKPKfPKPfEviT_T9_T10_S7_lS9_S7_lS8_T11_S7_li
	.p2align	8
	.type	_ZL29rocblas_internal_gemmt_kernelIiLi16ELi32ELi8ELc67ELc67ELc76ELb0ELb0EffPKPKfPKPfEviT_T9_T10_S7_lS9_S7_lS8_T11_S7_li,@function
_ZL29rocblas_internal_gemmt_kernelIiLi16ELi32ELi8ELc67ELc67ELc76ELb0ELb0EffPKPKfPKPfEviT_T9_T10_S7_lS9_S7_lS8_T11_S7_li: ; @_ZL29rocblas_internal_gemmt_kernelIiLi16ELi32ELi8ELc67ELc67ELc76ELb0ELb0EffPKPKfPKPfEviT_T9_T10_S7_lS9_S7_lS8_T11_S7_li
; %bb.0:
	s_clause 0x1
	s_load_b32 s11, s[0:1], 0x40
	s_load_b96 s[8:10], s[0:1], 0x0
	s_wait_kmcnt 0x0
	s_cmp_neq_f32 s11, 1.0
	s_cselect_b32 s2, -1, 0
	s_delay_alu instid0(SALU_CYCLE_1)
	s_and_b32 vcc_lo, exec_lo, s2
	s_cbranch_vccnz .LBB323_2
; %bb.1:
	s_cmp_lg_u32 s9, 0
	s_cselect_b32 s2, -1, 0
	s_cmp_neq_f32 s10, 0
	s_cselect_b32 s3, -1, 0
	s_delay_alu instid0(SALU_CYCLE_1)
	s_and_b32 s2, s2, s3
.LBB323_2:
	s_delay_alu instid0(SALU_CYCLE_1)
	s_and_not1_b32 vcc_lo, exec_lo, s2
	s_cbranch_vccnz .LBB323_33
; %bb.3:
	s_load_b32 s19, s[0:1], 0x60
	s_lshr_b32 s20, ttmp7, 16
	s_wait_kmcnt 0x0
	s_cmp_ge_u32 s20, s19
	s_cbranch_scc1 .LBB323_33
; %bb.4:
	s_load_b32 s22, s[0:1], 0x30
	v_dual_mov_b32 v20, 0 :: v_dual_and_b32 v1, 0x3ff, v0
	v_bfe_u32 v2, v0, 10, 10
	v_and_b32_e32 v14, 7, v0
	s_clause 0x4
	s_load_b96 s[12:14], s[0:1], 0x10
	s_load_b128 s[4:7], s[0:1], 0x20
	s_load_b64 s[26:27], s[0:1], 0x38
	s_load_b96 s[16:18], s[0:1], 0x48
	s_load_b64 s[24:25], s[0:1], 0x58
	s_lshl_b32 s0, ttmp7, 5
	v_lshl_add_u32 v0, v2, 4, v1
	s_lshl_b32 s2, ttmp9, 5
	s_and_b32 s3, s0, 0x1fffe0
	v_lshlrev_b32_e32 v4, 2, v14
	v_add_nc_u32_e32 v7, s3, v2
	v_and_b32_e32 v3, 31, v0
	v_lshrrev_b32_e32 v5, 3, v0
	v_lshrrev_b32_e32 v15, 5, v0
	v_lshl_add_u32 v19, v2, 5, 0x400
	v_add_nc_u32_e32 v13, 16, v7
	v_lshlrev_b32_e32 v0, 2, v3
	v_or_b32_e32 v6, s2, v3
	s_wait_kmcnt 0x0
	s_ashr_i32 s23, s22, 31
	s_cmp_neq_f32 s10, 0
	v_add_nc_u32_e32 v12, s3, v5
	v_lshl_or_b32 v16, v15, 7, v0
	v_add_nc_u32_e32 v0, s2, v1
	s_cselect_b32 s15, -1, 0
	s_cmp_gt_i32 s9, 0
	v_lshl_or_b32 v3, v5, 5, v4
	s_cselect_b32 s30, -1, 0
	v_cmp_le_i32_e32 vcc_lo, v7, v0
	v_cmp_gt_i32_e64 s2, s8, v0
	v_add_nc_u32_e32 v2, 16, v0
	s_cmp_neq_f32 s11, 0
	v_cmp_gt_i32_e64 s0, s8, v6
	v_mad_co_i64_i32 v[4:5], null, v7, s18, 0
	s_cselect_b32 s28, -1, 0
	s_and_b32 s29, vcc_lo, s2
	v_cmp_le_i32_e32 vcc_lo, v7, v2
	v_mad_co_i64_i32 v[6:7], null, s14, v6, 0
	v_cmp_gt_i32_e64 s3, s8, v2
	v_mad_co_i64_i32 v[8:9], null, s22, v14, 0
	v_cmp_gt_i32_e64 s1, s8, v12
	s_lshl_b64 s[4:5], s[4:5], 2
	s_and_b32 s8, vcc_lo, s3
	v_lshlrev_b64_e32 v[6:7], 2, v[6:7]
	v_cmp_le_i32_e32 vcc_lo, v13, v0
	v_mad_co_i64_i32 v[10:11], null, v13, s18, 0
	v_lshlrev_b64_e32 v[8:9], 2, v[8:9]
	v_lshlrev_b32_e32 v12, 2, v12
	s_and_b32 s18, vcc_lo, s2
	v_add_co_u32 v6, s2, v6, s4
	v_cmp_le_i32_e32 vcc_lo, v13, v2
	s_wait_alu 0xf1ff
	v_add_co_ci_u32_e64 v7, null, s5, v7, s2
	v_lshlrev_b32_e32 v13, 2, v15
	s_lshl_b64 s[4:5], s[26:27], 2
	v_lshlrev_b64_e32 v[4:5], 2, v[4:5]
	s_wait_alu 0xfffe
	v_add_co_u32 v8, s2, v8, s4
	s_wait_alu 0xf1ff
	v_add_co_ci_u32_e64 v9, null, s5, v9, s2
	v_add_co_u32 v21, s2, v6, v13
	s_wait_alu 0xf1ff
	v_add_co_ci_u32_e64 v22, null, 0, v7, s2
	v_add_co_u32 v23, s2, v8, v12
	v_lshlrev_b64_e32 v[6:7], 2, v[10:11]
	v_add_nc_u32_e32 v17, 0x400, v3
	v_lshlrev_b32_e32 v18, 2, v1
	v_ashrrev_i32_e32 v1, 31, v0
	v_ashrrev_i32_e32 v3, 31, v2
	s_wait_alu 0xf1ff
	v_add_co_ci_u32_e64 v24, null, 0, v9, s2
	s_mov_b32 s21, 0
	s_and_b32 s26, s15, s30
	s_and_b32 s27, vcc_lo, s3
	s_lshl_b64 s[2:3], s[22:23], 5
	s_lshl_b64 s[4:5], s[24:25], 2
	s_branch .LBB323_6
.LBB323_5:                              ;   in Loop: Header=BB323_6 Depth=1
	s_wait_alu 0xfffe
	s_or_b32 exec_lo, exec_lo, s14
	s_add_co_i32 s20, s20, 0x10000
	s_delay_alu instid0(SALU_CYCLE_1)
	s_cmp_lt_u32 s20, s19
	s_cbranch_scc0 .LBB323_33
.LBB323_6:                              ; =>This Loop Header: Depth=1
                                        ;     Child Loop BB323_9 Depth 2
	s_lshl_b64 s[14:15], s[20:21], 3
	v_dual_mov_b32 v28, 0 :: v_dual_mov_b32 v27, 0
	s_wait_alu 0xfffe
	s_add_nc_u64 s[22:23], s[16:17], s[14:15]
	v_dual_mov_b32 v26, 0 :: v_dual_mov_b32 v25, 0
	global_load_b64 v[8:9], v20, s[22:23]
	s_and_not1_b32 vcc_lo, exec_lo, s26
	s_wait_alu 0xfffe
	s_cbranch_vccnz .LBB323_13
; %bb.7:                                ;   in Loop: Header=BB323_6 Depth=1
	s_add_nc_u64 s[22:23], s[12:13], s[14:15]
	s_add_nc_u64 s[14:15], s[6:7], s[14:15]
	s_clause 0x1
	global_load_b64 v[10:11], v20, s[22:23]
	global_load_b64 v[12:13], v20, s[14:15]
	v_dual_mov_b32 v25, 0 :: v_dual_mov_b32 v26, 0
	v_dual_mov_b32 v27, 0 :: v_dual_mov_b32 v28, 0
	s_mov_b32 s14, 0
	s_wait_loadcnt 0x1
	v_add_co_u32 v10, vcc_lo, v10, v21
	s_wait_alu 0xfffd
	v_add_co_ci_u32_e64 v11, null, v11, v22, vcc_lo
	s_wait_loadcnt 0x0
	v_add_co_u32 v12, vcc_lo, v12, v23
	s_wait_alu 0xfffd
	v_add_co_ci_u32_e64 v13, null, v13, v24, vcc_lo
	s_branch .LBB323_9
.LBB323_8:                              ;   in Loop: Header=BB323_9 Depth=2
	s_wait_alu 0xfffe
	s_or_b32 exec_lo, exec_lo, s15
	s_wait_loadcnt_dscnt 0x0
	ds_store_b32 v17, v30
	s_wait_dscnt 0x0
	s_barrier_signal -1
	s_barrier_wait -1
	global_inv scope:SCOPE_SE
	ds_load_b128 v[29:32], v19
	ds_load_2addr_b32 v[45:46], v18 offset1:16
	ds_load_b128 v[33:36], v19 offset:512
	ds_load_2addr_b32 v[47:48], v18 offset0:32 offset1:48
	ds_load_2addr_b32 v[49:50], v18 offset0:64 offset1:80
	;; [unrolled: 1-line block ×3, first 2 shown]
	ds_load_b128 v[37:40], v19 offset:16
	ds_load_2addr_b32 v[53:54], v18 offset0:128 offset1:144
	ds_load_b128 v[41:44], v19 offset:528
	v_add_co_u32 v10, vcc_lo, v10, 32
	s_wait_alu 0xfffd
	v_add_co_ci_u32_e64 v11, null, 0, v11, vcc_lo
	v_add_co_u32 v12, vcc_lo, v12, s2
	s_wait_alu 0xfffd
	v_add_co_ci_u32_e64 v13, null, s3, v13, vcc_lo
	s_add_co_i32 s14, s14, 8
	s_wait_alu 0xfffe
	s_cmp_lt_i32 s14, s9
	s_wait_dscnt 0x7
	v_fmac_f32_e32 v27, v46, v29
	v_fmac_f32_e32 v28, v45, v29
	s_wait_dscnt 0x6
	v_fmac_f32_e32 v25, v46, v33
	v_fmac_f32_e32 v26, v45, v33
	ds_load_2addr_b32 v[45:46], v18 offset0:160 offset1:176
	s_wait_dscnt 0x6
	v_fmac_f32_e32 v27, v48, v30
	v_fmac_f32_e32 v28, v47, v30
	v_fmac_f32_e32 v25, v48, v34
	v_fmac_f32_e32 v26, v47, v34
	ds_load_2addr_b32 v[29:30], v18 offset0:192 offset1:208
	s_wait_dscnt 0x6
	v_fmac_f32_e32 v27, v50, v31
	v_fmac_f32_e32 v28, v49, v31
	;; [unrolled: 6-line block ×3, first 2 shown]
	v_fmac_f32_e32 v25, v52, v36
	v_fmac_f32_e32 v26, v51, v36
	s_wait_loadcnt_dscnt 0x0
	v_fmac_f32_e32 v27, v54, v37
	v_fmac_f32_e32 v28, v53, v37
	;; [unrolled: 1-line block ×4, first 2 shown]
	s_barrier_signal -1
	v_fmac_f32_e32 v27, v46, v38
	v_fmac_f32_e32 v28, v45, v38
	;; [unrolled: 1-line block ×4, first 2 shown]
	s_barrier_wait -1
	v_fmac_f32_e32 v27, v30, v39
	v_fmac_f32_e32 v28, v29, v39
	;; [unrolled: 1-line block ×4, first 2 shown]
	global_inv scope:SCOPE_SE
	v_fmac_f32_e32 v27, v34, v40
	v_fmac_f32_e32 v28, v33, v40
	;; [unrolled: 1-line block ×4, first 2 shown]
	s_cbranch_scc0 .LBB323_13
.LBB323_9:                              ;   Parent Loop BB323_6 Depth=1
                                        ; =>  This Inner Loop Header: Depth=2
	s_wait_alu 0xfffe
	v_add_nc_u32_e32 v29, s14, v15
	s_delay_alu instid0(VALU_DEP_1)
	v_cmp_gt_i32_e32 vcc_lo, s9, v29
	v_mov_b32_e32 v29, 0
	s_and_b32 s22, s0, vcc_lo
	s_wait_alu 0xfffe
	s_and_saveexec_b32 s15, s22
	s_cbranch_execz .LBB323_11
; %bb.10:                               ;   in Loop: Header=BB323_9 Depth=2
	flat_load_b32 v29, v[10:11]
.LBB323_11:                             ;   in Loop: Header=BB323_9 Depth=2
	s_wait_alu 0xfffe
	s_or_b32 exec_lo, exec_lo, s15
	v_add_nc_u32_e32 v30, s14, v14
	s_wait_loadcnt_dscnt 0x0
	ds_store_b32 v16, v29
	v_cmp_gt_i32_e32 vcc_lo, s9, v30
	v_mov_b32_e32 v30, 0
	s_and_b32 s22, vcc_lo, s1
	s_wait_alu 0xfffe
	s_and_saveexec_b32 s15, s22
	s_cbranch_execz .LBB323_8
; %bb.12:                               ;   in Loop: Header=BB323_9 Depth=2
	flat_load_b32 v30, v[12:13]
	s_branch .LBB323_8
.LBB323_13:                             ;   in Loop: Header=BB323_6 Depth=1
	s_wait_loadcnt 0x0
	v_add_co_u32 v8, vcc_lo, v8, s4
	s_wait_alu 0xfffd
	v_add_co_ci_u32_e64 v9, null, s5, v9, vcc_lo
	s_delay_alu instid0(VALU_DEP_2) | instskip(SKIP_1) | instid1(VALU_DEP_2)
	v_add_co_u32 v10, vcc_lo, v8, v4
	s_wait_alu 0xfffd
	v_add_co_ci_u32_e64 v11, null, v9, v5, vcc_lo
	s_and_saveexec_b32 s14, s29
	s_cbranch_execz .LBB323_17
; %bb.14:                               ;   in Loop: Header=BB323_6 Depth=1
	v_mul_f32_e32 v12, s10, v28
	s_and_b32 vcc_lo, exec_lo, s28
	s_wait_alu 0xfffe
	s_cbranch_vccz .LBB323_28
; %bb.15:                               ;   in Loop: Header=BB323_6 Depth=1
	v_lshlrev_b64_e32 v[28:29], 2, v[0:1]
	s_delay_alu instid0(VALU_DEP_1) | instskip(SKIP_1) | instid1(VALU_DEP_2)
	v_add_co_u32 v28, vcc_lo, v10, v28
	s_wait_alu 0xfffd
	v_add_co_ci_u32_e64 v29, null, v11, v29, vcc_lo
	flat_load_b32 v13, v[28:29]
	s_wait_loadcnt_dscnt 0x0
	v_fma_f32 v13, s11, v13, v12
	flat_store_b32 v[28:29], v13
	s_cbranch_execnz .LBB323_17
.LBB323_16:                             ;   in Loop: Header=BB323_6 Depth=1
	v_lshlrev_b64_e32 v[28:29], 2, v[0:1]
	s_delay_alu instid0(VALU_DEP_1) | instskip(SKIP_1) | instid1(VALU_DEP_2)
	v_add_co_u32 v28, vcc_lo, v10, v28
	s_wait_alu 0xfffd
	v_add_co_ci_u32_e64 v29, null, v11, v29, vcc_lo
	flat_store_b32 v[28:29], v12
.LBB323_17:                             ;   in Loop: Header=BB323_6 Depth=1
	s_wait_alu 0xfffe
	s_or_b32 exec_lo, exec_lo, s14
	s_and_saveexec_b32 s14, s8
	s_cbranch_execz .LBB323_21
; %bb.18:                               ;   in Loop: Header=BB323_6 Depth=1
	v_mul_f32_e32 v12, s10, v27
	s_and_not1_b32 vcc_lo, exec_lo, s28
	s_wait_alu 0xfffe
	s_cbranch_vccnz .LBB323_29
; %bb.19:                               ;   in Loop: Header=BB323_6 Depth=1
	v_lshlrev_b64_e32 v[27:28], 2, v[2:3]
	s_delay_alu instid0(VALU_DEP_1) | instskip(SKIP_1) | instid1(VALU_DEP_2)
	v_add_co_u32 v27, vcc_lo, v10, v27
	s_wait_alu 0xfffd
	v_add_co_ci_u32_e64 v28, null, v11, v28, vcc_lo
	flat_load_b32 v13, v[27:28]
	s_wait_loadcnt_dscnt 0x0
	v_fma_f32 v13, s11, v13, v12
	flat_store_b32 v[27:28], v13
	s_cbranch_execnz .LBB323_21
.LBB323_20:                             ;   in Loop: Header=BB323_6 Depth=1
	v_lshlrev_b64_e32 v[27:28], 2, v[2:3]
	s_delay_alu instid0(VALU_DEP_1) | instskip(SKIP_1) | instid1(VALU_DEP_2)
	v_add_co_u32 v10, vcc_lo, v10, v27
	s_wait_alu 0xfffd
	v_add_co_ci_u32_e64 v11, null, v11, v28, vcc_lo
	flat_store_b32 v[10:11], v12
.LBB323_21:                             ;   in Loop: Header=BB323_6 Depth=1
	s_wait_alu 0xfffe
	s_or_b32 exec_lo, exec_lo, s14
	v_add_co_u32 v10, vcc_lo, v8, v6
	s_wait_alu 0xfffd
	v_add_co_ci_u32_e64 v11, null, v9, v7, vcc_lo
	s_and_saveexec_b32 s14, s18
	s_cbranch_execz .LBB323_25
; %bb.22:                               ;   in Loop: Header=BB323_6 Depth=1
	v_lshlrev_b64_e32 v[8:9], 2, v[0:1]
	v_mul_f32_e32 v12, s10, v26
	s_and_not1_b32 vcc_lo, exec_lo, s28
	s_wait_alu 0xfffe
	s_cbranch_vccnz .LBB323_30
; %bb.23:                               ;   in Loop: Header=BB323_6 Depth=1
	s_delay_alu instid0(VALU_DEP_2)
	v_add_co_u32 v26, vcc_lo, v10, v8
	s_wait_alu 0xfffd
	v_add_co_ci_u32_e64 v27, null, v11, v9, vcc_lo
	flat_load_b32 v13, v[26:27]
	s_wait_loadcnt_dscnt 0x0
	v_fma_f32 v13, s11, v13, v12
	flat_store_b32 v[26:27], v13
	s_cbranch_execnz .LBB323_25
.LBB323_24:                             ;   in Loop: Header=BB323_6 Depth=1
	v_add_co_u32 v8, vcc_lo, v10, v8
	s_wait_alu 0xfffd
	v_add_co_ci_u32_e64 v9, null, v11, v9, vcc_lo
	flat_store_b32 v[8:9], v12
.LBB323_25:                             ;   in Loop: Header=BB323_6 Depth=1
	s_wait_alu 0xfffe
	s_or_b32 exec_lo, exec_lo, s14
	s_and_saveexec_b32 s14, s27
	s_cbranch_execz .LBB323_5
; %bb.26:                               ;   in Loop: Header=BB323_6 Depth=1
	v_lshlrev_b64_e32 v[8:9], 2, v[2:3]
	v_mul_f32_e32 v12, s10, v25
	s_and_not1_b32 vcc_lo, exec_lo, s28
	s_wait_alu 0xfffe
	s_cbranch_vccnz .LBB323_31
; %bb.27:                               ;   in Loop: Header=BB323_6 Depth=1
	s_delay_alu instid0(VALU_DEP_2)
	v_add_co_u32 v25, vcc_lo, v10, v8
	s_wait_alu 0xfffd
	v_add_co_ci_u32_e64 v26, null, v11, v9, vcc_lo
	flat_load_b32 v13, v[25:26]
	s_wait_loadcnt_dscnt 0x0
	v_fma_f32 v13, s11, v13, v12
	flat_store_b32 v[25:26], v13
	s_cbranch_execnz .LBB323_5
	s_branch .LBB323_32
.LBB323_28:                             ;   in Loop: Header=BB323_6 Depth=1
	s_branch .LBB323_16
.LBB323_29:                             ;   in Loop: Header=BB323_6 Depth=1
	s_branch .LBB323_20
.LBB323_30:                             ;   in Loop: Header=BB323_6 Depth=1
	s_branch .LBB323_24
.LBB323_31:                             ;   in Loop: Header=BB323_6 Depth=1
.LBB323_32:                             ;   in Loop: Header=BB323_6 Depth=1
	s_delay_alu instid0(VALU_DEP_2)
	v_add_co_u32 v8, vcc_lo, v10, v8
	s_wait_alu 0xfffd
	v_add_co_ci_u32_e64 v9, null, v11, v9, vcc_lo
	flat_store_b32 v[8:9], v12
	s_branch .LBB323_5
.LBB323_33:
	s_endpgm
	.section	.rodata,"a",@progbits
	.p2align	6, 0x0
	.amdhsa_kernel _ZL29rocblas_internal_gemmt_kernelIiLi16ELi32ELi8ELc67ELc67ELc76ELb0ELb0EffPKPKfPKPfEviT_T9_T10_S7_lS9_S7_lS8_T11_S7_li
		.amdhsa_group_segment_fixed_size 2048
		.amdhsa_private_segment_fixed_size 0
		.amdhsa_kernarg_size 100
		.amdhsa_user_sgpr_count 2
		.amdhsa_user_sgpr_dispatch_ptr 0
		.amdhsa_user_sgpr_queue_ptr 0
		.amdhsa_user_sgpr_kernarg_segment_ptr 1
		.amdhsa_user_sgpr_dispatch_id 0
		.amdhsa_user_sgpr_private_segment_size 0
		.amdhsa_wavefront_size32 1
		.amdhsa_uses_dynamic_stack 0
		.amdhsa_enable_private_segment 0
		.amdhsa_system_sgpr_workgroup_id_x 1
		.amdhsa_system_sgpr_workgroup_id_y 1
		.amdhsa_system_sgpr_workgroup_id_z 1
		.amdhsa_system_sgpr_workgroup_info 0
		.amdhsa_system_vgpr_workitem_id 1
		.amdhsa_next_free_vgpr 55
		.amdhsa_next_free_sgpr 31
		.amdhsa_reserve_vcc 1
		.amdhsa_float_round_mode_32 0
		.amdhsa_float_round_mode_16_64 0
		.amdhsa_float_denorm_mode_32 3
		.amdhsa_float_denorm_mode_16_64 3
		.amdhsa_fp16_overflow 0
		.amdhsa_workgroup_processor_mode 1
		.amdhsa_memory_ordered 1
		.amdhsa_forward_progress 1
		.amdhsa_inst_pref_size 15
		.amdhsa_round_robin_scheduling 0
		.amdhsa_exception_fp_ieee_invalid_op 0
		.amdhsa_exception_fp_denorm_src 0
		.amdhsa_exception_fp_ieee_div_zero 0
		.amdhsa_exception_fp_ieee_overflow 0
		.amdhsa_exception_fp_ieee_underflow 0
		.amdhsa_exception_fp_ieee_inexact 0
		.amdhsa_exception_int_div_zero 0
	.end_amdhsa_kernel
	.section	.text._ZL29rocblas_internal_gemmt_kernelIiLi16ELi32ELi8ELc67ELc67ELc76ELb0ELb0EffPKPKfPKPfEviT_T9_T10_S7_lS9_S7_lS8_T11_S7_li,"axG",@progbits,_ZL29rocblas_internal_gemmt_kernelIiLi16ELi32ELi8ELc67ELc67ELc76ELb0ELb0EffPKPKfPKPfEviT_T9_T10_S7_lS9_S7_lS8_T11_S7_li,comdat
.Lfunc_end323:
	.size	_ZL29rocblas_internal_gemmt_kernelIiLi16ELi32ELi8ELc67ELc67ELc76ELb0ELb0EffPKPKfPKPfEviT_T9_T10_S7_lS9_S7_lS8_T11_S7_li, .Lfunc_end323-_ZL29rocblas_internal_gemmt_kernelIiLi16ELi32ELi8ELc67ELc67ELc76ELb0ELb0EffPKPKfPKPfEviT_T9_T10_S7_lS9_S7_lS8_T11_S7_li
                                        ; -- End function
	.set _ZL29rocblas_internal_gemmt_kernelIiLi16ELi32ELi8ELc67ELc67ELc76ELb0ELb0EffPKPKfPKPfEviT_T9_T10_S7_lS9_S7_lS8_T11_S7_li.num_vgpr, 55
	.set _ZL29rocblas_internal_gemmt_kernelIiLi16ELi32ELi8ELc67ELc67ELc76ELb0ELb0EffPKPKfPKPfEviT_T9_T10_S7_lS9_S7_lS8_T11_S7_li.num_agpr, 0
	.set _ZL29rocblas_internal_gemmt_kernelIiLi16ELi32ELi8ELc67ELc67ELc76ELb0ELb0EffPKPKfPKPfEviT_T9_T10_S7_lS9_S7_lS8_T11_S7_li.numbered_sgpr, 31
	.set _ZL29rocblas_internal_gemmt_kernelIiLi16ELi32ELi8ELc67ELc67ELc76ELb0ELb0EffPKPKfPKPfEviT_T9_T10_S7_lS9_S7_lS8_T11_S7_li.num_named_barrier, 0
	.set _ZL29rocblas_internal_gemmt_kernelIiLi16ELi32ELi8ELc67ELc67ELc76ELb0ELb0EffPKPKfPKPfEviT_T9_T10_S7_lS9_S7_lS8_T11_S7_li.private_seg_size, 0
	.set _ZL29rocblas_internal_gemmt_kernelIiLi16ELi32ELi8ELc67ELc67ELc76ELb0ELb0EffPKPKfPKPfEviT_T9_T10_S7_lS9_S7_lS8_T11_S7_li.uses_vcc, 1
	.set _ZL29rocblas_internal_gemmt_kernelIiLi16ELi32ELi8ELc67ELc67ELc76ELb0ELb0EffPKPKfPKPfEviT_T9_T10_S7_lS9_S7_lS8_T11_S7_li.uses_flat_scratch, 0
	.set _ZL29rocblas_internal_gemmt_kernelIiLi16ELi32ELi8ELc67ELc67ELc76ELb0ELb0EffPKPKfPKPfEviT_T9_T10_S7_lS9_S7_lS8_T11_S7_li.has_dyn_sized_stack, 0
	.set _ZL29rocblas_internal_gemmt_kernelIiLi16ELi32ELi8ELc67ELc67ELc76ELb0ELb0EffPKPKfPKPfEviT_T9_T10_S7_lS9_S7_lS8_T11_S7_li.has_recursion, 0
	.set _ZL29rocblas_internal_gemmt_kernelIiLi16ELi32ELi8ELc67ELc67ELc76ELb0ELb0EffPKPKfPKPfEviT_T9_T10_S7_lS9_S7_lS8_T11_S7_li.has_indirect_call, 0
	.section	.AMDGPU.csdata,"",@progbits
; Kernel info:
; codeLenInByte = 1860
; TotalNumSgprs: 33
; NumVgprs: 55
; ScratchSize: 0
; MemoryBound: 0
; FloatMode: 240
; IeeeMode: 1
; LDSByteSize: 2048 bytes/workgroup (compile time only)
; SGPRBlocks: 0
; VGPRBlocks: 6
; NumSGPRsForWavesPerEU: 33
; NumVGPRsForWavesPerEU: 55
; Occupancy: 16
; WaveLimiterHint : 1
; COMPUTE_PGM_RSRC2:SCRATCH_EN: 0
; COMPUTE_PGM_RSRC2:USER_SGPR: 2
; COMPUTE_PGM_RSRC2:TRAP_HANDLER: 0
; COMPUTE_PGM_RSRC2:TGID_X_EN: 1
; COMPUTE_PGM_RSRC2:TGID_Y_EN: 1
; COMPUTE_PGM_RSRC2:TGID_Z_EN: 1
; COMPUTE_PGM_RSRC2:TIDIG_COMP_CNT: 1
	.section	.text._ZL29rocblas_internal_gemmt_kernelIiLi16ELi32ELi8ELc78ELc78ELc85ELb0ELb0EdPKdPKS1_PKPdEviT_T9_T10_S7_lS9_S7_lS8_T11_S7_li,"axG",@progbits,_ZL29rocblas_internal_gemmt_kernelIiLi16ELi32ELi8ELc78ELc78ELc85ELb0ELb0EdPKdPKS1_PKPdEviT_T9_T10_S7_lS9_S7_lS8_T11_S7_li,comdat
	.globl	_ZL29rocblas_internal_gemmt_kernelIiLi16ELi32ELi8ELc78ELc78ELc85ELb0ELb0EdPKdPKS1_PKPdEviT_T9_T10_S7_lS9_S7_lS8_T11_S7_li ; -- Begin function _ZL29rocblas_internal_gemmt_kernelIiLi16ELi32ELi8ELc78ELc78ELc85ELb0ELb0EdPKdPKS1_PKPdEviT_T9_T10_S7_lS9_S7_lS8_T11_S7_li
	.p2align	8
	.type	_ZL29rocblas_internal_gemmt_kernelIiLi16ELi32ELi8ELc78ELc78ELc85ELb0ELb0EdPKdPKS1_PKPdEviT_T9_T10_S7_lS9_S7_lS8_T11_S7_li,@function
_ZL29rocblas_internal_gemmt_kernelIiLi16ELi32ELi8ELc78ELc78ELc85ELb0ELb0EdPKdPKS1_PKPdEviT_T9_T10_S7_lS9_S7_lS8_T11_S7_li: ; @_ZL29rocblas_internal_gemmt_kernelIiLi16ELi32ELi8ELc78ELc78ELc85ELb0ELb0EdPKdPKS1_PKPdEviT_T9_T10_S7_lS9_S7_lS8_T11_S7_li
; %bb.0:
	s_load_b128 s[12:15], s[0:1], 0x38
	s_wait_kmcnt 0x0
	s_load_b64 s[14:15], s[14:15], 0x0
	s_clause 0x1
	s_load_b128 s[4:7], s[0:1], 0x8
	s_load_b64 s[20:21], s[0:1], 0x0
	s_wait_kmcnt 0x0
	s_load_b64 s[22:23], s[4:5], 0x0
	v_cmp_neq_f64_e64 s2, s[14:15], 1.0
	s_and_b32 vcc_lo, exec_lo, s2
	s_cbranch_vccnz .LBB324_2
; %bb.1:
	s_wait_kmcnt 0x0
	v_cmp_neq_f64_e64 s2, s[22:23], 0
	s_cmp_lg_u32 s21, 0
	s_cselect_b32 s3, -1, 0
	s_delay_alu instid0(SALU_CYCLE_1)
	s_and_b32 s2, s3, s2
.LBB324_2:
	s_delay_alu instid0(SALU_CYCLE_1)
	s_and_not1_b32 vcc_lo, exec_lo, s2
	s_cbranch_vccnz .LBB324_33
; %bb.3:
	s_load_b32 s19, s[0:1], 0x60
	s_lshr_b32 s24, ttmp7, 16
	s_wait_kmcnt 0x0
	s_cmp_ge_u32 s24, s19
	s_cbranch_scc1 .LBB324_33
; %bb.4:
	v_dual_mov_b32 v34, 0 :: v_dual_and_b32 v1, 0x3ff, v0
	v_bfe_u32 v2, v0, 10, 10
	s_load_b32 s26, s[0:1], 0x18
	v_and_b32_e32 v26, 7, v0
	s_clause 0x3
	s_load_b128 s[8:11], s[0:1], 0x20
	s_load_b32 s5, s[0:1], 0x30
	s_load_b96 s[16:18], s[0:1], 0x48
	s_load_b64 s[28:29], s[0:1], 0x58
	s_lshl_b32 s2, ttmp9, 5
	v_lshl_add_u32 v0, v2, 4, v1
	s_lshl_b32 s0, ttmp7, 5
	v_lshlrev_b32_e32 v14, 3, v26
	v_cmp_neq_f64_e64 s33, s[22:23], 0
	s_and_b32 s3, s0, 0x1fffe0
	v_and_b32_e32 v3, 31, v0
	v_lshrrev_b32_e32 v27, 5, v0
	v_lshrrev_b32_e32 v0, 3, v0
	v_cmp_neq_f64_e64 s30, s[14:15], 0
	v_lshl_add_u32 v31, v2, 6, 0x800
	v_or_b32_e32 v4, s2, v3
	v_lshlrev_b32_e32 v3, 3, v3
	v_add_nc_u32_e32 v12, s3, v0
	v_lshl_or_b32 v5, v0, 6, v14
	v_add_nc_u32_e32 v0, s2, v1
	v_cmp_gt_i32_e64 s0, s20, v4
	v_lshl_or_b32 v28, v27, 8, v3
	v_add_nc_u32_e32 v3, s3, v2
	s_wait_kmcnt 0x0
	v_mad_co_i64_i32 v[8:9], null, v27, s26, 0
	v_add_nc_u32_e32 v2, 16, v0
	s_ashr_i32 s27, s26, 31
	v_add_nc_u32_e32 v15, 16, v3
	v_cmp_gt_i32_e32 vcc_lo, s20, v3
	v_cmp_le_i32_e64 s2, v0, v3
	s_cmp_gt_i32 s21, 0
	v_cmp_gt_i32_e64 s1, s20, v12
	v_cmp_gt_i32_e64 s3, s20, v15
	v_cmp_le_i32_e64 s4, v0, v15
	v_lshlrev_b64_e32 v[8:9], 3, v[8:9]
	v_mad_co_i64_i32 v[12:13], null, s5, v12, 0
	s_cselect_b32 s34, -1, 0
	v_add_nc_u32_e32 v29, 0x800, v5
	s_and_b32 s31, vcc_lo, s2
	v_cmp_le_i32_e64 s2, v2, v3
	v_ashrrev_i32_e32 v5, 31, v4
	v_mad_co_i64_i32 v[6:7], null, v3, s18, 0
	v_mad_co_i64_i32 v[10:11], null, v15, s18, 0
	s_and_b32 s18, s3, s4
	s_lshl_b64 s[4:5], s[8:9], 3
	s_and_b32 s20, vcc_lo, s2
	v_cmp_le_i32_e32 vcc_lo, v2, v15
	v_lshlrev_b64_e32 v[4:5], 3, v[4:5]
	s_wait_alu 0xfffe
	v_add_co_u32 v15, s2, v8, s4
	s_wait_alu 0xf1ff
	v_add_co_ci_u32_e64 v16, null, s5, v9, s2
	v_lshlrev_b64_e32 v[8:9], 3, v[12:13]
	s_delay_alu instid0(VALU_DEP_3)
	v_add_co_u32 v32, s2, v15, v4
	s_lshl_b64 s[4:5], s[12:13], 3
	s_wait_alu 0xf1ff
	v_add_co_ci_u32_e64 v33, null, v16, v5, s2
	s_wait_alu 0xfffe
	v_add_co_u32 v4, s2, v8, s4
	s_wait_alu 0xf1ff
	v_add_co_ci_u32_e64 v5, null, s5, v9, s2
	v_lshlrev_b32_e32 v30, 3, v1
	s_delay_alu instid0(VALU_DEP_3) | instskip(SKIP_1) | instid1(VALU_DEP_3)
	v_add_co_u32 v35, s2, v4, v14
	s_wait_alu 0xf1ff
	v_add_co_ci_u32_e64 v36, null, 0, v5, s2
	v_lshlrev_b64_e32 v[4:5], 3, v[6:7]
	v_lshlrev_b64_e32 v[6:7], 3, v[10:11]
	v_ashrrev_i32_e32 v1, 31, v0
	v_ashrrev_i32_e32 v3, 31, v2
	s_mov_b32 s25, 0
	s_and_b32 s12, s33, s34
	s_and_b32 s13, s3, vcc_lo
	s_lshl_b64 s[2:3], s[26:27], 6
	s_lshl_b64 s[4:5], s[28:29], 3
	s_branch .LBB324_6
.LBB324_5:                              ;   in Loop: Header=BB324_6 Depth=1
	s_wait_alu 0xfffe
	s_or_b32 exec_lo, exec_lo, s8
	s_add_co_i32 s24, s24, 0x10000
	s_delay_alu instid0(SALU_CYCLE_1)
	s_cmp_lt_u32 s24, s19
	s_cbranch_scc0 .LBB324_33
.LBB324_6:                              ; =>This Loop Header: Depth=1
                                        ;     Child Loop BB324_9 Depth 2
	s_lshl_b64 s[8:9], s[24:25], 3
	v_mov_b32_e32 v20, 0
	s_wait_alu 0xfffe
	s_add_nc_u64 s[26:27], s[16:17], s[8:9]
	v_mov_b32_e32 v10, 0
	global_load_b64 v[12:13], v34, s[26:27]
	v_dual_mov_b32 v21, 0 :: v_dual_mov_b32 v14, 0
	v_dual_mov_b32 v11, 0 :: v_dual_mov_b32 v8, 0
	v_mov_b32_e32 v15, 0
	v_mov_b32_e32 v9, 0
	s_and_not1_b32 vcc_lo, exec_lo, s12
	s_wait_alu 0xfffe
	s_cbranch_vccnz .LBB324_13
; %bb.7:                                ;   in Loop: Header=BB324_6 Depth=1
	s_add_nc_u64 s[26:27], s[6:7], s[8:9]
	s_add_nc_u64 s[8:9], s[10:11], s[8:9]
	s_clause 0x1
	global_load_b64 v[16:17], v34, s[26:27]
	global_load_b64 v[18:19], v34, s[8:9]
	v_mov_b32_e32 v8, 0
	v_dual_mov_b32 v14, 0 :: v_dual_mov_b32 v9, 0
	v_dual_mov_b32 v10, 0 :: v_dual_mov_b32 v15, 0
	;; [unrolled: 1-line block ×3, first 2 shown]
	v_mov_b32_e32 v21, 0
	s_mov_b32 s8, 0
	s_wait_loadcnt 0x1
	v_add_co_u32 v16, vcc_lo, v16, v32
	s_wait_alu 0xfffd
	v_add_co_ci_u32_e64 v17, null, v17, v33, vcc_lo
	s_wait_loadcnt 0x0
	v_add_co_u32 v18, vcc_lo, v18, v35
	s_wait_alu 0xfffd
	v_add_co_ci_u32_e64 v19, null, v19, v36, vcc_lo
	s_branch .LBB324_9
.LBB324_8:                              ;   in Loop: Header=BB324_9 Depth=2
	s_wait_alu 0xfffe
	s_or_b32 exec_lo, exec_lo, s9
	s_wait_loadcnt_dscnt 0x0
	ds_store_b64 v29, v[24:25]
	s_wait_dscnt 0x0
	s_barrier_signal -1
	s_barrier_wait -1
	global_inv scope:SCOPE_SE
	ds_load_b128 v[22:25], v31
	ds_load_2addr_b64 v[37:40], v30 offset1:16
	ds_load_b128 v[41:44], v31 offset:1024
	ds_load_b128 v[45:48], v31 offset:16
	;; [unrolled: 1-line block ×3, first 2 shown]
	v_add_co_u32 v16, vcc_lo, v16, s2
	s_wait_alu 0xfffd
	v_add_co_ci_u32_e64 v17, null, s3, v17, vcc_lo
	v_add_co_u32 v18, vcc_lo, v18, 64
	s_wait_alu 0xfffd
	v_add_co_ci_u32_e64 v19, null, 0, v19, vcc_lo
	s_add_co_i32 s8, s8, 8
	s_wait_alu 0xfffe
	s_cmp_lt_i32 s8, s21
	s_wait_dscnt 0x3
	v_fma_f64 v[20:21], v[37:38], v[22:23], v[20:21]
	v_fma_f64 v[14:15], v[39:40], v[22:23], v[14:15]
	s_wait_dscnt 0x2
	v_fma_f64 v[22:23], v[37:38], v[41:42], v[10:11]
	v_fma_f64 v[37:38], v[39:40], v[41:42], v[8:9]
	ds_load_2addr_b64 v[8:11], v30 offset0:32 offset1:48
	s_wait_dscnt 0x0
	v_fma_f64 v[20:21], v[8:9], v[24:25], v[20:21]
	v_fma_f64 v[14:15], v[10:11], v[24:25], v[14:15]
	v_fma_f64 v[22:23], v[8:9], v[43:44], v[22:23]
	v_fma_f64 v[24:25], v[10:11], v[43:44], v[37:38]
	ds_load_2addr_b64 v[8:11], v30 offset0:64 offset1:80
	s_wait_dscnt 0x0
	v_fma_f64 v[20:21], v[8:9], v[45:46], v[20:21]
	v_fma_f64 v[14:15], v[10:11], v[45:46], v[14:15]
	;; [unrolled: 6-line block ×3, first 2 shown]
	v_fma_f64 v[53:54], v[8:9], v[51:52], v[22:23]
	v_fma_f64 v[24:25], v[10:11], v[51:52], v[24:25]
	ds_load_b128 v[8:11], v31 offset:32
	ds_load_2addr_b64 v[20:23], v30 offset0:128 offset1:144
	ds_load_b128 v[37:40], v31 offset:1056
	ds_load_b128 v[41:44], v31 offset:48
	;; [unrolled: 1-line block ×3, first 2 shown]
	s_wait_dscnt 0x3
	v_fma_f64 v[49:50], v[20:21], v[8:9], v[49:50]
	v_fma_f64 v[8:9], v[22:23], v[8:9], v[14:15]
	s_wait_dscnt 0x2
	v_fma_f64 v[14:15], v[20:21], v[37:38], v[53:54]
	v_fma_f64 v[24:25], v[22:23], v[37:38], v[24:25]
	ds_load_2addr_b64 v[20:23], v30 offset0:160 offset1:176
	s_wait_dscnt 0x0
	v_fma_f64 v[37:38], v[20:21], v[10:11], v[49:50]
	v_fma_f64 v[49:50], v[22:23], v[10:11], v[8:9]
	;; [unrolled: 1-line block ×4, first 2 shown]
	ds_load_2addr_b64 v[8:11], v30 offset0:192 offset1:208
	ds_load_2addr_b64 v[22:25], v30 offset0:224 offset1:240
	s_wait_loadcnt_dscnt 0x0
	s_barrier_signal -1
	s_barrier_wait -1
	global_inv scope:SCOPE_SE
	v_fma_f64 v[37:38], v[8:9], v[41:42], v[37:38]
	v_fma_f64 v[39:40], v[10:11], v[41:42], v[49:50]
	;; [unrolled: 1-line block ×4, first 2 shown]
	s_delay_alu instid0(VALU_DEP_4) | instskip(NEXT) | instid1(VALU_DEP_4)
	v_fma_f64 v[20:21], v[22:23], v[43:44], v[37:38]
	v_fma_f64 v[14:15], v[24:25], v[43:44], v[39:40]
	s_delay_alu instid0(VALU_DEP_4) | instskip(NEXT) | instid1(VALU_DEP_4)
	v_fma_f64 v[10:11], v[22:23], v[47:48], v[8:9]
	v_fma_f64 v[8:9], v[24:25], v[47:48], v[41:42]
	s_cbranch_scc0 .LBB324_13
.LBB324_9:                              ;   Parent Loop BB324_6 Depth=1
                                        ; =>  This Inner Loop Header: Depth=2
	s_wait_alu 0xfffe
	v_add_nc_u32_e32 v22, s8, v27
	s_delay_alu instid0(VALU_DEP_1)
	v_cmp_gt_i32_e32 vcc_lo, s21, v22
	v_mov_b32_e32 v22, 0
	v_mov_b32_e32 v23, 0
	s_and_b32 s26, s0, vcc_lo
	s_wait_alu 0xfffe
	s_and_saveexec_b32 s9, s26
	s_cbranch_execz .LBB324_11
; %bb.10:                               ;   in Loop: Header=BB324_9 Depth=2
	flat_load_b64 v[22:23], v[16:17]
.LBB324_11:                             ;   in Loop: Header=BB324_9 Depth=2
	s_wait_alu 0xfffe
	s_or_b32 exec_lo, exec_lo, s9
	v_add_nc_u32_e32 v24, s8, v26
	s_wait_loadcnt_dscnt 0x0
	ds_store_b64 v28, v[22:23]
	v_cmp_gt_i32_e32 vcc_lo, s21, v24
	v_mov_b32_e32 v24, 0
	v_mov_b32_e32 v25, 0
	s_and_b32 s26, vcc_lo, s1
	s_wait_alu 0xfffe
	s_and_saveexec_b32 s9, s26
	s_cbranch_execz .LBB324_8
; %bb.12:                               ;   in Loop: Header=BB324_9 Depth=2
	flat_load_b64 v[24:25], v[18:19]
	s_branch .LBB324_8
.LBB324_13:                             ;   in Loop: Header=BB324_6 Depth=1
	s_wait_loadcnt 0x0
	s_wait_alu 0xfffe
	v_add_co_u32 v16, vcc_lo, v12, s4
	s_wait_alu 0xfffd
	v_add_co_ci_u32_e64 v17, null, s5, v13, vcc_lo
	s_delay_alu instid0(VALU_DEP_2) | instskip(SKIP_1) | instid1(VALU_DEP_2)
	v_add_co_u32 v18, vcc_lo, v16, v4
	s_wait_alu 0xfffd
	v_add_co_ci_u32_e64 v19, null, v17, v5, vcc_lo
	s_and_saveexec_b32 s8, s31
	s_cbranch_execz .LBB324_17
; %bb.14:                               ;   in Loop: Header=BB324_6 Depth=1
	v_mul_f64_e32 v[12:13], s[22:23], v[20:21]
	s_and_b32 vcc_lo, exec_lo, s30
	s_wait_alu 0xfffe
	s_cbranch_vccz .LBB324_28
; %bb.15:                               ;   in Loop: Header=BB324_6 Depth=1
	v_lshlrev_b64_e32 v[20:21], 3, v[0:1]
	s_delay_alu instid0(VALU_DEP_1) | instskip(SKIP_1) | instid1(VALU_DEP_2)
	v_add_co_u32 v20, vcc_lo, v18, v20
	s_wait_alu 0xfffd
	v_add_co_ci_u32_e64 v21, null, v19, v21, vcc_lo
	flat_load_b64 v[22:23], v[20:21]
	s_wait_loadcnt_dscnt 0x0
	v_fma_f64 v[22:23], s[14:15], v[22:23], v[12:13]
	flat_store_b64 v[20:21], v[22:23]
	s_cbranch_execnz .LBB324_17
.LBB324_16:                             ;   in Loop: Header=BB324_6 Depth=1
	v_lshlrev_b64_e32 v[20:21], 3, v[0:1]
	s_delay_alu instid0(VALU_DEP_1) | instskip(SKIP_1) | instid1(VALU_DEP_2)
	v_add_co_u32 v20, vcc_lo, v18, v20
	s_wait_alu 0xfffd
	v_add_co_ci_u32_e64 v21, null, v19, v21, vcc_lo
	flat_store_b64 v[20:21], v[12:13]
.LBB324_17:                             ;   in Loop: Header=BB324_6 Depth=1
	s_wait_alu 0xfffe
	s_or_b32 exec_lo, exec_lo, s8
	s_and_saveexec_b32 s8, s20
	s_cbranch_execz .LBB324_21
; %bb.18:                               ;   in Loop: Header=BB324_6 Depth=1
	v_mul_f64_e32 v[12:13], s[22:23], v[14:15]
	s_and_not1_b32 vcc_lo, exec_lo, s30
	s_wait_alu 0xfffe
	s_cbranch_vccnz .LBB324_29
; %bb.19:                               ;   in Loop: Header=BB324_6 Depth=1
	v_lshlrev_b64_e32 v[14:15], 3, v[2:3]
	s_delay_alu instid0(VALU_DEP_1) | instskip(SKIP_1) | instid1(VALU_DEP_2)
	v_add_co_u32 v14, vcc_lo, v18, v14
	s_wait_alu 0xfffd
	v_add_co_ci_u32_e64 v15, null, v19, v15, vcc_lo
	flat_load_b64 v[20:21], v[14:15]
	s_wait_loadcnt_dscnt 0x0
	v_fma_f64 v[20:21], s[14:15], v[20:21], v[12:13]
	flat_store_b64 v[14:15], v[20:21]
	s_cbranch_execnz .LBB324_21
.LBB324_20:                             ;   in Loop: Header=BB324_6 Depth=1
	v_lshlrev_b64_e32 v[14:15], 3, v[2:3]
	s_delay_alu instid0(VALU_DEP_1) | instskip(SKIP_1) | instid1(VALU_DEP_2)
	v_add_co_u32 v14, vcc_lo, v18, v14
	s_wait_alu 0xfffd
	v_add_co_ci_u32_e64 v15, null, v19, v15, vcc_lo
	flat_store_b64 v[14:15], v[12:13]
.LBB324_21:                             ;   in Loop: Header=BB324_6 Depth=1
	s_wait_alu 0xfffe
	s_or_b32 exec_lo, exec_lo, s8
	v_add_co_u32 v14, vcc_lo, v16, v6
	s_wait_alu 0xfffd
	v_add_co_ci_u32_e64 v15, null, v17, v7, vcc_lo
	s_and_saveexec_b32 s8, s18
	s_cbranch_execz .LBB324_25
; %bb.22:                               ;   in Loop: Header=BB324_6 Depth=1
	v_mul_f64_e32 v[10:11], s[22:23], v[10:11]
	v_lshlrev_b64_e32 v[12:13], 3, v[0:1]
	s_and_not1_b32 vcc_lo, exec_lo, s30
	s_wait_alu 0xfffe
	s_cbranch_vccnz .LBB324_30
; %bb.23:                               ;   in Loop: Header=BB324_6 Depth=1
	s_delay_alu instid0(VALU_DEP_1)
	v_add_co_u32 v16, vcc_lo, v14, v12
	s_wait_alu 0xfffd
	v_add_co_ci_u32_e64 v17, null, v15, v13, vcc_lo
	flat_load_b64 v[18:19], v[16:17]
	s_wait_loadcnt_dscnt 0x0
	v_fma_f64 v[18:19], s[14:15], v[18:19], v[10:11]
	flat_store_b64 v[16:17], v[18:19]
	s_cbranch_execnz .LBB324_25
.LBB324_24:                             ;   in Loop: Header=BB324_6 Depth=1
	s_delay_alu instid0(VALU_DEP_1)
	v_add_co_u32 v12, vcc_lo, v14, v12
	s_wait_alu 0xfffd
	v_add_co_ci_u32_e64 v13, null, v15, v13, vcc_lo
	flat_store_b64 v[12:13], v[10:11]
.LBB324_25:                             ;   in Loop: Header=BB324_6 Depth=1
	s_wait_alu 0xfffe
	s_or_b32 exec_lo, exec_lo, s8
	s_and_saveexec_b32 s8, s13
	s_cbranch_execz .LBB324_5
; %bb.26:                               ;   in Loop: Header=BB324_6 Depth=1
	v_mul_f64_e32 v[8:9], s[22:23], v[8:9]
	v_lshlrev_b64_e32 v[10:11], 3, v[2:3]
	s_and_not1_b32 vcc_lo, exec_lo, s30
	s_wait_alu 0xfffe
	s_cbranch_vccnz .LBB324_31
; %bb.27:                               ;   in Loop: Header=BB324_6 Depth=1
	s_delay_alu instid0(VALU_DEP_1)
	v_add_co_u32 v12, vcc_lo, v14, v10
	s_wait_alu 0xfffd
	v_add_co_ci_u32_e64 v13, null, v15, v11, vcc_lo
	flat_load_b64 v[16:17], v[12:13]
	s_wait_loadcnt_dscnt 0x0
	v_fma_f64 v[16:17], s[14:15], v[16:17], v[8:9]
	flat_store_b64 v[12:13], v[16:17]
	s_cbranch_execnz .LBB324_5
	s_branch .LBB324_32
.LBB324_28:                             ;   in Loop: Header=BB324_6 Depth=1
	s_branch .LBB324_16
.LBB324_29:                             ;   in Loop: Header=BB324_6 Depth=1
	s_branch .LBB324_20
.LBB324_30:                             ;   in Loop: Header=BB324_6 Depth=1
	s_branch .LBB324_24
.LBB324_31:                             ;   in Loop: Header=BB324_6 Depth=1
.LBB324_32:                             ;   in Loop: Header=BB324_6 Depth=1
	s_delay_alu instid0(VALU_DEP_1)
	v_add_co_u32 v10, vcc_lo, v14, v10
	s_wait_alu 0xfffd
	v_add_co_ci_u32_e64 v11, null, v15, v11, vcc_lo
	flat_store_b64 v[10:11], v[8:9]
	s_branch .LBB324_5
.LBB324_33:
	s_endpgm
	.section	.rodata,"a",@progbits
	.p2align	6, 0x0
	.amdhsa_kernel _ZL29rocblas_internal_gemmt_kernelIiLi16ELi32ELi8ELc78ELc78ELc85ELb0ELb0EdPKdPKS1_PKPdEviT_T9_T10_S7_lS9_S7_lS8_T11_S7_li
		.amdhsa_group_segment_fixed_size 4096
		.amdhsa_private_segment_fixed_size 0
		.amdhsa_kernarg_size 100
		.amdhsa_user_sgpr_count 2
		.amdhsa_user_sgpr_dispatch_ptr 0
		.amdhsa_user_sgpr_queue_ptr 0
		.amdhsa_user_sgpr_kernarg_segment_ptr 1
		.amdhsa_user_sgpr_dispatch_id 0
		.amdhsa_user_sgpr_private_segment_size 0
		.amdhsa_wavefront_size32 1
		.amdhsa_uses_dynamic_stack 0
		.amdhsa_enable_private_segment 0
		.amdhsa_system_sgpr_workgroup_id_x 1
		.amdhsa_system_sgpr_workgroup_id_y 1
		.amdhsa_system_sgpr_workgroup_id_z 1
		.amdhsa_system_sgpr_workgroup_info 0
		.amdhsa_system_vgpr_workitem_id 1
		.amdhsa_next_free_vgpr 55
		.amdhsa_next_free_sgpr 35
		.amdhsa_reserve_vcc 1
		.amdhsa_float_round_mode_32 0
		.amdhsa_float_round_mode_16_64 0
		.amdhsa_float_denorm_mode_32 3
		.amdhsa_float_denorm_mode_16_64 3
		.amdhsa_fp16_overflow 0
		.amdhsa_workgroup_processor_mode 1
		.amdhsa_memory_ordered 1
		.amdhsa_forward_progress 1
		.amdhsa_inst_pref_size 17
		.amdhsa_round_robin_scheduling 0
		.amdhsa_exception_fp_ieee_invalid_op 0
		.amdhsa_exception_fp_denorm_src 0
		.amdhsa_exception_fp_ieee_div_zero 0
		.amdhsa_exception_fp_ieee_overflow 0
		.amdhsa_exception_fp_ieee_underflow 0
		.amdhsa_exception_fp_ieee_inexact 0
		.amdhsa_exception_int_div_zero 0
	.end_amdhsa_kernel
	.section	.text._ZL29rocblas_internal_gemmt_kernelIiLi16ELi32ELi8ELc78ELc78ELc85ELb0ELb0EdPKdPKS1_PKPdEviT_T9_T10_S7_lS9_S7_lS8_T11_S7_li,"axG",@progbits,_ZL29rocblas_internal_gemmt_kernelIiLi16ELi32ELi8ELc78ELc78ELc85ELb0ELb0EdPKdPKS1_PKPdEviT_T9_T10_S7_lS9_S7_lS8_T11_S7_li,comdat
.Lfunc_end324:
	.size	_ZL29rocblas_internal_gemmt_kernelIiLi16ELi32ELi8ELc78ELc78ELc85ELb0ELb0EdPKdPKS1_PKPdEviT_T9_T10_S7_lS9_S7_lS8_T11_S7_li, .Lfunc_end324-_ZL29rocblas_internal_gemmt_kernelIiLi16ELi32ELi8ELc78ELc78ELc85ELb0ELb0EdPKdPKS1_PKPdEviT_T9_T10_S7_lS9_S7_lS8_T11_S7_li
                                        ; -- End function
	.set _ZL29rocblas_internal_gemmt_kernelIiLi16ELi32ELi8ELc78ELc78ELc85ELb0ELb0EdPKdPKS1_PKPdEviT_T9_T10_S7_lS9_S7_lS8_T11_S7_li.num_vgpr, 55
	.set _ZL29rocblas_internal_gemmt_kernelIiLi16ELi32ELi8ELc78ELc78ELc85ELb0ELb0EdPKdPKS1_PKPdEviT_T9_T10_S7_lS9_S7_lS8_T11_S7_li.num_agpr, 0
	.set _ZL29rocblas_internal_gemmt_kernelIiLi16ELi32ELi8ELc78ELc78ELc85ELb0ELb0EdPKdPKS1_PKPdEviT_T9_T10_S7_lS9_S7_lS8_T11_S7_li.numbered_sgpr, 35
	.set _ZL29rocblas_internal_gemmt_kernelIiLi16ELi32ELi8ELc78ELc78ELc85ELb0ELb0EdPKdPKS1_PKPdEviT_T9_T10_S7_lS9_S7_lS8_T11_S7_li.num_named_barrier, 0
	.set _ZL29rocblas_internal_gemmt_kernelIiLi16ELi32ELi8ELc78ELc78ELc85ELb0ELb0EdPKdPKS1_PKPdEviT_T9_T10_S7_lS9_S7_lS8_T11_S7_li.private_seg_size, 0
	.set _ZL29rocblas_internal_gemmt_kernelIiLi16ELi32ELi8ELc78ELc78ELc85ELb0ELb0EdPKdPKS1_PKPdEviT_T9_T10_S7_lS9_S7_lS8_T11_S7_li.uses_vcc, 1
	.set _ZL29rocblas_internal_gemmt_kernelIiLi16ELi32ELi8ELc78ELc78ELc85ELb0ELb0EdPKdPKS1_PKPdEviT_T9_T10_S7_lS9_S7_lS8_T11_S7_li.uses_flat_scratch, 0
	.set _ZL29rocblas_internal_gemmt_kernelIiLi16ELi32ELi8ELc78ELc78ELc85ELb0ELb0EdPKdPKS1_PKPdEviT_T9_T10_S7_lS9_S7_lS8_T11_S7_li.has_dyn_sized_stack, 0
	.set _ZL29rocblas_internal_gemmt_kernelIiLi16ELi32ELi8ELc78ELc78ELc85ELb0ELb0EdPKdPKS1_PKPdEviT_T9_T10_S7_lS9_S7_lS8_T11_S7_li.has_recursion, 0
	.set _ZL29rocblas_internal_gemmt_kernelIiLi16ELi32ELi8ELc78ELc78ELc85ELb0ELb0EdPKdPKS1_PKPdEviT_T9_T10_S7_lS9_S7_lS8_T11_S7_li.has_indirect_call, 0
	.section	.AMDGPU.csdata,"",@progbits
; Kernel info:
; codeLenInByte = 2128
; TotalNumSgprs: 37
; NumVgprs: 55
; ScratchSize: 0
; MemoryBound: 0
; FloatMode: 240
; IeeeMode: 1
; LDSByteSize: 4096 bytes/workgroup (compile time only)
; SGPRBlocks: 0
; VGPRBlocks: 6
; NumSGPRsForWavesPerEU: 37
; NumVGPRsForWavesPerEU: 55
; Occupancy: 16
; WaveLimiterHint : 1
; COMPUTE_PGM_RSRC2:SCRATCH_EN: 0
; COMPUTE_PGM_RSRC2:USER_SGPR: 2
; COMPUTE_PGM_RSRC2:TRAP_HANDLER: 0
; COMPUTE_PGM_RSRC2:TGID_X_EN: 1
; COMPUTE_PGM_RSRC2:TGID_Y_EN: 1
; COMPUTE_PGM_RSRC2:TGID_Z_EN: 1
; COMPUTE_PGM_RSRC2:TIDIG_COMP_CNT: 1
	.section	.text._ZL29rocblas_internal_gemmt_kernelIiLi16ELi32ELi8ELc78ELc84ELc85ELb0ELb0EdPKdPKS1_PKPdEviT_T9_T10_S7_lS9_S7_lS8_T11_S7_li,"axG",@progbits,_ZL29rocblas_internal_gemmt_kernelIiLi16ELi32ELi8ELc78ELc84ELc85ELb0ELb0EdPKdPKS1_PKPdEviT_T9_T10_S7_lS9_S7_lS8_T11_S7_li,comdat
	.globl	_ZL29rocblas_internal_gemmt_kernelIiLi16ELi32ELi8ELc78ELc84ELc85ELb0ELb0EdPKdPKS1_PKPdEviT_T9_T10_S7_lS9_S7_lS8_T11_S7_li ; -- Begin function _ZL29rocblas_internal_gemmt_kernelIiLi16ELi32ELi8ELc78ELc84ELc85ELb0ELb0EdPKdPKS1_PKPdEviT_T9_T10_S7_lS9_S7_lS8_T11_S7_li
	.p2align	8
	.type	_ZL29rocblas_internal_gemmt_kernelIiLi16ELi32ELi8ELc78ELc84ELc85ELb0ELb0EdPKdPKS1_PKPdEviT_T9_T10_S7_lS9_S7_lS8_T11_S7_li,@function
_ZL29rocblas_internal_gemmt_kernelIiLi16ELi32ELi8ELc78ELc84ELc85ELb0ELb0EdPKdPKS1_PKPdEviT_T9_T10_S7_lS9_S7_lS8_T11_S7_li: ; @_ZL29rocblas_internal_gemmt_kernelIiLi16ELi32ELi8ELc78ELc84ELc85ELb0ELb0EdPKdPKS1_PKPdEviT_T9_T10_S7_lS9_S7_lS8_T11_S7_li
; %bb.0:
	s_load_b128 s[12:15], s[0:1], 0x38
	s_wait_kmcnt 0x0
	s_load_b64 s[14:15], s[14:15], 0x0
	s_clause 0x1
	s_load_b128 s[4:7], s[0:1], 0x8
	s_load_b64 s[20:21], s[0:1], 0x0
	s_wait_kmcnt 0x0
	s_load_b64 s[22:23], s[4:5], 0x0
	v_cmp_neq_f64_e64 s2, s[14:15], 1.0
	s_and_b32 vcc_lo, exec_lo, s2
	s_cbranch_vccnz .LBB325_2
; %bb.1:
	s_wait_kmcnt 0x0
	v_cmp_neq_f64_e64 s2, s[22:23], 0
	s_cmp_lg_u32 s21, 0
	s_cselect_b32 s3, -1, 0
	s_delay_alu instid0(SALU_CYCLE_1)
	s_and_b32 s2, s3, s2
.LBB325_2:
	s_delay_alu instid0(SALU_CYCLE_1)
	s_and_not1_b32 vcc_lo, exec_lo, s2
	s_cbranch_vccnz .LBB325_33
; %bb.3:
	s_load_b32 s19, s[0:1], 0x60
	s_lshr_b32 s24, ttmp7, 16
	s_wait_kmcnt 0x0
	s_cmp_ge_u32 s24, s19
	s_cbranch_scc1 .LBB325_33
; %bb.4:
	v_dual_mov_b32 v34, 0 :: v_dual_and_b32 v1, 0x3ff, v0
	v_bfe_u32 v2, v0, 10, 10
	v_and_b32_e32 v26, 7, v0
	s_clause 0x1
	s_load_b32 s26, s[0:1], 0x18
	s_load_b32 s28, s[0:1], 0x30
	s_lshl_b32 s2, ttmp9, 5
	s_load_b128 s[8:11], s[0:1], 0x20
	v_lshl_add_u32 v0, v2, 4, v1
	v_lshlrev_b32_e32 v6, 3, v26
	s_clause 0x1
	s_load_b96 s[16:18], s[0:1], 0x48
	s_load_b64 s[30:31], s[0:1], 0x58
	s_lshl_b32 s0, ttmp7, 5
	v_cmp_neq_f64_e64 s5, s[22:23], 0
	v_and_b32_e32 v3, 31, v0
	v_lshrrev_b32_e32 v5, 3, v0
	v_lshrrev_b32_e32 v27, 5, v0
	s_and_b32 s3, s0, 0x1fffe0
	v_cmp_neq_f64_e64 s33, s[14:15], 0
	v_or_b32_e32 v4, s2, v3
	v_lshlrev_b32_e32 v0, 3, v3
	v_lshl_or_b32 v3, v5, 6, v6
	v_lshl_add_u32 v31, v2, 6, 0x800
	v_add_nc_u32_e32 v14, s3, v5
	v_cmp_gt_i32_e64 s0, s20, v4
	v_lshl_or_b32 v28, v27, 8, v0
	v_add_nc_u32_e32 v29, 0x800, v3
	v_add_nc_u32_e32 v3, s3, v2
	;; [unrolled: 1-line block ×3, first 2 shown]
	s_wait_kmcnt 0x0
	s_ashr_i32 s27, s26, 31
	s_ashr_i32 s29, s28, 31
	s_cmp_gt_i32 s21, 0
	v_cmp_gt_i32_e32 vcc_lo, s20, v3
	v_cmp_le_i32_e64 s2, v0, v3
	v_add_nc_u32_e32 v2, 16, v0
	v_mad_co_i64_i32 v[8:9], null, v27, s26, 0
	s_cselect_b32 s36, -1, 0
	v_add_nc_u32_e32 v5, 16, v3
	s_and_b32 s34, vcc_lo, s2
	v_cmp_le_i32_e64 s2, v2, v3
	v_cmp_gt_i32_e64 s1, s20, v14
	v_mad_co_i64_i32 v[12:13], null, s28, v26, 0
	v_cmp_gt_i32_e64 s3, s20, v5
	v_cmp_le_i32_e64 s4, v0, v5
	s_and_b32 s20, vcc_lo, s2
	v_cmp_le_i32_e32 vcc_lo, v2, v5
	v_lshlrev_b64_e32 v[8:9], 3, v[8:9]
	v_mad_co_i64_i32 v[10:11], null, v5, s18, 0
	v_ashrrev_i32_e32 v5, 31, v4
	v_mad_co_i64_i32 v[6:7], null, v3, s18, 0
	s_and_b32 s18, s3, s4
	s_and_b32 s35, s3, vcc_lo
	s_lshl_b64 s[2:3], s[8:9], 3
	v_lshlrev_b64_e32 v[4:5], 3, v[4:5]
	s_wait_alu 0xfffe
	v_add_co_u32 v15, vcc_lo, v8, s2
	s_delay_alu instid0(VALU_DEP_1) | instskip(SKIP_1) | instid1(VALU_DEP_3)
	v_add_co_ci_u32_e64 v16, null, s3, v9, vcc_lo
	v_lshlrev_b64_e32 v[8:9], 3, v[12:13]
	v_add_co_u32 v32, vcc_lo, v15, v4
	s_lshl_b64 s[2:3], s[12:13], 3
	s_wait_alu 0xfffd
	v_add_co_ci_u32_e64 v33, null, v16, v5, vcc_lo
	v_lshlrev_b32_e32 v4, 3, v14
	s_wait_alu 0xfffe
	v_add_co_u32 v5, vcc_lo, v8, s2
	s_wait_alu 0xfffd
	v_add_co_ci_u32_e64 v8, null, s3, v9, vcc_lo
	v_lshlrev_b32_e32 v30, 3, v1
	s_delay_alu instid0(VALU_DEP_3)
	v_add_co_u32 v35, vcc_lo, v5, v4
	v_lshlrev_b64_e32 v[4:5], 3, v[6:7]
	v_lshlrev_b64_e32 v[6:7], 3, v[10:11]
	v_ashrrev_i32_e32 v1, 31, v0
	v_ashrrev_i32_e32 v3, 31, v2
	s_wait_alu 0xfffd
	v_add_co_ci_u32_e64 v36, null, 0, v8, vcc_lo
	s_mov_b32 s25, 0
	s_and_b32 s36, s5, s36
	s_lshl_b64 s[2:3], s[26:27], 6
	s_lshl_b64 s[4:5], s[28:29], 6
	;; [unrolled: 1-line block ×3, first 2 shown]
	s_branch .LBB325_6
.LBB325_5:                              ;   in Loop: Header=BB325_6 Depth=1
	s_wait_alu 0xfffe
	s_or_b32 exec_lo, exec_lo, s12
	s_add_co_i32 s24, s24, 0x10000
	s_delay_alu instid0(SALU_CYCLE_1)
	s_cmp_lt_u32 s24, s19
	s_cbranch_scc0 .LBB325_33
.LBB325_6:                              ; =>This Loop Header: Depth=1
                                        ;     Child Loop BB325_9 Depth 2
	s_lshl_b64 s[12:13], s[24:25], 3
	v_mov_b32_e32 v20, 0
	s_wait_alu 0xfffe
	s_add_nc_u64 s[26:27], s[16:17], s[12:13]
	v_mov_b32_e32 v10, 0
	global_load_b64 v[12:13], v34, s[26:27]
	v_dual_mov_b32 v21, 0 :: v_dual_mov_b32 v14, 0
	v_dual_mov_b32 v11, 0 :: v_dual_mov_b32 v8, 0
	v_mov_b32_e32 v15, 0
	v_mov_b32_e32 v9, 0
	s_and_not1_b32 vcc_lo, exec_lo, s36
	s_wait_alu 0xfffe
	s_cbranch_vccnz .LBB325_13
; %bb.7:                                ;   in Loop: Header=BB325_6 Depth=1
	s_add_nc_u64 s[26:27], s[6:7], s[12:13]
	s_add_nc_u64 s[12:13], s[10:11], s[12:13]
	s_clause 0x1
	global_load_b64 v[16:17], v34, s[26:27]
	global_load_b64 v[18:19], v34, s[12:13]
	v_mov_b32_e32 v8, 0
	v_dual_mov_b32 v14, 0 :: v_dual_mov_b32 v9, 0
	v_dual_mov_b32 v10, 0 :: v_dual_mov_b32 v15, 0
	;; [unrolled: 1-line block ×3, first 2 shown]
	v_mov_b32_e32 v21, 0
	s_mov_b32 s12, 0
	s_wait_loadcnt 0x1
	v_add_co_u32 v16, vcc_lo, v16, v32
	s_wait_alu 0xfffd
	v_add_co_ci_u32_e64 v17, null, v17, v33, vcc_lo
	s_wait_loadcnt 0x0
	v_add_co_u32 v18, vcc_lo, v18, v35
	s_wait_alu 0xfffd
	v_add_co_ci_u32_e64 v19, null, v19, v36, vcc_lo
	s_branch .LBB325_9
.LBB325_8:                              ;   in Loop: Header=BB325_9 Depth=2
	s_wait_alu 0xfffe
	s_or_b32 exec_lo, exec_lo, s13
	s_wait_loadcnt_dscnt 0x0
	ds_store_b64 v29, v[24:25]
	s_wait_dscnt 0x0
	s_barrier_signal -1
	s_barrier_wait -1
	global_inv scope:SCOPE_SE
	ds_load_b128 v[22:25], v31
	ds_load_2addr_b64 v[37:40], v30 offset1:16
	ds_load_b128 v[41:44], v31 offset:1024
	ds_load_b128 v[45:48], v31 offset:16
	ds_load_b128 v[49:52], v31 offset:1040
	v_add_co_u32 v16, vcc_lo, v16, s2
	s_wait_alu 0xfffd
	v_add_co_ci_u32_e64 v17, null, s3, v17, vcc_lo
	v_add_co_u32 v18, vcc_lo, v18, s4
	s_wait_alu 0xfffd
	v_add_co_ci_u32_e64 v19, null, s5, v19, vcc_lo
	s_add_co_i32 s12, s12, 8
	s_wait_alu 0xfffe
	s_cmp_lt_i32 s12, s21
	s_wait_dscnt 0x3
	v_fma_f64 v[20:21], v[37:38], v[22:23], v[20:21]
	v_fma_f64 v[14:15], v[39:40], v[22:23], v[14:15]
	s_wait_dscnt 0x2
	v_fma_f64 v[22:23], v[37:38], v[41:42], v[10:11]
	v_fma_f64 v[37:38], v[39:40], v[41:42], v[8:9]
	ds_load_2addr_b64 v[8:11], v30 offset0:32 offset1:48
	s_wait_dscnt 0x0
	v_fma_f64 v[20:21], v[8:9], v[24:25], v[20:21]
	v_fma_f64 v[14:15], v[10:11], v[24:25], v[14:15]
	v_fma_f64 v[22:23], v[8:9], v[43:44], v[22:23]
	v_fma_f64 v[24:25], v[10:11], v[43:44], v[37:38]
	ds_load_2addr_b64 v[8:11], v30 offset0:64 offset1:80
	s_wait_dscnt 0x0
	v_fma_f64 v[20:21], v[8:9], v[45:46], v[20:21]
	v_fma_f64 v[14:15], v[10:11], v[45:46], v[14:15]
	;; [unrolled: 6-line block ×3, first 2 shown]
	v_fma_f64 v[53:54], v[8:9], v[51:52], v[22:23]
	v_fma_f64 v[24:25], v[10:11], v[51:52], v[24:25]
	ds_load_b128 v[8:11], v31 offset:32
	ds_load_2addr_b64 v[20:23], v30 offset0:128 offset1:144
	ds_load_b128 v[37:40], v31 offset:1056
	ds_load_b128 v[41:44], v31 offset:48
	;; [unrolled: 1-line block ×3, first 2 shown]
	s_wait_dscnt 0x3
	v_fma_f64 v[49:50], v[20:21], v[8:9], v[49:50]
	v_fma_f64 v[8:9], v[22:23], v[8:9], v[14:15]
	s_wait_dscnt 0x2
	v_fma_f64 v[14:15], v[20:21], v[37:38], v[53:54]
	v_fma_f64 v[24:25], v[22:23], v[37:38], v[24:25]
	ds_load_2addr_b64 v[20:23], v30 offset0:160 offset1:176
	s_wait_dscnt 0x0
	v_fma_f64 v[37:38], v[20:21], v[10:11], v[49:50]
	v_fma_f64 v[49:50], v[22:23], v[10:11], v[8:9]
	;; [unrolled: 1-line block ×4, first 2 shown]
	ds_load_2addr_b64 v[8:11], v30 offset0:192 offset1:208
	ds_load_2addr_b64 v[22:25], v30 offset0:224 offset1:240
	s_wait_loadcnt_dscnt 0x0
	s_barrier_signal -1
	s_barrier_wait -1
	global_inv scope:SCOPE_SE
	v_fma_f64 v[37:38], v[8:9], v[41:42], v[37:38]
	v_fma_f64 v[39:40], v[10:11], v[41:42], v[49:50]
	;; [unrolled: 1-line block ×4, first 2 shown]
	s_delay_alu instid0(VALU_DEP_4) | instskip(NEXT) | instid1(VALU_DEP_4)
	v_fma_f64 v[20:21], v[22:23], v[43:44], v[37:38]
	v_fma_f64 v[14:15], v[24:25], v[43:44], v[39:40]
	s_delay_alu instid0(VALU_DEP_4) | instskip(NEXT) | instid1(VALU_DEP_4)
	v_fma_f64 v[10:11], v[22:23], v[47:48], v[8:9]
	v_fma_f64 v[8:9], v[24:25], v[47:48], v[41:42]
	s_cbranch_scc0 .LBB325_13
.LBB325_9:                              ;   Parent Loop BB325_6 Depth=1
                                        ; =>  This Inner Loop Header: Depth=2
	s_wait_alu 0xfffe
	v_add_nc_u32_e32 v22, s12, v27
	s_delay_alu instid0(VALU_DEP_1)
	v_cmp_gt_i32_e32 vcc_lo, s21, v22
	v_mov_b32_e32 v22, 0
	v_mov_b32_e32 v23, 0
	s_and_b32 s26, s0, vcc_lo
	s_wait_alu 0xfffe
	s_and_saveexec_b32 s13, s26
	s_cbranch_execz .LBB325_11
; %bb.10:                               ;   in Loop: Header=BB325_9 Depth=2
	flat_load_b64 v[22:23], v[16:17]
.LBB325_11:                             ;   in Loop: Header=BB325_9 Depth=2
	s_wait_alu 0xfffe
	s_or_b32 exec_lo, exec_lo, s13
	v_add_nc_u32_e32 v24, s12, v26
	s_wait_loadcnt_dscnt 0x0
	ds_store_b64 v28, v[22:23]
	v_cmp_gt_i32_e32 vcc_lo, s21, v24
	v_mov_b32_e32 v24, 0
	v_mov_b32_e32 v25, 0
	s_and_b32 s26, vcc_lo, s1
	s_wait_alu 0xfffe
	s_and_saveexec_b32 s13, s26
	s_cbranch_execz .LBB325_8
; %bb.12:                               ;   in Loop: Header=BB325_9 Depth=2
	flat_load_b64 v[24:25], v[18:19]
	s_branch .LBB325_8
.LBB325_13:                             ;   in Loop: Header=BB325_6 Depth=1
	s_wait_loadcnt 0x0
	v_add_co_u32 v16, vcc_lo, v12, s8
	s_wait_alu 0xfffd
	v_add_co_ci_u32_e64 v17, null, s9, v13, vcc_lo
	s_delay_alu instid0(VALU_DEP_2) | instskip(SKIP_1) | instid1(VALU_DEP_2)
	v_add_co_u32 v18, vcc_lo, v16, v4
	s_wait_alu 0xfffd
	v_add_co_ci_u32_e64 v19, null, v17, v5, vcc_lo
	s_and_saveexec_b32 s12, s34
	s_cbranch_execz .LBB325_17
; %bb.14:                               ;   in Loop: Header=BB325_6 Depth=1
	v_mul_f64_e32 v[12:13], s[22:23], v[20:21]
	s_and_b32 vcc_lo, exec_lo, s33
	s_wait_alu 0xfffe
	s_cbranch_vccz .LBB325_28
; %bb.15:                               ;   in Loop: Header=BB325_6 Depth=1
	v_lshlrev_b64_e32 v[20:21], 3, v[0:1]
	s_delay_alu instid0(VALU_DEP_1) | instskip(SKIP_1) | instid1(VALU_DEP_2)
	v_add_co_u32 v20, vcc_lo, v18, v20
	s_wait_alu 0xfffd
	v_add_co_ci_u32_e64 v21, null, v19, v21, vcc_lo
	flat_load_b64 v[22:23], v[20:21]
	s_wait_loadcnt_dscnt 0x0
	v_fma_f64 v[22:23], s[14:15], v[22:23], v[12:13]
	flat_store_b64 v[20:21], v[22:23]
	s_cbranch_execnz .LBB325_17
.LBB325_16:                             ;   in Loop: Header=BB325_6 Depth=1
	v_lshlrev_b64_e32 v[20:21], 3, v[0:1]
	s_delay_alu instid0(VALU_DEP_1) | instskip(SKIP_1) | instid1(VALU_DEP_2)
	v_add_co_u32 v20, vcc_lo, v18, v20
	s_wait_alu 0xfffd
	v_add_co_ci_u32_e64 v21, null, v19, v21, vcc_lo
	flat_store_b64 v[20:21], v[12:13]
.LBB325_17:                             ;   in Loop: Header=BB325_6 Depth=1
	s_wait_alu 0xfffe
	s_or_b32 exec_lo, exec_lo, s12
	s_and_saveexec_b32 s12, s20
	s_cbranch_execz .LBB325_21
; %bb.18:                               ;   in Loop: Header=BB325_6 Depth=1
	v_mul_f64_e32 v[12:13], s[22:23], v[14:15]
	s_and_not1_b32 vcc_lo, exec_lo, s33
	s_wait_alu 0xfffe
	s_cbranch_vccnz .LBB325_29
; %bb.19:                               ;   in Loop: Header=BB325_6 Depth=1
	v_lshlrev_b64_e32 v[14:15], 3, v[2:3]
	s_delay_alu instid0(VALU_DEP_1) | instskip(SKIP_1) | instid1(VALU_DEP_2)
	v_add_co_u32 v14, vcc_lo, v18, v14
	s_wait_alu 0xfffd
	v_add_co_ci_u32_e64 v15, null, v19, v15, vcc_lo
	flat_load_b64 v[20:21], v[14:15]
	s_wait_loadcnt_dscnt 0x0
	v_fma_f64 v[20:21], s[14:15], v[20:21], v[12:13]
	flat_store_b64 v[14:15], v[20:21]
	s_cbranch_execnz .LBB325_21
.LBB325_20:                             ;   in Loop: Header=BB325_6 Depth=1
	v_lshlrev_b64_e32 v[14:15], 3, v[2:3]
	s_delay_alu instid0(VALU_DEP_1) | instskip(SKIP_1) | instid1(VALU_DEP_2)
	v_add_co_u32 v14, vcc_lo, v18, v14
	s_wait_alu 0xfffd
	v_add_co_ci_u32_e64 v15, null, v19, v15, vcc_lo
	flat_store_b64 v[14:15], v[12:13]
.LBB325_21:                             ;   in Loop: Header=BB325_6 Depth=1
	s_wait_alu 0xfffe
	s_or_b32 exec_lo, exec_lo, s12
	v_add_co_u32 v14, vcc_lo, v16, v6
	s_wait_alu 0xfffd
	v_add_co_ci_u32_e64 v15, null, v17, v7, vcc_lo
	s_and_saveexec_b32 s12, s18
	s_cbranch_execz .LBB325_25
; %bb.22:                               ;   in Loop: Header=BB325_6 Depth=1
	v_mul_f64_e32 v[10:11], s[22:23], v[10:11]
	v_lshlrev_b64_e32 v[12:13], 3, v[0:1]
	s_and_not1_b32 vcc_lo, exec_lo, s33
	s_wait_alu 0xfffe
	s_cbranch_vccnz .LBB325_30
; %bb.23:                               ;   in Loop: Header=BB325_6 Depth=1
	s_delay_alu instid0(VALU_DEP_1)
	v_add_co_u32 v16, vcc_lo, v14, v12
	s_wait_alu 0xfffd
	v_add_co_ci_u32_e64 v17, null, v15, v13, vcc_lo
	flat_load_b64 v[18:19], v[16:17]
	s_wait_loadcnt_dscnt 0x0
	v_fma_f64 v[18:19], s[14:15], v[18:19], v[10:11]
	flat_store_b64 v[16:17], v[18:19]
	s_cbranch_execnz .LBB325_25
.LBB325_24:                             ;   in Loop: Header=BB325_6 Depth=1
	s_delay_alu instid0(VALU_DEP_1)
	v_add_co_u32 v12, vcc_lo, v14, v12
	s_wait_alu 0xfffd
	v_add_co_ci_u32_e64 v13, null, v15, v13, vcc_lo
	flat_store_b64 v[12:13], v[10:11]
.LBB325_25:                             ;   in Loop: Header=BB325_6 Depth=1
	s_wait_alu 0xfffe
	s_or_b32 exec_lo, exec_lo, s12
	s_and_saveexec_b32 s12, s35
	s_cbranch_execz .LBB325_5
; %bb.26:                               ;   in Loop: Header=BB325_6 Depth=1
	v_mul_f64_e32 v[8:9], s[22:23], v[8:9]
	v_lshlrev_b64_e32 v[10:11], 3, v[2:3]
	s_and_not1_b32 vcc_lo, exec_lo, s33
	s_wait_alu 0xfffe
	s_cbranch_vccnz .LBB325_31
; %bb.27:                               ;   in Loop: Header=BB325_6 Depth=1
	s_delay_alu instid0(VALU_DEP_1)
	v_add_co_u32 v12, vcc_lo, v14, v10
	s_wait_alu 0xfffd
	v_add_co_ci_u32_e64 v13, null, v15, v11, vcc_lo
	flat_load_b64 v[16:17], v[12:13]
	s_wait_loadcnt_dscnt 0x0
	v_fma_f64 v[16:17], s[14:15], v[16:17], v[8:9]
	flat_store_b64 v[12:13], v[16:17]
	s_cbranch_execnz .LBB325_5
	s_branch .LBB325_32
.LBB325_28:                             ;   in Loop: Header=BB325_6 Depth=1
	s_branch .LBB325_16
.LBB325_29:                             ;   in Loop: Header=BB325_6 Depth=1
	s_branch .LBB325_20
.LBB325_30:                             ;   in Loop: Header=BB325_6 Depth=1
	s_branch .LBB325_24
.LBB325_31:                             ;   in Loop: Header=BB325_6 Depth=1
.LBB325_32:                             ;   in Loop: Header=BB325_6 Depth=1
	s_delay_alu instid0(VALU_DEP_1)
	v_add_co_u32 v10, vcc_lo, v14, v10
	s_wait_alu 0xfffd
	v_add_co_ci_u32_e64 v11, null, v15, v11, vcc_lo
	flat_store_b64 v[10:11], v[8:9]
	s_branch .LBB325_5
.LBB325_33:
	s_endpgm
	.section	.rodata,"a",@progbits
	.p2align	6, 0x0
	.amdhsa_kernel _ZL29rocblas_internal_gemmt_kernelIiLi16ELi32ELi8ELc78ELc84ELc85ELb0ELb0EdPKdPKS1_PKPdEviT_T9_T10_S7_lS9_S7_lS8_T11_S7_li
		.amdhsa_group_segment_fixed_size 4096
		.amdhsa_private_segment_fixed_size 0
		.amdhsa_kernarg_size 100
		.amdhsa_user_sgpr_count 2
		.amdhsa_user_sgpr_dispatch_ptr 0
		.amdhsa_user_sgpr_queue_ptr 0
		.amdhsa_user_sgpr_kernarg_segment_ptr 1
		.amdhsa_user_sgpr_dispatch_id 0
		.amdhsa_user_sgpr_private_segment_size 0
		.amdhsa_wavefront_size32 1
		.amdhsa_uses_dynamic_stack 0
		.amdhsa_enable_private_segment 0
		.amdhsa_system_sgpr_workgroup_id_x 1
		.amdhsa_system_sgpr_workgroup_id_y 1
		.amdhsa_system_sgpr_workgroup_id_z 1
		.amdhsa_system_sgpr_workgroup_info 0
		.amdhsa_system_vgpr_workitem_id 1
		.amdhsa_next_free_vgpr 55
		.amdhsa_next_free_sgpr 37
		.amdhsa_reserve_vcc 1
		.amdhsa_float_round_mode_32 0
		.amdhsa_float_round_mode_16_64 0
		.amdhsa_float_denorm_mode_32 3
		.amdhsa_float_denorm_mode_16_64 3
		.amdhsa_fp16_overflow 0
		.amdhsa_workgroup_processor_mode 1
		.amdhsa_memory_ordered 1
		.amdhsa_forward_progress 1
		.amdhsa_inst_pref_size 17
		.amdhsa_round_robin_scheduling 0
		.amdhsa_exception_fp_ieee_invalid_op 0
		.amdhsa_exception_fp_denorm_src 0
		.amdhsa_exception_fp_ieee_div_zero 0
		.amdhsa_exception_fp_ieee_overflow 0
		.amdhsa_exception_fp_ieee_underflow 0
		.amdhsa_exception_fp_ieee_inexact 0
		.amdhsa_exception_int_div_zero 0
	.end_amdhsa_kernel
	.section	.text._ZL29rocblas_internal_gemmt_kernelIiLi16ELi32ELi8ELc78ELc84ELc85ELb0ELb0EdPKdPKS1_PKPdEviT_T9_T10_S7_lS9_S7_lS8_T11_S7_li,"axG",@progbits,_ZL29rocblas_internal_gemmt_kernelIiLi16ELi32ELi8ELc78ELc84ELc85ELb0ELb0EdPKdPKS1_PKPdEviT_T9_T10_S7_lS9_S7_lS8_T11_S7_li,comdat
.Lfunc_end325:
	.size	_ZL29rocblas_internal_gemmt_kernelIiLi16ELi32ELi8ELc78ELc84ELc85ELb0ELb0EdPKdPKS1_PKPdEviT_T9_T10_S7_lS9_S7_lS8_T11_S7_li, .Lfunc_end325-_ZL29rocblas_internal_gemmt_kernelIiLi16ELi32ELi8ELc78ELc84ELc85ELb0ELb0EdPKdPKS1_PKPdEviT_T9_T10_S7_lS9_S7_lS8_T11_S7_li
                                        ; -- End function
	.set _ZL29rocblas_internal_gemmt_kernelIiLi16ELi32ELi8ELc78ELc84ELc85ELb0ELb0EdPKdPKS1_PKPdEviT_T9_T10_S7_lS9_S7_lS8_T11_S7_li.num_vgpr, 55
	.set _ZL29rocblas_internal_gemmt_kernelIiLi16ELi32ELi8ELc78ELc84ELc85ELb0ELb0EdPKdPKS1_PKPdEviT_T9_T10_S7_lS9_S7_lS8_T11_S7_li.num_agpr, 0
	.set _ZL29rocblas_internal_gemmt_kernelIiLi16ELi32ELi8ELc78ELc84ELc85ELb0ELb0EdPKdPKS1_PKPdEviT_T9_T10_S7_lS9_S7_lS8_T11_S7_li.numbered_sgpr, 37
	.set _ZL29rocblas_internal_gemmt_kernelIiLi16ELi32ELi8ELc78ELc84ELc85ELb0ELb0EdPKdPKS1_PKPdEviT_T9_T10_S7_lS9_S7_lS8_T11_S7_li.num_named_barrier, 0
	.set _ZL29rocblas_internal_gemmt_kernelIiLi16ELi32ELi8ELc78ELc84ELc85ELb0ELb0EdPKdPKS1_PKPdEviT_T9_T10_S7_lS9_S7_lS8_T11_S7_li.private_seg_size, 0
	.set _ZL29rocblas_internal_gemmt_kernelIiLi16ELi32ELi8ELc78ELc84ELc85ELb0ELb0EdPKdPKS1_PKPdEviT_T9_T10_S7_lS9_S7_lS8_T11_S7_li.uses_vcc, 1
	.set _ZL29rocblas_internal_gemmt_kernelIiLi16ELi32ELi8ELc78ELc84ELc85ELb0ELb0EdPKdPKS1_PKPdEviT_T9_T10_S7_lS9_S7_lS8_T11_S7_li.uses_flat_scratch, 0
	.set _ZL29rocblas_internal_gemmt_kernelIiLi16ELi32ELi8ELc78ELc84ELc85ELb0ELb0EdPKdPKS1_PKPdEviT_T9_T10_S7_lS9_S7_lS8_T11_S7_li.has_dyn_sized_stack, 0
	.set _ZL29rocblas_internal_gemmt_kernelIiLi16ELi32ELi8ELc78ELc84ELc85ELb0ELb0EdPKdPKS1_PKPdEviT_T9_T10_S7_lS9_S7_lS8_T11_S7_li.has_recursion, 0
	.set _ZL29rocblas_internal_gemmt_kernelIiLi16ELi32ELi8ELc78ELc84ELc85ELb0ELb0EdPKdPKS1_PKPdEviT_T9_T10_S7_lS9_S7_lS8_T11_S7_li.has_indirect_call, 0
	.section	.AMDGPU.csdata,"",@progbits
; Kernel info:
; codeLenInByte = 2136
; TotalNumSgprs: 39
; NumVgprs: 55
; ScratchSize: 0
; MemoryBound: 0
; FloatMode: 240
; IeeeMode: 1
; LDSByteSize: 4096 bytes/workgroup (compile time only)
; SGPRBlocks: 0
; VGPRBlocks: 6
; NumSGPRsForWavesPerEU: 39
; NumVGPRsForWavesPerEU: 55
; Occupancy: 16
; WaveLimiterHint : 1
; COMPUTE_PGM_RSRC2:SCRATCH_EN: 0
; COMPUTE_PGM_RSRC2:USER_SGPR: 2
; COMPUTE_PGM_RSRC2:TRAP_HANDLER: 0
; COMPUTE_PGM_RSRC2:TGID_X_EN: 1
; COMPUTE_PGM_RSRC2:TGID_Y_EN: 1
; COMPUTE_PGM_RSRC2:TGID_Z_EN: 1
; COMPUTE_PGM_RSRC2:TIDIG_COMP_CNT: 1
	.section	.text._ZL29rocblas_internal_gemmt_kernelIiLi16ELi32ELi8ELc78ELc67ELc85ELb0ELb0EdPKdPKS1_PKPdEviT_T9_T10_S7_lS9_S7_lS8_T11_S7_li,"axG",@progbits,_ZL29rocblas_internal_gemmt_kernelIiLi16ELi32ELi8ELc78ELc67ELc85ELb0ELb0EdPKdPKS1_PKPdEviT_T9_T10_S7_lS9_S7_lS8_T11_S7_li,comdat
	.globl	_ZL29rocblas_internal_gemmt_kernelIiLi16ELi32ELi8ELc78ELc67ELc85ELb0ELb0EdPKdPKS1_PKPdEviT_T9_T10_S7_lS9_S7_lS8_T11_S7_li ; -- Begin function _ZL29rocblas_internal_gemmt_kernelIiLi16ELi32ELi8ELc78ELc67ELc85ELb0ELb0EdPKdPKS1_PKPdEviT_T9_T10_S7_lS9_S7_lS8_T11_S7_li
	.p2align	8
	.type	_ZL29rocblas_internal_gemmt_kernelIiLi16ELi32ELi8ELc78ELc67ELc85ELb0ELb0EdPKdPKS1_PKPdEviT_T9_T10_S7_lS9_S7_lS8_T11_S7_li,@function
_ZL29rocblas_internal_gemmt_kernelIiLi16ELi32ELi8ELc78ELc67ELc85ELb0ELb0EdPKdPKS1_PKPdEviT_T9_T10_S7_lS9_S7_lS8_T11_S7_li: ; @_ZL29rocblas_internal_gemmt_kernelIiLi16ELi32ELi8ELc78ELc67ELc85ELb0ELb0EdPKdPKS1_PKPdEviT_T9_T10_S7_lS9_S7_lS8_T11_S7_li
; %bb.0:
	s_load_b128 s[12:15], s[0:1], 0x38
	s_wait_kmcnt 0x0
	s_load_b64 s[14:15], s[14:15], 0x0
	s_clause 0x1
	s_load_b128 s[4:7], s[0:1], 0x8
	s_load_b64 s[20:21], s[0:1], 0x0
	s_wait_kmcnt 0x0
	s_load_b64 s[22:23], s[4:5], 0x0
	v_cmp_neq_f64_e64 s2, s[14:15], 1.0
	s_and_b32 vcc_lo, exec_lo, s2
	s_cbranch_vccnz .LBB326_2
; %bb.1:
	s_wait_kmcnt 0x0
	v_cmp_neq_f64_e64 s2, s[22:23], 0
	s_cmp_lg_u32 s21, 0
	s_cselect_b32 s3, -1, 0
	s_delay_alu instid0(SALU_CYCLE_1)
	s_and_b32 s2, s3, s2
.LBB326_2:
	s_delay_alu instid0(SALU_CYCLE_1)
	s_and_not1_b32 vcc_lo, exec_lo, s2
	s_cbranch_vccnz .LBB326_33
; %bb.3:
	s_load_b32 s19, s[0:1], 0x60
	s_lshr_b32 s24, ttmp7, 16
	s_wait_kmcnt 0x0
	s_cmp_ge_u32 s24, s19
	s_cbranch_scc1 .LBB326_33
; %bb.4:
	v_dual_mov_b32 v34, 0 :: v_dual_and_b32 v1, 0x3ff, v0
	v_bfe_u32 v2, v0, 10, 10
	v_and_b32_e32 v26, 7, v0
	s_clause 0x1
	s_load_b32 s26, s[0:1], 0x18
	s_load_b32 s28, s[0:1], 0x30
	s_lshl_b32 s2, ttmp9, 5
	s_load_b128 s[8:11], s[0:1], 0x20
	v_lshl_add_u32 v0, v2, 4, v1
	v_lshlrev_b32_e32 v6, 3, v26
	s_clause 0x1
	s_load_b96 s[16:18], s[0:1], 0x48
	s_load_b64 s[30:31], s[0:1], 0x58
	s_lshl_b32 s0, ttmp7, 5
	v_cmp_neq_f64_e64 s5, s[22:23], 0
	v_and_b32_e32 v3, 31, v0
	v_lshrrev_b32_e32 v5, 3, v0
	v_lshrrev_b32_e32 v27, 5, v0
	s_and_b32 s3, s0, 0x1fffe0
	v_cmp_neq_f64_e64 s33, s[14:15], 0
	v_or_b32_e32 v4, s2, v3
	v_lshlrev_b32_e32 v0, 3, v3
	v_lshl_or_b32 v3, v5, 6, v6
	v_lshl_add_u32 v31, v2, 6, 0x800
	v_add_nc_u32_e32 v14, s3, v5
	v_cmp_gt_i32_e64 s0, s20, v4
	v_lshl_or_b32 v28, v27, 8, v0
	v_add_nc_u32_e32 v29, 0x800, v3
	v_add_nc_u32_e32 v3, s3, v2
	;; [unrolled: 1-line block ×3, first 2 shown]
	s_wait_kmcnt 0x0
	s_ashr_i32 s27, s26, 31
	s_ashr_i32 s29, s28, 31
	s_cmp_gt_i32 s21, 0
	v_cmp_gt_i32_e32 vcc_lo, s20, v3
	v_cmp_le_i32_e64 s2, v0, v3
	v_add_nc_u32_e32 v2, 16, v0
	v_mad_co_i64_i32 v[8:9], null, v27, s26, 0
	s_cselect_b32 s36, -1, 0
	v_add_nc_u32_e32 v5, 16, v3
	s_and_b32 s34, vcc_lo, s2
	v_cmp_le_i32_e64 s2, v2, v3
	v_cmp_gt_i32_e64 s1, s20, v14
	v_mad_co_i64_i32 v[12:13], null, s28, v26, 0
	v_cmp_gt_i32_e64 s3, s20, v5
	v_cmp_le_i32_e64 s4, v0, v5
	s_and_b32 s20, vcc_lo, s2
	v_cmp_le_i32_e32 vcc_lo, v2, v5
	v_lshlrev_b64_e32 v[8:9], 3, v[8:9]
	v_mad_co_i64_i32 v[10:11], null, v5, s18, 0
	v_ashrrev_i32_e32 v5, 31, v4
	v_mad_co_i64_i32 v[6:7], null, v3, s18, 0
	s_and_b32 s18, s3, s4
	s_and_b32 s35, s3, vcc_lo
	s_lshl_b64 s[2:3], s[8:9], 3
	v_lshlrev_b64_e32 v[4:5], 3, v[4:5]
	s_wait_alu 0xfffe
	v_add_co_u32 v15, vcc_lo, v8, s2
	s_delay_alu instid0(VALU_DEP_1) | instskip(SKIP_1) | instid1(VALU_DEP_3)
	v_add_co_ci_u32_e64 v16, null, s3, v9, vcc_lo
	v_lshlrev_b64_e32 v[8:9], 3, v[12:13]
	v_add_co_u32 v32, vcc_lo, v15, v4
	s_lshl_b64 s[2:3], s[12:13], 3
	s_wait_alu 0xfffd
	v_add_co_ci_u32_e64 v33, null, v16, v5, vcc_lo
	v_lshlrev_b32_e32 v4, 3, v14
	s_wait_alu 0xfffe
	v_add_co_u32 v5, vcc_lo, v8, s2
	s_wait_alu 0xfffd
	v_add_co_ci_u32_e64 v8, null, s3, v9, vcc_lo
	v_lshlrev_b32_e32 v30, 3, v1
	s_delay_alu instid0(VALU_DEP_3)
	v_add_co_u32 v35, vcc_lo, v5, v4
	v_lshlrev_b64_e32 v[4:5], 3, v[6:7]
	v_lshlrev_b64_e32 v[6:7], 3, v[10:11]
	v_ashrrev_i32_e32 v1, 31, v0
	v_ashrrev_i32_e32 v3, 31, v2
	s_wait_alu 0xfffd
	v_add_co_ci_u32_e64 v36, null, 0, v8, vcc_lo
	s_mov_b32 s25, 0
	s_and_b32 s36, s5, s36
	s_lshl_b64 s[2:3], s[26:27], 6
	s_lshl_b64 s[4:5], s[28:29], 6
	;; [unrolled: 1-line block ×3, first 2 shown]
	s_branch .LBB326_6
.LBB326_5:                              ;   in Loop: Header=BB326_6 Depth=1
	s_wait_alu 0xfffe
	s_or_b32 exec_lo, exec_lo, s12
	s_add_co_i32 s24, s24, 0x10000
	s_delay_alu instid0(SALU_CYCLE_1)
	s_cmp_lt_u32 s24, s19
	s_cbranch_scc0 .LBB326_33
.LBB326_6:                              ; =>This Loop Header: Depth=1
                                        ;     Child Loop BB326_9 Depth 2
	s_lshl_b64 s[12:13], s[24:25], 3
	v_mov_b32_e32 v20, 0
	s_wait_alu 0xfffe
	s_add_nc_u64 s[26:27], s[16:17], s[12:13]
	v_mov_b32_e32 v10, 0
	global_load_b64 v[12:13], v34, s[26:27]
	v_dual_mov_b32 v21, 0 :: v_dual_mov_b32 v14, 0
	v_dual_mov_b32 v11, 0 :: v_dual_mov_b32 v8, 0
	v_mov_b32_e32 v15, 0
	v_mov_b32_e32 v9, 0
	s_and_not1_b32 vcc_lo, exec_lo, s36
	s_wait_alu 0xfffe
	s_cbranch_vccnz .LBB326_13
; %bb.7:                                ;   in Loop: Header=BB326_6 Depth=1
	s_add_nc_u64 s[26:27], s[6:7], s[12:13]
	s_add_nc_u64 s[12:13], s[10:11], s[12:13]
	s_clause 0x1
	global_load_b64 v[16:17], v34, s[26:27]
	global_load_b64 v[18:19], v34, s[12:13]
	v_mov_b32_e32 v8, 0
	v_dual_mov_b32 v14, 0 :: v_dual_mov_b32 v9, 0
	v_dual_mov_b32 v10, 0 :: v_dual_mov_b32 v15, 0
	;; [unrolled: 1-line block ×3, first 2 shown]
	v_mov_b32_e32 v21, 0
	s_mov_b32 s12, 0
	s_wait_loadcnt 0x1
	v_add_co_u32 v16, vcc_lo, v16, v32
	s_wait_alu 0xfffd
	v_add_co_ci_u32_e64 v17, null, v17, v33, vcc_lo
	s_wait_loadcnt 0x0
	v_add_co_u32 v18, vcc_lo, v18, v35
	s_wait_alu 0xfffd
	v_add_co_ci_u32_e64 v19, null, v19, v36, vcc_lo
	s_branch .LBB326_9
.LBB326_8:                              ;   in Loop: Header=BB326_9 Depth=2
	s_wait_alu 0xfffe
	s_or_b32 exec_lo, exec_lo, s13
	s_wait_loadcnt_dscnt 0x0
	ds_store_b64 v29, v[24:25]
	s_wait_dscnt 0x0
	s_barrier_signal -1
	s_barrier_wait -1
	global_inv scope:SCOPE_SE
	ds_load_b128 v[22:25], v31
	ds_load_2addr_b64 v[37:40], v30 offset1:16
	ds_load_b128 v[41:44], v31 offset:1024
	ds_load_b128 v[45:48], v31 offset:16
	;; [unrolled: 1-line block ×3, first 2 shown]
	v_add_co_u32 v16, vcc_lo, v16, s2
	s_wait_alu 0xfffd
	v_add_co_ci_u32_e64 v17, null, s3, v17, vcc_lo
	v_add_co_u32 v18, vcc_lo, v18, s4
	s_wait_alu 0xfffd
	v_add_co_ci_u32_e64 v19, null, s5, v19, vcc_lo
	s_add_co_i32 s12, s12, 8
	s_wait_alu 0xfffe
	s_cmp_lt_i32 s12, s21
	s_wait_dscnt 0x3
	v_fma_f64 v[20:21], v[37:38], v[22:23], v[20:21]
	v_fma_f64 v[14:15], v[39:40], v[22:23], v[14:15]
	s_wait_dscnt 0x2
	v_fma_f64 v[22:23], v[37:38], v[41:42], v[10:11]
	v_fma_f64 v[37:38], v[39:40], v[41:42], v[8:9]
	ds_load_2addr_b64 v[8:11], v30 offset0:32 offset1:48
	s_wait_dscnt 0x0
	v_fma_f64 v[20:21], v[8:9], v[24:25], v[20:21]
	v_fma_f64 v[14:15], v[10:11], v[24:25], v[14:15]
	v_fma_f64 v[22:23], v[8:9], v[43:44], v[22:23]
	v_fma_f64 v[24:25], v[10:11], v[43:44], v[37:38]
	ds_load_2addr_b64 v[8:11], v30 offset0:64 offset1:80
	s_wait_dscnt 0x0
	v_fma_f64 v[20:21], v[8:9], v[45:46], v[20:21]
	v_fma_f64 v[14:15], v[10:11], v[45:46], v[14:15]
	;; [unrolled: 6-line block ×3, first 2 shown]
	v_fma_f64 v[53:54], v[8:9], v[51:52], v[22:23]
	v_fma_f64 v[24:25], v[10:11], v[51:52], v[24:25]
	ds_load_b128 v[8:11], v31 offset:32
	ds_load_2addr_b64 v[20:23], v30 offset0:128 offset1:144
	ds_load_b128 v[37:40], v31 offset:1056
	ds_load_b128 v[41:44], v31 offset:48
	;; [unrolled: 1-line block ×3, first 2 shown]
	s_wait_dscnt 0x3
	v_fma_f64 v[49:50], v[20:21], v[8:9], v[49:50]
	v_fma_f64 v[8:9], v[22:23], v[8:9], v[14:15]
	s_wait_dscnt 0x2
	v_fma_f64 v[14:15], v[20:21], v[37:38], v[53:54]
	v_fma_f64 v[24:25], v[22:23], v[37:38], v[24:25]
	ds_load_2addr_b64 v[20:23], v30 offset0:160 offset1:176
	s_wait_dscnt 0x0
	v_fma_f64 v[37:38], v[20:21], v[10:11], v[49:50]
	v_fma_f64 v[49:50], v[22:23], v[10:11], v[8:9]
	v_fma_f64 v[14:15], v[20:21], v[39:40], v[14:15]
	v_fma_f64 v[20:21], v[22:23], v[39:40], v[24:25]
	ds_load_2addr_b64 v[8:11], v30 offset0:192 offset1:208
	ds_load_2addr_b64 v[22:25], v30 offset0:224 offset1:240
	s_wait_loadcnt_dscnt 0x0
	s_barrier_signal -1
	s_barrier_wait -1
	global_inv scope:SCOPE_SE
	v_fma_f64 v[37:38], v[8:9], v[41:42], v[37:38]
	v_fma_f64 v[39:40], v[10:11], v[41:42], v[49:50]
	;; [unrolled: 1-line block ×4, first 2 shown]
	s_delay_alu instid0(VALU_DEP_4) | instskip(NEXT) | instid1(VALU_DEP_4)
	v_fma_f64 v[20:21], v[22:23], v[43:44], v[37:38]
	v_fma_f64 v[14:15], v[24:25], v[43:44], v[39:40]
	s_delay_alu instid0(VALU_DEP_4) | instskip(NEXT) | instid1(VALU_DEP_4)
	v_fma_f64 v[10:11], v[22:23], v[47:48], v[8:9]
	v_fma_f64 v[8:9], v[24:25], v[47:48], v[41:42]
	s_cbranch_scc0 .LBB326_13
.LBB326_9:                              ;   Parent Loop BB326_6 Depth=1
                                        ; =>  This Inner Loop Header: Depth=2
	s_wait_alu 0xfffe
	v_add_nc_u32_e32 v22, s12, v27
	s_delay_alu instid0(VALU_DEP_1)
	v_cmp_gt_i32_e32 vcc_lo, s21, v22
	v_mov_b32_e32 v22, 0
	v_mov_b32_e32 v23, 0
	s_and_b32 s26, s0, vcc_lo
	s_wait_alu 0xfffe
	s_and_saveexec_b32 s13, s26
	s_cbranch_execz .LBB326_11
; %bb.10:                               ;   in Loop: Header=BB326_9 Depth=2
	flat_load_b64 v[22:23], v[16:17]
.LBB326_11:                             ;   in Loop: Header=BB326_9 Depth=2
	s_wait_alu 0xfffe
	s_or_b32 exec_lo, exec_lo, s13
	v_add_nc_u32_e32 v24, s12, v26
	s_wait_loadcnt_dscnt 0x0
	ds_store_b64 v28, v[22:23]
	v_cmp_gt_i32_e32 vcc_lo, s21, v24
	v_mov_b32_e32 v24, 0
	v_mov_b32_e32 v25, 0
	s_and_b32 s26, vcc_lo, s1
	s_wait_alu 0xfffe
	s_and_saveexec_b32 s13, s26
	s_cbranch_execz .LBB326_8
; %bb.12:                               ;   in Loop: Header=BB326_9 Depth=2
	flat_load_b64 v[24:25], v[18:19]
	s_branch .LBB326_8
.LBB326_13:                             ;   in Loop: Header=BB326_6 Depth=1
	s_wait_loadcnt 0x0
	v_add_co_u32 v16, vcc_lo, v12, s8
	s_wait_alu 0xfffd
	v_add_co_ci_u32_e64 v17, null, s9, v13, vcc_lo
	s_delay_alu instid0(VALU_DEP_2) | instskip(SKIP_1) | instid1(VALU_DEP_2)
	v_add_co_u32 v18, vcc_lo, v16, v4
	s_wait_alu 0xfffd
	v_add_co_ci_u32_e64 v19, null, v17, v5, vcc_lo
	s_and_saveexec_b32 s12, s34
	s_cbranch_execz .LBB326_17
; %bb.14:                               ;   in Loop: Header=BB326_6 Depth=1
	v_mul_f64_e32 v[12:13], s[22:23], v[20:21]
	s_and_b32 vcc_lo, exec_lo, s33
	s_wait_alu 0xfffe
	s_cbranch_vccz .LBB326_28
; %bb.15:                               ;   in Loop: Header=BB326_6 Depth=1
	v_lshlrev_b64_e32 v[20:21], 3, v[0:1]
	s_delay_alu instid0(VALU_DEP_1) | instskip(SKIP_1) | instid1(VALU_DEP_2)
	v_add_co_u32 v20, vcc_lo, v18, v20
	s_wait_alu 0xfffd
	v_add_co_ci_u32_e64 v21, null, v19, v21, vcc_lo
	flat_load_b64 v[22:23], v[20:21]
	s_wait_loadcnt_dscnt 0x0
	v_fma_f64 v[22:23], s[14:15], v[22:23], v[12:13]
	flat_store_b64 v[20:21], v[22:23]
	s_cbranch_execnz .LBB326_17
.LBB326_16:                             ;   in Loop: Header=BB326_6 Depth=1
	v_lshlrev_b64_e32 v[20:21], 3, v[0:1]
	s_delay_alu instid0(VALU_DEP_1) | instskip(SKIP_1) | instid1(VALU_DEP_2)
	v_add_co_u32 v20, vcc_lo, v18, v20
	s_wait_alu 0xfffd
	v_add_co_ci_u32_e64 v21, null, v19, v21, vcc_lo
	flat_store_b64 v[20:21], v[12:13]
.LBB326_17:                             ;   in Loop: Header=BB326_6 Depth=1
	s_wait_alu 0xfffe
	s_or_b32 exec_lo, exec_lo, s12
	s_and_saveexec_b32 s12, s20
	s_cbranch_execz .LBB326_21
; %bb.18:                               ;   in Loop: Header=BB326_6 Depth=1
	v_mul_f64_e32 v[12:13], s[22:23], v[14:15]
	s_and_not1_b32 vcc_lo, exec_lo, s33
	s_wait_alu 0xfffe
	s_cbranch_vccnz .LBB326_29
; %bb.19:                               ;   in Loop: Header=BB326_6 Depth=1
	v_lshlrev_b64_e32 v[14:15], 3, v[2:3]
	s_delay_alu instid0(VALU_DEP_1) | instskip(SKIP_1) | instid1(VALU_DEP_2)
	v_add_co_u32 v14, vcc_lo, v18, v14
	s_wait_alu 0xfffd
	v_add_co_ci_u32_e64 v15, null, v19, v15, vcc_lo
	flat_load_b64 v[20:21], v[14:15]
	s_wait_loadcnt_dscnt 0x0
	v_fma_f64 v[20:21], s[14:15], v[20:21], v[12:13]
	flat_store_b64 v[14:15], v[20:21]
	s_cbranch_execnz .LBB326_21
.LBB326_20:                             ;   in Loop: Header=BB326_6 Depth=1
	v_lshlrev_b64_e32 v[14:15], 3, v[2:3]
	s_delay_alu instid0(VALU_DEP_1) | instskip(SKIP_1) | instid1(VALU_DEP_2)
	v_add_co_u32 v14, vcc_lo, v18, v14
	s_wait_alu 0xfffd
	v_add_co_ci_u32_e64 v15, null, v19, v15, vcc_lo
	flat_store_b64 v[14:15], v[12:13]
.LBB326_21:                             ;   in Loop: Header=BB326_6 Depth=1
	s_wait_alu 0xfffe
	s_or_b32 exec_lo, exec_lo, s12
	v_add_co_u32 v14, vcc_lo, v16, v6
	s_wait_alu 0xfffd
	v_add_co_ci_u32_e64 v15, null, v17, v7, vcc_lo
	s_and_saveexec_b32 s12, s18
	s_cbranch_execz .LBB326_25
; %bb.22:                               ;   in Loop: Header=BB326_6 Depth=1
	v_mul_f64_e32 v[10:11], s[22:23], v[10:11]
	v_lshlrev_b64_e32 v[12:13], 3, v[0:1]
	s_and_not1_b32 vcc_lo, exec_lo, s33
	s_wait_alu 0xfffe
	s_cbranch_vccnz .LBB326_30
; %bb.23:                               ;   in Loop: Header=BB326_6 Depth=1
	s_delay_alu instid0(VALU_DEP_1)
	v_add_co_u32 v16, vcc_lo, v14, v12
	s_wait_alu 0xfffd
	v_add_co_ci_u32_e64 v17, null, v15, v13, vcc_lo
	flat_load_b64 v[18:19], v[16:17]
	s_wait_loadcnt_dscnt 0x0
	v_fma_f64 v[18:19], s[14:15], v[18:19], v[10:11]
	flat_store_b64 v[16:17], v[18:19]
	s_cbranch_execnz .LBB326_25
.LBB326_24:                             ;   in Loop: Header=BB326_6 Depth=1
	s_delay_alu instid0(VALU_DEP_1)
	v_add_co_u32 v12, vcc_lo, v14, v12
	s_wait_alu 0xfffd
	v_add_co_ci_u32_e64 v13, null, v15, v13, vcc_lo
	flat_store_b64 v[12:13], v[10:11]
.LBB326_25:                             ;   in Loop: Header=BB326_6 Depth=1
	s_wait_alu 0xfffe
	s_or_b32 exec_lo, exec_lo, s12
	s_and_saveexec_b32 s12, s35
	s_cbranch_execz .LBB326_5
; %bb.26:                               ;   in Loop: Header=BB326_6 Depth=1
	v_mul_f64_e32 v[8:9], s[22:23], v[8:9]
	v_lshlrev_b64_e32 v[10:11], 3, v[2:3]
	s_and_not1_b32 vcc_lo, exec_lo, s33
	s_wait_alu 0xfffe
	s_cbranch_vccnz .LBB326_31
; %bb.27:                               ;   in Loop: Header=BB326_6 Depth=1
	s_delay_alu instid0(VALU_DEP_1)
	v_add_co_u32 v12, vcc_lo, v14, v10
	s_wait_alu 0xfffd
	v_add_co_ci_u32_e64 v13, null, v15, v11, vcc_lo
	flat_load_b64 v[16:17], v[12:13]
	s_wait_loadcnt_dscnt 0x0
	v_fma_f64 v[16:17], s[14:15], v[16:17], v[8:9]
	flat_store_b64 v[12:13], v[16:17]
	s_cbranch_execnz .LBB326_5
	s_branch .LBB326_32
.LBB326_28:                             ;   in Loop: Header=BB326_6 Depth=1
	s_branch .LBB326_16
.LBB326_29:                             ;   in Loop: Header=BB326_6 Depth=1
	s_branch .LBB326_20
.LBB326_30:                             ;   in Loop: Header=BB326_6 Depth=1
	s_branch .LBB326_24
.LBB326_31:                             ;   in Loop: Header=BB326_6 Depth=1
.LBB326_32:                             ;   in Loop: Header=BB326_6 Depth=1
	s_delay_alu instid0(VALU_DEP_1)
	v_add_co_u32 v10, vcc_lo, v14, v10
	s_wait_alu 0xfffd
	v_add_co_ci_u32_e64 v11, null, v15, v11, vcc_lo
	flat_store_b64 v[10:11], v[8:9]
	s_branch .LBB326_5
.LBB326_33:
	s_endpgm
	.section	.rodata,"a",@progbits
	.p2align	6, 0x0
	.amdhsa_kernel _ZL29rocblas_internal_gemmt_kernelIiLi16ELi32ELi8ELc78ELc67ELc85ELb0ELb0EdPKdPKS1_PKPdEviT_T9_T10_S7_lS9_S7_lS8_T11_S7_li
		.amdhsa_group_segment_fixed_size 4096
		.amdhsa_private_segment_fixed_size 0
		.amdhsa_kernarg_size 100
		.amdhsa_user_sgpr_count 2
		.amdhsa_user_sgpr_dispatch_ptr 0
		.amdhsa_user_sgpr_queue_ptr 0
		.amdhsa_user_sgpr_kernarg_segment_ptr 1
		.amdhsa_user_sgpr_dispatch_id 0
		.amdhsa_user_sgpr_private_segment_size 0
		.amdhsa_wavefront_size32 1
		.amdhsa_uses_dynamic_stack 0
		.amdhsa_enable_private_segment 0
		.amdhsa_system_sgpr_workgroup_id_x 1
		.amdhsa_system_sgpr_workgroup_id_y 1
		.amdhsa_system_sgpr_workgroup_id_z 1
		.amdhsa_system_sgpr_workgroup_info 0
		.amdhsa_system_vgpr_workitem_id 1
		.amdhsa_next_free_vgpr 55
		.amdhsa_next_free_sgpr 37
		.amdhsa_reserve_vcc 1
		.amdhsa_float_round_mode_32 0
		.amdhsa_float_round_mode_16_64 0
		.amdhsa_float_denorm_mode_32 3
		.amdhsa_float_denorm_mode_16_64 3
		.amdhsa_fp16_overflow 0
		.amdhsa_workgroup_processor_mode 1
		.amdhsa_memory_ordered 1
		.amdhsa_forward_progress 1
		.amdhsa_inst_pref_size 17
		.amdhsa_round_robin_scheduling 0
		.amdhsa_exception_fp_ieee_invalid_op 0
		.amdhsa_exception_fp_denorm_src 0
		.amdhsa_exception_fp_ieee_div_zero 0
		.amdhsa_exception_fp_ieee_overflow 0
		.amdhsa_exception_fp_ieee_underflow 0
		.amdhsa_exception_fp_ieee_inexact 0
		.amdhsa_exception_int_div_zero 0
	.end_amdhsa_kernel
	.section	.text._ZL29rocblas_internal_gemmt_kernelIiLi16ELi32ELi8ELc78ELc67ELc85ELb0ELb0EdPKdPKS1_PKPdEviT_T9_T10_S7_lS9_S7_lS8_T11_S7_li,"axG",@progbits,_ZL29rocblas_internal_gemmt_kernelIiLi16ELi32ELi8ELc78ELc67ELc85ELb0ELb0EdPKdPKS1_PKPdEviT_T9_T10_S7_lS9_S7_lS8_T11_S7_li,comdat
.Lfunc_end326:
	.size	_ZL29rocblas_internal_gemmt_kernelIiLi16ELi32ELi8ELc78ELc67ELc85ELb0ELb0EdPKdPKS1_PKPdEviT_T9_T10_S7_lS9_S7_lS8_T11_S7_li, .Lfunc_end326-_ZL29rocblas_internal_gemmt_kernelIiLi16ELi32ELi8ELc78ELc67ELc85ELb0ELb0EdPKdPKS1_PKPdEviT_T9_T10_S7_lS9_S7_lS8_T11_S7_li
                                        ; -- End function
	.set _ZL29rocblas_internal_gemmt_kernelIiLi16ELi32ELi8ELc78ELc67ELc85ELb0ELb0EdPKdPKS1_PKPdEviT_T9_T10_S7_lS9_S7_lS8_T11_S7_li.num_vgpr, 55
	.set _ZL29rocblas_internal_gemmt_kernelIiLi16ELi32ELi8ELc78ELc67ELc85ELb0ELb0EdPKdPKS1_PKPdEviT_T9_T10_S7_lS9_S7_lS8_T11_S7_li.num_agpr, 0
	.set _ZL29rocblas_internal_gemmt_kernelIiLi16ELi32ELi8ELc78ELc67ELc85ELb0ELb0EdPKdPKS1_PKPdEviT_T9_T10_S7_lS9_S7_lS8_T11_S7_li.numbered_sgpr, 37
	.set _ZL29rocblas_internal_gemmt_kernelIiLi16ELi32ELi8ELc78ELc67ELc85ELb0ELb0EdPKdPKS1_PKPdEviT_T9_T10_S7_lS9_S7_lS8_T11_S7_li.num_named_barrier, 0
	.set _ZL29rocblas_internal_gemmt_kernelIiLi16ELi32ELi8ELc78ELc67ELc85ELb0ELb0EdPKdPKS1_PKPdEviT_T9_T10_S7_lS9_S7_lS8_T11_S7_li.private_seg_size, 0
	.set _ZL29rocblas_internal_gemmt_kernelIiLi16ELi32ELi8ELc78ELc67ELc85ELb0ELb0EdPKdPKS1_PKPdEviT_T9_T10_S7_lS9_S7_lS8_T11_S7_li.uses_vcc, 1
	.set _ZL29rocblas_internal_gemmt_kernelIiLi16ELi32ELi8ELc78ELc67ELc85ELb0ELb0EdPKdPKS1_PKPdEviT_T9_T10_S7_lS9_S7_lS8_T11_S7_li.uses_flat_scratch, 0
	.set _ZL29rocblas_internal_gemmt_kernelIiLi16ELi32ELi8ELc78ELc67ELc85ELb0ELb0EdPKdPKS1_PKPdEviT_T9_T10_S7_lS9_S7_lS8_T11_S7_li.has_dyn_sized_stack, 0
	.set _ZL29rocblas_internal_gemmt_kernelIiLi16ELi32ELi8ELc78ELc67ELc85ELb0ELb0EdPKdPKS1_PKPdEviT_T9_T10_S7_lS9_S7_lS8_T11_S7_li.has_recursion, 0
	.set _ZL29rocblas_internal_gemmt_kernelIiLi16ELi32ELi8ELc78ELc67ELc85ELb0ELb0EdPKdPKS1_PKPdEviT_T9_T10_S7_lS9_S7_lS8_T11_S7_li.has_indirect_call, 0
	.section	.AMDGPU.csdata,"",@progbits
; Kernel info:
; codeLenInByte = 2136
; TotalNumSgprs: 39
; NumVgprs: 55
; ScratchSize: 0
; MemoryBound: 0
; FloatMode: 240
; IeeeMode: 1
; LDSByteSize: 4096 bytes/workgroup (compile time only)
; SGPRBlocks: 0
; VGPRBlocks: 6
; NumSGPRsForWavesPerEU: 39
; NumVGPRsForWavesPerEU: 55
; Occupancy: 16
; WaveLimiterHint : 1
; COMPUTE_PGM_RSRC2:SCRATCH_EN: 0
; COMPUTE_PGM_RSRC2:USER_SGPR: 2
; COMPUTE_PGM_RSRC2:TRAP_HANDLER: 0
; COMPUTE_PGM_RSRC2:TGID_X_EN: 1
; COMPUTE_PGM_RSRC2:TGID_Y_EN: 1
; COMPUTE_PGM_RSRC2:TGID_Z_EN: 1
; COMPUTE_PGM_RSRC2:TIDIG_COMP_CNT: 1
	.section	.text._ZL29rocblas_internal_gemmt_kernelIiLi16ELi32ELi8ELc84ELc78ELc85ELb0ELb0EdPKdPKS1_PKPdEviT_T9_T10_S7_lS9_S7_lS8_T11_S7_li,"axG",@progbits,_ZL29rocblas_internal_gemmt_kernelIiLi16ELi32ELi8ELc84ELc78ELc85ELb0ELb0EdPKdPKS1_PKPdEviT_T9_T10_S7_lS9_S7_lS8_T11_S7_li,comdat
	.globl	_ZL29rocblas_internal_gemmt_kernelIiLi16ELi32ELi8ELc84ELc78ELc85ELb0ELb0EdPKdPKS1_PKPdEviT_T9_T10_S7_lS9_S7_lS8_T11_S7_li ; -- Begin function _ZL29rocblas_internal_gemmt_kernelIiLi16ELi32ELi8ELc84ELc78ELc85ELb0ELb0EdPKdPKS1_PKPdEviT_T9_T10_S7_lS9_S7_lS8_T11_S7_li
	.p2align	8
	.type	_ZL29rocblas_internal_gemmt_kernelIiLi16ELi32ELi8ELc84ELc78ELc85ELb0ELb0EdPKdPKS1_PKPdEviT_T9_T10_S7_lS9_S7_lS8_T11_S7_li,@function
_ZL29rocblas_internal_gemmt_kernelIiLi16ELi32ELi8ELc84ELc78ELc85ELb0ELb0EdPKdPKS1_PKPdEviT_T9_T10_S7_lS9_S7_lS8_T11_S7_li: ; @_ZL29rocblas_internal_gemmt_kernelIiLi16ELi32ELi8ELc84ELc78ELc85ELb0ELb0EdPKdPKS1_PKPdEviT_T9_T10_S7_lS9_S7_lS8_T11_S7_li
; %bb.0:
	s_load_b128 s[12:15], s[0:1], 0x38
	s_wait_kmcnt 0x0
	s_load_b64 s[14:15], s[14:15], 0x0
	s_clause 0x1
	s_load_b128 s[4:7], s[0:1], 0x8
	s_load_b64 s[20:21], s[0:1], 0x0
	s_wait_kmcnt 0x0
	s_load_b64 s[22:23], s[4:5], 0x0
	v_cmp_neq_f64_e64 s2, s[14:15], 1.0
	s_and_b32 vcc_lo, exec_lo, s2
	s_cbranch_vccnz .LBB327_2
; %bb.1:
	s_wait_kmcnt 0x0
	v_cmp_neq_f64_e64 s2, s[22:23], 0
	s_cmp_lg_u32 s21, 0
	s_cselect_b32 s3, -1, 0
	s_delay_alu instid0(SALU_CYCLE_1)
	s_and_b32 s2, s3, s2
.LBB327_2:
	s_delay_alu instid0(SALU_CYCLE_1)
	s_and_not1_b32 vcc_lo, exec_lo, s2
	s_cbranch_vccnz .LBB327_33
; %bb.3:
	s_load_b32 s19, s[0:1], 0x60
	s_lshr_b32 s24, ttmp7, 16
	s_wait_kmcnt 0x0
	s_cmp_ge_u32 s24, s19
	s_cbranch_scc1 .LBB327_33
; %bb.4:
	v_dual_mov_b32 v32, 0 :: v_dual_and_b32 v1, 0x3ff, v0
	v_bfe_u32 v2, v0, 10, 10
	v_and_b32_e32 v26, 7, v0
	s_clause 0x4
	s_load_b32 s3, s[0:1], 0x18
	s_load_b128 s[8:11], s[0:1], 0x20
	s_load_b32 s4, s[0:1], 0x30
	s_load_b96 s[16:18], s[0:1], 0x48
	s_load_b64 s[26:27], s[0:1], 0x58
	s_lshl_b32 s0, ttmp7, 5
	s_lshl_b32 s2, ttmp9, 5
	v_lshl_add_u32 v0, v2, 4, v1
	v_lshlrev_b32_e32 v12, 3, v26
	s_and_b32 s5, s0, 0x1fffe0
	v_cmp_neq_f64_e64 s31, s[22:23], 0
	v_add_nc_u32_e32 v6, s2, v1
	v_and_b32_e32 v3, 31, v0
	v_lshrrev_b32_e32 v4, 3, v0
	v_lshrrev_b32_e32 v27, 5, v0
	v_cmp_neq_f64_e64 s28, s[14:15], 0
	s_cmp_gt_i32 s21, 0
	v_or_b32_e32 v5, s2, v3
	v_add_nc_u32_e32 v8, s5, v4
	v_lshlrev_b32_e32 v0, 3, v3
	v_lshl_or_b32 v3, v4, 6, v12
	v_add_nc_u32_e32 v4, s5, v2
	s_cselect_b32 s33, -1, 0
	v_cmp_gt_i32_e64 s0, s20, v5
	v_lshl_or_b32 v28, v27, 8, v0
	v_add_nc_u32_e32 v0, 16, v6
	v_cmp_gt_i32_e32 vcc_lo, s20, v4
	v_cmp_le_i32_e64 s2, v6, v4
	v_add_nc_u32_e32 v29, 0x800, v3
	v_lshl_add_u32 v31, v2, 6, 0x800
	s_wait_kmcnt 0x0
	v_mad_co_i64_i32 v[2:3], null, v4, s18, 0
	s_and_b32 s29, vcc_lo, s2
	v_cmp_le_i32_e64 s2, v0, v4
	v_add_nc_u32_e32 v13, 16, v4
	v_mad_co_i64_i32 v[4:5], null, s3, v5, 0
	v_cmp_gt_i32_e64 s1, s20, v8
	v_mad_co_i64_i32 v[8:9], null, s4, v8, 0
	s_lshl_b64 s[4:5], s[8:9], 3
	s_and_b32 s30, vcc_lo, s2
	v_cmp_gt_i32_e32 vcc_lo, s20, v13
	v_lshlrev_b64_e32 v[4:5], 3, v[4:5]
	v_mad_co_i64_i32 v[10:11], null, v13, s18, 0
	v_lshlrev_b64_e32 v[8:9], 3, v[8:9]
	v_cmp_le_i32_e64 s2, v6, v13
	v_cmp_le_i32_e64 s3, v0, v13
	s_wait_alu 0xfffe
	v_add_co_u32 v4, s4, v4, s4
	s_wait_alu 0xf1ff
	v_add_co_ci_u32_e64 v5, null, s5, v5, s4
	v_lshlrev_b32_e32 v13, 3, v27
	s_lshl_b64 s[4:5], s[12:13], 3
	v_ashrrev_i32_e32 v7, 31, v6
	s_wait_alu 0xfffe
	v_add_co_u32 v8, s4, v8, s4
	s_wait_alu 0xf1ff
	v_add_co_ci_u32_e64 v9, null, s5, v9, s4
	v_add_co_u32 v33, s4, v4, v13
	s_wait_alu 0xf1ff
	v_add_co_ci_u32_e64 v34, null, 0, v5, s4
	v_add_co_u32 v35, s4, v8, v12
	v_lshlrev_b64_e32 v[2:3], 3, v[2:3]
	v_lshlrev_b64_e32 v[4:5], 3, v[10:11]
	;; [unrolled: 1-line block ×3, first 2 shown]
	v_lshlrev_b32_e32 v30, 3, v1
	v_ashrrev_i32_e32 v1, 31, v0
	s_wait_alu 0xf1ff
	v_add_co_ci_u32_e64 v36, null, 0, v9, s4
	s_mov_b32 s25, 0
	s_and_b32 s8, s31, s33
	s_and_b32 s9, vcc_lo, s2
	s_and_b32 s12, vcc_lo, s3
	s_lshl_b64 s[2:3], s[26:27], 3
	s_branch .LBB327_6
.LBB327_5:                              ;   in Loop: Header=BB327_6 Depth=1
	s_wait_alu 0xfffe
	s_or_b32 exec_lo, exec_lo, s4
	s_add_co_i32 s24, s24, 0x10000
	s_delay_alu instid0(SALU_CYCLE_1)
	s_cmp_lt_u32 s24, s19
	s_cbranch_scc0 .LBB327_33
.LBB327_6:                              ; =>This Loop Header: Depth=1
                                        ;     Child Loop BB327_9 Depth 2
	s_lshl_b64 s[4:5], s[24:25], 3
	v_mov_b32_e32 v20, 0
	s_wait_alu 0xfffe
	s_add_nc_u64 s[26:27], s[16:17], s[4:5]
	v_mov_b32_e32 v12, 0
	global_load_b64 v[10:11], v32, s[26:27]
	v_dual_mov_b32 v21, 0 :: v_dual_mov_b32 v14, 0
	v_dual_mov_b32 v13, 0 :: v_dual_mov_b32 v8, 0
	v_mov_b32_e32 v15, 0
	v_mov_b32_e32 v9, 0
	s_and_not1_b32 vcc_lo, exec_lo, s8
	s_wait_alu 0xfffe
	s_cbranch_vccnz .LBB327_13
; %bb.7:                                ;   in Loop: Header=BB327_6 Depth=1
	s_add_nc_u64 s[26:27], s[6:7], s[4:5]
	s_add_nc_u64 s[4:5], s[10:11], s[4:5]
	s_clause 0x1
	global_load_b64 v[16:17], v32, s[26:27]
	global_load_b64 v[18:19], v32, s[4:5]
	v_mov_b32_e32 v8, 0
	v_dual_mov_b32 v14, 0 :: v_dual_mov_b32 v9, 0
	v_dual_mov_b32 v12, 0 :: v_dual_mov_b32 v15, 0
	v_dual_mov_b32 v20, 0 :: v_dual_mov_b32 v13, 0
	v_mov_b32_e32 v21, 0
	s_mov_b32 s4, 0
	s_wait_loadcnt 0x1
	v_add_co_u32 v16, vcc_lo, v16, v33
	s_wait_alu 0xfffd
	v_add_co_ci_u32_e64 v17, null, v17, v34, vcc_lo
	s_wait_loadcnt 0x0
	v_add_co_u32 v18, vcc_lo, v18, v35
	s_wait_alu 0xfffd
	v_add_co_ci_u32_e64 v19, null, v19, v36, vcc_lo
	s_branch .LBB327_9
.LBB327_8:                              ;   in Loop: Header=BB327_9 Depth=2
	s_wait_alu 0xfffe
	s_or_b32 exec_lo, exec_lo, s5
	s_wait_loadcnt_dscnt 0x0
	ds_store_b64 v29, v[24:25]
	s_wait_dscnt 0x0
	s_barrier_signal -1
	s_barrier_wait -1
	global_inv scope:SCOPE_SE
	ds_load_b128 v[22:25], v31
	ds_load_2addr_b64 v[37:40], v30 offset1:16
	ds_load_b128 v[41:44], v31 offset:1024
	ds_load_b128 v[45:48], v31 offset:16
	;; [unrolled: 1-line block ×3, first 2 shown]
	v_add_co_u32 v16, vcc_lo, v16, 64
	s_wait_alu 0xfffd
	v_add_co_ci_u32_e64 v17, null, 0, v17, vcc_lo
	v_add_co_u32 v18, vcc_lo, v18, 64
	s_wait_alu 0xfffd
	v_add_co_ci_u32_e64 v19, null, 0, v19, vcc_lo
	s_add_co_i32 s4, s4, 8
	s_wait_alu 0xfffe
	s_cmp_lt_i32 s4, s21
	s_wait_dscnt 0x3
	v_fma_f64 v[20:21], v[37:38], v[22:23], v[20:21]
	v_fma_f64 v[22:23], v[39:40], v[22:23], v[14:15]
	s_wait_dscnt 0x2
	v_fma_f64 v[37:38], v[37:38], v[41:42], v[12:13]
	v_fma_f64 v[8:9], v[39:40], v[41:42], v[8:9]
	ds_load_2addr_b64 v[12:15], v30 offset0:32 offset1:48
	s_wait_dscnt 0x0
	v_fma_f64 v[20:21], v[12:13], v[24:25], v[20:21]
	v_fma_f64 v[22:23], v[14:15], v[24:25], v[22:23]
	v_fma_f64 v[24:25], v[12:13], v[43:44], v[37:38]
	v_fma_f64 v[8:9], v[14:15], v[43:44], v[8:9]
	ds_load_2addr_b64 v[12:15], v30 offset0:64 offset1:80
	s_wait_dscnt 0x0
	v_fma_f64 v[20:21], v[12:13], v[45:46], v[20:21]
	v_fma_f64 v[22:23], v[14:15], v[45:46], v[22:23]
	;; [unrolled: 6-line block ×3, first 2 shown]
	v_fma_f64 v[24:25], v[12:13], v[51:52], v[24:25]
	v_fma_f64 v[8:9], v[14:15], v[51:52], v[8:9]
	ds_load_b128 v[12:15], v31 offset:32
	ds_load_2addr_b64 v[20:23], v30 offset0:128 offset1:144
	ds_load_b128 v[37:40], v31 offset:1056
	ds_load_b128 v[41:44], v31 offset:48
	;; [unrolled: 1-line block ×3, first 2 shown]
	s_wait_dscnt 0x3
	v_fma_f64 v[49:50], v[20:21], v[12:13], v[49:50]
	v_fma_f64 v[12:13], v[22:23], v[12:13], v[53:54]
	s_wait_dscnt 0x2
	v_fma_f64 v[24:25], v[20:21], v[37:38], v[24:25]
	v_fma_f64 v[8:9], v[22:23], v[37:38], v[8:9]
	ds_load_2addr_b64 v[20:23], v30 offset0:160 offset1:176
	s_wait_dscnt 0x0
	v_fma_f64 v[37:38], v[20:21], v[14:15], v[49:50]
	v_fma_f64 v[49:50], v[22:23], v[14:15], v[12:13]
	;; [unrolled: 1-line block ×4, first 2 shown]
	ds_load_2addr_b64 v[12:15], v30 offset0:192 offset1:208
	ds_load_2addr_b64 v[22:25], v30 offset0:224 offset1:240
	s_wait_loadcnt_dscnt 0x0
	s_barrier_signal -1
	s_barrier_wait -1
	global_inv scope:SCOPE_SE
	v_fma_f64 v[37:38], v[12:13], v[41:42], v[37:38]
	v_fma_f64 v[39:40], v[14:15], v[41:42], v[49:50]
	;; [unrolled: 1-line block ×4, first 2 shown]
	s_delay_alu instid0(VALU_DEP_4) | instskip(NEXT) | instid1(VALU_DEP_4)
	v_fma_f64 v[20:21], v[22:23], v[43:44], v[37:38]
	v_fma_f64 v[14:15], v[24:25], v[43:44], v[39:40]
	s_delay_alu instid0(VALU_DEP_4) | instskip(NEXT) | instid1(VALU_DEP_4)
	v_fma_f64 v[12:13], v[22:23], v[47:48], v[12:13]
	v_fma_f64 v[8:9], v[24:25], v[47:48], v[8:9]
	s_cbranch_scc0 .LBB327_13
.LBB327_9:                              ;   Parent Loop BB327_6 Depth=1
                                        ; =>  This Inner Loop Header: Depth=2
	s_wait_alu 0xfffe
	v_add_nc_u32_e32 v22, s4, v27
	s_delay_alu instid0(VALU_DEP_1) | instskip(SKIP_3) | instid1(SALU_CYCLE_1)
	v_cmp_gt_i32_e32 vcc_lo, s21, v22
	v_mov_b32_e32 v22, 0
	v_mov_b32_e32 v23, 0
	s_and_b32 s13, s0, vcc_lo
	s_and_saveexec_b32 s5, s13
	s_cbranch_execz .LBB327_11
; %bb.10:                               ;   in Loop: Header=BB327_9 Depth=2
	flat_load_b64 v[22:23], v[16:17]
.LBB327_11:                             ;   in Loop: Header=BB327_9 Depth=2
	s_wait_alu 0xfffe
	s_or_b32 exec_lo, exec_lo, s5
	v_add_nc_u32_e32 v24, s4, v26
	s_wait_loadcnt_dscnt 0x0
	ds_store_b64 v28, v[22:23]
	v_cmp_gt_i32_e32 vcc_lo, s21, v24
	v_mov_b32_e32 v24, 0
	v_mov_b32_e32 v25, 0
	s_and_b32 s13, vcc_lo, s1
	s_delay_alu instid0(SALU_CYCLE_1)
	s_and_saveexec_b32 s5, s13
	s_cbranch_execz .LBB327_8
; %bb.12:                               ;   in Loop: Header=BB327_9 Depth=2
	flat_load_b64 v[24:25], v[18:19]
	s_branch .LBB327_8
.LBB327_13:                             ;   in Loop: Header=BB327_6 Depth=1
	s_wait_loadcnt 0x0
	v_add_co_u32 v16, vcc_lo, v10, s2
	s_wait_alu 0xfffd
	v_add_co_ci_u32_e64 v17, null, s3, v11, vcc_lo
	s_delay_alu instid0(VALU_DEP_2) | instskip(SKIP_1) | instid1(VALU_DEP_2)
	v_add_co_u32 v18, vcc_lo, v16, v2
	s_wait_alu 0xfffd
	v_add_co_ci_u32_e64 v19, null, v17, v3, vcc_lo
	s_and_saveexec_b32 s4, s29
	s_cbranch_execz .LBB327_17
; %bb.14:                               ;   in Loop: Header=BB327_6 Depth=1
	v_mul_f64_e32 v[10:11], s[22:23], v[20:21]
	s_and_b32 vcc_lo, exec_lo, s28
	s_wait_alu 0xfffe
	s_cbranch_vccz .LBB327_28
; %bb.15:                               ;   in Loop: Header=BB327_6 Depth=1
	v_add_co_u32 v20, vcc_lo, v18, v6
	s_wait_alu 0xfffd
	v_add_co_ci_u32_e64 v21, null, v19, v7, vcc_lo
	flat_load_b64 v[22:23], v[20:21]
	s_wait_loadcnt_dscnt 0x0
	v_fma_f64 v[22:23], s[14:15], v[22:23], v[10:11]
	flat_store_b64 v[20:21], v[22:23]
	s_cbranch_execnz .LBB327_17
.LBB327_16:                             ;   in Loop: Header=BB327_6 Depth=1
	v_add_co_u32 v20, vcc_lo, v18, v6
	s_wait_alu 0xfffd
	v_add_co_ci_u32_e64 v21, null, v19, v7, vcc_lo
	flat_store_b64 v[20:21], v[10:11]
.LBB327_17:                             ;   in Loop: Header=BB327_6 Depth=1
	s_wait_alu 0xfffe
	s_or_b32 exec_lo, exec_lo, s4
	s_and_saveexec_b32 s4, s30
	s_cbranch_execz .LBB327_21
; %bb.18:                               ;   in Loop: Header=BB327_6 Depth=1
	v_mul_f64_e32 v[10:11], s[22:23], v[14:15]
	s_and_not1_b32 vcc_lo, exec_lo, s28
	s_wait_alu 0xfffe
	s_cbranch_vccnz .LBB327_29
; %bb.19:                               ;   in Loop: Header=BB327_6 Depth=1
	v_lshlrev_b64_e32 v[14:15], 3, v[0:1]
	s_delay_alu instid0(VALU_DEP_1) | instskip(SKIP_1) | instid1(VALU_DEP_2)
	v_add_co_u32 v14, vcc_lo, v18, v14
	s_wait_alu 0xfffd
	v_add_co_ci_u32_e64 v15, null, v19, v15, vcc_lo
	flat_load_b64 v[20:21], v[14:15]
	s_wait_loadcnt_dscnt 0x0
	v_fma_f64 v[20:21], s[14:15], v[20:21], v[10:11]
	flat_store_b64 v[14:15], v[20:21]
	s_cbranch_execnz .LBB327_21
.LBB327_20:                             ;   in Loop: Header=BB327_6 Depth=1
	v_lshlrev_b64_e32 v[14:15], 3, v[0:1]
	s_delay_alu instid0(VALU_DEP_1) | instskip(SKIP_1) | instid1(VALU_DEP_2)
	v_add_co_u32 v14, vcc_lo, v18, v14
	s_wait_alu 0xfffd
	v_add_co_ci_u32_e64 v15, null, v19, v15, vcc_lo
	flat_store_b64 v[14:15], v[10:11]
.LBB327_21:                             ;   in Loop: Header=BB327_6 Depth=1
	s_wait_alu 0xfffe
	s_or_b32 exec_lo, exec_lo, s4
	v_add_co_u32 v14, vcc_lo, v16, v4
	s_wait_alu 0xfffd
	v_add_co_ci_u32_e64 v15, null, v17, v5, vcc_lo
	s_and_saveexec_b32 s4, s9
	s_cbranch_execz .LBB327_25
; %bb.22:                               ;   in Loop: Header=BB327_6 Depth=1
	v_mul_f64_e32 v[10:11], s[22:23], v[12:13]
	s_and_not1_b32 vcc_lo, exec_lo, s28
	s_wait_alu 0xfffe
	s_cbranch_vccnz .LBB327_30
; %bb.23:                               ;   in Loop: Header=BB327_6 Depth=1
	v_add_co_u32 v12, vcc_lo, v14, v6
	s_wait_alu 0xfffd
	v_add_co_ci_u32_e64 v13, null, v15, v7, vcc_lo
	flat_load_b64 v[16:17], v[12:13]
	s_wait_loadcnt_dscnt 0x0
	v_fma_f64 v[16:17], s[14:15], v[16:17], v[10:11]
	flat_store_b64 v[12:13], v[16:17]
	s_cbranch_execnz .LBB327_25
.LBB327_24:                             ;   in Loop: Header=BB327_6 Depth=1
	v_add_co_u32 v12, vcc_lo, v14, v6
	s_wait_alu 0xfffd
	v_add_co_ci_u32_e64 v13, null, v15, v7, vcc_lo
	flat_store_b64 v[12:13], v[10:11]
.LBB327_25:                             ;   in Loop: Header=BB327_6 Depth=1
	s_wait_alu 0xfffe
	s_or_b32 exec_lo, exec_lo, s4
	s_and_saveexec_b32 s4, s12
	s_cbranch_execz .LBB327_5
; %bb.26:                               ;   in Loop: Header=BB327_6 Depth=1
	v_mul_f64_e32 v[8:9], s[22:23], v[8:9]
	v_lshlrev_b64_e32 v[10:11], 3, v[0:1]
	s_and_not1_b32 vcc_lo, exec_lo, s28
	s_wait_alu 0xfffe
	s_cbranch_vccnz .LBB327_31
; %bb.27:                               ;   in Loop: Header=BB327_6 Depth=1
	s_delay_alu instid0(VALU_DEP_1)
	v_add_co_u32 v12, vcc_lo, v14, v10
	s_wait_alu 0xfffd
	v_add_co_ci_u32_e64 v13, null, v15, v11, vcc_lo
	flat_load_b64 v[16:17], v[12:13]
	s_wait_loadcnt_dscnt 0x0
	v_fma_f64 v[16:17], s[14:15], v[16:17], v[8:9]
	flat_store_b64 v[12:13], v[16:17]
	s_cbranch_execnz .LBB327_5
	s_branch .LBB327_32
.LBB327_28:                             ;   in Loop: Header=BB327_6 Depth=1
	s_branch .LBB327_16
.LBB327_29:                             ;   in Loop: Header=BB327_6 Depth=1
	s_branch .LBB327_20
.LBB327_30:                             ;   in Loop: Header=BB327_6 Depth=1
	s_branch .LBB327_24
.LBB327_31:                             ;   in Loop: Header=BB327_6 Depth=1
.LBB327_32:                             ;   in Loop: Header=BB327_6 Depth=1
	s_delay_alu instid0(VALU_DEP_1)
	v_add_co_u32 v10, vcc_lo, v14, v10
	s_wait_alu 0xfffd
	v_add_co_ci_u32_e64 v11, null, v15, v11, vcc_lo
	flat_store_b64 v[10:11], v[8:9]
	s_branch .LBB327_5
.LBB327_33:
	s_endpgm
	.section	.rodata,"a",@progbits
	.p2align	6, 0x0
	.amdhsa_kernel _ZL29rocblas_internal_gemmt_kernelIiLi16ELi32ELi8ELc84ELc78ELc85ELb0ELb0EdPKdPKS1_PKPdEviT_T9_T10_S7_lS9_S7_lS8_T11_S7_li
		.amdhsa_group_segment_fixed_size 4096
		.amdhsa_private_segment_fixed_size 0
		.amdhsa_kernarg_size 100
		.amdhsa_user_sgpr_count 2
		.amdhsa_user_sgpr_dispatch_ptr 0
		.amdhsa_user_sgpr_queue_ptr 0
		.amdhsa_user_sgpr_kernarg_segment_ptr 1
		.amdhsa_user_sgpr_dispatch_id 0
		.amdhsa_user_sgpr_private_segment_size 0
		.amdhsa_wavefront_size32 1
		.amdhsa_uses_dynamic_stack 0
		.amdhsa_enable_private_segment 0
		.amdhsa_system_sgpr_workgroup_id_x 1
		.amdhsa_system_sgpr_workgroup_id_y 1
		.amdhsa_system_sgpr_workgroup_id_z 1
		.amdhsa_system_sgpr_workgroup_info 0
		.amdhsa_system_vgpr_workitem_id 1
		.amdhsa_next_free_vgpr 55
		.amdhsa_next_free_sgpr 34
		.amdhsa_reserve_vcc 1
		.amdhsa_float_round_mode_32 0
		.amdhsa_float_round_mode_16_64 0
		.amdhsa_float_denorm_mode_32 3
		.amdhsa_float_denorm_mode_16_64 3
		.amdhsa_fp16_overflow 0
		.amdhsa_workgroup_processor_mode 1
		.amdhsa_memory_ordered 1
		.amdhsa_forward_progress 1
		.amdhsa_inst_pref_size 17
		.amdhsa_round_robin_scheduling 0
		.amdhsa_exception_fp_ieee_invalid_op 0
		.amdhsa_exception_fp_denorm_src 0
		.amdhsa_exception_fp_ieee_div_zero 0
		.amdhsa_exception_fp_ieee_overflow 0
		.amdhsa_exception_fp_ieee_underflow 0
		.amdhsa_exception_fp_ieee_inexact 0
		.amdhsa_exception_int_div_zero 0
	.end_amdhsa_kernel
	.section	.text._ZL29rocblas_internal_gemmt_kernelIiLi16ELi32ELi8ELc84ELc78ELc85ELb0ELb0EdPKdPKS1_PKPdEviT_T9_T10_S7_lS9_S7_lS8_T11_S7_li,"axG",@progbits,_ZL29rocblas_internal_gemmt_kernelIiLi16ELi32ELi8ELc84ELc78ELc85ELb0ELb0EdPKdPKS1_PKPdEviT_T9_T10_S7_lS9_S7_lS8_T11_S7_li,comdat
.Lfunc_end327:
	.size	_ZL29rocblas_internal_gemmt_kernelIiLi16ELi32ELi8ELc84ELc78ELc85ELb0ELb0EdPKdPKS1_PKPdEviT_T9_T10_S7_lS9_S7_lS8_T11_S7_li, .Lfunc_end327-_ZL29rocblas_internal_gemmt_kernelIiLi16ELi32ELi8ELc84ELc78ELc85ELb0ELb0EdPKdPKS1_PKPdEviT_T9_T10_S7_lS9_S7_lS8_T11_S7_li
                                        ; -- End function
	.set _ZL29rocblas_internal_gemmt_kernelIiLi16ELi32ELi8ELc84ELc78ELc85ELb0ELb0EdPKdPKS1_PKPdEviT_T9_T10_S7_lS9_S7_lS8_T11_S7_li.num_vgpr, 55
	.set _ZL29rocblas_internal_gemmt_kernelIiLi16ELi32ELi8ELc84ELc78ELc85ELb0ELb0EdPKdPKS1_PKPdEviT_T9_T10_S7_lS9_S7_lS8_T11_S7_li.num_agpr, 0
	.set _ZL29rocblas_internal_gemmt_kernelIiLi16ELi32ELi8ELc84ELc78ELc85ELb0ELb0EdPKdPKS1_PKPdEviT_T9_T10_S7_lS9_S7_lS8_T11_S7_li.numbered_sgpr, 34
	.set _ZL29rocblas_internal_gemmt_kernelIiLi16ELi32ELi8ELc84ELc78ELc85ELb0ELb0EdPKdPKS1_PKPdEviT_T9_T10_S7_lS9_S7_lS8_T11_S7_li.num_named_barrier, 0
	.set _ZL29rocblas_internal_gemmt_kernelIiLi16ELi32ELi8ELc84ELc78ELc85ELb0ELb0EdPKdPKS1_PKPdEviT_T9_T10_S7_lS9_S7_lS8_T11_S7_li.private_seg_size, 0
	.set _ZL29rocblas_internal_gemmt_kernelIiLi16ELi32ELi8ELc84ELc78ELc85ELb0ELb0EdPKdPKS1_PKPdEviT_T9_T10_S7_lS9_S7_lS8_T11_S7_li.uses_vcc, 1
	.set _ZL29rocblas_internal_gemmt_kernelIiLi16ELi32ELi8ELc84ELc78ELc85ELb0ELb0EdPKdPKS1_PKPdEviT_T9_T10_S7_lS9_S7_lS8_T11_S7_li.uses_flat_scratch, 0
	.set _ZL29rocblas_internal_gemmt_kernelIiLi16ELi32ELi8ELc84ELc78ELc85ELb0ELb0EdPKdPKS1_PKPdEviT_T9_T10_S7_lS9_S7_lS8_T11_S7_li.has_dyn_sized_stack, 0
	.set _ZL29rocblas_internal_gemmt_kernelIiLi16ELi32ELi8ELc84ELc78ELc85ELb0ELb0EdPKdPKS1_PKPdEviT_T9_T10_S7_lS9_S7_lS8_T11_S7_li.has_recursion, 0
	.set _ZL29rocblas_internal_gemmt_kernelIiLi16ELi32ELi8ELc84ELc78ELc85ELb0ELb0EdPKdPKS1_PKPdEviT_T9_T10_S7_lS9_S7_lS8_T11_S7_li.has_indirect_call, 0
	.section	.AMDGPU.csdata,"",@progbits
; Kernel info:
; codeLenInByte = 2076
; TotalNumSgprs: 36
; NumVgprs: 55
; ScratchSize: 0
; MemoryBound: 0
; FloatMode: 240
; IeeeMode: 1
; LDSByteSize: 4096 bytes/workgroup (compile time only)
; SGPRBlocks: 0
; VGPRBlocks: 6
; NumSGPRsForWavesPerEU: 36
; NumVGPRsForWavesPerEU: 55
; Occupancy: 16
; WaveLimiterHint : 1
; COMPUTE_PGM_RSRC2:SCRATCH_EN: 0
; COMPUTE_PGM_RSRC2:USER_SGPR: 2
; COMPUTE_PGM_RSRC2:TRAP_HANDLER: 0
; COMPUTE_PGM_RSRC2:TGID_X_EN: 1
; COMPUTE_PGM_RSRC2:TGID_Y_EN: 1
; COMPUTE_PGM_RSRC2:TGID_Z_EN: 1
; COMPUTE_PGM_RSRC2:TIDIG_COMP_CNT: 1
	.section	.text._ZL29rocblas_internal_gemmt_kernelIiLi16ELi32ELi8ELc84ELc84ELc85ELb0ELb0EdPKdPKS1_PKPdEviT_T9_T10_S7_lS9_S7_lS8_T11_S7_li,"axG",@progbits,_ZL29rocblas_internal_gemmt_kernelIiLi16ELi32ELi8ELc84ELc84ELc85ELb0ELb0EdPKdPKS1_PKPdEviT_T9_T10_S7_lS9_S7_lS8_T11_S7_li,comdat
	.globl	_ZL29rocblas_internal_gemmt_kernelIiLi16ELi32ELi8ELc84ELc84ELc85ELb0ELb0EdPKdPKS1_PKPdEviT_T9_T10_S7_lS9_S7_lS8_T11_S7_li ; -- Begin function _ZL29rocblas_internal_gemmt_kernelIiLi16ELi32ELi8ELc84ELc84ELc85ELb0ELb0EdPKdPKS1_PKPdEviT_T9_T10_S7_lS9_S7_lS8_T11_S7_li
	.p2align	8
	.type	_ZL29rocblas_internal_gemmt_kernelIiLi16ELi32ELi8ELc84ELc84ELc85ELb0ELb0EdPKdPKS1_PKPdEviT_T9_T10_S7_lS9_S7_lS8_T11_S7_li,@function
_ZL29rocblas_internal_gemmt_kernelIiLi16ELi32ELi8ELc84ELc84ELc85ELb0ELb0EdPKdPKS1_PKPdEviT_T9_T10_S7_lS9_S7_lS8_T11_S7_li: ; @_ZL29rocblas_internal_gemmt_kernelIiLi16ELi32ELi8ELc84ELc84ELc85ELb0ELb0EdPKdPKS1_PKPdEviT_T9_T10_S7_lS9_S7_lS8_T11_S7_li
; %bb.0:
	s_load_b128 s[12:15], s[0:1], 0x38
	s_wait_kmcnt 0x0
	s_load_b64 s[14:15], s[14:15], 0x0
	s_clause 0x1
	s_load_b128 s[4:7], s[0:1], 0x8
	s_load_b64 s[20:21], s[0:1], 0x0
	s_wait_kmcnt 0x0
	s_load_b64 s[4:5], s[4:5], 0x0
	v_cmp_neq_f64_e64 s2, s[14:15], 1.0
	s_and_b32 vcc_lo, exec_lo, s2
	s_cbranch_vccnz .LBB328_2
; %bb.1:
	s_wait_kmcnt 0x0
	v_cmp_neq_f64_e64 s2, s[4:5], 0
	s_cmp_lg_u32 s21, 0
	s_cselect_b32 s3, -1, 0
	s_delay_alu instid0(SALU_CYCLE_1)
	s_and_b32 s2, s3, s2
.LBB328_2:
	s_delay_alu instid0(SALU_CYCLE_1)
	s_and_not1_b32 vcc_lo, exec_lo, s2
	s_cbranch_vccnz .LBB328_33
; %bb.3:
	s_load_b32 s19, s[0:1], 0x60
	s_lshr_b32 s22, ttmp7, 16
	s_wait_kmcnt 0x0
	s_cmp_ge_u32 s22, s19
	s_cbranch_scc1 .LBB328_33
; %bb.4:
	v_dual_mov_b32 v32, 0 :: v_dual_and_b32 v1, 0x3ff, v0
	v_bfe_u32 v2, v0, 10, 10
	v_and_b32_e32 v26, 7, v0
	s_clause 0x4
	s_load_b32 s31, s[0:1], 0x18
	s_load_b128 s[8:11], s[0:1], 0x20
	s_load_b96 s[16:18], s[0:1], 0x48
	s_load_b64 s[26:27], s[0:1], 0x58
	s_load_b32 s24, s[0:1], 0x30
	v_lshl_add_u32 v0, v2, 4, v1
	v_lshlrev_b32_e32 v4, 3, v26
	s_lshl_b32 s0, ttmp7, 5
	s_lshl_b32 s1, ttmp9, 5
	s_and_b32 s2, s0, 0x1fffe0
	v_and_b32_e32 v3, 31, v0
	v_lshrrev_b32_e32 v27, 5, v0
	v_lshrrev_b32_e32 v0, 3, v0
	v_cmp_neq_f64_e64 s33, s[4:5], 0
	v_add_nc_u32_e32 v6, s1, v1
	v_cmp_neq_f64_e64 s28, s[14:15], 0
	v_or_b32_e32 v5, s1, v3
	v_add_nc_u32_e32 v12, s2, v0
	v_lshl_or_b32 v0, v0, 6, v4
	v_lshlrev_b32_e32 v3, 3, v3
	v_add_nc_u32_e32 v4, s2, v2
	v_cmp_gt_i32_e64 s0, s20, v5
	v_lshl_add_u32 v31, v2, 6, 0x800
	v_add_nc_u32_e32 v29, 0x800, v0
	v_add_nc_u32_e32 v0, 16, v6
	v_lshl_or_b32 v28, v27, 8, v3
	v_cmp_gt_i32_e32 vcc_lo, s20, v4
	v_cmp_le_i32_e64 s2, v6, v4
	s_wait_kmcnt 0x0
	v_mad_co_i64_i32 v[2:3], null, v4, s18, 0
	v_cmp_le_i32_e64 s3, v0, v4
	v_add_nc_u32_e32 v13, 16, v4
	v_mad_co_i64_i32 v[4:5], null, s31, v5, 0
	v_mad_co_i64_i32 v[8:9], null, s24, v26, 0
	s_ashr_i32 s25, s24, 31
	s_cmp_gt_i32 s21, 0
	v_mad_co_i64_i32 v[10:11], null, v13, s18, 0
	v_lshlrev_b64_e32 v[4:5], 3, v[4:5]
	s_cselect_b32 s34, -1, 0
	s_and_b32 s29, vcc_lo, s2
	s_and_b32 s30, vcc_lo, s3
	v_cmp_gt_i32_e32 vcc_lo, s20, v13
	v_cmp_le_i32_e64 s2, v6, v13
	s_lshl_b64 s[8:9], s[8:9], 3
	v_lshlrev_b64_e32 v[8:9], 3, v[8:9]
	v_add_co_u32 v4, s3, v4, s8
	s_and_b32 s18, vcc_lo, s2
	v_cmp_le_i32_e64 s2, v0, v13
	v_add_co_ci_u32_e64 v5, null, s9, v5, s3
	v_lshlrev_b32_e32 v13, 3, v27
	s_lshl_b64 s[8:9], s[12:13], 3
	v_cmp_gt_i32_e64 s1, s20, v12
	s_wait_alu 0xfffe
	v_add_co_u32 v8, s3, v8, s8
	v_lshlrev_b32_e32 v12, 3, v12
	v_ashrrev_i32_e32 v7, 31, v6
	s_wait_alu 0xf1ff
	v_add_co_ci_u32_e64 v9, null, s9, v9, s3
	v_add_co_u32 v33, s3, v4, v13
	s_wait_alu 0xf1ff
	v_add_co_ci_u32_e64 v34, null, 0, v5, s3
	v_add_co_u32 v35, s3, v8, v12
	v_lshlrev_b64_e32 v[2:3], 3, v[2:3]
	v_lshlrev_b64_e32 v[4:5], 3, v[10:11]
	;; [unrolled: 1-line block ×3, first 2 shown]
	v_lshlrev_b32_e32 v30, 3, v1
	v_ashrrev_i32_e32 v1, 31, v0
	s_wait_alu 0xf1ff
	v_add_co_ci_u32_e64 v36, null, 0, v9, s3
	s_mov_b32 s23, 0
	s_and_b32 s20, s33, s34
	s_and_b32 s31, vcc_lo, s2
	s_lshl_b64 s[2:3], s[24:25], 6
	s_lshl_b64 s[8:9], s[26:27], 3
	s_branch .LBB328_6
.LBB328_5:                              ;   in Loop: Header=BB328_6 Depth=1
	s_wait_alu 0xfffe
	s_or_b32 exec_lo, exec_lo, s12
	s_add_co_i32 s22, s22, 0x10000
	s_delay_alu instid0(SALU_CYCLE_1)
	s_cmp_lt_u32 s22, s19
	s_cbranch_scc0 .LBB328_33
.LBB328_6:                              ; =>This Loop Header: Depth=1
                                        ;     Child Loop BB328_9 Depth 2
	s_lshl_b64 s[12:13], s[22:23], 3
	v_mov_b32_e32 v20, 0
	s_wait_alu 0xfffe
	s_add_nc_u64 s[24:25], s[16:17], s[12:13]
	v_mov_b32_e32 v12, 0
	global_load_b64 v[10:11], v32, s[24:25]
	v_dual_mov_b32 v21, 0 :: v_dual_mov_b32 v14, 0
	v_dual_mov_b32 v13, 0 :: v_dual_mov_b32 v8, 0
	v_mov_b32_e32 v15, 0
	v_mov_b32_e32 v9, 0
	s_and_not1_b32 vcc_lo, exec_lo, s20
	s_wait_alu 0xfffe
	s_cbranch_vccnz .LBB328_13
; %bb.7:                                ;   in Loop: Header=BB328_6 Depth=1
	s_add_nc_u64 s[24:25], s[6:7], s[12:13]
	s_add_nc_u64 s[12:13], s[10:11], s[12:13]
	s_clause 0x1
	global_load_b64 v[16:17], v32, s[24:25]
	global_load_b64 v[18:19], v32, s[12:13]
	v_mov_b32_e32 v8, 0
	v_dual_mov_b32 v14, 0 :: v_dual_mov_b32 v9, 0
	v_dual_mov_b32 v12, 0 :: v_dual_mov_b32 v15, 0
	;; [unrolled: 1-line block ×3, first 2 shown]
	v_mov_b32_e32 v21, 0
	s_mov_b32 s12, 0
	s_wait_loadcnt 0x1
	v_add_co_u32 v16, vcc_lo, v16, v33
	s_wait_alu 0xfffd
	v_add_co_ci_u32_e64 v17, null, v17, v34, vcc_lo
	s_wait_loadcnt 0x0
	v_add_co_u32 v18, vcc_lo, v18, v35
	s_wait_alu 0xfffd
	v_add_co_ci_u32_e64 v19, null, v19, v36, vcc_lo
	s_branch .LBB328_9
.LBB328_8:                              ;   in Loop: Header=BB328_9 Depth=2
	s_wait_alu 0xfffe
	s_or_b32 exec_lo, exec_lo, s13
	s_wait_loadcnt_dscnt 0x0
	ds_store_b64 v29, v[24:25]
	s_wait_dscnt 0x0
	s_barrier_signal -1
	s_barrier_wait -1
	global_inv scope:SCOPE_SE
	ds_load_b128 v[22:25], v31
	ds_load_2addr_b64 v[37:40], v30 offset1:16
	ds_load_b128 v[41:44], v31 offset:1024
	ds_load_b128 v[45:48], v31 offset:16
	;; [unrolled: 1-line block ×3, first 2 shown]
	v_add_co_u32 v16, vcc_lo, v16, 64
	s_wait_alu 0xfffd
	v_add_co_ci_u32_e64 v17, null, 0, v17, vcc_lo
	v_add_co_u32 v18, vcc_lo, v18, s2
	s_wait_alu 0xfffd
	v_add_co_ci_u32_e64 v19, null, s3, v19, vcc_lo
	s_add_co_i32 s12, s12, 8
	s_wait_alu 0xfffe
	s_cmp_lt_i32 s12, s21
	s_wait_dscnt 0x3
	v_fma_f64 v[20:21], v[37:38], v[22:23], v[20:21]
	v_fma_f64 v[22:23], v[39:40], v[22:23], v[14:15]
	s_wait_dscnt 0x2
	v_fma_f64 v[37:38], v[37:38], v[41:42], v[12:13]
	v_fma_f64 v[8:9], v[39:40], v[41:42], v[8:9]
	ds_load_2addr_b64 v[12:15], v30 offset0:32 offset1:48
	s_wait_dscnt 0x0
	v_fma_f64 v[20:21], v[12:13], v[24:25], v[20:21]
	v_fma_f64 v[22:23], v[14:15], v[24:25], v[22:23]
	v_fma_f64 v[24:25], v[12:13], v[43:44], v[37:38]
	v_fma_f64 v[8:9], v[14:15], v[43:44], v[8:9]
	ds_load_2addr_b64 v[12:15], v30 offset0:64 offset1:80
	s_wait_dscnt 0x0
	v_fma_f64 v[20:21], v[12:13], v[45:46], v[20:21]
	v_fma_f64 v[22:23], v[14:15], v[45:46], v[22:23]
	;; [unrolled: 6-line block ×3, first 2 shown]
	v_fma_f64 v[24:25], v[12:13], v[51:52], v[24:25]
	v_fma_f64 v[8:9], v[14:15], v[51:52], v[8:9]
	ds_load_b128 v[12:15], v31 offset:32
	ds_load_2addr_b64 v[20:23], v30 offset0:128 offset1:144
	ds_load_b128 v[37:40], v31 offset:1056
	ds_load_b128 v[41:44], v31 offset:48
	;; [unrolled: 1-line block ×3, first 2 shown]
	s_wait_dscnt 0x3
	v_fma_f64 v[49:50], v[20:21], v[12:13], v[49:50]
	v_fma_f64 v[12:13], v[22:23], v[12:13], v[53:54]
	s_wait_dscnt 0x2
	v_fma_f64 v[24:25], v[20:21], v[37:38], v[24:25]
	v_fma_f64 v[8:9], v[22:23], v[37:38], v[8:9]
	ds_load_2addr_b64 v[20:23], v30 offset0:160 offset1:176
	s_wait_dscnt 0x0
	v_fma_f64 v[37:38], v[20:21], v[14:15], v[49:50]
	v_fma_f64 v[49:50], v[22:23], v[14:15], v[12:13]
	;; [unrolled: 1-line block ×4, first 2 shown]
	ds_load_2addr_b64 v[12:15], v30 offset0:192 offset1:208
	ds_load_2addr_b64 v[22:25], v30 offset0:224 offset1:240
	s_wait_loadcnt_dscnt 0x0
	s_barrier_signal -1
	s_barrier_wait -1
	global_inv scope:SCOPE_SE
	v_fma_f64 v[37:38], v[12:13], v[41:42], v[37:38]
	v_fma_f64 v[39:40], v[14:15], v[41:42], v[49:50]
	;; [unrolled: 1-line block ×4, first 2 shown]
	s_delay_alu instid0(VALU_DEP_4) | instskip(NEXT) | instid1(VALU_DEP_4)
	v_fma_f64 v[20:21], v[22:23], v[43:44], v[37:38]
	v_fma_f64 v[14:15], v[24:25], v[43:44], v[39:40]
	s_delay_alu instid0(VALU_DEP_4) | instskip(NEXT) | instid1(VALU_DEP_4)
	v_fma_f64 v[12:13], v[22:23], v[47:48], v[12:13]
	v_fma_f64 v[8:9], v[24:25], v[47:48], v[8:9]
	s_cbranch_scc0 .LBB328_13
.LBB328_9:                              ;   Parent Loop BB328_6 Depth=1
                                        ; =>  This Inner Loop Header: Depth=2
	s_wait_alu 0xfffe
	v_add_nc_u32_e32 v22, s12, v27
	s_delay_alu instid0(VALU_DEP_1)
	v_cmp_gt_i32_e32 vcc_lo, s21, v22
	v_mov_b32_e32 v22, 0
	v_mov_b32_e32 v23, 0
	s_and_b32 s24, s0, vcc_lo
	s_wait_alu 0xfffe
	s_and_saveexec_b32 s13, s24
	s_cbranch_execz .LBB328_11
; %bb.10:                               ;   in Loop: Header=BB328_9 Depth=2
	flat_load_b64 v[22:23], v[16:17]
.LBB328_11:                             ;   in Loop: Header=BB328_9 Depth=2
	s_wait_alu 0xfffe
	s_or_b32 exec_lo, exec_lo, s13
	v_add_nc_u32_e32 v24, s12, v26
	s_wait_loadcnt_dscnt 0x0
	ds_store_b64 v28, v[22:23]
	v_cmp_gt_i32_e32 vcc_lo, s21, v24
	v_mov_b32_e32 v24, 0
	v_mov_b32_e32 v25, 0
	s_and_b32 s24, vcc_lo, s1
	s_wait_alu 0xfffe
	s_and_saveexec_b32 s13, s24
	s_cbranch_execz .LBB328_8
; %bb.12:                               ;   in Loop: Header=BB328_9 Depth=2
	flat_load_b64 v[24:25], v[18:19]
	s_branch .LBB328_8
.LBB328_13:                             ;   in Loop: Header=BB328_6 Depth=1
	s_wait_loadcnt 0x0
	v_add_co_u32 v16, vcc_lo, v10, s8
	s_wait_alu 0xfffd
	v_add_co_ci_u32_e64 v17, null, s9, v11, vcc_lo
	s_delay_alu instid0(VALU_DEP_2) | instskip(SKIP_1) | instid1(VALU_DEP_2)
	v_add_co_u32 v18, vcc_lo, v16, v2
	s_wait_alu 0xfffd
	v_add_co_ci_u32_e64 v19, null, v17, v3, vcc_lo
	s_and_saveexec_b32 s12, s29
	s_cbranch_execz .LBB328_17
; %bb.14:                               ;   in Loop: Header=BB328_6 Depth=1
	v_mul_f64_e32 v[10:11], s[4:5], v[20:21]
	s_and_b32 vcc_lo, exec_lo, s28
	s_wait_alu 0xfffe
	s_cbranch_vccz .LBB328_28
; %bb.15:                               ;   in Loop: Header=BB328_6 Depth=1
	v_add_co_u32 v20, vcc_lo, v18, v6
	s_wait_alu 0xfffd
	v_add_co_ci_u32_e64 v21, null, v19, v7, vcc_lo
	flat_load_b64 v[22:23], v[20:21]
	s_wait_loadcnt_dscnt 0x0
	v_fma_f64 v[22:23], s[14:15], v[22:23], v[10:11]
	flat_store_b64 v[20:21], v[22:23]
	s_cbranch_execnz .LBB328_17
.LBB328_16:                             ;   in Loop: Header=BB328_6 Depth=1
	v_add_co_u32 v20, vcc_lo, v18, v6
	s_wait_alu 0xfffd
	v_add_co_ci_u32_e64 v21, null, v19, v7, vcc_lo
	flat_store_b64 v[20:21], v[10:11]
.LBB328_17:                             ;   in Loop: Header=BB328_6 Depth=1
	s_wait_alu 0xfffe
	s_or_b32 exec_lo, exec_lo, s12
	s_and_saveexec_b32 s12, s30
	s_cbranch_execz .LBB328_21
; %bb.18:                               ;   in Loop: Header=BB328_6 Depth=1
	v_mul_f64_e32 v[10:11], s[4:5], v[14:15]
	s_and_not1_b32 vcc_lo, exec_lo, s28
	s_wait_alu 0xfffe
	s_cbranch_vccnz .LBB328_29
; %bb.19:                               ;   in Loop: Header=BB328_6 Depth=1
	v_lshlrev_b64_e32 v[14:15], 3, v[0:1]
	s_delay_alu instid0(VALU_DEP_1) | instskip(SKIP_1) | instid1(VALU_DEP_2)
	v_add_co_u32 v14, vcc_lo, v18, v14
	s_wait_alu 0xfffd
	v_add_co_ci_u32_e64 v15, null, v19, v15, vcc_lo
	flat_load_b64 v[20:21], v[14:15]
	s_wait_loadcnt_dscnt 0x0
	v_fma_f64 v[20:21], s[14:15], v[20:21], v[10:11]
	flat_store_b64 v[14:15], v[20:21]
	s_cbranch_execnz .LBB328_21
.LBB328_20:                             ;   in Loop: Header=BB328_6 Depth=1
	v_lshlrev_b64_e32 v[14:15], 3, v[0:1]
	s_delay_alu instid0(VALU_DEP_1) | instskip(SKIP_1) | instid1(VALU_DEP_2)
	v_add_co_u32 v14, vcc_lo, v18, v14
	s_wait_alu 0xfffd
	v_add_co_ci_u32_e64 v15, null, v19, v15, vcc_lo
	flat_store_b64 v[14:15], v[10:11]
.LBB328_21:                             ;   in Loop: Header=BB328_6 Depth=1
	s_wait_alu 0xfffe
	s_or_b32 exec_lo, exec_lo, s12
	v_add_co_u32 v14, vcc_lo, v16, v4
	s_wait_alu 0xfffd
	v_add_co_ci_u32_e64 v15, null, v17, v5, vcc_lo
	s_and_saveexec_b32 s12, s18
	s_cbranch_execz .LBB328_25
; %bb.22:                               ;   in Loop: Header=BB328_6 Depth=1
	v_mul_f64_e32 v[10:11], s[4:5], v[12:13]
	s_and_not1_b32 vcc_lo, exec_lo, s28
	s_wait_alu 0xfffe
	s_cbranch_vccnz .LBB328_30
; %bb.23:                               ;   in Loop: Header=BB328_6 Depth=1
	v_add_co_u32 v12, vcc_lo, v14, v6
	s_wait_alu 0xfffd
	v_add_co_ci_u32_e64 v13, null, v15, v7, vcc_lo
	flat_load_b64 v[16:17], v[12:13]
	s_wait_loadcnt_dscnt 0x0
	v_fma_f64 v[16:17], s[14:15], v[16:17], v[10:11]
	flat_store_b64 v[12:13], v[16:17]
	s_cbranch_execnz .LBB328_25
.LBB328_24:                             ;   in Loop: Header=BB328_6 Depth=1
	v_add_co_u32 v12, vcc_lo, v14, v6
	s_wait_alu 0xfffd
	v_add_co_ci_u32_e64 v13, null, v15, v7, vcc_lo
	flat_store_b64 v[12:13], v[10:11]
.LBB328_25:                             ;   in Loop: Header=BB328_6 Depth=1
	s_wait_alu 0xfffe
	s_or_b32 exec_lo, exec_lo, s12
	s_and_saveexec_b32 s12, s31
	s_cbranch_execz .LBB328_5
; %bb.26:                               ;   in Loop: Header=BB328_6 Depth=1
	v_mul_f64_e32 v[8:9], s[4:5], v[8:9]
	v_lshlrev_b64_e32 v[10:11], 3, v[0:1]
	s_and_not1_b32 vcc_lo, exec_lo, s28
	s_wait_alu 0xfffe
	s_cbranch_vccnz .LBB328_31
; %bb.27:                               ;   in Loop: Header=BB328_6 Depth=1
	s_delay_alu instid0(VALU_DEP_1)
	v_add_co_u32 v12, vcc_lo, v14, v10
	s_wait_alu 0xfffd
	v_add_co_ci_u32_e64 v13, null, v15, v11, vcc_lo
	flat_load_b64 v[16:17], v[12:13]
	s_wait_loadcnt_dscnt 0x0
	v_fma_f64 v[16:17], s[14:15], v[16:17], v[8:9]
	flat_store_b64 v[12:13], v[16:17]
	s_cbranch_execnz .LBB328_5
	s_branch .LBB328_32
.LBB328_28:                             ;   in Loop: Header=BB328_6 Depth=1
	s_branch .LBB328_16
.LBB328_29:                             ;   in Loop: Header=BB328_6 Depth=1
	s_branch .LBB328_20
.LBB328_30:                             ;   in Loop: Header=BB328_6 Depth=1
	s_branch .LBB328_24
.LBB328_31:                             ;   in Loop: Header=BB328_6 Depth=1
.LBB328_32:                             ;   in Loop: Header=BB328_6 Depth=1
	s_delay_alu instid0(VALU_DEP_1)
	v_add_co_u32 v10, vcc_lo, v14, v10
	s_wait_alu 0xfffd
	v_add_co_ci_u32_e64 v11, null, v15, v11, vcc_lo
	flat_store_b64 v[10:11], v[8:9]
	s_branch .LBB328_5
.LBB328_33:
	s_endpgm
	.section	.rodata,"a",@progbits
	.p2align	6, 0x0
	.amdhsa_kernel _ZL29rocblas_internal_gemmt_kernelIiLi16ELi32ELi8ELc84ELc84ELc85ELb0ELb0EdPKdPKS1_PKPdEviT_T9_T10_S7_lS9_S7_lS8_T11_S7_li
		.amdhsa_group_segment_fixed_size 4096
		.amdhsa_private_segment_fixed_size 0
		.amdhsa_kernarg_size 100
		.amdhsa_user_sgpr_count 2
		.amdhsa_user_sgpr_dispatch_ptr 0
		.amdhsa_user_sgpr_queue_ptr 0
		.amdhsa_user_sgpr_kernarg_segment_ptr 1
		.amdhsa_user_sgpr_dispatch_id 0
		.amdhsa_user_sgpr_private_segment_size 0
		.amdhsa_wavefront_size32 1
		.amdhsa_uses_dynamic_stack 0
		.amdhsa_enable_private_segment 0
		.amdhsa_system_sgpr_workgroup_id_x 1
		.amdhsa_system_sgpr_workgroup_id_y 1
		.amdhsa_system_sgpr_workgroup_id_z 1
		.amdhsa_system_sgpr_workgroup_info 0
		.amdhsa_system_vgpr_workitem_id 1
		.amdhsa_next_free_vgpr 55
		.amdhsa_next_free_sgpr 35
		.amdhsa_reserve_vcc 1
		.amdhsa_float_round_mode_32 0
		.amdhsa_float_round_mode_16_64 0
		.amdhsa_float_denorm_mode_32 3
		.amdhsa_float_denorm_mode_16_64 3
		.amdhsa_fp16_overflow 0
		.amdhsa_workgroup_processor_mode 1
		.amdhsa_memory_ordered 1
		.amdhsa_forward_progress 1
		.amdhsa_inst_pref_size 17
		.amdhsa_round_robin_scheduling 0
		.amdhsa_exception_fp_ieee_invalid_op 0
		.amdhsa_exception_fp_denorm_src 0
		.amdhsa_exception_fp_ieee_div_zero 0
		.amdhsa_exception_fp_ieee_overflow 0
		.amdhsa_exception_fp_ieee_underflow 0
		.amdhsa_exception_fp_ieee_inexact 0
		.amdhsa_exception_int_div_zero 0
	.end_amdhsa_kernel
	.section	.text._ZL29rocblas_internal_gemmt_kernelIiLi16ELi32ELi8ELc84ELc84ELc85ELb0ELb0EdPKdPKS1_PKPdEviT_T9_T10_S7_lS9_S7_lS8_T11_S7_li,"axG",@progbits,_ZL29rocblas_internal_gemmt_kernelIiLi16ELi32ELi8ELc84ELc84ELc85ELb0ELb0EdPKdPKS1_PKPdEviT_T9_T10_S7_lS9_S7_lS8_T11_S7_li,comdat
.Lfunc_end328:
	.size	_ZL29rocblas_internal_gemmt_kernelIiLi16ELi32ELi8ELc84ELc84ELc85ELb0ELb0EdPKdPKS1_PKPdEviT_T9_T10_S7_lS9_S7_lS8_T11_S7_li, .Lfunc_end328-_ZL29rocblas_internal_gemmt_kernelIiLi16ELi32ELi8ELc84ELc84ELc85ELb0ELb0EdPKdPKS1_PKPdEviT_T9_T10_S7_lS9_S7_lS8_T11_S7_li
                                        ; -- End function
	.set _ZL29rocblas_internal_gemmt_kernelIiLi16ELi32ELi8ELc84ELc84ELc85ELb0ELb0EdPKdPKS1_PKPdEviT_T9_T10_S7_lS9_S7_lS8_T11_S7_li.num_vgpr, 55
	.set _ZL29rocblas_internal_gemmt_kernelIiLi16ELi32ELi8ELc84ELc84ELc85ELb0ELb0EdPKdPKS1_PKPdEviT_T9_T10_S7_lS9_S7_lS8_T11_S7_li.num_agpr, 0
	.set _ZL29rocblas_internal_gemmt_kernelIiLi16ELi32ELi8ELc84ELc84ELc85ELb0ELb0EdPKdPKS1_PKPdEviT_T9_T10_S7_lS9_S7_lS8_T11_S7_li.numbered_sgpr, 35
	.set _ZL29rocblas_internal_gemmt_kernelIiLi16ELi32ELi8ELc84ELc84ELc85ELb0ELb0EdPKdPKS1_PKPdEviT_T9_T10_S7_lS9_S7_lS8_T11_S7_li.num_named_barrier, 0
	.set _ZL29rocblas_internal_gemmt_kernelIiLi16ELi32ELi8ELc84ELc84ELc85ELb0ELb0EdPKdPKS1_PKPdEviT_T9_T10_S7_lS9_S7_lS8_T11_S7_li.private_seg_size, 0
	.set _ZL29rocblas_internal_gemmt_kernelIiLi16ELi32ELi8ELc84ELc84ELc85ELb0ELb0EdPKdPKS1_PKPdEviT_T9_T10_S7_lS9_S7_lS8_T11_S7_li.uses_vcc, 1
	.set _ZL29rocblas_internal_gemmt_kernelIiLi16ELi32ELi8ELc84ELc84ELc85ELb0ELb0EdPKdPKS1_PKPdEviT_T9_T10_S7_lS9_S7_lS8_T11_S7_li.uses_flat_scratch, 0
	.set _ZL29rocblas_internal_gemmt_kernelIiLi16ELi32ELi8ELc84ELc84ELc85ELb0ELb0EdPKdPKS1_PKPdEviT_T9_T10_S7_lS9_S7_lS8_T11_S7_li.has_dyn_sized_stack, 0
	.set _ZL29rocblas_internal_gemmt_kernelIiLi16ELi32ELi8ELc84ELc84ELc85ELb0ELb0EdPKdPKS1_PKPdEviT_T9_T10_S7_lS9_S7_lS8_T11_S7_li.has_recursion, 0
	.set _ZL29rocblas_internal_gemmt_kernelIiLi16ELi32ELi8ELc84ELc84ELc85ELb0ELb0EdPKdPKS1_PKPdEviT_T9_T10_S7_lS9_S7_lS8_T11_S7_li.has_indirect_call, 0
	.section	.AMDGPU.csdata,"",@progbits
; Kernel info:
; codeLenInByte = 2084
; TotalNumSgprs: 37
; NumVgprs: 55
; ScratchSize: 0
; MemoryBound: 0
; FloatMode: 240
; IeeeMode: 1
; LDSByteSize: 4096 bytes/workgroup (compile time only)
; SGPRBlocks: 0
; VGPRBlocks: 6
; NumSGPRsForWavesPerEU: 37
; NumVGPRsForWavesPerEU: 55
; Occupancy: 16
; WaveLimiterHint : 1
; COMPUTE_PGM_RSRC2:SCRATCH_EN: 0
; COMPUTE_PGM_RSRC2:USER_SGPR: 2
; COMPUTE_PGM_RSRC2:TRAP_HANDLER: 0
; COMPUTE_PGM_RSRC2:TGID_X_EN: 1
; COMPUTE_PGM_RSRC2:TGID_Y_EN: 1
; COMPUTE_PGM_RSRC2:TGID_Z_EN: 1
; COMPUTE_PGM_RSRC2:TIDIG_COMP_CNT: 1
	.section	.text._ZL29rocblas_internal_gemmt_kernelIiLi16ELi32ELi8ELc84ELc67ELc85ELb0ELb0EdPKdPKS1_PKPdEviT_T9_T10_S7_lS9_S7_lS8_T11_S7_li,"axG",@progbits,_ZL29rocblas_internal_gemmt_kernelIiLi16ELi32ELi8ELc84ELc67ELc85ELb0ELb0EdPKdPKS1_PKPdEviT_T9_T10_S7_lS9_S7_lS8_T11_S7_li,comdat
	.globl	_ZL29rocblas_internal_gemmt_kernelIiLi16ELi32ELi8ELc84ELc67ELc85ELb0ELb0EdPKdPKS1_PKPdEviT_T9_T10_S7_lS9_S7_lS8_T11_S7_li ; -- Begin function _ZL29rocblas_internal_gemmt_kernelIiLi16ELi32ELi8ELc84ELc67ELc85ELb0ELb0EdPKdPKS1_PKPdEviT_T9_T10_S7_lS9_S7_lS8_T11_S7_li
	.p2align	8
	.type	_ZL29rocblas_internal_gemmt_kernelIiLi16ELi32ELi8ELc84ELc67ELc85ELb0ELb0EdPKdPKS1_PKPdEviT_T9_T10_S7_lS9_S7_lS8_T11_S7_li,@function
_ZL29rocblas_internal_gemmt_kernelIiLi16ELi32ELi8ELc84ELc67ELc85ELb0ELb0EdPKdPKS1_PKPdEviT_T9_T10_S7_lS9_S7_lS8_T11_S7_li: ; @_ZL29rocblas_internal_gemmt_kernelIiLi16ELi32ELi8ELc84ELc67ELc85ELb0ELb0EdPKdPKS1_PKPdEviT_T9_T10_S7_lS9_S7_lS8_T11_S7_li
; %bb.0:
	s_load_b128 s[12:15], s[0:1], 0x38
	s_wait_kmcnt 0x0
	s_load_b64 s[14:15], s[14:15], 0x0
	s_clause 0x1
	s_load_b128 s[4:7], s[0:1], 0x8
	s_load_b64 s[20:21], s[0:1], 0x0
	s_wait_kmcnt 0x0
	s_load_b64 s[4:5], s[4:5], 0x0
	v_cmp_neq_f64_e64 s2, s[14:15], 1.0
	s_and_b32 vcc_lo, exec_lo, s2
	s_cbranch_vccnz .LBB329_2
; %bb.1:
	s_wait_kmcnt 0x0
	v_cmp_neq_f64_e64 s2, s[4:5], 0
	s_cmp_lg_u32 s21, 0
	s_cselect_b32 s3, -1, 0
	s_delay_alu instid0(SALU_CYCLE_1)
	s_and_b32 s2, s3, s2
.LBB329_2:
	s_delay_alu instid0(SALU_CYCLE_1)
	s_and_not1_b32 vcc_lo, exec_lo, s2
	s_cbranch_vccnz .LBB329_33
; %bb.3:
	s_load_b32 s19, s[0:1], 0x60
	s_lshr_b32 s22, ttmp7, 16
	s_wait_kmcnt 0x0
	s_cmp_ge_u32 s22, s19
	s_cbranch_scc1 .LBB329_33
; %bb.4:
	v_dual_mov_b32 v32, 0 :: v_dual_and_b32 v1, 0x3ff, v0
	v_bfe_u32 v2, v0, 10, 10
	v_and_b32_e32 v26, 7, v0
	s_clause 0x4
	s_load_b32 s31, s[0:1], 0x18
	s_load_b128 s[8:11], s[0:1], 0x20
	s_load_b96 s[16:18], s[0:1], 0x48
	s_load_b64 s[26:27], s[0:1], 0x58
	s_load_b32 s24, s[0:1], 0x30
	v_lshl_add_u32 v0, v2, 4, v1
	v_lshlrev_b32_e32 v4, 3, v26
	s_lshl_b32 s0, ttmp7, 5
	s_lshl_b32 s1, ttmp9, 5
	s_and_b32 s2, s0, 0x1fffe0
	v_and_b32_e32 v3, 31, v0
	v_lshrrev_b32_e32 v27, 5, v0
	v_lshrrev_b32_e32 v0, 3, v0
	v_cmp_neq_f64_e64 s33, s[4:5], 0
	v_add_nc_u32_e32 v6, s1, v1
	v_cmp_neq_f64_e64 s28, s[14:15], 0
	v_or_b32_e32 v5, s1, v3
	v_add_nc_u32_e32 v12, s2, v0
	v_lshl_or_b32 v0, v0, 6, v4
	v_lshlrev_b32_e32 v3, 3, v3
	v_add_nc_u32_e32 v4, s2, v2
	v_cmp_gt_i32_e64 s0, s20, v5
	v_lshl_add_u32 v31, v2, 6, 0x800
	v_add_nc_u32_e32 v29, 0x800, v0
	v_add_nc_u32_e32 v0, 16, v6
	v_lshl_or_b32 v28, v27, 8, v3
	v_cmp_gt_i32_e32 vcc_lo, s20, v4
	v_cmp_le_i32_e64 s2, v6, v4
	s_wait_kmcnt 0x0
	v_mad_co_i64_i32 v[2:3], null, v4, s18, 0
	v_cmp_le_i32_e64 s3, v0, v4
	v_add_nc_u32_e32 v13, 16, v4
	v_mad_co_i64_i32 v[4:5], null, s31, v5, 0
	v_mad_co_i64_i32 v[8:9], null, s24, v26, 0
	s_ashr_i32 s25, s24, 31
	s_cmp_gt_i32 s21, 0
	v_mad_co_i64_i32 v[10:11], null, v13, s18, 0
	v_lshlrev_b64_e32 v[4:5], 3, v[4:5]
	s_cselect_b32 s34, -1, 0
	s_and_b32 s29, vcc_lo, s2
	s_and_b32 s30, vcc_lo, s3
	v_cmp_gt_i32_e32 vcc_lo, s20, v13
	v_cmp_le_i32_e64 s2, v6, v13
	s_lshl_b64 s[8:9], s[8:9], 3
	v_lshlrev_b64_e32 v[8:9], 3, v[8:9]
	v_add_co_u32 v4, s3, v4, s8
	s_and_b32 s18, vcc_lo, s2
	v_cmp_le_i32_e64 s2, v0, v13
	v_add_co_ci_u32_e64 v5, null, s9, v5, s3
	v_lshlrev_b32_e32 v13, 3, v27
	s_lshl_b64 s[8:9], s[12:13], 3
	v_cmp_gt_i32_e64 s1, s20, v12
	s_wait_alu 0xfffe
	v_add_co_u32 v8, s3, v8, s8
	v_lshlrev_b32_e32 v12, 3, v12
	v_ashrrev_i32_e32 v7, 31, v6
	s_wait_alu 0xf1ff
	v_add_co_ci_u32_e64 v9, null, s9, v9, s3
	v_add_co_u32 v33, s3, v4, v13
	s_wait_alu 0xf1ff
	v_add_co_ci_u32_e64 v34, null, 0, v5, s3
	v_add_co_u32 v35, s3, v8, v12
	v_lshlrev_b64_e32 v[2:3], 3, v[2:3]
	v_lshlrev_b64_e32 v[4:5], 3, v[10:11]
	;; [unrolled: 1-line block ×3, first 2 shown]
	v_lshlrev_b32_e32 v30, 3, v1
	v_ashrrev_i32_e32 v1, 31, v0
	s_wait_alu 0xf1ff
	v_add_co_ci_u32_e64 v36, null, 0, v9, s3
	s_mov_b32 s23, 0
	s_and_b32 s20, s33, s34
	s_and_b32 s31, vcc_lo, s2
	s_lshl_b64 s[2:3], s[24:25], 6
	s_lshl_b64 s[8:9], s[26:27], 3
	s_branch .LBB329_6
.LBB329_5:                              ;   in Loop: Header=BB329_6 Depth=1
	s_wait_alu 0xfffe
	s_or_b32 exec_lo, exec_lo, s12
	s_add_co_i32 s22, s22, 0x10000
	s_delay_alu instid0(SALU_CYCLE_1)
	s_cmp_lt_u32 s22, s19
	s_cbranch_scc0 .LBB329_33
.LBB329_6:                              ; =>This Loop Header: Depth=1
                                        ;     Child Loop BB329_9 Depth 2
	s_lshl_b64 s[12:13], s[22:23], 3
	v_mov_b32_e32 v20, 0
	s_wait_alu 0xfffe
	s_add_nc_u64 s[24:25], s[16:17], s[12:13]
	v_mov_b32_e32 v12, 0
	global_load_b64 v[10:11], v32, s[24:25]
	v_dual_mov_b32 v21, 0 :: v_dual_mov_b32 v14, 0
	v_dual_mov_b32 v13, 0 :: v_dual_mov_b32 v8, 0
	v_mov_b32_e32 v15, 0
	v_mov_b32_e32 v9, 0
	s_and_not1_b32 vcc_lo, exec_lo, s20
	s_wait_alu 0xfffe
	s_cbranch_vccnz .LBB329_13
; %bb.7:                                ;   in Loop: Header=BB329_6 Depth=1
	s_add_nc_u64 s[24:25], s[6:7], s[12:13]
	s_add_nc_u64 s[12:13], s[10:11], s[12:13]
	s_clause 0x1
	global_load_b64 v[16:17], v32, s[24:25]
	global_load_b64 v[18:19], v32, s[12:13]
	v_mov_b32_e32 v8, 0
	v_dual_mov_b32 v14, 0 :: v_dual_mov_b32 v9, 0
	v_dual_mov_b32 v12, 0 :: v_dual_mov_b32 v15, 0
	;; [unrolled: 1-line block ×3, first 2 shown]
	v_mov_b32_e32 v21, 0
	s_mov_b32 s12, 0
	s_wait_loadcnt 0x1
	v_add_co_u32 v16, vcc_lo, v16, v33
	s_wait_alu 0xfffd
	v_add_co_ci_u32_e64 v17, null, v17, v34, vcc_lo
	s_wait_loadcnt 0x0
	v_add_co_u32 v18, vcc_lo, v18, v35
	s_wait_alu 0xfffd
	v_add_co_ci_u32_e64 v19, null, v19, v36, vcc_lo
	s_branch .LBB329_9
.LBB329_8:                              ;   in Loop: Header=BB329_9 Depth=2
	s_wait_alu 0xfffe
	s_or_b32 exec_lo, exec_lo, s13
	s_wait_loadcnt_dscnt 0x0
	ds_store_b64 v29, v[24:25]
	s_wait_dscnt 0x0
	s_barrier_signal -1
	s_barrier_wait -1
	global_inv scope:SCOPE_SE
	ds_load_b128 v[22:25], v31
	ds_load_2addr_b64 v[37:40], v30 offset1:16
	ds_load_b128 v[41:44], v31 offset:1024
	ds_load_b128 v[45:48], v31 offset:16
	;; [unrolled: 1-line block ×3, first 2 shown]
	v_add_co_u32 v16, vcc_lo, v16, 64
	s_wait_alu 0xfffd
	v_add_co_ci_u32_e64 v17, null, 0, v17, vcc_lo
	v_add_co_u32 v18, vcc_lo, v18, s2
	s_wait_alu 0xfffd
	v_add_co_ci_u32_e64 v19, null, s3, v19, vcc_lo
	s_add_co_i32 s12, s12, 8
	s_wait_alu 0xfffe
	s_cmp_lt_i32 s12, s21
	s_wait_dscnt 0x3
	v_fma_f64 v[20:21], v[37:38], v[22:23], v[20:21]
	v_fma_f64 v[22:23], v[39:40], v[22:23], v[14:15]
	s_wait_dscnt 0x2
	v_fma_f64 v[37:38], v[37:38], v[41:42], v[12:13]
	v_fma_f64 v[8:9], v[39:40], v[41:42], v[8:9]
	ds_load_2addr_b64 v[12:15], v30 offset0:32 offset1:48
	s_wait_dscnt 0x0
	v_fma_f64 v[20:21], v[12:13], v[24:25], v[20:21]
	v_fma_f64 v[22:23], v[14:15], v[24:25], v[22:23]
	v_fma_f64 v[24:25], v[12:13], v[43:44], v[37:38]
	v_fma_f64 v[8:9], v[14:15], v[43:44], v[8:9]
	ds_load_2addr_b64 v[12:15], v30 offset0:64 offset1:80
	s_wait_dscnt 0x0
	v_fma_f64 v[20:21], v[12:13], v[45:46], v[20:21]
	v_fma_f64 v[22:23], v[14:15], v[45:46], v[22:23]
	;; [unrolled: 6-line block ×3, first 2 shown]
	v_fma_f64 v[24:25], v[12:13], v[51:52], v[24:25]
	v_fma_f64 v[8:9], v[14:15], v[51:52], v[8:9]
	ds_load_b128 v[12:15], v31 offset:32
	ds_load_2addr_b64 v[20:23], v30 offset0:128 offset1:144
	ds_load_b128 v[37:40], v31 offset:1056
	ds_load_b128 v[41:44], v31 offset:48
	;; [unrolled: 1-line block ×3, first 2 shown]
	s_wait_dscnt 0x3
	v_fma_f64 v[49:50], v[20:21], v[12:13], v[49:50]
	v_fma_f64 v[12:13], v[22:23], v[12:13], v[53:54]
	s_wait_dscnt 0x2
	v_fma_f64 v[24:25], v[20:21], v[37:38], v[24:25]
	v_fma_f64 v[8:9], v[22:23], v[37:38], v[8:9]
	ds_load_2addr_b64 v[20:23], v30 offset0:160 offset1:176
	s_wait_dscnt 0x0
	v_fma_f64 v[37:38], v[20:21], v[14:15], v[49:50]
	v_fma_f64 v[49:50], v[22:23], v[14:15], v[12:13]
	;; [unrolled: 1-line block ×4, first 2 shown]
	ds_load_2addr_b64 v[12:15], v30 offset0:192 offset1:208
	ds_load_2addr_b64 v[22:25], v30 offset0:224 offset1:240
	s_wait_loadcnt_dscnt 0x0
	s_barrier_signal -1
	s_barrier_wait -1
	global_inv scope:SCOPE_SE
	v_fma_f64 v[37:38], v[12:13], v[41:42], v[37:38]
	v_fma_f64 v[39:40], v[14:15], v[41:42], v[49:50]
	;; [unrolled: 1-line block ×4, first 2 shown]
	s_delay_alu instid0(VALU_DEP_4) | instskip(NEXT) | instid1(VALU_DEP_4)
	v_fma_f64 v[20:21], v[22:23], v[43:44], v[37:38]
	v_fma_f64 v[14:15], v[24:25], v[43:44], v[39:40]
	s_delay_alu instid0(VALU_DEP_4) | instskip(NEXT) | instid1(VALU_DEP_4)
	v_fma_f64 v[12:13], v[22:23], v[47:48], v[12:13]
	v_fma_f64 v[8:9], v[24:25], v[47:48], v[8:9]
	s_cbranch_scc0 .LBB329_13
.LBB329_9:                              ;   Parent Loop BB329_6 Depth=1
                                        ; =>  This Inner Loop Header: Depth=2
	s_wait_alu 0xfffe
	v_add_nc_u32_e32 v22, s12, v27
	s_delay_alu instid0(VALU_DEP_1)
	v_cmp_gt_i32_e32 vcc_lo, s21, v22
	v_mov_b32_e32 v22, 0
	v_mov_b32_e32 v23, 0
	s_and_b32 s24, s0, vcc_lo
	s_wait_alu 0xfffe
	s_and_saveexec_b32 s13, s24
	s_cbranch_execz .LBB329_11
; %bb.10:                               ;   in Loop: Header=BB329_9 Depth=2
	flat_load_b64 v[22:23], v[16:17]
.LBB329_11:                             ;   in Loop: Header=BB329_9 Depth=2
	s_wait_alu 0xfffe
	s_or_b32 exec_lo, exec_lo, s13
	v_add_nc_u32_e32 v24, s12, v26
	s_wait_loadcnt_dscnt 0x0
	ds_store_b64 v28, v[22:23]
	v_cmp_gt_i32_e32 vcc_lo, s21, v24
	v_mov_b32_e32 v24, 0
	v_mov_b32_e32 v25, 0
	s_and_b32 s24, vcc_lo, s1
	s_wait_alu 0xfffe
	s_and_saveexec_b32 s13, s24
	s_cbranch_execz .LBB329_8
; %bb.12:                               ;   in Loop: Header=BB329_9 Depth=2
	flat_load_b64 v[24:25], v[18:19]
	s_branch .LBB329_8
.LBB329_13:                             ;   in Loop: Header=BB329_6 Depth=1
	s_wait_loadcnt 0x0
	v_add_co_u32 v16, vcc_lo, v10, s8
	s_wait_alu 0xfffd
	v_add_co_ci_u32_e64 v17, null, s9, v11, vcc_lo
	s_delay_alu instid0(VALU_DEP_2) | instskip(SKIP_1) | instid1(VALU_DEP_2)
	v_add_co_u32 v18, vcc_lo, v16, v2
	s_wait_alu 0xfffd
	v_add_co_ci_u32_e64 v19, null, v17, v3, vcc_lo
	s_and_saveexec_b32 s12, s29
	s_cbranch_execz .LBB329_17
; %bb.14:                               ;   in Loop: Header=BB329_6 Depth=1
	v_mul_f64_e32 v[10:11], s[4:5], v[20:21]
	s_and_b32 vcc_lo, exec_lo, s28
	s_wait_alu 0xfffe
	s_cbranch_vccz .LBB329_28
; %bb.15:                               ;   in Loop: Header=BB329_6 Depth=1
	v_add_co_u32 v20, vcc_lo, v18, v6
	s_wait_alu 0xfffd
	v_add_co_ci_u32_e64 v21, null, v19, v7, vcc_lo
	flat_load_b64 v[22:23], v[20:21]
	s_wait_loadcnt_dscnt 0x0
	v_fma_f64 v[22:23], s[14:15], v[22:23], v[10:11]
	flat_store_b64 v[20:21], v[22:23]
	s_cbranch_execnz .LBB329_17
.LBB329_16:                             ;   in Loop: Header=BB329_6 Depth=1
	v_add_co_u32 v20, vcc_lo, v18, v6
	s_wait_alu 0xfffd
	v_add_co_ci_u32_e64 v21, null, v19, v7, vcc_lo
	flat_store_b64 v[20:21], v[10:11]
.LBB329_17:                             ;   in Loop: Header=BB329_6 Depth=1
	s_wait_alu 0xfffe
	s_or_b32 exec_lo, exec_lo, s12
	s_and_saveexec_b32 s12, s30
	s_cbranch_execz .LBB329_21
; %bb.18:                               ;   in Loop: Header=BB329_6 Depth=1
	v_mul_f64_e32 v[10:11], s[4:5], v[14:15]
	s_and_not1_b32 vcc_lo, exec_lo, s28
	s_wait_alu 0xfffe
	s_cbranch_vccnz .LBB329_29
; %bb.19:                               ;   in Loop: Header=BB329_6 Depth=1
	v_lshlrev_b64_e32 v[14:15], 3, v[0:1]
	s_delay_alu instid0(VALU_DEP_1) | instskip(SKIP_1) | instid1(VALU_DEP_2)
	v_add_co_u32 v14, vcc_lo, v18, v14
	s_wait_alu 0xfffd
	v_add_co_ci_u32_e64 v15, null, v19, v15, vcc_lo
	flat_load_b64 v[20:21], v[14:15]
	s_wait_loadcnt_dscnt 0x0
	v_fma_f64 v[20:21], s[14:15], v[20:21], v[10:11]
	flat_store_b64 v[14:15], v[20:21]
	s_cbranch_execnz .LBB329_21
.LBB329_20:                             ;   in Loop: Header=BB329_6 Depth=1
	v_lshlrev_b64_e32 v[14:15], 3, v[0:1]
	s_delay_alu instid0(VALU_DEP_1) | instskip(SKIP_1) | instid1(VALU_DEP_2)
	v_add_co_u32 v14, vcc_lo, v18, v14
	s_wait_alu 0xfffd
	v_add_co_ci_u32_e64 v15, null, v19, v15, vcc_lo
	flat_store_b64 v[14:15], v[10:11]
.LBB329_21:                             ;   in Loop: Header=BB329_6 Depth=1
	s_wait_alu 0xfffe
	s_or_b32 exec_lo, exec_lo, s12
	v_add_co_u32 v14, vcc_lo, v16, v4
	s_wait_alu 0xfffd
	v_add_co_ci_u32_e64 v15, null, v17, v5, vcc_lo
	s_and_saveexec_b32 s12, s18
	s_cbranch_execz .LBB329_25
; %bb.22:                               ;   in Loop: Header=BB329_6 Depth=1
	v_mul_f64_e32 v[10:11], s[4:5], v[12:13]
	s_and_not1_b32 vcc_lo, exec_lo, s28
	s_wait_alu 0xfffe
	s_cbranch_vccnz .LBB329_30
; %bb.23:                               ;   in Loop: Header=BB329_6 Depth=1
	v_add_co_u32 v12, vcc_lo, v14, v6
	s_wait_alu 0xfffd
	v_add_co_ci_u32_e64 v13, null, v15, v7, vcc_lo
	flat_load_b64 v[16:17], v[12:13]
	s_wait_loadcnt_dscnt 0x0
	v_fma_f64 v[16:17], s[14:15], v[16:17], v[10:11]
	flat_store_b64 v[12:13], v[16:17]
	s_cbranch_execnz .LBB329_25
.LBB329_24:                             ;   in Loop: Header=BB329_6 Depth=1
	v_add_co_u32 v12, vcc_lo, v14, v6
	s_wait_alu 0xfffd
	v_add_co_ci_u32_e64 v13, null, v15, v7, vcc_lo
	flat_store_b64 v[12:13], v[10:11]
.LBB329_25:                             ;   in Loop: Header=BB329_6 Depth=1
	s_wait_alu 0xfffe
	s_or_b32 exec_lo, exec_lo, s12
	s_and_saveexec_b32 s12, s31
	s_cbranch_execz .LBB329_5
; %bb.26:                               ;   in Loop: Header=BB329_6 Depth=1
	v_mul_f64_e32 v[8:9], s[4:5], v[8:9]
	v_lshlrev_b64_e32 v[10:11], 3, v[0:1]
	s_and_not1_b32 vcc_lo, exec_lo, s28
	s_wait_alu 0xfffe
	s_cbranch_vccnz .LBB329_31
; %bb.27:                               ;   in Loop: Header=BB329_6 Depth=1
	s_delay_alu instid0(VALU_DEP_1)
	v_add_co_u32 v12, vcc_lo, v14, v10
	s_wait_alu 0xfffd
	v_add_co_ci_u32_e64 v13, null, v15, v11, vcc_lo
	flat_load_b64 v[16:17], v[12:13]
	s_wait_loadcnt_dscnt 0x0
	v_fma_f64 v[16:17], s[14:15], v[16:17], v[8:9]
	flat_store_b64 v[12:13], v[16:17]
	s_cbranch_execnz .LBB329_5
	s_branch .LBB329_32
.LBB329_28:                             ;   in Loop: Header=BB329_6 Depth=1
	s_branch .LBB329_16
.LBB329_29:                             ;   in Loop: Header=BB329_6 Depth=1
	s_branch .LBB329_20
.LBB329_30:                             ;   in Loop: Header=BB329_6 Depth=1
	s_branch .LBB329_24
.LBB329_31:                             ;   in Loop: Header=BB329_6 Depth=1
.LBB329_32:                             ;   in Loop: Header=BB329_6 Depth=1
	s_delay_alu instid0(VALU_DEP_1)
	v_add_co_u32 v10, vcc_lo, v14, v10
	s_wait_alu 0xfffd
	v_add_co_ci_u32_e64 v11, null, v15, v11, vcc_lo
	flat_store_b64 v[10:11], v[8:9]
	s_branch .LBB329_5
.LBB329_33:
	s_endpgm
	.section	.rodata,"a",@progbits
	.p2align	6, 0x0
	.amdhsa_kernel _ZL29rocblas_internal_gemmt_kernelIiLi16ELi32ELi8ELc84ELc67ELc85ELb0ELb0EdPKdPKS1_PKPdEviT_T9_T10_S7_lS9_S7_lS8_T11_S7_li
		.amdhsa_group_segment_fixed_size 4096
		.amdhsa_private_segment_fixed_size 0
		.amdhsa_kernarg_size 100
		.amdhsa_user_sgpr_count 2
		.amdhsa_user_sgpr_dispatch_ptr 0
		.amdhsa_user_sgpr_queue_ptr 0
		.amdhsa_user_sgpr_kernarg_segment_ptr 1
		.amdhsa_user_sgpr_dispatch_id 0
		.amdhsa_user_sgpr_private_segment_size 0
		.amdhsa_wavefront_size32 1
		.amdhsa_uses_dynamic_stack 0
		.amdhsa_enable_private_segment 0
		.amdhsa_system_sgpr_workgroup_id_x 1
		.amdhsa_system_sgpr_workgroup_id_y 1
		.amdhsa_system_sgpr_workgroup_id_z 1
		.amdhsa_system_sgpr_workgroup_info 0
		.amdhsa_system_vgpr_workitem_id 1
		.amdhsa_next_free_vgpr 55
		.amdhsa_next_free_sgpr 35
		.amdhsa_reserve_vcc 1
		.amdhsa_float_round_mode_32 0
		.amdhsa_float_round_mode_16_64 0
		.amdhsa_float_denorm_mode_32 3
		.amdhsa_float_denorm_mode_16_64 3
		.amdhsa_fp16_overflow 0
		.amdhsa_workgroup_processor_mode 1
		.amdhsa_memory_ordered 1
		.amdhsa_forward_progress 1
		.amdhsa_inst_pref_size 17
		.amdhsa_round_robin_scheduling 0
		.amdhsa_exception_fp_ieee_invalid_op 0
		.amdhsa_exception_fp_denorm_src 0
		.amdhsa_exception_fp_ieee_div_zero 0
		.amdhsa_exception_fp_ieee_overflow 0
		.amdhsa_exception_fp_ieee_underflow 0
		.amdhsa_exception_fp_ieee_inexact 0
		.amdhsa_exception_int_div_zero 0
	.end_amdhsa_kernel
	.section	.text._ZL29rocblas_internal_gemmt_kernelIiLi16ELi32ELi8ELc84ELc67ELc85ELb0ELb0EdPKdPKS1_PKPdEviT_T9_T10_S7_lS9_S7_lS8_T11_S7_li,"axG",@progbits,_ZL29rocblas_internal_gemmt_kernelIiLi16ELi32ELi8ELc84ELc67ELc85ELb0ELb0EdPKdPKS1_PKPdEviT_T9_T10_S7_lS9_S7_lS8_T11_S7_li,comdat
.Lfunc_end329:
	.size	_ZL29rocblas_internal_gemmt_kernelIiLi16ELi32ELi8ELc84ELc67ELc85ELb0ELb0EdPKdPKS1_PKPdEviT_T9_T10_S7_lS9_S7_lS8_T11_S7_li, .Lfunc_end329-_ZL29rocblas_internal_gemmt_kernelIiLi16ELi32ELi8ELc84ELc67ELc85ELb0ELb0EdPKdPKS1_PKPdEviT_T9_T10_S7_lS9_S7_lS8_T11_S7_li
                                        ; -- End function
	.set _ZL29rocblas_internal_gemmt_kernelIiLi16ELi32ELi8ELc84ELc67ELc85ELb0ELb0EdPKdPKS1_PKPdEviT_T9_T10_S7_lS9_S7_lS8_T11_S7_li.num_vgpr, 55
	.set _ZL29rocblas_internal_gemmt_kernelIiLi16ELi32ELi8ELc84ELc67ELc85ELb0ELb0EdPKdPKS1_PKPdEviT_T9_T10_S7_lS9_S7_lS8_T11_S7_li.num_agpr, 0
	.set _ZL29rocblas_internal_gemmt_kernelIiLi16ELi32ELi8ELc84ELc67ELc85ELb0ELb0EdPKdPKS1_PKPdEviT_T9_T10_S7_lS9_S7_lS8_T11_S7_li.numbered_sgpr, 35
	.set _ZL29rocblas_internal_gemmt_kernelIiLi16ELi32ELi8ELc84ELc67ELc85ELb0ELb0EdPKdPKS1_PKPdEviT_T9_T10_S7_lS9_S7_lS8_T11_S7_li.num_named_barrier, 0
	.set _ZL29rocblas_internal_gemmt_kernelIiLi16ELi32ELi8ELc84ELc67ELc85ELb0ELb0EdPKdPKS1_PKPdEviT_T9_T10_S7_lS9_S7_lS8_T11_S7_li.private_seg_size, 0
	.set _ZL29rocblas_internal_gemmt_kernelIiLi16ELi32ELi8ELc84ELc67ELc85ELb0ELb0EdPKdPKS1_PKPdEviT_T9_T10_S7_lS9_S7_lS8_T11_S7_li.uses_vcc, 1
	.set _ZL29rocblas_internal_gemmt_kernelIiLi16ELi32ELi8ELc84ELc67ELc85ELb0ELb0EdPKdPKS1_PKPdEviT_T9_T10_S7_lS9_S7_lS8_T11_S7_li.uses_flat_scratch, 0
	.set _ZL29rocblas_internal_gemmt_kernelIiLi16ELi32ELi8ELc84ELc67ELc85ELb0ELb0EdPKdPKS1_PKPdEviT_T9_T10_S7_lS9_S7_lS8_T11_S7_li.has_dyn_sized_stack, 0
	.set _ZL29rocblas_internal_gemmt_kernelIiLi16ELi32ELi8ELc84ELc67ELc85ELb0ELb0EdPKdPKS1_PKPdEviT_T9_T10_S7_lS9_S7_lS8_T11_S7_li.has_recursion, 0
	.set _ZL29rocblas_internal_gemmt_kernelIiLi16ELi32ELi8ELc84ELc67ELc85ELb0ELb0EdPKdPKS1_PKPdEviT_T9_T10_S7_lS9_S7_lS8_T11_S7_li.has_indirect_call, 0
	.section	.AMDGPU.csdata,"",@progbits
; Kernel info:
; codeLenInByte = 2084
; TotalNumSgprs: 37
; NumVgprs: 55
; ScratchSize: 0
; MemoryBound: 0
; FloatMode: 240
; IeeeMode: 1
; LDSByteSize: 4096 bytes/workgroup (compile time only)
; SGPRBlocks: 0
; VGPRBlocks: 6
; NumSGPRsForWavesPerEU: 37
; NumVGPRsForWavesPerEU: 55
; Occupancy: 16
; WaveLimiterHint : 1
; COMPUTE_PGM_RSRC2:SCRATCH_EN: 0
; COMPUTE_PGM_RSRC2:USER_SGPR: 2
; COMPUTE_PGM_RSRC2:TRAP_HANDLER: 0
; COMPUTE_PGM_RSRC2:TGID_X_EN: 1
; COMPUTE_PGM_RSRC2:TGID_Y_EN: 1
; COMPUTE_PGM_RSRC2:TGID_Z_EN: 1
; COMPUTE_PGM_RSRC2:TIDIG_COMP_CNT: 1
	.section	.text._ZL29rocblas_internal_gemmt_kernelIiLi16ELi32ELi8ELc67ELc78ELc85ELb0ELb0EdPKdPKS1_PKPdEviT_T9_T10_S7_lS9_S7_lS8_T11_S7_li,"axG",@progbits,_ZL29rocblas_internal_gemmt_kernelIiLi16ELi32ELi8ELc67ELc78ELc85ELb0ELb0EdPKdPKS1_PKPdEviT_T9_T10_S7_lS9_S7_lS8_T11_S7_li,comdat
	.globl	_ZL29rocblas_internal_gemmt_kernelIiLi16ELi32ELi8ELc67ELc78ELc85ELb0ELb0EdPKdPKS1_PKPdEviT_T9_T10_S7_lS9_S7_lS8_T11_S7_li ; -- Begin function _ZL29rocblas_internal_gemmt_kernelIiLi16ELi32ELi8ELc67ELc78ELc85ELb0ELb0EdPKdPKS1_PKPdEviT_T9_T10_S7_lS9_S7_lS8_T11_S7_li
	.p2align	8
	.type	_ZL29rocblas_internal_gemmt_kernelIiLi16ELi32ELi8ELc67ELc78ELc85ELb0ELb0EdPKdPKS1_PKPdEviT_T9_T10_S7_lS9_S7_lS8_T11_S7_li,@function
_ZL29rocblas_internal_gemmt_kernelIiLi16ELi32ELi8ELc67ELc78ELc85ELb0ELb0EdPKdPKS1_PKPdEviT_T9_T10_S7_lS9_S7_lS8_T11_S7_li: ; @_ZL29rocblas_internal_gemmt_kernelIiLi16ELi32ELi8ELc67ELc78ELc85ELb0ELb0EdPKdPKS1_PKPdEviT_T9_T10_S7_lS9_S7_lS8_T11_S7_li
; %bb.0:
	s_load_b128 s[12:15], s[0:1], 0x38
	s_wait_kmcnt 0x0
	s_load_b64 s[14:15], s[14:15], 0x0
	s_clause 0x1
	s_load_b128 s[4:7], s[0:1], 0x8
	s_load_b64 s[20:21], s[0:1], 0x0
	s_wait_kmcnt 0x0
	s_load_b64 s[22:23], s[4:5], 0x0
	v_cmp_neq_f64_e64 s2, s[14:15], 1.0
	s_and_b32 vcc_lo, exec_lo, s2
	s_cbranch_vccnz .LBB330_2
; %bb.1:
	s_wait_kmcnt 0x0
	v_cmp_neq_f64_e64 s2, s[22:23], 0
	s_cmp_lg_u32 s21, 0
	s_cselect_b32 s3, -1, 0
	s_delay_alu instid0(SALU_CYCLE_1)
	s_and_b32 s2, s3, s2
.LBB330_2:
	s_delay_alu instid0(SALU_CYCLE_1)
	s_and_not1_b32 vcc_lo, exec_lo, s2
	s_cbranch_vccnz .LBB330_33
; %bb.3:
	s_load_b32 s19, s[0:1], 0x60
	s_lshr_b32 s24, ttmp7, 16
	s_wait_kmcnt 0x0
	s_cmp_ge_u32 s24, s19
	s_cbranch_scc1 .LBB330_33
; %bb.4:
	v_dual_mov_b32 v32, 0 :: v_dual_and_b32 v1, 0x3ff, v0
	v_bfe_u32 v2, v0, 10, 10
	v_and_b32_e32 v26, 7, v0
	s_clause 0x4
	s_load_b32 s3, s[0:1], 0x18
	s_load_b128 s[8:11], s[0:1], 0x20
	s_load_b32 s4, s[0:1], 0x30
	s_load_b96 s[16:18], s[0:1], 0x48
	s_load_b64 s[26:27], s[0:1], 0x58
	s_lshl_b32 s0, ttmp7, 5
	s_lshl_b32 s2, ttmp9, 5
	v_lshl_add_u32 v0, v2, 4, v1
	v_lshlrev_b32_e32 v12, 3, v26
	s_and_b32 s5, s0, 0x1fffe0
	v_cmp_neq_f64_e64 s31, s[22:23], 0
	v_add_nc_u32_e32 v6, s2, v1
	v_and_b32_e32 v3, 31, v0
	v_lshrrev_b32_e32 v4, 3, v0
	v_lshrrev_b32_e32 v27, 5, v0
	v_cmp_neq_f64_e64 s28, s[14:15], 0
	s_cmp_gt_i32 s21, 0
	v_or_b32_e32 v5, s2, v3
	v_add_nc_u32_e32 v8, s5, v4
	v_lshlrev_b32_e32 v0, 3, v3
	v_lshl_or_b32 v3, v4, 6, v12
	v_add_nc_u32_e32 v4, s5, v2
	s_cselect_b32 s33, -1, 0
	v_cmp_gt_i32_e64 s0, s20, v5
	v_lshl_or_b32 v28, v27, 8, v0
	v_add_nc_u32_e32 v0, 16, v6
	v_cmp_gt_i32_e32 vcc_lo, s20, v4
	v_cmp_le_i32_e64 s2, v6, v4
	v_add_nc_u32_e32 v29, 0x800, v3
	v_lshl_add_u32 v31, v2, 6, 0x800
	s_wait_kmcnt 0x0
	v_mad_co_i64_i32 v[2:3], null, v4, s18, 0
	s_and_b32 s29, vcc_lo, s2
	v_cmp_le_i32_e64 s2, v0, v4
	v_add_nc_u32_e32 v13, 16, v4
	v_mad_co_i64_i32 v[4:5], null, s3, v5, 0
	v_cmp_gt_i32_e64 s1, s20, v8
	v_mad_co_i64_i32 v[8:9], null, s4, v8, 0
	s_lshl_b64 s[4:5], s[8:9], 3
	s_and_b32 s30, vcc_lo, s2
	v_cmp_gt_i32_e32 vcc_lo, s20, v13
	v_lshlrev_b64_e32 v[4:5], 3, v[4:5]
	v_mad_co_i64_i32 v[10:11], null, v13, s18, 0
	v_lshlrev_b64_e32 v[8:9], 3, v[8:9]
	v_cmp_le_i32_e64 s2, v6, v13
	v_cmp_le_i32_e64 s3, v0, v13
	s_wait_alu 0xfffe
	v_add_co_u32 v4, s4, v4, s4
	s_wait_alu 0xf1ff
	v_add_co_ci_u32_e64 v5, null, s5, v5, s4
	v_lshlrev_b32_e32 v13, 3, v27
	s_lshl_b64 s[4:5], s[12:13], 3
	v_ashrrev_i32_e32 v7, 31, v6
	s_wait_alu 0xfffe
	v_add_co_u32 v8, s4, v8, s4
	s_wait_alu 0xf1ff
	v_add_co_ci_u32_e64 v9, null, s5, v9, s4
	v_add_co_u32 v33, s4, v4, v13
	s_wait_alu 0xf1ff
	v_add_co_ci_u32_e64 v34, null, 0, v5, s4
	v_add_co_u32 v35, s4, v8, v12
	v_lshlrev_b64_e32 v[2:3], 3, v[2:3]
	v_lshlrev_b64_e32 v[4:5], 3, v[10:11]
	;; [unrolled: 1-line block ×3, first 2 shown]
	v_lshlrev_b32_e32 v30, 3, v1
	v_ashrrev_i32_e32 v1, 31, v0
	s_wait_alu 0xf1ff
	v_add_co_ci_u32_e64 v36, null, 0, v9, s4
	s_mov_b32 s25, 0
	s_and_b32 s8, s31, s33
	s_and_b32 s9, vcc_lo, s2
	s_and_b32 s12, vcc_lo, s3
	s_lshl_b64 s[2:3], s[26:27], 3
	s_branch .LBB330_6
.LBB330_5:                              ;   in Loop: Header=BB330_6 Depth=1
	s_wait_alu 0xfffe
	s_or_b32 exec_lo, exec_lo, s4
	s_add_co_i32 s24, s24, 0x10000
	s_delay_alu instid0(SALU_CYCLE_1)
	s_cmp_lt_u32 s24, s19
	s_cbranch_scc0 .LBB330_33
.LBB330_6:                              ; =>This Loop Header: Depth=1
                                        ;     Child Loop BB330_9 Depth 2
	s_lshl_b64 s[4:5], s[24:25], 3
	v_mov_b32_e32 v20, 0
	s_wait_alu 0xfffe
	s_add_nc_u64 s[26:27], s[16:17], s[4:5]
	v_mov_b32_e32 v12, 0
	global_load_b64 v[10:11], v32, s[26:27]
	v_dual_mov_b32 v21, 0 :: v_dual_mov_b32 v14, 0
	v_dual_mov_b32 v13, 0 :: v_dual_mov_b32 v8, 0
	v_mov_b32_e32 v15, 0
	v_mov_b32_e32 v9, 0
	s_and_not1_b32 vcc_lo, exec_lo, s8
	s_wait_alu 0xfffe
	s_cbranch_vccnz .LBB330_13
; %bb.7:                                ;   in Loop: Header=BB330_6 Depth=1
	s_add_nc_u64 s[26:27], s[6:7], s[4:5]
	s_add_nc_u64 s[4:5], s[10:11], s[4:5]
	s_clause 0x1
	global_load_b64 v[16:17], v32, s[26:27]
	global_load_b64 v[18:19], v32, s[4:5]
	v_mov_b32_e32 v8, 0
	v_dual_mov_b32 v14, 0 :: v_dual_mov_b32 v9, 0
	v_dual_mov_b32 v12, 0 :: v_dual_mov_b32 v15, 0
	;; [unrolled: 1-line block ×3, first 2 shown]
	v_mov_b32_e32 v21, 0
	s_mov_b32 s4, 0
	s_wait_loadcnt 0x1
	v_add_co_u32 v16, vcc_lo, v16, v33
	s_wait_alu 0xfffd
	v_add_co_ci_u32_e64 v17, null, v17, v34, vcc_lo
	s_wait_loadcnt 0x0
	v_add_co_u32 v18, vcc_lo, v18, v35
	s_wait_alu 0xfffd
	v_add_co_ci_u32_e64 v19, null, v19, v36, vcc_lo
	s_branch .LBB330_9
.LBB330_8:                              ;   in Loop: Header=BB330_9 Depth=2
	s_wait_alu 0xfffe
	s_or_b32 exec_lo, exec_lo, s5
	s_wait_loadcnt_dscnt 0x0
	ds_store_b64 v29, v[24:25]
	s_wait_dscnt 0x0
	s_barrier_signal -1
	s_barrier_wait -1
	global_inv scope:SCOPE_SE
	ds_load_b128 v[22:25], v31
	ds_load_2addr_b64 v[37:40], v30 offset1:16
	ds_load_b128 v[41:44], v31 offset:1024
	ds_load_b128 v[45:48], v31 offset:16
	;; [unrolled: 1-line block ×3, first 2 shown]
	v_add_co_u32 v16, vcc_lo, v16, 64
	s_wait_alu 0xfffd
	v_add_co_ci_u32_e64 v17, null, 0, v17, vcc_lo
	v_add_co_u32 v18, vcc_lo, v18, 64
	s_wait_alu 0xfffd
	v_add_co_ci_u32_e64 v19, null, 0, v19, vcc_lo
	s_add_co_i32 s4, s4, 8
	s_wait_alu 0xfffe
	s_cmp_lt_i32 s4, s21
	s_wait_dscnt 0x3
	v_fma_f64 v[20:21], v[37:38], v[22:23], v[20:21]
	v_fma_f64 v[22:23], v[39:40], v[22:23], v[14:15]
	s_wait_dscnt 0x2
	v_fma_f64 v[37:38], v[37:38], v[41:42], v[12:13]
	v_fma_f64 v[8:9], v[39:40], v[41:42], v[8:9]
	ds_load_2addr_b64 v[12:15], v30 offset0:32 offset1:48
	s_wait_dscnt 0x0
	v_fma_f64 v[20:21], v[12:13], v[24:25], v[20:21]
	v_fma_f64 v[22:23], v[14:15], v[24:25], v[22:23]
	v_fma_f64 v[24:25], v[12:13], v[43:44], v[37:38]
	v_fma_f64 v[8:9], v[14:15], v[43:44], v[8:9]
	ds_load_2addr_b64 v[12:15], v30 offset0:64 offset1:80
	s_wait_dscnt 0x0
	v_fma_f64 v[20:21], v[12:13], v[45:46], v[20:21]
	v_fma_f64 v[22:23], v[14:15], v[45:46], v[22:23]
	;; [unrolled: 6-line block ×3, first 2 shown]
	v_fma_f64 v[24:25], v[12:13], v[51:52], v[24:25]
	v_fma_f64 v[8:9], v[14:15], v[51:52], v[8:9]
	ds_load_b128 v[12:15], v31 offset:32
	ds_load_2addr_b64 v[20:23], v30 offset0:128 offset1:144
	ds_load_b128 v[37:40], v31 offset:1056
	ds_load_b128 v[41:44], v31 offset:48
	;; [unrolled: 1-line block ×3, first 2 shown]
	s_wait_dscnt 0x3
	v_fma_f64 v[49:50], v[20:21], v[12:13], v[49:50]
	v_fma_f64 v[12:13], v[22:23], v[12:13], v[53:54]
	s_wait_dscnt 0x2
	v_fma_f64 v[24:25], v[20:21], v[37:38], v[24:25]
	v_fma_f64 v[8:9], v[22:23], v[37:38], v[8:9]
	ds_load_2addr_b64 v[20:23], v30 offset0:160 offset1:176
	s_wait_dscnt 0x0
	v_fma_f64 v[37:38], v[20:21], v[14:15], v[49:50]
	v_fma_f64 v[49:50], v[22:23], v[14:15], v[12:13]
	;; [unrolled: 1-line block ×4, first 2 shown]
	ds_load_2addr_b64 v[12:15], v30 offset0:192 offset1:208
	ds_load_2addr_b64 v[22:25], v30 offset0:224 offset1:240
	s_wait_loadcnt_dscnt 0x0
	s_barrier_signal -1
	s_barrier_wait -1
	global_inv scope:SCOPE_SE
	v_fma_f64 v[37:38], v[12:13], v[41:42], v[37:38]
	v_fma_f64 v[39:40], v[14:15], v[41:42], v[49:50]
	;; [unrolled: 1-line block ×4, first 2 shown]
	s_delay_alu instid0(VALU_DEP_4) | instskip(NEXT) | instid1(VALU_DEP_4)
	v_fma_f64 v[20:21], v[22:23], v[43:44], v[37:38]
	v_fma_f64 v[14:15], v[24:25], v[43:44], v[39:40]
	s_delay_alu instid0(VALU_DEP_4) | instskip(NEXT) | instid1(VALU_DEP_4)
	v_fma_f64 v[12:13], v[22:23], v[47:48], v[12:13]
	v_fma_f64 v[8:9], v[24:25], v[47:48], v[8:9]
	s_cbranch_scc0 .LBB330_13
.LBB330_9:                              ;   Parent Loop BB330_6 Depth=1
                                        ; =>  This Inner Loop Header: Depth=2
	s_wait_alu 0xfffe
	v_add_nc_u32_e32 v22, s4, v27
	s_delay_alu instid0(VALU_DEP_1) | instskip(SKIP_3) | instid1(SALU_CYCLE_1)
	v_cmp_gt_i32_e32 vcc_lo, s21, v22
	v_mov_b32_e32 v22, 0
	v_mov_b32_e32 v23, 0
	s_and_b32 s13, s0, vcc_lo
	s_and_saveexec_b32 s5, s13
	s_cbranch_execz .LBB330_11
; %bb.10:                               ;   in Loop: Header=BB330_9 Depth=2
	flat_load_b64 v[22:23], v[16:17]
.LBB330_11:                             ;   in Loop: Header=BB330_9 Depth=2
	s_wait_alu 0xfffe
	s_or_b32 exec_lo, exec_lo, s5
	v_add_nc_u32_e32 v24, s4, v26
	s_wait_loadcnt_dscnt 0x0
	ds_store_b64 v28, v[22:23]
	v_cmp_gt_i32_e32 vcc_lo, s21, v24
	v_mov_b32_e32 v24, 0
	v_mov_b32_e32 v25, 0
	s_and_b32 s13, vcc_lo, s1
	s_delay_alu instid0(SALU_CYCLE_1)
	s_and_saveexec_b32 s5, s13
	s_cbranch_execz .LBB330_8
; %bb.12:                               ;   in Loop: Header=BB330_9 Depth=2
	flat_load_b64 v[24:25], v[18:19]
	s_branch .LBB330_8
.LBB330_13:                             ;   in Loop: Header=BB330_6 Depth=1
	s_wait_loadcnt 0x0
	v_add_co_u32 v16, vcc_lo, v10, s2
	s_wait_alu 0xfffd
	v_add_co_ci_u32_e64 v17, null, s3, v11, vcc_lo
	s_delay_alu instid0(VALU_DEP_2) | instskip(SKIP_1) | instid1(VALU_DEP_2)
	v_add_co_u32 v18, vcc_lo, v16, v2
	s_wait_alu 0xfffd
	v_add_co_ci_u32_e64 v19, null, v17, v3, vcc_lo
	s_and_saveexec_b32 s4, s29
	s_cbranch_execz .LBB330_17
; %bb.14:                               ;   in Loop: Header=BB330_6 Depth=1
	v_mul_f64_e32 v[10:11], s[22:23], v[20:21]
	s_and_b32 vcc_lo, exec_lo, s28
	s_wait_alu 0xfffe
	s_cbranch_vccz .LBB330_28
; %bb.15:                               ;   in Loop: Header=BB330_6 Depth=1
	v_add_co_u32 v20, vcc_lo, v18, v6
	s_wait_alu 0xfffd
	v_add_co_ci_u32_e64 v21, null, v19, v7, vcc_lo
	flat_load_b64 v[22:23], v[20:21]
	s_wait_loadcnt_dscnt 0x0
	v_fma_f64 v[22:23], s[14:15], v[22:23], v[10:11]
	flat_store_b64 v[20:21], v[22:23]
	s_cbranch_execnz .LBB330_17
.LBB330_16:                             ;   in Loop: Header=BB330_6 Depth=1
	v_add_co_u32 v20, vcc_lo, v18, v6
	s_wait_alu 0xfffd
	v_add_co_ci_u32_e64 v21, null, v19, v7, vcc_lo
	flat_store_b64 v[20:21], v[10:11]
.LBB330_17:                             ;   in Loop: Header=BB330_6 Depth=1
	s_wait_alu 0xfffe
	s_or_b32 exec_lo, exec_lo, s4
	s_and_saveexec_b32 s4, s30
	s_cbranch_execz .LBB330_21
; %bb.18:                               ;   in Loop: Header=BB330_6 Depth=1
	v_mul_f64_e32 v[10:11], s[22:23], v[14:15]
	s_and_not1_b32 vcc_lo, exec_lo, s28
	s_wait_alu 0xfffe
	s_cbranch_vccnz .LBB330_29
; %bb.19:                               ;   in Loop: Header=BB330_6 Depth=1
	v_lshlrev_b64_e32 v[14:15], 3, v[0:1]
	s_delay_alu instid0(VALU_DEP_1) | instskip(SKIP_1) | instid1(VALU_DEP_2)
	v_add_co_u32 v14, vcc_lo, v18, v14
	s_wait_alu 0xfffd
	v_add_co_ci_u32_e64 v15, null, v19, v15, vcc_lo
	flat_load_b64 v[20:21], v[14:15]
	s_wait_loadcnt_dscnt 0x0
	v_fma_f64 v[20:21], s[14:15], v[20:21], v[10:11]
	flat_store_b64 v[14:15], v[20:21]
	s_cbranch_execnz .LBB330_21
.LBB330_20:                             ;   in Loop: Header=BB330_6 Depth=1
	v_lshlrev_b64_e32 v[14:15], 3, v[0:1]
	s_delay_alu instid0(VALU_DEP_1) | instskip(SKIP_1) | instid1(VALU_DEP_2)
	v_add_co_u32 v14, vcc_lo, v18, v14
	s_wait_alu 0xfffd
	v_add_co_ci_u32_e64 v15, null, v19, v15, vcc_lo
	flat_store_b64 v[14:15], v[10:11]
.LBB330_21:                             ;   in Loop: Header=BB330_6 Depth=1
	s_wait_alu 0xfffe
	s_or_b32 exec_lo, exec_lo, s4
	v_add_co_u32 v14, vcc_lo, v16, v4
	s_wait_alu 0xfffd
	v_add_co_ci_u32_e64 v15, null, v17, v5, vcc_lo
	s_and_saveexec_b32 s4, s9
	s_cbranch_execz .LBB330_25
; %bb.22:                               ;   in Loop: Header=BB330_6 Depth=1
	v_mul_f64_e32 v[10:11], s[22:23], v[12:13]
	s_and_not1_b32 vcc_lo, exec_lo, s28
	s_wait_alu 0xfffe
	s_cbranch_vccnz .LBB330_30
; %bb.23:                               ;   in Loop: Header=BB330_6 Depth=1
	v_add_co_u32 v12, vcc_lo, v14, v6
	s_wait_alu 0xfffd
	v_add_co_ci_u32_e64 v13, null, v15, v7, vcc_lo
	flat_load_b64 v[16:17], v[12:13]
	s_wait_loadcnt_dscnt 0x0
	v_fma_f64 v[16:17], s[14:15], v[16:17], v[10:11]
	flat_store_b64 v[12:13], v[16:17]
	s_cbranch_execnz .LBB330_25
.LBB330_24:                             ;   in Loop: Header=BB330_6 Depth=1
	v_add_co_u32 v12, vcc_lo, v14, v6
	s_wait_alu 0xfffd
	v_add_co_ci_u32_e64 v13, null, v15, v7, vcc_lo
	flat_store_b64 v[12:13], v[10:11]
.LBB330_25:                             ;   in Loop: Header=BB330_6 Depth=1
	s_wait_alu 0xfffe
	s_or_b32 exec_lo, exec_lo, s4
	s_and_saveexec_b32 s4, s12
	s_cbranch_execz .LBB330_5
; %bb.26:                               ;   in Loop: Header=BB330_6 Depth=1
	v_mul_f64_e32 v[8:9], s[22:23], v[8:9]
	v_lshlrev_b64_e32 v[10:11], 3, v[0:1]
	s_and_not1_b32 vcc_lo, exec_lo, s28
	s_wait_alu 0xfffe
	s_cbranch_vccnz .LBB330_31
; %bb.27:                               ;   in Loop: Header=BB330_6 Depth=1
	s_delay_alu instid0(VALU_DEP_1)
	v_add_co_u32 v12, vcc_lo, v14, v10
	s_wait_alu 0xfffd
	v_add_co_ci_u32_e64 v13, null, v15, v11, vcc_lo
	flat_load_b64 v[16:17], v[12:13]
	s_wait_loadcnt_dscnt 0x0
	v_fma_f64 v[16:17], s[14:15], v[16:17], v[8:9]
	flat_store_b64 v[12:13], v[16:17]
	s_cbranch_execnz .LBB330_5
	s_branch .LBB330_32
.LBB330_28:                             ;   in Loop: Header=BB330_6 Depth=1
	s_branch .LBB330_16
.LBB330_29:                             ;   in Loop: Header=BB330_6 Depth=1
	s_branch .LBB330_20
.LBB330_30:                             ;   in Loop: Header=BB330_6 Depth=1
	s_branch .LBB330_24
.LBB330_31:                             ;   in Loop: Header=BB330_6 Depth=1
.LBB330_32:                             ;   in Loop: Header=BB330_6 Depth=1
	s_delay_alu instid0(VALU_DEP_1)
	v_add_co_u32 v10, vcc_lo, v14, v10
	s_wait_alu 0xfffd
	v_add_co_ci_u32_e64 v11, null, v15, v11, vcc_lo
	flat_store_b64 v[10:11], v[8:9]
	s_branch .LBB330_5
.LBB330_33:
	s_endpgm
	.section	.rodata,"a",@progbits
	.p2align	6, 0x0
	.amdhsa_kernel _ZL29rocblas_internal_gemmt_kernelIiLi16ELi32ELi8ELc67ELc78ELc85ELb0ELb0EdPKdPKS1_PKPdEviT_T9_T10_S7_lS9_S7_lS8_T11_S7_li
		.amdhsa_group_segment_fixed_size 4096
		.amdhsa_private_segment_fixed_size 0
		.amdhsa_kernarg_size 100
		.amdhsa_user_sgpr_count 2
		.amdhsa_user_sgpr_dispatch_ptr 0
		.amdhsa_user_sgpr_queue_ptr 0
		.amdhsa_user_sgpr_kernarg_segment_ptr 1
		.amdhsa_user_sgpr_dispatch_id 0
		.amdhsa_user_sgpr_private_segment_size 0
		.amdhsa_wavefront_size32 1
		.amdhsa_uses_dynamic_stack 0
		.amdhsa_enable_private_segment 0
		.amdhsa_system_sgpr_workgroup_id_x 1
		.amdhsa_system_sgpr_workgroup_id_y 1
		.amdhsa_system_sgpr_workgroup_id_z 1
		.amdhsa_system_sgpr_workgroup_info 0
		.amdhsa_system_vgpr_workitem_id 1
		.amdhsa_next_free_vgpr 55
		.amdhsa_next_free_sgpr 34
		.amdhsa_reserve_vcc 1
		.amdhsa_float_round_mode_32 0
		.amdhsa_float_round_mode_16_64 0
		.amdhsa_float_denorm_mode_32 3
		.amdhsa_float_denorm_mode_16_64 3
		.amdhsa_fp16_overflow 0
		.amdhsa_workgroup_processor_mode 1
		.amdhsa_memory_ordered 1
		.amdhsa_forward_progress 1
		.amdhsa_inst_pref_size 17
		.amdhsa_round_robin_scheduling 0
		.amdhsa_exception_fp_ieee_invalid_op 0
		.amdhsa_exception_fp_denorm_src 0
		.amdhsa_exception_fp_ieee_div_zero 0
		.amdhsa_exception_fp_ieee_overflow 0
		.amdhsa_exception_fp_ieee_underflow 0
		.amdhsa_exception_fp_ieee_inexact 0
		.amdhsa_exception_int_div_zero 0
	.end_amdhsa_kernel
	.section	.text._ZL29rocblas_internal_gemmt_kernelIiLi16ELi32ELi8ELc67ELc78ELc85ELb0ELb0EdPKdPKS1_PKPdEviT_T9_T10_S7_lS9_S7_lS8_T11_S7_li,"axG",@progbits,_ZL29rocblas_internal_gemmt_kernelIiLi16ELi32ELi8ELc67ELc78ELc85ELb0ELb0EdPKdPKS1_PKPdEviT_T9_T10_S7_lS9_S7_lS8_T11_S7_li,comdat
.Lfunc_end330:
	.size	_ZL29rocblas_internal_gemmt_kernelIiLi16ELi32ELi8ELc67ELc78ELc85ELb0ELb0EdPKdPKS1_PKPdEviT_T9_T10_S7_lS9_S7_lS8_T11_S7_li, .Lfunc_end330-_ZL29rocblas_internal_gemmt_kernelIiLi16ELi32ELi8ELc67ELc78ELc85ELb0ELb0EdPKdPKS1_PKPdEviT_T9_T10_S7_lS9_S7_lS8_T11_S7_li
                                        ; -- End function
	.set _ZL29rocblas_internal_gemmt_kernelIiLi16ELi32ELi8ELc67ELc78ELc85ELb0ELb0EdPKdPKS1_PKPdEviT_T9_T10_S7_lS9_S7_lS8_T11_S7_li.num_vgpr, 55
	.set _ZL29rocblas_internal_gemmt_kernelIiLi16ELi32ELi8ELc67ELc78ELc85ELb0ELb0EdPKdPKS1_PKPdEviT_T9_T10_S7_lS9_S7_lS8_T11_S7_li.num_agpr, 0
	.set _ZL29rocblas_internal_gemmt_kernelIiLi16ELi32ELi8ELc67ELc78ELc85ELb0ELb0EdPKdPKS1_PKPdEviT_T9_T10_S7_lS9_S7_lS8_T11_S7_li.numbered_sgpr, 34
	.set _ZL29rocblas_internal_gemmt_kernelIiLi16ELi32ELi8ELc67ELc78ELc85ELb0ELb0EdPKdPKS1_PKPdEviT_T9_T10_S7_lS9_S7_lS8_T11_S7_li.num_named_barrier, 0
	.set _ZL29rocblas_internal_gemmt_kernelIiLi16ELi32ELi8ELc67ELc78ELc85ELb0ELb0EdPKdPKS1_PKPdEviT_T9_T10_S7_lS9_S7_lS8_T11_S7_li.private_seg_size, 0
	.set _ZL29rocblas_internal_gemmt_kernelIiLi16ELi32ELi8ELc67ELc78ELc85ELb0ELb0EdPKdPKS1_PKPdEviT_T9_T10_S7_lS9_S7_lS8_T11_S7_li.uses_vcc, 1
	.set _ZL29rocblas_internal_gemmt_kernelIiLi16ELi32ELi8ELc67ELc78ELc85ELb0ELb0EdPKdPKS1_PKPdEviT_T9_T10_S7_lS9_S7_lS8_T11_S7_li.uses_flat_scratch, 0
	.set _ZL29rocblas_internal_gemmt_kernelIiLi16ELi32ELi8ELc67ELc78ELc85ELb0ELb0EdPKdPKS1_PKPdEviT_T9_T10_S7_lS9_S7_lS8_T11_S7_li.has_dyn_sized_stack, 0
	.set _ZL29rocblas_internal_gemmt_kernelIiLi16ELi32ELi8ELc67ELc78ELc85ELb0ELb0EdPKdPKS1_PKPdEviT_T9_T10_S7_lS9_S7_lS8_T11_S7_li.has_recursion, 0
	.set _ZL29rocblas_internal_gemmt_kernelIiLi16ELi32ELi8ELc67ELc78ELc85ELb0ELb0EdPKdPKS1_PKPdEviT_T9_T10_S7_lS9_S7_lS8_T11_S7_li.has_indirect_call, 0
	.section	.AMDGPU.csdata,"",@progbits
; Kernel info:
; codeLenInByte = 2076
; TotalNumSgprs: 36
; NumVgprs: 55
; ScratchSize: 0
; MemoryBound: 0
; FloatMode: 240
; IeeeMode: 1
; LDSByteSize: 4096 bytes/workgroup (compile time only)
; SGPRBlocks: 0
; VGPRBlocks: 6
; NumSGPRsForWavesPerEU: 36
; NumVGPRsForWavesPerEU: 55
; Occupancy: 16
; WaveLimiterHint : 1
; COMPUTE_PGM_RSRC2:SCRATCH_EN: 0
; COMPUTE_PGM_RSRC2:USER_SGPR: 2
; COMPUTE_PGM_RSRC2:TRAP_HANDLER: 0
; COMPUTE_PGM_RSRC2:TGID_X_EN: 1
; COMPUTE_PGM_RSRC2:TGID_Y_EN: 1
; COMPUTE_PGM_RSRC2:TGID_Z_EN: 1
; COMPUTE_PGM_RSRC2:TIDIG_COMP_CNT: 1
	.section	.text._ZL29rocblas_internal_gemmt_kernelIiLi16ELi32ELi8ELc67ELc84ELc85ELb0ELb0EdPKdPKS1_PKPdEviT_T9_T10_S7_lS9_S7_lS8_T11_S7_li,"axG",@progbits,_ZL29rocblas_internal_gemmt_kernelIiLi16ELi32ELi8ELc67ELc84ELc85ELb0ELb0EdPKdPKS1_PKPdEviT_T9_T10_S7_lS9_S7_lS8_T11_S7_li,comdat
	.globl	_ZL29rocblas_internal_gemmt_kernelIiLi16ELi32ELi8ELc67ELc84ELc85ELb0ELb0EdPKdPKS1_PKPdEviT_T9_T10_S7_lS9_S7_lS8_T11_S7_li ; -- Begin function _ZL29rocblas_internal_gemmt_kernelIiLi16ELi32ELi8ELc67ELc84ELc85ELb0ELb0EdPKdPKS1_PKPdEviT_T9_T10_S7_lS9_S7_lS8_T11_S7_li
	.p2align	8
	.type	_ZL29rocblas_internal_gemmt_kernelIiLi16ELi32ELi8ELc67ELc84ELc85ELb0ELb0EdPKdPKS1_PKPdEviT_T9_T10_S7_lS9_S7_lS8_T11_S7_li,@function
_ZL29rocblas_internal_gemmt_kernelIiLi16ELi32ELi8ELc67ELc84ELc85ELb0ELb0EdPKdPKS1_PKPdEviT_T9_T10_S7_lS9_S7_lS8_T11_S7_li: ; @_ZL29rocblas_internal_gemmt_kernelIiLi16ELi32ELi8ELc67ELc84ELc85ELb0ELb0EdPKdPKS1_PKPdEviT_T9_T10_S7_lS9_S7_lS8_T11_S7_li
; %bb.0:
	s_load_b128 s[12:15], s[0:1], 0x38
	s_wait_kmcnt 0x0
	s_load_b64 s[14:15], s[14:15], 0x0
	s_clause 0x1
	s_load_b128 s[4:7], s[0:1], 0x8
	s_load_b64 s[20:21], s[0:1], 0x0
	s_wait_kmcnt 0x0
	s_load_b64 s[4:5], s[4:5], 0x0
	v_cmp_neq_f64_e64 s2, s[14:15], 1.0
	s_and_b32 vcc_lo, exec_lo, s2
	s_cbranch_vccnz .LBB331_2
; %bb.1:
	s_wait_kmcnt 0x0
	v_cmp_neq_f64_e64 s2, s[4:5], 0
	s_cmp_lg_u32 s21, 0
	s_cselect_b32 s3, -1, 0
	s_delay_alu instid0(SALU_CYCLE_1)
	s_and_b32 s2, s3, s2
.LBB331_2:
	s_delay_alu instid0(SALU_CYCLE_1)
	s_and_not1_b32 vcc_lo, exec_lo, s2
	s_cbranch_vccnz .LBB331_33
; %bb.3:
	s_load_b32 s19, s[0:1], 0x60
	s_lshr_b32 s22, ttmp7, 16
	s_wait_kmcnt 0x0
	s_cmp_ge_u32 s22, s19
	s_cbranch_scc1 .LBB331_33
; %bb.4:
	v_dual_mov_b32 v32, 0 :: v_dual_and_b32 v1, 0x3ff, v0
	v_bfe_u32 v2, v0, 10, 10
	v_and_b32_e32 v26, 7, v0
	s_clause 0x4
	s_load_b32 s31, s[0:1], 0x18
	s_load_b128 s[8:11], s[0:1], 0x20
	s_load_b96 s[16:18], s[0:1], 0x48
	s_load_b64 s[26:27], s[0:1], 0x58
	s_load_b32 s24, s[0:1], 0x30
	v_lshl_add_u32 v0, v2, 4, v1
	v_lshlrev_b32_e32 v4, 3, v26
	s_lshl_b32 s0, ttmp7, 5
	s_lshl_b32 s1, ttmp9, 5
	s_and_b32 s2, s0, 0x1fffe0
	v_and_b32_e32 v3, 31, v0
	v_lshrrev_b32_e32 v27, 5, v0
	v_lshrrev_b32_e32 v0, 3, v0
	v_cmp_neq_f64_e64 s33, s[4:5], 0
	v_add_nc_u32_e32 v6, s1, v1
	v_cmp_neq_f64_e64 s28, s[14:15], 0
	v_or_b32_e32 v5, s1, v3
	v_add_nc_u32_e32 v12, s2, v0
	v_lshl_or_b32 v0, v0, 6, v4
	v_lshlrev_b32_e32 v3, 3, v3
	v_add_nc_u32_e32 v4, s2, v2
	v_cmp_gt_i32_e64 s0, s20, v5
	v_lshl_add_u32 v31, v2, 6, 0x800
	v_add_nc_u32_e32 v29, 0x800, v0
	v_add_nc_u32_e32 v0, 16, v6
	v_lshl_or_b32 v28, v27, 8, v3
	v_cmp_gt_i32_e32 vcc_lo, s20, v4
	v_cmp_le_i32_e64 s2, v6, v4
	s_wait_kmcnt 0x0
	v_mad_co_i64_i32 v[2:3], null, v4, s18, 0
	v_cmp_le_i32_e64 s3, v0, v4
	v_add_nc_u32_e32 v13, 16, v4
	v_mad_co_i64_i32 v[4:5], null, s31, v5, 0
	v_mad_co_i64_i32 v[8:9], null, s24, v26, 0
	s_ashr_i32 s25, s24, 31
	s_cmp_gt_i32 s21, 0
	v_mad_co_i64_i32 v[10:11], null, v13, s18, 0
	v_lshlrev_b64_e32 v[4:5], 3, v[4:5]
	s_cselect_b32 s34, -1, 0
	s_and_b32 s29, vcc_lo, s2
	s_and_b32 s30, vcc_lo, s3
	v_cmp_gt_i32_e32 vcc_lo, s20, v13
	v_cmp_le_i32_e64 s2, v6, v13
	s_lshl_b64 s[8:9], s[8:9], 3
	v_lshlrev_b64_e32 v[8:9], 3, v[8:9]
	v_add_co_u32 v4, s3, v4, s8
	s_and_b32 s18, vcc_lo, s2
	v_cmp_le_i32_e64 s2, v0, v13
	v_add_co_ci_u32_e64 v5, null, s9, v5, s3
	v_lshlrev_b32_e32 v13, 3, v27
	s_lshl_b64 s[8:9], s[12:13], 3
	v_cmp_gt_i32_e64 s1, s20, v12
	s_wait_alu 0xfffe
	v_add_co_u32 v8, s3, v8, s8
	v_lshlrev_b32_e32 v12, 3, v12
	v_ashrrev_i32_e32 v7, 31, v6
	s_wait_alu 0xf1ff
	v_add_co_ci_u32_e64 v9, null, s9, v9, s3
	v_add_co_u32 v33, s3, v4, v13
	s_wait_alu 0xf1ff
	v_add_co_ci_u32_e64 v34, null, 0, v5, s3
	v_add_co_u32 v35, s3, v8, v12
	v_lshlrev_b64_e32 v[2:3], 3, v[2:3]
	v_lshlrev_b64_e32 v[4:5], 3, v[10:11]
	;; [unrolled: 1-line block ×3, first 2 shown]
	v_lshlrev_b32_e32 v30, 3, v1
	v_ashrrev_i32_e32 v1, 31, v0
	s_wait_alu 0xf1ff
	v_add_co_ci_u32_e64 v36, null, 0, v9, s3
	s_mov_b32 s23, 0
	s_and_b32 s20, s33, s34
	s_and_b32 s31, vcc_lo, s2
	s_lshl_b64 s[2:3], s[24:25], 6
	s_lshl_b64 s[8:9], s[26:27], 3
	s_branch .LBB331_6
.LBB331_5:                              ;   in Loop: Header=BB331_6 Depth=1
	s_wait_alu 0xfffe
	s_or_b32 exec_lo, exec_lo, s12
	s_add_co_i32 s22, s22, 0x10000
	s_delay_alu instid0(SALU_CYCLE_1)
	s_cmp_lt_u32 s22, s19
	s_cbranch_scc0 .LBB331_33
.LBB331_6:                              ; =>This Loop Header: Depth=1
                                        ;     Child Loop BB331_9 Depth 2
	s_lshl_b64 s[12:13], s[22:23], 3
	v_mov_b32_e32 v20, 0
	s_wait_alu 0xfffe
	s_add_nc_u64 s[24:25], s[16:17], s[12:13]
	v_mov_b32_e32 v12, 0
	global_load_b64 v[10:11], v32, s[24:25]
	v_dual_mov_b32 v21, 0 :: v_dual_mov_b32 v14, 0
	v_dual_mov_b32 v13, 0 :: v_dual_mov_b32 v8, 0
	v_mov_b32_e32 v15, 0
	v_mov_b32_e32 v9, 0
	s_and_not1_b32 vcc_lo, exec_lo, s20
	s_wait_alu 0xfffe
	s_cbranch_vccnz .LBB331_13
; %bb.7:                                ;   in Loop: Header=BB331_6 Depth=1
	s_add_nc_u64 s[24:25], s[6:7], s[12:13]
	s_add_nc_u64 s[12:13], s[10:11], s[12:13]
	s_clause 0x1
	global_load_b64 v[16:17], v32, s[24:25]
	global_load_b64 v[18:19], v32, s[12:13]
	v_mov_b32_e32 v8, 0
	v_dual_mov_b32 v14, 0 :: v_dual_mov_b32 v9, 0
	v_dual_mov_b32 v12, 0 :: v_dual_mov_b32 v15, 0
	;; [unrolled: 1-line block ×3, first 2 shown]
	v_mov_b32_e32 v21, 0
	s_mov_b32 s12, 0
	s_wait_loadcnt 0x1
	v_add_co_u32 v16, vcc_lo, v16, v33
	s_wait_alu 0xfffd
	v_add_co_ci_u32_e64 v17, null, v17, v34, vcc_lo
	s_wait_loadcnt 0x0
	v_add_co_u32 v18, vcc_lo, v18, v35
	s_wait_alu 0xfffd
	v_add_co_ci_u32_e64 v19, null, v19, v36, vcc_lo
	s_branch .LBB331_9
.LBB331_8:                              ;   in Loop: Header=BB331_9 Depth=2
	s_wait_alu 0xfffe
	s_or_b32 exec_lo, exec_lo, s13
	s_wait_loadcnt_dscnt 0x0
	ds_store_b64 v29, v[24:25]
	s_wait_dscnt 0x0
	s_barrier_signal -1
	s_barrier_wait -1
	global_inv scope:SCOPE_SE
	ds_load_b128 v[22:25], v31
	ds_load_2addr_b64 v[37:40], v30 offset1:16
	ds_load_b128 v[41:44], v31 offset:1024
	ds_load_b128 v[45:48], v31 offset:16
	;; [unrolled: 1-line block ×3, first 2 shown]
	v_add_co_u32 v16, vcc_lo, v16, 64
	s_wait_alu 0xfffd
	v_add_co_ci_u32_e64 v17, null, 0, v17, vcc_lo
	v_add_co_u32 v18, vcc_lo, v18, s2
	s_wait_alu 0xfffd
	v_add_co_ci_u32_e64 v19, null, s3, v19, vcc_lo
	s_add_co_i32 s12, s12, 8
	s_wait_alu 0xfffe
	s_cmp_lt_i32 s12, s21
	s_wait_dscnt 0x3
	v_fma_f64 v[20:21], v[37:38], v[22:23], v[20:21]
	v_fma_f64 v[22:23], v[39:40], v[22:23], v[14:15]
	s_wait_dscnt 0x2
	v_fma_f64 v[37:38], v[37:38], v[41:42], v[12:13]
	v_fma_f64 v[8:9], v[39:40], v[41:42], v[8:9]
	ds_load_2addr_b64 v[12:15], v30 offset0:32 offset1:48
	s_wait_dscnt 0x0
	v_fma_f64 v[20:21], v[12:13], v[24:25], v[20:21]
	v_fma_f64 v[22:23], v[14:15], v[24:25], v[22:23]
	v_fma_f64 v[24:25], v[12:13], v[43:44], v[37:38]
	v_fma_f64 v[8:9], v[14:15], v[43:44], v[8:9]
	ds_load_2addr_b64 v[12:15], v30 offset0:64 offset1:80
	s_wait_dscnt 0x0
	v_fma_f64 v[20:21], v[12:13], v[45:46], v[20:21]
	v_fma_f64 v[22:23], v[14:15], v[45:46], v[22:23]
	;; [unrolled: 6-line block ×3, first 2 shown]
	v_fma_f64 v[24:25], v[12:13], v[51:52], v[24:25]
	v_fma_f64 v[8:9], v[14:15], v[51:52], v[8:9]
	ds_load_b128 v[12:15], v31 offset:32
	ds_load_2addr_b64 v[20:23], v30 offset0:128 offset1:144
	ds_load_b128 v[37:40], v31 offset:1056
	ds_load_b128 v[41:44], v31 offset:48
	;; [unrolled: 1-line block ×3, first 2 shown]
	s_wait_dscnt 0x3
	v_fma_f64 v[49:50], v[20:21], v[12:13], v[49:50]
	v_fma_f64 v[12:13], v[22:23], v[12:13], v[53:54]
	s_wait_dscnt 0x2
	v_fma_f64 v[24:25], v[20:21], v[37:38], v[24:25]
	v_fma_f64 v[8:9], v[22:23], v[37:38], v[8:9]
	ds_load_2addr_b64 v[20:23], v30 offset0:160 offset1:176
	s_wait_dscnt 0x0
	v_fma_f64 v[37:38], v[20:21], v[14:15], v[49:50]
	v_fma_f64 v[49:50], v[22:23], v[14:15], v[12:13]
	;; [unrolled: 1-line block ×4, first 2 shown]
	ds_load_2addr_b64 v[12:15], v30 offset0:192 offset1:208
	ds_load_2addr_b64 v[22:25], v30 offset0:224 offset1:240
	s_wait_loadcnt_dscnt 0x0
	s_barrier_signal -1
	s_barrier_wait -1
	global_inv scope:SCOPE_SE
	v_fma_f64 v[37:38], v[12:13], v[41:42], v[37:38]
	v_fma_f64 v[39:40], v[14:15], v[41:42], v[49:50]
	;; [unrolled: 1-line block ×4, first 2 shown]
	s_delay_alu instid0(VALU_DEP_4) | instskip(NEXT) | instid1(VALU_DEP_4)
	v_fma_f64 v[20:21], v[22:23], v[43:44], v[37:38]
	v_fma_f64 v[14:15], v[24:25], v[43:44], v[39:40]
	s_delay_alu instid0(VALU_DEP_4) | instskip(NEXT) | instid1(VALU_DEP_4)
	v_fma_f64 v[12:13], v[22:23], v[47:48], v[12:13]
	v_fma_f64 v[8:9], v[24:25], v[47:48], v[8:9]
	s_cbranch_scc0 .LBB331_13
.LBB331_9:                              ;   Parent Loop BB331_6 Depth=1
                                        ; =>  This Inner Loop Header: Depth=2
	s_wait_alu 0xfffe
	v_add_nc_u32_e32 v22, s12, v27
	s_delay_alu instid0(VALU_DEP_1)
	v_cmp_gt_i32_e32 vcc_lo, s21, v22
	v_mov_b32_e32 v22, 0
	v_mov_b32_e32 v23, 0
	s_and_b32 s24, s0, vcc_lo
	s_wait_alu 0xfffe
	s_and_saveexec_b32 s13, s24
	s_cbranch_execz .LBB331_11
; %bb.10:                               ;   in Loop: Header=BB331_9 Depth=2
	flat_load_b64 v[22:23], v[16:17]
.LBB331_11:                             ;   in Loop: Header=BB331_9 Depth=2
	s_wait_alu 0xfffe
	s_or_b32 exec_lo, exec_lo, s13
	v_add_nc_u32_e32 v24, s12, v26
	s_wait_loadcnt_dscnt 0x0
	ds_store_b64 v28, v[22:23]
	v_cmp_gt_i32_e32 vcc_lo, s21, v24
	v_mov_b32_e32 v24, 0
	v_mov_b32_e32 v25, 0
	s_and_b32 s24, vcc_lo, s1
	s_wait_alu 0xfffe
	s_and_saveexec_b32 s13, s24
	s_cbranch_execz .LBB331_8
; %bb.12:                               ;   in Loop: Header=BB331_9 Depth=2
	flat_load_b64 v[24:25], v[18:19]
	s_branch .LBB331_8
.LBB331_13:                             ;   in Loop: Header=BB331_6 Depth=1
	s_wait_loadcnt 0x0
	v_add_co_u32 v16, vcc_lo, v10, s8
	s_wait_alu 0xfffd
	v_add_co_ci_u32_e64 v17, null, s9, v11, vcc_lo
	s_delay_alu instid0(VALU_DEP_2) | instskip(SKIP_1) | instid1(VALU_DEP_2)
	v_add_co_u32 v18, vcc_lo, v16, v2
	s_wait_alu 0xfffd
	v_add_co_ci_u32_e64 v19, null, v17, v3, vcc_lo
	s_and_saveexec_b32 s12, s29
	s_cbranch_execz .LBB331_17
; %bb.14:                               ;   in Loop: Header=BB331_6 Depth=1
	v_mul_f64_e32 v[10:11], s[4:5], v[20:21]
	s_and_b32 vcc_lo, exec_lo, s28
	s_wait_alu 0xfffe
	s_cbranch_vccz .LBB331_28
; %bb.15:                               ;   in Loop: Header=BB331_6 Depth=1
	v_add_co_u32 v20, vcc_lo, v18, v6
	s_wait_alu 0xfffd
	v_add_co_ci_u32_e64 v21, null, v19, v7, vcc_lo
	flat_load_b64 v[22:23], v[20:21]
	s_wait_loadcnt_dscnt 0x0
	v_fma_f64 v[22:23], s[14:15], v[22:23], v[10:11]
	flat_store_b64 v[20:21], v[22:23]
	s_cbranch_execnz .LBB331_17
.LBB331_16:                             ;   in Loop: Header=BB331_6 Depth=1
	v_add_co_u32 v20, vcc_lo, v18, v6
	s_wait_alu 0xfffd
	v_add_co_ci_u32_e64 v21, null, v19, v7, vcc_lo
	flat_store_b64 v[20:21], v[10:11]
.LBB331_17:                             ;   in Loop: Header=BB331_6 Depth=1
	s_wait_alu 0xfffe
	s_or_b32 exec_lo, exec_lo, s12
	s_and_saveexec_b32 s12, s30
	s_cbranch_execz .LBB331_21
; %bb.18:                               ;   in Loop: Header=BB331_6 Depth=1
	v_mul_f64_e32 v[10:11], s[4:5], v[14:15]
	s_and_not1_b32 vcc_lo, exec_lo, s28
	s_wait_alu 0xfffe
	s_cbranch_vccnz .LBB331_29
; %bb.19:                               ;   in Loop: Header=BB331_6 Depth=1
	v_lshlrev_b64_e32 v[14:15], 3, v[0:1]
	s_delay_alu instid0(VALU_DEP_1) | instskip(SKIP_1) | instid1(VALU_DEP_2)
	v_add_co_u32 v14, vcc_lo, v18, v14
	s_wait_alu 0xfffd
	v_add_co_ci_u32_e64 v15, null, v19, v15, vcc_lo
	flat_load_b64 v[20:21], v[14:15]
	s_wait_loadcnt_dscnt 0x0
	v_fma_f64 v[20:21], s[14:15], v[20:21], v[10:11]
	flat_store_b64 v[14:15], v[20:21]
	s_cbranch_execnz .LBB331_21
.LBB331_20:                             ;   in Loop: Header=BB331_6 Depth=1
	v_lshlrev_b64_e32 v[14:15], 3, v[0:1]
	s_delay_alu instid0(VALU_DEP_1) | instskip(SKIP_1) | instid1(VALU_DEP_2)
	v_add_co_u32 v14, vcc_lo, v18, v14
	s_wait_alu 0xfffd
	v_add_co_ci_u32_e64 v15, null, v19, v15, vcc_lo
	flat_store_b64 v[14:15], v[10:11]
.LBB331_21:                             ;   in Loop: Header=BB331_6 Depth=1
	s_wait_alu 0xfffe
	s_or_b32 exec_lo, exec_lo, s12
	v_add_co_u32 v14, vcc_lo, v16, v4
	s_wait_alu 0xfffd
	v_add_co_ci_u32_e64 v15, null, v17, v5, vcc_lo
	s_and_saveexec_b32 s12, s18
	s_cbranch_execz .LBB331_25
; %bb.22:                               ;   in Loop: Header=BB331_6 Depth=1
	v_mul_f64_e32 v[10:11], s[4:5], v[12:13]
	s_and_not1_b32 vcc_lo, exec_lo, s28
	s_wait_alu 0xfffe
	s_cbranch_vccnz .LBB331_30
; %bb.23:                               ;   in Loop: Header=BB331_6 Depth=1
	v_add_co_u32 v12, vcc_lo, v14, v6
	s_wait_alu 0xfffd
	v_add_co_ci_u32_e64 v13, null, v15, v7, vcc_lo
	flat_load_b64 v[16:17], v[12:13]
	s_wait_loadcnt_dscnt 0x0
	v_fma_f64 v[16:17], s[14:15], v[16:17], v[10:11]
	flat_store_b64 v[12:13], v[16:17]
	s_cbranch_execnz .LBB331_25
.LBB331_24:                             ;   in Loop: Header=BB331_6 Depth=1
	v_add_co_u32 v12, vcc_lo, v14, v6
	s_wait_alu 0xfffd
	v_add_co_ci_u32_e64 v13, null, v15, v7, vcc_lo
	flat_store_b64 v[12:13], v[10:11]
.LBB331_25:                             ;   in Loop: Header=BB331_6 Depth=1
	s_wait_alu 0xfffe
	s_or_b32 exec_lo, exec_lo, s12
	s_and_saveexec_b32 s12, s31
	s_cbranch_execz .LBB331_5
; %bb.26:                               ;   in Loop: Header=BB331_6 Depth=1
	v_mul_f64_e32 v[8:9], s[4:5], v[8:9]
	v_lshlrev_b64_e32 v[10:11], 3, v[0:1]
	s_and_not1_b32 vcc_lo, exec_lo, s28
	s_wait_alu 0xfffe
	s_cbranch_vccnz .LBB331_31
; %bb.27:                               ;   in Loop: Header=BB331_6 Depth=1
	s_delay_alu instid0(VALU_DEP_1)
	v_add_co_u32 v12, vcc_lo, v14, v10
	s_wait_alu 0xfffd
	v_add_co_ci_u32_e64 v13, null, v15, v11, vcc_lo
	flat_load_b64 v[16:17], v[12:13]
	s_wait_loadcnt_dscnt 0x0
	v_fma_f64 v[16:17], s[14:15], v[16:17], v[8:9]
	flat_store_b64 v[12:13], v[16:17]
	s_cbranch_execnz .LBB331_5
	s_branch .LBB331_32
.LBB331_28:                             ;   in Loop: Header=BB331_6 Depth=1
	s_branch .LBB331_16
.LBB331_29:                             ;   in Loop: Header=BB331_6 Depth=1
	s_branch .LBB331_20
.LBB331_30:                             ;   in Loop: Header=BB331_6 Depth=1
	s_branch .LBB331_24
.LBB331_31:                             ;   in Loop: Header=BB331_6 Depth=1
.LBB331_32:                             ;   in Loop: Header=BB331_6 Depth=1
	s_delay_alu instid0(VALU_DEP_1)
	v_add_co_u32 v10, vcc_lo, v14, v10
	s_wait_alu 0xfffd
	v_add_co_ci_u32_e64 v11, null, v15, v11, vcc_lo
	flat_store_b64 v[10:11], v[8:9]
	s_branch .LBB331_5
.LBB331_33:
	s_endpgm
	.section	.rodata,"a",@progbits
	.p2align	6, 0x0
	.amdhsa_kernel _ZL29rocblas_internal_gemmt_kernelIiLi16ELi32ELi8ELc67ELc84ELc85ELb0ELb0EdPKdPKS1_PKPdEviT_T9_T10_S7_lS9_S7_lS8_T11_S7_li
		.amdhsa_group_segment_fixed_size 4096
		.amdhsa_private_segment_fixed_size 0
		.amdhsa_kernarg_size 100
		.amdhsa_user_sgpr_count 2
		.amdhsa_user_sgpr_dispatch_ptr 0
		.amdhsa_user_sgpr_queue_ptr 0
		.amdhsa_user_sgpr_kernarg_segment_ptr 1
		.amdhsa_user_sgpr_dispatch_id 0
		.amdhsa_user_sgpr_private_segment_size 0
		.amdhsa_wavefront_size32 1
		.amdhsa_uses_dynamic_stack 0
		.amdhsa_enable_private_segment 0
		.amdhsa_system_sgpr_workgroup_id_x 1
		.amdhsa_system_sgpr_workgroup_id_y 1
		.amdhsa_system_sgpr_workgroup_id_z 1
		.amdhsa_system_sgpr_workgroup_info 0
		.amdhsa_system_vgpr_workitem_id 1
		.amdhsa_next_free_vgpr 55
		.amdhsa_next_free_sgpr 35
		.amdhsa_reserve_vcc 1
		.amdhsa_float_round_mode_32 0
		.amdhsa_float_round_mode_16_64 0
		.amdhsa_float_denorm_mode_32 3
		.amdhsa_float_denorm_mode_16_64 3
		.amdhsa_fp16_overflow 0
		.amdhsa_workgroup_processor_mode 1
		.amdhsa_memory_ordered 1
		.amdhsa_forward_progress 1
		.amdhsa_inst_pref_size 17
		.amdhsa_round_robin_scheduling 0
		.amdhsa_exception_fp_ieee_invalid_op 0
		.amdhsa_exception_fp_denorm_src 0
		.amdhsa_exception_fp_ieee_div_zero 0
		.amdhsa_exception_fp_ieee_overflow 0
		.amdhsa_exception_fp_ieee_underflow 0
		.amdhsa_exception_fp_ieee_inexact 0
		.amdhsa_exception_int_div_zero 0
	.end_amdhsa_kernel
	.section	.text._ZL29rocblas_internal_gemmt_kernelIiLi16ELi32ELi8ELc67ELc84ELc85ELb0ELb0EdPKdPKS1_PKPdEviT_T9_T10_S7_lS9_S7_lS8_T11_S7_li,"axG",@progbits,_ZL29rocblas_internal_gemmt_kernelIiLi16ELi32ELi8ELc67ELc84ELc85ELb0ELb0EdPKdPKS1_PKPdEviT_T9_T10_S7_lS9_S7_lS8_T11_S7_li,comdat
.Lfunc_end331:
	.size	_ZL29rocblas_internal_gemmt_kernelIiLi16ELi32ELi8ELc67ELc84ELc85ELb0ELb0EdPKdPKS1_PKPdEviT_T9_T10_S7_lS9_S7_lS8_T11_S7_li, .Lfunc_end331-_ZL29rocblas_internal_gemmt_kernelIiLi16ELi32ELi8ELc67ELc84ELc85ELb0ELb0EdPKdPKS1_PKPdEviT_T9_T10_S7_lS9_S7_lS8_T11_S7_li
                                        ; -- End function
	.set _ZL29rocblas_internal_gemmt_kernelIiLi16ELi32ELi8ELc67ELc84ELc85ELb0ELb0EdPKdPKS1_PKPdEviT_T9_T10_S7_lS9_S7_lS8_T11_S7_li.num_vgpr, 55
	.set _ZL29rocblas_internal_gemmt_kernelIiLi16ELi32ELi8ELc67ELc84ELc85ELb0ELb0EdPKdPKS1_PKPdEviT_T9_T10_S7_lS9_S7_lS8_T11_S7_li.num_agpr, 0
	.set _ZL29rocblas_internal_gemmt_kernelIiLi16ELi32ELi8ELc67ELc84ELc85ELb0ELb0EdPKdPKS1_PKPdEviT_T9_T10_S7_lS9_S7_lS8_T11_S7_li.numbered_sgpr, 35
	.set _ZL29rocblas_internal_gemmt_kernelIiLi16ELi32ELi8ELc67ELc84ELc85ELb0ELb0EdPKdPKS1_PKPdEviT_T9_T10_S7_lS9_S7_lS8_T11_S7_li.num_named_barrier, 0
	.set _ZL29rocblas_internal_gemmt_kernelIiLi16ELi32ELi8ELc67ELc84ELc85ELb0ELb0EdPKdPKS1_PKPdEviT_T9_T10_S7_lS9_S7_lS8_T11_S7_li.private_seg_size, 0
	.set _ZL29rocblas_internal_gemmt_kernelIiLi16ELi32ELi8ELc67ELc84ELc85ELb0ELb0EdPKdPKS1_PKPdEviT_T9_T10_S7_lS9_S7_lS8_T11_S7_li.uses_vcc, 1
	.set _ZL29rocblas_internal_gemmt_kernelIiLi16ELi32ELi8ELc67ELc84ELc85ELb0ELb0EdPKdPKS1_PKPdEviT_T9_T10_S7_lS9_S7_lS8_T11_S7_li.uses_flat_scratch, 0
	.set _ZL29rocblas_internal_gemmt_kernelIiLi16ELi32ELi8ELc67ELc84ELc85ELb0ELb0EdPKdPKS1_PKPdEviT_T9_T10_S7_lS9_S7_lS8_T11_S7_li.has_dyn_sized_stack, 0
	.set _ZL29rocblas_internal_gemmt_kernelIiLi16ELi32ELi8ELc67ELc84ELc85ELb0ELb0EdPKdPKS1_PKPdEviT_T9_T10_S7_lS9_S7_lS8_T11_S7_li.has_recursion, 0
	.set _ZL29rocblas_internal_gemmt_kernelIiLi16ELi32ELi8ELc67ELc84ELc85ELb0ELb0EdPKdPKS1_PKPdEviT_T9_T10_S7_lS9_S7_lS8_T11_S7_li.has_indirect_call, 0
	.section	.AMDGPU.csdata,"",@progbits
; Kernel info:
; codeLenInByte = 2084
; TotalNumSgprs: 37
; NumVgprs: 55
; ScratchSize: 0
; MemoryBound: 0
; FloatMode: 240
; IeeeMode: 1
; LDSByteSize: 4096 bytes/workgroup (compile time only)
; SGPRBlocks: 0
; VGPRBlocks: 6
; NumSGPRsForWavesPerEU: 37
; NumVGPRsForWavesPerEU: 55
; Occupancy: 16
; WaveLimiterHint : 1
; COMPUTE_PGM_RSRC2:SCRATCH_EN: 0
; COMPUTE_PGM_RSRC2:USER_SGPR: 2
; COMPUTE_PGM_RSRC2:TRAP_HANDLER: 0
; COMPUTE_PGM_RSRC2:TGID_X_EN: 1
; COMPUTE_PGM_RSRC2:TGID_Y_EN: 1
; COMPUTE_PGM_RSRC2:TGID_Z_EN: 1
; COMPUTE_PGM_RSRC2:TIDIG_COMP_CNT: 1
	.section	.text._ZL29rocblas_internal_gemmt_kernelIiLi16ELi32ELi8ELc67ELc67ELc85ELb0ELb0EdPKdPKS1_PKPdEviT_T9_T10_S7_lS9_S7_lS8_T11_S7_li,"axG",@progbits,_ZL29rocblas_internal_gemmt_kernelIiLi16ELi32ELi8ELc67ELc67ELc85ELb0ELb0EdPKdPKS1_PKPdEviT_T9_T10_S7_lS9_S7_lS8_T11_S7_li,comdat
	.globl	_ZL29rocblas_internal_gemmt_kernelIiLi16ELi32ELi8ELc67ELc67ELc85ELb0ELb0EdPKdPKS1_PKPdEviT_T9_T10_S7_lS9_S7_lS8_T11_S7_li ; -- Begin function _ZL29rocblas_internal_gemmt_kernelIiLi16ELi32ELi8ELc67ELc67ELc85ELb0ELb0EdPKdPKS1_PKPdEviT_T9_T10_S7_lS9_S7_lS8_T11_S7_li
	.p2align	8
	.type	_ZL29rocblas_internal_gemmt_kernelIiLi16ELi32ELi8ELc67ELc67ELc85ELb0ELb0EdPKdPKS1_PKPdEviT_T9_T10_S7_lS9_S7_lS8_T11_S7_li,@function
_ZL29rocblas_internal_gemmt_kernelIiLi16ELi32ELi8ELc67ELc67ELc85ELb0ELb0EdPKdPKS1_PKPdEviT_T9_T10_S7_lS9_S7_lS8_T11_S7_li: ; @_ZL29rocblas_internal_gemmt_kernelIiLi16ELi32ELi8ELc67ELc67ELc85ELb0ELb0EdPKdPKS1_PKPdEviT_T9_T10_S7_lS9_S7_lS8_T11_S7_li
; %bb.0:
	s_load_b128 s[12:15], s[0:1], 0x38
	s_wait_kmcnt 0x0
	s_load_b64 s[14:15], s[14:15], 0x0
	s_clause 0x1
	s_load_b128 s[4:7], s[0:1], 0x8
	s_load_b64 s[20:21], s[0:1], 0x0
	s_wait_kmcnt 0x0
	s_load_b64 s[4:5], s[4:5], 0x0
	v_cmp_neq_f64_e64 s2, s[14:15], 1.0
	s_and_b32 vcc_lo, exec_lo, s2
	s_cbranch_vccnz .LBB332_2
; %bb.1:
	s_wait_kmcnt 0x0
	v_cmp_neq_f64_e64 s2, s[4:5], 0
	s_cmp_lg_u32 s21, 0
	s_cselect_b32 s3, -1, 0
	s_delay_alu instid0(SALU_CYCLE_1)
	s_and_b32 s2, s3, s2
.LBB332_2:
	s_delay_alu instid0(SALU_CYCLE_1)
	s_and_not1_b32 vcc_lo, exec_lo, s2
	s_cbranch_vccnz .LBB332_33
; %bb.3:
	s_load_b32 s19, s[0:1], 0x60
	s_lshr_b32 s22, ttmp7, 16
	s_wait_kmcnt 0x0
	s_cmp_ge_u32 s22, s19
	s_cbranch_scc1 .LBB332_33
; %bb.4:
	v_dual_mov_b32 v32, 0 :: v_dual_and_b32 v1, 0x3ff, v0
	v_bfe_u32 v2, v0, 10, 10
	v_and_b32_e32 v26, 7, v0
	s_clause 0x4
	s_load_b32 s31, s[0:1], 0x18
	s_load_b128 s[8:11], s[0:1], 0x20
	s_load_b96 s[16:18], s[0:1], 0x48
	s_load_b64 s[26:27], s[0:1], 0x58
	s_load_b32 s24, s[0:1], 0x30
	v_lshl_add_u32 v0, v2, 4, v1
	v_lshlrev_b32_e32 v4, 3, v26
	s_lshl_b32 s0, ttmp7, 5
	s_lshl_b32 s1, ttmp9, 5
	s_and_b32 s2, s0, 0x1fffe0
	v_and_b32_e32 v3, 31, v0
	v_lshrrev_b32_e32 v27, 5, v0
	v_lshrrev_b32_e32 v0, 3, v0
	v_cmp_neq_f64_e64 s33, s[4:5], 0
	v_add_nc_u32_e32 v6, s1, v1
	v_cmp_neq_f64_e64 s28, s[14:15], 0
	v_or_b32_e32 v5, s1, v3
	v_add_nc_u32_e32 v12, s2, v0
	v_lshl_or_b32 v0, v0, 6, v4
	v_lshlrev_b32_e32 v3, 3, v3
	v_add_nc_u32_e32 v4, s2, v2
	v_cmp_gt_i32_e64 s0, s20, v5
	v_lshl_add_u32 v31, v2, 6, 0x800
	v_add_nc_u32_e32 v29, 0x800, v0
	v_add_nc_u32_e32 v0, 16, v6
	v_lshl_or_b32 v28, v27, 8, v3
	v_cmp_gt_i32_e32 vcc_lo, s20, v4
	v_cmp_le_i32_e64 s2, v6, v4
	s_wait_kmcnt 0x0
	v_mad_co_i64_i32 v[2:3], null, v4, s18, 0
	v_cmp_le_i32_e64 s3, v0, v4
	v_add_nc_u32_e32 v13, 16, v4
	v_mad_co_i64_i32 v[4:5], null, s31, v5, 0
	v_mad_co_i64_i32 v[8:9], null, s24, v26, 0
	s_ashr_i32 s25, s24, 31
	s_cmp_gt_i32 s21, 0
	v_mad_co_i64_i32 v[10:11], null, v13, s18, 0
	v_lshlrev_b64_e32 v[4:5], 3, v[4:5]
	s_cselect_b32 s34, -1, 0
	s_and_b32 s29, vcc_lo, s2
	s_and_b32 s30, vcc_lo, s3
	v_cmp_gt_i32_e32 vcc_lo, s20, v13
	v_cmp_le_i32_e64 s2, v6, v13
	s_lshl_b64 s[8:9], s[8:9], 3
	v_lshlrev_b64_e32 v[8:9], 3, v[8:9]
	v_add_co_u32 v4, s3, v4, s8
	s_and_b32 s18, vcc_lo, s2
	v_cmp_le_i32_e64 s2, v0, v13
	v_add_co_ci_u32_e64 v5, null, s9, v5, s3
	v_lshlrev_b32_e32 v13, 3, v27
	s_lshl_b64 s[8:9], s[12:13], 3
	v_cmp_gt_i32_e64 s1, s20, v12
	s_wait_alu 0xfffe
	v_add_co_u32 v8, s3, v8, s8
	v_lshlrev_b32_e32 v12, 3, v12
	v_ashrrev_i32_e32 v7, 31, v6
	s_wait_alu 0xf1ff
	v_add_co_ci_u32_e64 v9, null, s9, v9, s3
	v_add_co_u32 v33, s3, v4, v13
	s_wait_alu 0xf1ff
	v_add_co_ci_u32_e64 v34, null, 0, v5, s3
	v_add_co_u32 v35, s3, v8, v12
	v_lshlrev_b64_e32 v[2:3], 3, v[2:3]
	v_lshlrev_b64_e32 v[4:5], 3, v[10:11]
	;; [unrolled: 1-line block ×3, first 2 shown]
	v_lshlrev_b32_e32 v30, 3, v1
	v_ashrrev_i32_e32 v1, 31, v0
	s_wait_alu 0xf1ff
	v_add_co_ci_u32_e64 v36, null, 0, v9, s3
	s_mov_b32 s23, 0
	s_and_b32 s20, s33, s34
	s_and_b32 s31, vcc_lo, s2
	s_lshl_b64 s[2:3], s[24:25], 6
	s_lshl_b64 s[8:9], s[26:27], 3
	s_branch .LBB332_6
.LBB332_5:                              ;   in Loop: Header=BB332_6 Depth=1
	s_wait_alu 0xfffe
	s_or_b32 exec_lo, exec_lo, s12
	s_add_co_i32 s22, s22, 0x10000
	s_delay_alu instid0(SALU_CYCLE_1)
	s_cmp_lt_u32 s22, s19
	s_cbranch_scc0 .LBB332_33
.LBB332_6:                              ; =>This Loop Header: Depth=1
                                        ;     Child Loop BB332_9 Depth 2
	s_lshl_b64 s[12:13], s[22:23], 3
	v_mov_b32_e32 v20, 0
	s_wait_alu 0xfffe
	s_add_nc_u64 s[24:25], s[16:17], s[12:13]
	v_mov_b32_e32 v12, 0
	global_load_b64 v[10:11], v32, s[24:25]
	v_dual_mov_b32 v21, 0 :: v_dual_mov_b32 v14, 0
	v_dual_mov_b32 v13, 0 :: v_dual_mov_b32 v8, 0
	v_mov_b32_e32 v15, 0
	v_mov_b32_e32 v9, 0
	s_and_not1_b32 vcc_lo, exec_lo, s20
	s_wait_alu 0xfffe
	s_cbranch_vccnz .LBB332_13
; %bb.7:                                ;   in Loop: Header=BB332_6 Depth=1
	s_add_nc_u64 s[24:25], s[6:7], s[12:13]
	s_add_nc_u64 s[12:13], s[10:11], s[12:13]
	s_clause 0x1
	global_load_b64 v[16:17], v32, s[24:25]
	global_load_b64 v[18:19], v32, s[12:13]
	v_mov_b32_e32 v8, 0
	v_dual_mov_b32 v14, 0 :: v_dual_mov_b32 v9, 0
	v_dual_mov_b32 v12, 0 :: v_dual_mov_b32 v15, 0
	;; [unrolled: 1-line block ×3, first 2 shown]
	v_mov_b32_e32 v21, 0
	s_mov_b32 s12, 0
	s_wait_loadcnt 0x1
	v_add_co_u32 v16, vcc_lo, v16, v33
	s_wait_alu 0xfffd
	v_add_co_ci_u32_e64 v17, null, v17, v34, vcc_lo
	s_wait_loadcnt 0x0
	v_add_co_u32 v18, vcc_lo, v18, v35
	s_wait_alu 0xfffd
	v_add_co_ci_u32_e64 v19, null, v19, v36, vcc_lo
	s_branch .LBB332_9
.LBB332_8:                              ;   in Loop: Header=BB332_9 Depth=2
	s_wait_alu 0xfffe
	s_or_b32 exec_lo, exec_lo, s13
	s_wait_loadcnt_dscnt 0x0
	ds_store_b64 v29, v[24:25]
	s_wait_dscnt 0x0
	s_barrier_signal -1
	s_barrier_wait -1
	global_inv scope:SCOPE_SE
	ds_load_b128 v[22:25], v31
	ds_load_2addr_b64 v[37:40], v30 offset1:16
	ds_load_b128 v[41:44], v31 offset:1024
	ds_load_b128 v[45:48], v31 offset:16
	;; [unrolled: 1-line block ×3, first 2 shown]
	v_add_co_u32 v16, vcc_lo, v16, 64
	s_wait_alu 0xfffd
	v_add_co_ci_u32_e64 v17, null, 0, v17, vcc_lo
	v_add_co_u32 v18, vcc_lo, v18, s2
	s_wait_alu 0xfffd
	v_add_co_ci_u32_e64 v19, null, s3, v19, vcc_lo
	s_add_co_i32 s12, s12, 8
	s_wait_alu 0xfffe
	s_cmp_lt_i32 s12, s21
	s_wait_dscnt 0x3
	v_fma_f64 v[20:21], v[37:38], v[22:23], v[20:21]
	v_fma_f64 v[22:23], v[39:40], v[22:23], v[14:15]
	s_wait_dscnt 0x2
	v_fma_f64 v[37:38], v[37:38], v[41:42], v[12:13]
	v_fma_f64 v[8:9], v[39:40], v[41:42], v[8:9]
	ds_load_2addr_b64 v[12:15], v30 offset0:32 offset1:48
	s_wait_dscnt 0x0
	v_fma_f64 v[20:21], v[12:13], v[24:25], v[20:21]
	v_fma_f64 v[22:23], v[14:15], v[24:25], v[22:23]
	v_fma_f64 v[24:25], v[12:13], v[43:44], v[37:38]
	v_fma_f64 v[8:9], v[14:15], v[43:44], v[8:9]
	ds_load_2addr_b64 v[12:15], v30 offset0:64 offset1:80
	s_wait_dscnt 0x0
	v_fma_f64 v[20:21], v[12:13], v[45:46], v[20:21]
	v_fma_f64 v[22:23], v[14:15], v[45:46], v[22:23]
	;; [unrolled: 6-line block ×3, first 2 shown]
	v_fma_f64 v[24:25], v[12:13], v[51:52], v[24:25]
	v_fma_f64 v[8:9], v[14:15], v[51:52], v[8:9]
	ds_load_b128 v[12:15], v31 offset:32
	ds_load_2addr_b64 v[20:23], v30 offset0:128 offset1:144
	ds_load_b128 v[37:40], v31 offset:1056
	ds_load_b128 v[41:44], v31 offset:48
	;; [unrolled: 1-line block ×3, first 2 shown]
	s_wait_dscnt 0x3
	v_fma_f64 v[49:50], v[20:21], v[12:13], v[49:50]
	v_fma_f64 v[12:13], v[22:23], v[12:13], v[53:54]
	s_wait_dscnt 0x2
	v_fma_f64 v[24:25], v[20:21], v[37:38], v[24:25]
	v_fma_f64 v[8:9], v[22:23], v[37:38], v[8:9]
	ds_load_2addr_b64 v[20:23], v30 offset0:160 offset1:176
	s_wait_dscnt 0x0
	v_fma_f64 v[37:38], v[20:21], v[14:15], v[49:50]
	v_fma_f64 v[49:50], v[22:23], v[14:15], v[12:13]
	;; [unrolled: 1-line block ×4, first 2 shown]
	ds_load_2addr_b64 v[12:15], v30 offset0:192 offset1:208
	ds_load_2addr_b64 v[22:25], v30 offset0:224 offset1:240
	s_wait_loadcnt_dscnt 0x0
	s_barrier_signal -1
	s_barrier_wait -1
	global_inv scope:SCOPE_SE
	v_fma_f64 v[37:38], v[12:13], v[41:42], v[37:38]
	v_fma_f64 v[39:40], v[14:15], v[41:42], v[49:50]
	;; [unrolled: 1-line block ×4, first 2 shown]
	s_delay_alu instid0(VALU_DEP_4) | instskip(NEXT) | instid1(VALU_DEP_4)
	v_fma_f64 v[20:21], v[22:23], v[43:44], v[37:38]
	v_fma_f64 v[14:15], v[24:25], v[43:44], v[39:40]
	s_delay_alu instid0(VALU_DEP_4) | instskip(NEXT) | instid1(VALU_DEP_4)
	v_fma_f64 v[12:13], v[22:23], v[47:48], v[12:13]
	v_fma_f64 v[8:9], v[24:25], v[47:48], v[8:9]
	s_cbranch_scc0 .LBB332_13
.LBB332_9:                              ;   Parent Loop BB332_6 Depth=1
                                        ; =>  This Inner Loop Header: Depth=2
	s_wait_alu 0xfffe
	v_add_nc_u32_e32 v22, s12, v27
	s_delay_alu instid0(VALU_DEP_1)
	v_cmp_gt_i32_e32 vcc_lo, s21, v22
	v_mov_b32_e32 v22, 0
	v_mov_b32_e32 v23, 0
	s_and_b32 s24, s0, vcc_lo
	s_wait_alu 0xfffe
	s_and_saveexec_b32 s13, s24
	s_cbranch_execz .LBB332_11
; %bb.10:                               ;   in Loop: Header=BB332_9 Depth=2
	flat_load_b64 v[22:23], v[16:17]
.LBB332_11:                             ;   in Loop: Header=BB332_9 Depth=2
	s_wait_alu 0xfffe
	s_or_b32 exec_lo, exec_lo, s13
	v_add_nc_u32_e32 v24, s12, v26
	s_wait_loadcnt_dscnt 0x0
	ds_store_b64 v28, v[22:23]
	v_cmp_gt_i32_e32 vcc_lo, s21, v24
	v_mov_b32_e32 v24, 0
	v_mov_b32_e32 v25, 0
	s_and_b32 s24, vcc_lo, s1
	s_wait_alu 0xfffe
	s_and_saveexec_b32 s13, s24
	s_cbranch_execz .LBB332_8
; %bb.12:                               ;   in Loop: Header=BB332_9 Depth=2
	flat_load_b64 v[24:25], v[18:19]
	s_branch .LBB332_8
.LBB332_13:                             ;   in Loop: Header=BB332_6 Depth=1
	s_wait_loadcnt 0x0
	v_add_co_u32 v16, vcc_lo, v10, s8
	s_wait_alu 0xfffd
	v_add_co_ci_u32_e64 v17, null, s9, v11, vcc_lo
	s_delay_alu instid0(VALU_DEP_2) | instskip(SKIP_1) | instid1(VALU_DEP_2)
	v_add_co_u32 v18, vcc_lo, v16, v2
	s_wait_alu 0xfffd
	v_add_co_ci_u32_e64 v19, null, v17, v3, vcc_lo
	s_and_saveexec_b32 s12, s29
	s_cbranch_execz .LBB332_17
; %bb.14:                               ;   in Loop: Header=BB332_6 Depth=1
	v_mul_f64_e32 v[10:11], s[4:5], v[20:21]
	s_and_b32 vcc_lo, exec_lo, s28
	s_wait_alu 0xfffe
	s_cbranch_vccz .LBB332_28
; %bb.15:                               ;   in Loop: Header=BB332_6 Depth=1
	v_add_co_u32 v20, vcc_lo, v18, v6
	s_wait_alu 0xfffd
	v_add_co_ci_u32_e64 v21, null, v19, v7, vcc_lo
	flat_load_b64 v[22:23], v[20:21]
	s_wait_loadcnt_dscnt 0x0
	v_fma_f64 v[22:23], s[14:15], v[22:23], v[10:11]
	flat_store_b64 v[20:21], v[22:23]
	s_cbranch_execnz .LBB332_17
.LBB332_16:                             ;   in Loop: Header=BB332_6 Depth=1
	v_add_co_u32 v20, vcc_lo, v18, v6
	s_wait_alu 0xfffd
	v_add_co_ci_u32_e64 v21, null, v19, v7, vcc_lo
	flat_store_b64 v[20:21], v[10:11]
.LBB332_17:                             ;   in Loop: Header=BB332_6 Depth=1
	s_wait_alu 0xfffe
	s_or_b32 exec_lo, exec_lo, s12
	s_and_saveexec_b32 s12, s30
	s_cbranch_execz .LBB332_21
; %bb.18:                               ;   in Loop: Header=BB332_6 Depth=1
	v_mul_f64_e32 v[10:11], s[4:5], v[14:15]
	s_and_not1_b32 vcc_lo, exec_lo, s28
	s_wait_alu 0xfffe
	s_cbranch_vccnz .LBB332_29
; %bb.19:                               ;   in Loop: Header=BB332_6 Depth=1
	v_lshlrev_b64_e32 v[14:15], 3, v[0:1]
	s_delay_alu instid0(VALU_DEP_1) | instskip(SKIP_1) | instid1(VALU_DEP_2)
	v_add_co_u32 v14, vcc_lo, v18, v14
	s_wait_alu 0xfffd
	v_add_co_ci_u32_e64 v15, null, v19, v15, vcc_lo
	flat_load_b64 v[20:21], v[14:15]
	s_wait_loadcnt_dscnt 0x0
	v_fma_f64 v[20:21], s[14:15], v[20:21], v[10:11]
	flat_store_b64 v[14:15], v[20:21]
	s_cbranch_execnz .LBB332_21
.LBB332_20:                             ;   in Loop: Header=BB332_6 Depth=1
	v_lshlrev_b64_e32 v[14:15], 3, v[0:1]
	s_delay_alu instid0(VALU_DEP_1) | instskip(SKIP_1) | instid1(VALU_DEP_2)
	v_add_co_u32 v14, vcc_lo, v18, v14
	s_wait_alu 0xfffd
	v_add_co_ci_u32_e64 v15, null, v19, v15, vcc_lo
	flat_store_b64 v[14:15], v[10:11]
.LBB332_21:                             ;   in Loop: Header=BB332_6 Depth=1
	s_wait_alu 0xfffe
	s_or_b32 exec_lo, exec_lo, s12
	v_add_co_u32 v14, vcc_lo, v16, v4
	s_wait_alu 0xfffd
	v_add_co_ci_u32_e64 v15, null, v17, v5, vcc_lo
	s_and_saveexec_b32 s12, s18
	s_cbranch_execz .LBB332_25
; %bb.22:                               ;   in Loop: Header=BB332_6 Depth=1
	v_mul_f64_e32 v[10:11], s[4:5], v[12:13]
	s_and_not1_b32 vcc_lo, exec_lo, s28
	s_wait_alu 0xfffe
	s_cbranch_vccnz .LBB332_30
; %bb.23:                               ;   in Loop: Header=BB332_6 Depth=1
	v_add_co_u32 v12, vcc_lo, v14, v6
	s_wait_alu 0xfffd
	v_add_co_ci_u32_e64 v13, null, v15, v7, vcc_lo
	flat_load_b64 v[16:17], v[12:13]
	s_wait_loadcnt_dscnt 0x0
	v_fma_f64 v[16:17], s[14:15], v[16:17], v[10:11]
	flat_store_b64 v[12:13], v[16:17]
	s_cbranch_execnz .LBB332_25
.LBB332_24:                             ;   in Loop: Header=BB332_6 Depth=1
	v_add_co_u32 v12, vcc_lo, v14, v6
	s_wait_alu 0xfffd
	v_add_co_ci_u32_e64 v13, null, v15, v7, vcc_lo
	flat_store_b64 v[12:13], v[10:11]
.LBB332_25:                             ;   in Loop: Header=BB332_6 Depth=1
	s_wait_alu 0xfffe
	s_or_b32 exec_lo, exec_lo, s12
	s_and_saveexec_b32 s12, s31
	s_cbranch_execz .LBB332_5
; %bb.26:                               ;   in Loop: Header=BB332_6 Depth=1
	v_mul_f64_e32 v[8:9], s[4:5], v[8:9]
	v_lshlrev_b64_e32 v[10:11], 3, v[0:1]
	s_and_not1_b32 vcc_lo, exec_lo, s28
	s_wait_alu 0xfffe
	s_cbranch_vccnz .LBB332_31
; %bb.27:                               ;   in Loop: Header=BB332_6 Depth=1
	s_delay_alu instid0(VALU_DEP_1)
	v_add_co_u32 v12, vcc_lo, v14, v10
	s_wait_alu 0xfffd
	v_add_co_ci_u32_e64 v13, null, v15, v11, vcc_lo
	flat_load_b64 v[16:17], v[12:13]
	s_wait_loadcnt_dscnt 0x0
	v_fma_f64 v[16:17], s[14:15], v[16:17], v[8:9]
	flat_store_b64 v[12:13], v[16:17]
	s_cbranch_execnz .LBB332_5
	s_branch .LBB332_32
.LBB332_28:                             ;   in Loop: Header=BB332_6 Depth=1
	s_branch .LBB332_16
.LBB332_29:                             ;   in Loop: Header=BB332_6 Depth=1
	s_branch .LBB332_20
.LBB332_30:                             ;   in Loop: Header=BB332_6 Depth=1
	s_branch .LBB332_24
.LBB332_31:                             ;   in Loop: Header=BB332_6 Depth=1
.LBB332_32:                             ;   in Loop: Header=BB332_6 Depth=1
	s_delay_alu instid0(VALU_DEP_1)
	v_add_co_u32 v10, vcc_lo, v14, v10
	s_wait_alu 0xfffd
	v_add_co_ci_u32_e64 v11, null, v15, v11, vcc_lo
	flat_store_b64 v[10:11], v[8:9]
	s_branch .LBB332_5
.LBB332_33:
	s_endpgm
	.section	.rodata,"a",@progbits
	.p2align	6, 0x0
	.amdhsa_kernel _ZL29rocblas_internal_gemmt_kernelIiLi16ELi32ELi8ELc67ELc67ELc85ELb0ELb0EdPKdPKS1_PKPdEviT_T9_T10_S7_lS9_S7_lS8_T11_S7_li
		.amdhsa_group_segment_fixed_size 4096
		.amdhsa_private_segment_fixed_size 0
		.amdhsa_kernarg_size 100
		.amdhsa_user_sgpr_count 2
		.amdhsa_user_sgpr_dispatch_ptr 0
		.amdhsa_user_sgpr_queue_ptr 0
		.amdhsa_user_sgpr_kernarg_segment_ptr 1
		.amdhsa_user_sgpr_dispatch_id 0
		.amdhsa_user_sgpr_private_segment_size 0
		.amdhsa_wavefront_size32 1
		.amdhsa_uses_dynamic_stack 0
		.amdhsa_enable_private_segment 0
		.amdhsa_system_sgpr_workgroup_id_x 1
		.amdhsa_system_sgpr_workgroup_id_y 1
		.amdhsa_system_sgpr_workgroup_id_z 1
		.amdhsa_system_sgpr_workgroup_info 0
		.amdhsa_system_vgpr_workitem_id 1
		.amdhsa_next_free_vgpr 55
		.amdhsa_next_free_sgpr 35
		.amdhsa_reserve_vcc 1
		.amdhsa_float_round_mode_32 0
		.amdhsa_float_round_mode_16_64 0
		.amdhsa_float_denorm_mode_32 3
		.amdhsa_float_denorm_mode_16_64 3
		.amdhsa_fp16_overflow 0
		.amdhsa_workgroup_processor_mode 1
		.amdhsa_memory_ordered 1
		.amdhsa_forward_progress 1
		.amdhsa_inst_pref_size 17
		.amdhsa_round_robin_scheduling 0
		.amdhsa_exception_fp_ieee_invalid_op 0
		.amdhsa_exception_fp_denorm_src 0
		.amdhsa_exception_fp_ieee_div_zero 0
		.amdhsa_exception_fp_ieee_overflow 0
		.amdhsa_exception_fp_ieee_underflow 0
		.amdhsa_exception_fp_ieee_inexact 0
		.amdhsa_exception_int_div_zero 0
	.end_amdhsa_kernel
	.section	.text._ZL29rocblas_internal_gemmt_kernelIiLi16ELi32ELi8ELc67ELc67ELc85ELb0ELb0EdPKdPKS1_PKPdEviT_T9_T10_S7_lS9_S7_lS8_T11_S7_li,"axG",@progbits,_ZL29rocblas_internal_gemmt_kernelIiLi16ELi32ELi8ELc67ELc67ELc85ELb0ELb0EdPKdPKS1_PKPdEviT_T9_T10_S7_lS9_S7_lS8_T11_S7_li,comdat
.Lfunc_end332:
	.size	_ZL29rocblas_internal_gemmt_kernelIiLi16ELi32ELi8ELc67ELc67ELc85ELb0ELb0EdPKdPKS1_PKPdEviT_T9_T10_S7_lS9_S7_lS8_T11_S7_li, .Lfunc_end332-_ZL29rocblas_internal_gemmt_kernelIiLi16ELi32ELi8ELc67ELc67ELc85ELb0ELb0EdPKdPKS1_PKPdEviT_T9_T10_S7_lS9_S7_lS8_T11_S7_li
                                        ; -- End function
	.set _ZL29rocblas_internal_gemmt_kernelIiLi16ELi32ELi8ELc67ELc67ELc85ELb0ELb0EdPKdPKS1_PKPdEviT_T9_T10_S7_lS9_S7_lS8_T11_S7_li.num_vgpr, 55
	.set _ZL29rocblas_internal_gemmt_kernelIiLi16ELi32ELi8ELc67ELc67ELc85ELb0ELb0EdPKdPKS1_PKPdEviT_T9_T10_S7_lS9_S7_lS8_T11_S7_li.num_agpr, 0
	.set _ZL29rocblas_internal_gemmt_kernelIiLi16ELi32ELi8ELc67ELc67ELc85ELb0ELb0EdPKdPKS1_PKPdEviT_T9_T10_S7_lS9_S7_lS8_T11_S7_li.numbered_sgpr, 35
	.set _ZL29rocblas_internal_gemmt_kernelIiLi16ELi32ELi8ELc67ELc67ELc85ELb0ELb0EdPKdPKS1_PKPdEviT_T9_T10_S7_lS9_S7_lS8_T11_S7_li.num_named_barrier, 0
	.set _ZL29rocblas_internal_gemmt_kernelIiLi16ELi32ELi8ELc67ELc67ELc85ELb0ELb0EdPKdPKS1_PKPdEviT_T9_T10_S7_lS9_S7_lS8_T11_S7_li.private_seg_size, 0
	.set _ZL29rocblas_internal_gemmt_kernelIiLi16ELi32ELi8ELc67ELc67ELc85ELb0ELb0EdPKdPKS1_PKPdEviT_T9_T10_S7_lS9_S7_lS8_T11_S7_li.uses_vcc, 1
	.set _ZL29rocblas_internal_gemmt_kernelIiLi16ELi32ELi8ELc67ELc67ELc85ELb0ELb0EdPKdPKS1_PKPdEviT_T9_T10_S7_lS9_S7_lS8_T11_S7_li.uses_flat_scratch, 0
	.set _ZL29rocblas_internal_gemmt_kernelIiLi16ELi32ELi8ELc67ELc67ELc85ELb0ELb0EdPKdPKS1_PKPdEviT_T9_T10_S7_lS9_S7_lS8_T11_S7_li.has_dyn_sized_stack, 0
	.set _ZL29rocblas_internal_gemmt_kernelIiLi16ELi32ELi8ELc67ELc67ELc85ELb0ELb0EdPKdPKS1_PKPdEviT_T9_T10_S7_lS9_S7_lS8_T11_S7_li.has_recursion, 0
	.set _ZL29rocblas_internal_gemmt_kernelIiLi16ELi32ELi8ELc67ELc67ELc85ELb0ELb0EdPKdPKS1_PKPdEviT_T9_T10_S7_lS9_S7_lS8_T11_S7_li.has_indirect_call, 0
	.section	.AMDGPU.csdata,"",@progbits
; Kernel info:
; codeLenInByte = 2084
; TotalNumSgprs: 37
; NumVgprs: 55
; ScratchSize: 0
; MemoryBound: 0
; FloatMode: 240
; IeeeMode: 1
; LDSByteSize: 4096 bytes/workgroup (compile time only)
; SGPRBlocks: 0
; VGPRBlocks: 6
; NumSGPRsForWavesPerEU: 37
; NumVGPRsForWavesPerEU: 55
; Occupancy: 16
; WaveLimiterHint : 1
; COMPUTE_PGM_RSRC2:SCRATCH_EN: 0
; COMPUTE_PGM_RSRC2:USER_SGPR: 2
; COMPUTE_PGM_RSRC2:TRAP_HANDLER: 0
; COMPUTE_PGM_RSRC2:TGID_X_EN: 1
; COMPUTE_PGM_RSRC2:TGID_Y_EN: 1
; COMPUTE_PGM_RSRC2:TGID_Z_EN: 1
; COMPUTE_PGM_RSRC2:TIDIG_COMP_CNT: 1
	.section	.text._ZL29rocblas_internal_gemmt_kernelIiLi16ELi32ELi8ELc78ELc78ELc76ELb0ELb0EdPKdPKS1_PKPdEviT_T9_T10_S7_lS9_S7_lS8_T11_S7_li,"axG",@progbits,_ZL29rocblas_internal_gemmt_kernelIiLi16ELi32ELi8ELc78ELc78ELc76ELb0ELb0EdPKdPKS1_PKPdEviT_T9_T10_S7_lS9_S7_lS8_T11_S7_li,comdat
	.globl	_ZL29rocblas_internal_gemmt_kernelIiLi16ELi32ELi8ELc78ELc78ELc76ELb0ELb0EdPKdPKS1_PKPdEviT_T9_T10_S7_lS9_S7_lS8_T11_S7_li ; -- Begin function _ZL29rocblas_internal_gemmt_kernelIiLi16ELi32ELi8ELc78ELc78ELc76ELb0ELb0EdPKdPKS1_PKPdEviT_T9_T10_S7_lS9_S7_lS8_T11_S7_li
	.p2align	8
	.type	_ZL29rocblas_internal_gemmt_kernelIiLi16ELi32ELi8ELc78ELc78ELc76ELb0ELb0EdPKdPKS1_PKPdEviT_T9_T10_S7_lS9_S7_lS8_T11_S7_li,@function
_ZL29rocblas_internal_gemmt_kernelIiLi16ELi32ELi8ELc78ELc78ELc76ELb0ELb0EdPKdPKS1_PKPdEviT_T9_T10_S7_lS9_S7_lS8_T11_S7_li: ; @_ZL29rocblas_internal_gemmt_kernelIiLi16ELi32ELi8ELc78ELc78ELc76ELb0ELb0EdPKdPKS1_PKPdEviT_T9_T10_S7_lS9_S7_lS8_T11_S7_li
; %bb.0:
	s_load_b128 s[12:15], s[0:1], 0x38
	s_wait_kmcnt 0x0
	s_load_b64 s[14:15], s[14:15], 0x0
	s_clause 0x1
	s_load_b128 s[4:7], s[0:1], 0x8
	s_load_b64 s[20:21], s[0:1], 0x0
	s_wait_kmcnt 0x0
	s_load_b64 s[22:23], s[4:5], 0x0
	v_cmp_neq_f64_e64 s2, s[14:15], 1.0
	s_and_b32 vcc_lo, exec_lo, s2
	s_cbranch_vccnz .LBB333_2
; %bb.1:
	s_wait_kmcnt 0x0
	v_cmp_neq_f64_e64 s2, s[22:23], 0
	s_cmp_lg_u32 s21, 0
	s_cselect_b32 s3, -1, 0
	s_delay_alu instid0(SALU_CYCLE_1)
	s_and_b32 s2, s3, s2
.LBB333_2:
	s_delay_alu instid0(SALU_CYCLE_1)
	s_and_not1_b32 vcc_lo, exec_lo, s2
	s_cbranch_vccnz .LBB333_33
; %bb.3:
	s_load_b32 s19, s[0:1], 0x60
	s_lshr_b32 s24, ttmp7, 16
	s_wait_kmcnt 0x0
	s_cmp_ge_u32 s24, s19
	s_cbranch_scc1 .LBB333_33
; %bb.4:
	v_dual_mov_b32 v34, 0 :: v_dual_and_b32 v1, 0x3ff, v0
	v_bfe_u32 v2, v0, 10, 10
	s_load_b32 s26, s[0:1], 0x18
	v_and_b32_e32 v26, 7, v0
	s_clause 0x3
	s_load_b128 s[8:11], s[0:1], 0x20
	s_load_b32 s5, s[0:1], 0x30
	s_load_b96 s[16:18], s[0:1], 0x48
	s_load_b64 s[28:29], s[0:1], 0x58
	s_lshl_b32 s1, ttmp9, 5
	v_lshl_add_u32 v0, v2, 4, v1
	s_lshl_b32 s0, ttmp7, 5
	v_lshlrev_b32_e32 v14, 3, v26
	v_cmp_neq_f64_e64 s33, s[22:23], 0
	s_and_b32 s2, s0, 0x1fffe0
	v_and_b32_e32 v3, 31, v0
	v_lshrrev_b32_e32 v27, 5, v0
	v_lshrrev_b32_e32 v0, 3, v0
	v_cmp_neq_f64_e64 s30, s[14:15], 0
	v_lshl_add_u32 v31, v2, 6, 0x800
	v_or_b32_e32 v4, s1, v3
	v_lshlrev_b32_e32 v3, 3, v3
	v_add_nc_u32_e32 v12, s2, v0
	v_lshl_or_b32 v5, v0, 6, v14
	v_add_nc_u32_e32 v0, s1, v1
	v_cmp_gt_i32_e64 s0, s20, v4
	v_lshl_or_b32 v28, v27, 8, v3
	v_add_nc_u32_e32 v3, s2, v2
	s_wait_kmcnt 0x0
	v_mad_co_i64_i32 v[8:9], null, v27, s26, 0
	v_cmp_gt_i32_e64 s2, s20, v0
	v_add_nc_u32_e32 v2, 16, v0
	v_add_nc_u32_e32 v15, 16, v3
	v_cmp_le_i32_e32 vcc_lo, v3, v0
	s_ashr_i32 s27, s26, 31
	s_cmp_gt_i32 s21, 0
	v_cmp_gt_i32_e64 s1, s20, v12
	v_cmp_le_i32_e64 s4, v15, v0
	v_lshlrev_b64_e32 v[8:9], 3, v[8:9]
	v_mad_co_i64_i32 v[12:13], null, s5, v12, 0
	s_cselect_b32 s34, -1, 0
	v_add_nc_u32_e32 v29, 0x800, v5
	s_and_b32 s31, vcc_lo, s2
	v_cmp_le_i32_e32 vcc_lo, v3, v2
	v_cmp_gt_i32_e64 s3, s20, v2
	v_ashrrev_i32_e32 v5, 31, v4
	v_mad_co_i64_i32 v[6:7], null, v3, s18, 0
	v_mad_co_i64_i32 v[10:11], null, v15, s18, 0
	s_and_b32 s18, s4, s2
	s_lshl_b64 s[4:5], s[8:9], 3
	s_and_b32 s20, vcc_lo, s3
	v_cmp_le_i32_e32 vcc_lo, v15, v2
	v_lshlrev_b64_e32 v[4:5], 3, v[4:5]
	s_wait_alu 0xfffe
	v_add_co_u32 v15, s2, v8, s4
	s_wait_alu 0xf1ff
	v_add_co_ci_u32_e64 v16, null, s5, v9, s2
	v_lshlrev_b64_e32 v[8:9], 3, v[12:13]
	s_delay_alu instid0(VALU_DEP_3)
	v_add_co_u32 v32, s2, v15, v4
	s_lshl_b64 s[4:5], s[12:13], 3
	s_wait_alu 0xf1ff
	v_add_co_ci_u32_e64 v33, null, v16, v5, s2
	s_wait_alu 0xfffe
	v_add_co_u32 v4, s2, v8, s4
	s_wait_alu 0xf1ff
	v_add_co_ci_u32_e64 v5, null, s5, v9, s2
	v_lshlrev_b32_e32 v30, 3, v1
	s_delay_alu instid0(VALU_DEP_3) | instskip(SKIP_1) | instid1(VALU_DEP_3)
	v_add_co_u32 v35, s2, v4, v14
	s_wait_alu 0xf1ff
	v_add_co_ci_u32_e64 v36, null, 0, v5, s2
	v_lshlrev_b64_e32 v[4:5], 3, v[6:7]
	v_lshlrev_b64_e32 v[6:7], 3, v[10:11]
	v_ashrrev_i32_e32 v1, 31, v0
	v_ashrrev_i32_e32 v3, 31, v2
	s_mov_b32 s25, 0
	s_and_b32 s12, s33, s34
	s_and_b32 s13, vcc_lo, s3
	s_lshl_b64 s[2:3], s[26:27], 6
	s_lshl_b64 s[4:5], s[28:29], 3
	s_branch .LBB333_6
.LBB333_5:                              ;   in Loop: Header=BB333_6 Depth=1
	s_wait_alu 0xfffe
	s_or_b32 exec_lo, exec_lo, s8
	s_add_co_i32 s24, s24, 0x10000
	s_delay_alu instid0(SALU_CYCLE_1)
	s_cmp_lt_u32 s24, s19
	s_cbranch_scc0 .LBB333_33
.LBB333_6:                              ; =>This Loop Header: Depth=1
                                        ;     Child Loop BB333_9 Depth 2
	s_lshl_b64 s[8:9], s[24:25], 3
	v_mov_b32_e32 v20, 0
	s_wait_alu 0xfffe
	s_add_nc_u64 s[26:27], s[16:17], s[8:9]
	v_mov_b32_e32 v10, 0
	global_load_b64 v[12:13], v34, s[26:27]
	v_dual_mov_b32 v21, 0 :: v_dual_mov_b32 v14, 0
	v_dual_mov_b32 v11, 0 :: v_dual_mov_b32 v8, 0
	v_mov_b32_e32 v15, 0
	v_mov_b32_e32 v9, 0
	s_and_not1_b32 vcc_lo, exec_lo, s12
	s_wait_alu 0xfffe
	s_cbranch_vccnz .LBB333_13
; %bb.7:                                ;   in Loop: Header=BB333_6 Depth=1
	s_add_nc_u64 s[26:27], s[6:7], s[8:9]
	s_add_nc_u64 s[8:9], s[10:11], s[8:9]
	s_clause 0x1
	global_load_b64 v[16:17], v34, s[26:27]
	global_load_b64 v[18:19], v34, s[8:9]
	v_mov_b32_e32 v8, 0
	v_dual_mov_b32 v14, 0 :: v_dual_mov_b32 v9, 0
	v_dual_mov_b32 v10, 0 :: v_dual_mov_b32 v15, 0
	;; [unrolled: 1-line block ×3, first 2 shown]
	v_mov_b32_e32 v21, 0
	s_mov_b32 s8, 0
	s_wait_loadcnt 0x1
	v_add_co_u32 v16, vcc_lo, v16, v32
	s_wait_alu 0xfffd
	v_add_co_ci_u32_e64 v17, null, v17, v33, vcc_lo
	s_wait_loadcnt 0x0
	v_add_co_u32 v18, vcc_lo, v18, v35
	s_wait_alu 0xfffd
	v_add_co_ci_u32_e64 v19, null, v19, v36, vcc_lo
	s_branch .LBB333_9
.LBB333_8:                              ;   in Loop: Header=BB333_9 Depth=2
	s_wait_alu 0xfffe
	s_or_b32 exec_lo, exec_lo, s9
	s_wait_loadcnt_dscnt 0x0
	ds_store_b64 v29, v[24:25]
	s_wait_dscnt 0x0
	s_barrier_signal -1
	s_barrier_wait -1
	global_inv scope:SCOPE_SE
	ds_load_b128 v[22:25], v31
	ds_load_2addr_b64 v[37:40], v30 offset1:16
	ds_load_b128 v[41:44], v31 offset:1024
	ds_load_b128 v[45:48], v31 offset:16
	;; [unrolled: 1-line block ×3, first 2 shown]
	v_add_co_u32 v16, vcc_lo, v16, s2
	s_wait_alu 0xfffd
	v_add_co_ci_u32_e64 v17, null, s3, v17, vcc_lo
	v_add_co_u32 v18, vcc_lo, v18, 64
	s_wait_alu 0xfffd
	v_add_co_ci_u32_e64 v19, null, 0, v19, vcc_lo
	s_add_co_i32 s8, s8, 8
	s_wait_alu 0xfffe
	s_cmp_lt_i32 s8, s21
	s_wait_dscnt 0x3
	v_fma_f64 v[20:21], v[37:38], v[22:23], v[20:21]
	v_fma_f64 v[14:15], v[39:40], v[22:23], v[14:15]
	s_wait_dscnt 0x2
	v_fma_f64 v[22:23], v[37:38], v[41:42], v[10:11]
	v_fma_f64 v[37:38], v[39:40], v[41:42], v[8:9]
	ds_load_2addr_b64 v[8:11], v30 offset0:32 offset1:48
	s_wait_dscnt 0x0
	v_fma_f64 v[20:21], v[8:9], v[24:25], v[20:21]
	v_fma_f64 v[14:15], v[10:11], v[24:25], v[14:15]
	v_fma_f64 v[22:23], v[8:9], v[43:44], v[22:23]
	v_fma_f64 v[24:25], v[10:11], v[43:44], v[37:38]
	ds_load_2addr_b64 v[8:11], v30 offset0:64 offset1:80
	s_wait_dscnt 0x0
	v_fma_f64 v[20:21], v[8:9], v[45:46], v[20:21]
	v_fma_f64 v[14:15], v[10:11], v[45:46], v[14:15]
	;; [unrolled: 6-line block ×3, first 2 shown]
	v_fma_f64 v[53:54], v[8:9], v[51:52], v[22:23]
	v_fma_f64 v[24:25], v[10:11], v[51:52], v[24:25]
	ds_load_b128 v[8:11], v31 offset:32
	ds_load_2addr_b64 v[20:23], v30 offset0:128 offset1:144
	ds_load_b128 v[37:40], v31 offset:1056
	ds_load_b128 v[41:44], v31 offset:48
	;; [unrolled: 1-line block ×3, first 2 shown]
	s_wait_dscnt 0x3
	v_fma_f64 v[49:50], v[20:21], v[8:9], v[49:50]
	v_fma_f64 v[8:9], v[22:23], v[8:9], v[14:15]
	s_wait_dscnt 0x2
	v_fma_f64 v[14:15], v[20:21], v[37:38], v[53:54]
	v_fma_f64 v[24:25], v[22:23], v[37:38], v[24:25]
	ds_load_2addr_b64 v[20:23], v30 offset0:160 offset1:176
	s_wait_dscnt 0x0
	v_fma_f64 v[37:38], v[20:21], v[10:11], v[49:50]
	v_fma_f64 v[49:50], v[22:23], v[10:11], v[8:9]
	;; [unrolled: 1-line block ×4, first 2 shown]
	ds_load_2addr_b64 v[8:11], v30 offset0:192 offset1:208
	ds_load_2addr_b64 v[22:25], v30 offset0:224 offset1:240
	s_wait_loadcnt_dscnt 0x0
	s_barrier_signal -1
	s_barrier_wait -1
	global_inv scope:SCOPE_SE
	v_fma_f64 v[37:38], v[8:9], v[41:42], v[37:38]
	v_fma_f64 v[39:40], v[10:11], v[41:42], v[49:50]
	;; [unrolled: 1-line block ×4, first 2 shown]
	s_delay_alu instid0(VALU_DEP_4) | instskip(NEXT) | instid1(VALU_DEP_4)
	v_fma_f64 v[20:21], v[22:23], v[43:44], v[37:38]
	v_fma_f64 v[14:15], v[24:25], v[43:44], v[39:40]
	s_delay_alu instid0(VALU_DEP_4) | instskip(NEXT) | instid1(VALU_DEP_4)
	v_fma_f64 v[10:11], v[22:23], v[47:48], v[8:9]
	v_fma_f64 v[8:9], v[24:25], v[47:48], v[41:42]
	s_cbranch_scc0 .LBB333_13
.LBB333_9:                              ;   Parent Loop BB333_6 Depth=1
                                        ; =>  This Inner Loop Header: Depth=2
	s_wait_alu 0xfffe
	v_add_nc_u32_e32 v22, s8, v27
	s_delay_alu instid0(VALU_DEP_1)
	v_cmp_gt_i32_e32 vcc_lo, s21, v22
	v_mov_b32_e32 v22, 0
	v_mov_b32_e32 v23, 0
	s_and_b32 s26, s0, vcc_lo
	s_wait_alu 0xfffe
	s_and_saveexec_b32 s9, s26
	s_cbranch_execz .LBB333_11
; %bb.10:                               ;   in Loop: Header=BB333_9 Depth=2
	flat_load_b64 v[22:23], v[16:17]
.LBB333_11:                             ;   in Loop: Header=BB333_9 Depth=2
	s_wait_alu 0xfffe
	s_or_b32 exec_lo, exec_lo, s9
	v_add_nc_u32_e32 v24, s8, v26
	s_wait_loadcnt_dscnt 0x0
	ds_store_b64 v28, v[22:23]
	v_cmp_gt_i32_e32 vcc_lo, s21, v24
	v_mov_b32_e32 v24, 0
	v_mov_b32_e32 v25, 0
	s_and_b32 s26, vcc_lo, s1
	s_wait_alu 0xfffe
	s_and_saveexec_b32 s9, s26
	s_cbranch_execz .LBB333_8
; %bb.12:                               ;   in Loop: Header=BB333_9 Depth=2
	flat_load_b64 v[24:25], v[18:19]
	s_branch .LBB333_8
.LBB333_13:                             ;   in Loop: Header=BB333_6 Depth=1
	s_wait_loadcnt 0x0
	s_wait_alu 0xfffe
	v_add_co_u32 v16, vcc_lo, v12, s4
	s_wait_alu 0xfffd
	v_add_co_ci_u32_e64 v17, null, s5, v13, vcc_lo
	s_delay_alu instid0(VALU_DEP_2) | instskip(SKIP_1) | instid1(VALU_DEP_2)
	v_add_co_u32 v18, vcc_lo, v16, v4
	s_wait_alu 0xfffd
	v_add_co_ci_u32_e64 v19, null, v17, v5, vcc_lo
	s_and_saveexec_b32 s8, s31
	s_cbranch_execz .LBB333_17
; %bb.14:                               ;   in Loop: Header=BB333_6 Depth=1
	v_mul_f64_e32 v[12:13], s[22:23], v[20:21]
	s_and_b32 vcc_lo, exec_lo, s30
	s_wait_alu 0xfffe
	s_cbranch_vccz .LBB333_28
; %bb.15:                               ;   in Loop: Header=BB333_6 Depth=1
	v_lshlrev_b64_e32 v[20:21], 3, v[0:1]
	s_delay_alu instid0(VALU_DEP_1) | instskip(SKIP_1) | instid1(VALU_DEP_2)
	v_add_co_u32 v20, vcc_lo, v18, v20
	s_wait_alu 0xfffd
	v_add_co_ci_u32_e64 v21, null, v19, v21, vcc_lo
	flat_load_b64 v[22:23], v[20:21]
	s_wait_loadcnt_dscnt 0x0
	v_fma_f64 v[22:23], s[14:15], v[22:23], v[12:13]
	flat_store_b64 v[20:21], v[22:23]
	s_cbranch_execnz .LBB333_17
.LBB333_16:                             ;   in Loop: Header=BB333_6 Depth=1
	v_lshlrev_b64_e32 v[20:21], 3, v[0:1]
	s_delay_alu instid0(VALU_DEP_1) | instskip(SKIP_1) | instid1(VALU_DEP_2)
	v_add_co_u32 v20, vcc_lo, v18, v20
	s_wait_alu 0xfffd
	v_add_co_ci_u32_e64 v21, null, v19, v21, vcc_lo
	flat_store_b64 v[20:21], v[12:13]
.LBB333_17:                             ;   in Loop: Header=BB333_6 Depth=1
	s_wait_alu 0xfffe
	s_or_b32 exec_lo, exec_lo, s8
	s_and_saveexec_b32 s8, s20
	s_cbranch_execz .LBB333_21
; %bb.18:                               ;   in Loop: Header=BB333_6 Depth=1
	v_mul_f64_e32 v[12:13], s[22:23], v[14:15]
	s_and_not1_b32 vcc_lo, exec_lo, s30
	s_wait_alu 0xfffe
	s_cbranch_vccnz .LBB333_29
; %bb.19:                               ;   in Loop: Header=BB333_6 Depth=1
	v_lshlrev_b64_e32 v[14:15], 3, v[2:3]
	s_delay_alu instid0(VALU_DEP_1) | instskip(SKIP_1) | instid1(VALU_DEP_2)
	v_add_co_u32 v14, vcc_lo, v18, v14
	s_wait_alu 0xfffd
	v_add_co_ci_u32_e64 v15, null, v19, v15, vcc_lo
	flat_load_b64 v[20:21], v[14:15]
	s_wait_loadcnt_dscnt 0x0
	v_fma_f64 v[20:21], s[14:15], v[20:21], v[12:13]
	flat_store_b64 v[14:15], v[20:21]
	s_cbranch_execnz .LBB333_21
.LBB333_20:                             ;   in Loop: Header=BB333_6 Depth=1
	v_lshlrev_b64_e32 v[14:15], 3, v[2:3]
	s_delay_alu instid0(VALU_DEP_1) | instskip(SKIP_1) | instid1(VALU_DEP_2)
	v_add_co_u32 v14, vcc_lo, v18, v14
	s_wait_alu 0xfffd
	v_add_co_ci_u32_e64 v15, null, v19, v15, vcc_lo
	flat_store_b64 v[14:15], v[12:13]
.LBB333_21:                             ;   in Loop: Header=BB333_6 Depth=1
	s_wait_alu 0xfffe
	s_or_b32 exec_lo, exec_lo, s8
	v_add_co_u32 v14, vcc_lo, v16, v6
	s_wait_alu 0xfffd
	v_add_co_ci_u32_e64 v15, null, v17, v7, vcc_lo
	s_and_saveexec_b32 s8, s18
	s_cbranch_execz .LBB333_25
; %bb.22:                               ;   in Loop: Header=BB333_6 Depth=1
	v_mul_f64_e32 v[10:11], s[22:23], v[10:11]
	v_lshlrev_b64_e32 v[12:13], 3, v[0:1]
	s_and_not1_b32 vcc_lo, exec_lo, s30
	s_wait_alu 0xfffe
	s_cbranch_vccnz .LBB333_30
; %bb.23:                               ;   in Loop: Header=BB333_6 Depth=1
	s_delay_alu instid0(VALU_DEP_1)
	v_add_co_u32 v16, vcc_lo, v14, v12
	s_wait_alu 0xfffd
	v_add_co_ci_u32_e64 v17, null, v15, v13, vcc_lo
	flat_load_b64 v[18:19], v[16:17]
	s_wait_loadcnt_dscnt 0x0
	v_fma_f64 v[18:19], s[14:15], v[18:19], v[10:11]
	flat_store_b64 v[16:17], v[18:19]
	s_cbranch_execnz .LBB333_25
.LBB333_24:                             ;   in Loop: Header=BB333_6 Depth=1
	s_delay_alu instid0(VALU_DEP_1)
	v_add_co_u32 v12, vcc_lo, v14, v12
	s_wait_alu 0xfffd
	v_add_co_ci_u32_e64 v13, null, v15, v13, vcc_lo
	flat_store_b64 v[12:13], v[10:11]
.LBB333_25:                             ;   in Loop: Header=BB333_6 Depth=1
	s_wait_alu 0xfffe
	s_or_b32 exec_lo, exec_lo, s8
	s_and_saveexec_b32 s8, s13
	s_cbranch_execz .LBB333_5
; %bb.26:                               ;   in Loop: Header=BB333_6 Depth=1
	v_mul_f64_e32 v[8:9], s[22:23], v[8:9]
	v_lshlrev_b64_e32 v[10:11], 3, v[2:3]
	s_and_not1_b32 vcc_lo, exec_lo, s30
	s_wait_alu 0xfffe
	s_cbranch_vccnz .LBB333_31
; %bb.27:                               ;   in Loop: Header=BB333_6 Depth=1
	s_delay_alu instid0(VALU_DEP_1)
	v_add_co_u32 v12, vcc_lo, v14, v10
	s_wait_alu 0xfffd
	v_add_co_ci_u32_e64 v13, null, v15, v11, vcc_lo
	flat_load_b64 v[16:17], v[12:13]
	s_wait_loadcnt_dscnt 0x0
	v_fma_f64 v[16:17], s[14:15], v[16:17], v[8:9]
	flat_store_b64 v[12:13], v[16:17]
	s_cbranch_execnz .LBB333_5
	s_branch .LBB333_32
.LBB333_28:                             ;   in Loop: Header=BB333_6 Depth=1
	s_branch .LBB333_16
.LBB333_29:                             ;   in Loop: Header=BB333_6 Depth=1
	s_branch .LBB333_20
.LBB333_30:                             ;   in Loop: Header=BB333_6 Depth=1
	s_branch .LBB333_24
.LBB333_31:                             ;   in Loop: Header=BB333_6 Depth=1
.LBB333_32:                             ;   in Loop: Header=BB333_6 Depth=1
	s_delay_alu instid0(VALU_DEP_1)
	v_add_co_u32 v10, vcc_lo, v14, v10
	s_wait_alu 0xfffd
	v_add_co_ci_u32_e64 v11, null, v15, v11, vcc_lo
	flat_store_b64 v[10:11], v[8:9]
	s_branch .LBB333_5
.LBB333_33:
	s_endpgm
	.section	.rodata,"a",@progbits
	.p2align	6, 0x0
	.amdhsa_kernel _ZL29rocblas_internal_gemmt_kernelIiLi16ELi32ELi8ELc78ELc78ELc76ELb0ELb0EdPKdPKS1_PKPdEviT_T9_T10_S7_lS9_S7_lS8_T11_S7_li
		.amdhsa_group_segment_fixed_size 4096
		.amdhsa_private_segment_fixed_size 0
		.amdhsa_kernarg_size 100
		.amdhsa_user_sgpr_count 2
		.amdhsa_user_sgpr_dispatch_ptr 0
		.amdhsa_user_sgpr_queue_ptr 0
		.amdhsa_user_sgpr_kernarg_segment_ptr 1
		.amdhsa_user_sgpr_dispatch_id 0
		.amdhsa_user_sgpr_private_segment_size 0
		.amdhsa_wavefront_size32 1
		.amdhsa_uses_dynamic_stack 0
		.amdhsa_enable_private_segment 0
		.amdhsa_system_sgpr_workgroup_id_x 1
		.amdhsa_system_sgpr_workgroup_id_y 1
		.amdhsa_system_sgpr_workgroup_id_z 1
		.amdhsa_system_sgpr_workgroup_info 0
		.amdhsa_system_vgpr_workitem_id 1
		.amdhsa_next_free_vgpr 55
		.amdhsa_next_free_sgpr 35
		.amdhsa_reserve_vcc 1
		.amdhsa_float_round_mode_32 0
		.amdhsa_float_round_mode_16_64 0
		.amdhsa_float_denorm_mode_32 3
		.amdhsa_float_denorm_mode_16_64 3
		.amdhsa_fp16_overflow 0
		.amdhsa_workgroup_processor_mode 1
		.amdhsa_memory_ordered 1
		.amdhsa_forward_progress 1
		.amdhsa_inst_pref_size 17
		.amdhsa_round_robin_scheduling 0
		.amdhsa_exception_fp_ieee_invalid_op 0
		.amdhsa_exception_fp_denorm_src 0
		.amdhsa_exception_fp_ieee_div_zero 0
		.amdhsa_exception_fp_ieee_overflow 0
		.amdhsa_exception_fp_ieee_underflow 0
		.amdhsa_exception_fp_ieee_inexact 0
		.amdhsa_exception_int_div_zero 0
	.end_amdhsa_kernel
	.section	.text._ZL29rocblas_internal_gemmt_kernelIiLi16ELi32ELi8ELc78ELc78ELc76ELb0ELb0EdPKdPKS1_PKPdEviT_T9_T10_S7_lS9_S7_lS8_T11_S7_li,"axG",@progbits,_ZL29rocblas_internal_gemmt_kernelIiLi16ELi32ELi8ELc78ELc78ELc76ELb0ELb0EdPKdPKS1_PKPdEviT_T9_T10_S7_lS9_S7_lS8_T11_S7_li,comdat
.Lfunc_end333:
	.size	_ZL29rocblas_internal_gemmt_kernelIiLi16ELi32ELi8ELc78ELc78ELc76ELb0ELb0EdPKdPKS1_PKPdEviT_T9_T10_S7_lS9_S7_lS8_T11_S7_li, .Lfunc_end333-_ZL29rocblas_internal_gemmt_kernelIiLi16ELi32ELi8ELc78ELc78ELc76ELb0ELb0EdPKdPKS1_PKPdEviT_T9_T10_S7_lS9_S7_lS8_T11_S7_li
                                        ; -- End function
	.set _ZL29rocblas_internal_gemmt_kernelIiLi16ELi32ELi8ELc78ELc78ELc76ELb0ELb0EdPKdPKS1_PKPdEviT_T9_T10_S7_lS9_S7_lS8_T11_S7_li.num_vgpr, 55
	.set _ZL29rocblas_internal_gemmt_kernelIiLi16ELi32ELi8ELc78ELc78ELc76ELb0ELb0EdPKdPKS1_PKPdEviT_T9_T10_S7_lS9_S7_lS8_T11_S7_li.num_agpr, 0
	.set _ZL29rocblas_internal_gemmt_kernelIiLi16ELi32ELi8ELc78ELc78ELc76ELb0ELb0EdPKdPKS1_PKPdEviT_T9_T10_S7_lS9_S7_lS8_T11_S7_li.numbered_sgpr, 35
	.set _ZL29rocblas_internal_gemmt_kernelIiLi16ELi32ELi8ELc78ELc78ELc76ELb0ELb0EdPKdPKS1_PKPdEviT_T9_T10_S7_lS9_S7_lS8_T11_S7_li.num_named_barrier, 0
	.set _ZL29rocblas_internal_gemmt_kernelIiLi16ELi32ELi8ELc78ELc78ELc76ELb0ELb0EdPKdPKS1_PKPdEviT_T9_T10_S7_lS9_S7_lS8_T11_S7_li.private_seg_size, 0
	.set _ZL29rocblas_internal_gemmt_kernelIiLi16ELi32ELi8ELc78ELc78ELc76ELb0ELb0EdPKdPKS1_PKPdEviT_T9_T10_S7_lS9_S7_lS8_T11_S7_li.uses_vcc, 1
	.set _ZL29rocblas_internal_gemmt_kernelIiLi16ELi32ELi8ELc78ELc78ELc76ELb0ELb0EdPKdPKS1_PKPdEviT_T9_T10_S7_lS9_S7_lS8_T11_S7_li.uses_flat_scratch, 0
	.set _ZL29rocblas_internal_gemmt_kernelIiLi16ELi32ELi8ELc78ELc78ELc76ELb0ELb0EdPKdPKS1_PKPdEviT_T9_T10_S7_lS9_S7_lS8_T11_S7_li.has_dyn_sized_stack, 0
	.set _ZL29rocblas_internal_gemmt_kernelIiLi16ELi32ELi8ELc78ELc78ELc76ELb0ELb0EdPKdPKS1_PKPdEviT_T9_T10_S7_lS9_S7_lS8_T11_S7_li.has_recursion, 0
	.set _ZL29rocblas_internal_gemmt_kernelIiLi16ELi32ELi8ELc78ELc78ELc76ELb0ELb0EdPKdPKS1_PKPdEviT_T9_T10_S7_lS9_S7_lS8_T11_S7_li.has_indirect_call, 0
	.section	.AMDGPU.csdata,"",@progbits
; Kernel info:
; codeLenInByte = 2124
; TotalNumSgprs: 37
; NumVgprs: 55
; ScratchSize: 0
; MemoryBound: 0
; FloatMode: 240
; IeeeMode: 1
; LDSByteSize: 4096 bytes/workgroup (compile time only)
; SGPRBlocks: 0
; VGPRBlocks: 6
; NumSGPRsForWavesPerEU: 37
; NumVGPRsForWavesPerEU: 55
; Occupancy: 16
; WaveLimiterHint : 1
; COMPUTE_PGM_RSRC2:SCRATCH_EN: 0
; COMPUTE_PGM_RSRC2:USER_SGPR: 2
; COMPUTE_PGM_RSRC2:TRAP_HANDLER: 0
; COMPUTE_PGM_RSRC2:TGID_X_EN: 1
; COMPUTE_PGM_RSRC2:TGID_Y_EN: 1
; COMPUTE_PGM_RSRC2:TGID_Z_EN: 1
; COMPUTE_PGM_RSRC2:TIDIG_COMP_CNT: 1
	.section	.text._ZL29rocblas_internal_gemmt_kernelIiLi16ELi32ELi8ELc78ELc84ELc76ELb0ELb0EdPKdPKS1_PKPdEviT_T9_T10_S7_lS9_S7_lS8_T11_S7_li,"axG",@progbits,_ZL29rocblas_internal_gemmt_kernelIiLi16ELi32ELi8ELc78ELc84ELc76ELb0ELb0EdPKdPKS1_PKPdEviT_T9_T10_S7_lS9_S7_lS8_T11_S7_li,comdat
	.globl	_ZL29rocblas_internal_gemmt_kernelIiLi16ELi32ELi8ELc78ELc84ELc76ELb0ELb0EdPKdPKS1_PKPdEviT_T9_T10_S7_lS9_S7_lS8_T11_S7_li ; -- Begin function _ZL29rocblas_internal_gemmt_kernelIiLi16ELi32ELi8ELc78ELc84ELc76ELb0ELb0EdPKdPKS1_PKPdEviT_T9_T10_S7_lS9_S7_lS8_T11_S7_li
	.p2align	8
	.type	_ZL29rocblas_internal_gemmt_kernelIiLi16ELi32ELi8ELc78ELc84ELc76ELb0ELb0EdPKdPKS1_PKPdEviT_T9_T10_S7_lS9_S7_lS8_T11_S7_li,@function
_ZL29rocblas_internal_gemmt_kernelIiLi16ELi32ELi8ELc78ELc84ELc76ELb0ELb0EdPKdPKS1_PKPdEviT_T9_T10_S7_lS9_S7_lS8_T11_S7_li: ; @_ZL29rocblas_internal_gemmt_kernelIiLi16ELi32ELi8ELc78ELc84ELc76ELb0ELb0EdPKdPKS1_PKPdEviT_T9_T10_S7_lS9_S7_lS8_T11_S7_li
; %bb.0:
	s_load_b128 s[12:15], s[0:1], 0x38
	s_wait_kmcnt 0x0
	s_load_b64 s[14:15], s[14:15], 0x0
	s_clause 0x1
	s_load_b128 s[4:7], s[0:1], 0x8
	s_load_b64 s[20:21], s[0:1], 0x0
	s_wait_kmcnt 0x0
	s_load_b64 s[22:23], s[4:5], 0x0
	v_cmp_neq_f64_e64 s2, s[14:15], 1.0
	s_and_b32 vcc_lo, exec_lo, s2
	s_cbranch_vccnz .LBB334_2
; %bb.1:
	s_wait_kmcnt 0x0
	v_cmp_neq_f64_e64 s2, s[22:23], 0
	s_cmp_lg_u32 s21, 0
	s_cselect_b32 s3, -1, 0
	s_delay_alu instid0(SALU_CYCLE_1)
	s_and_b32 s2, s3, s2
.LBB334_2:
	s_delay_alu instid0(SALU_CYCLE_1)
	s_and_not1_b32 vcc_lo, exec_lo, s2
	s_cbranch_vccnz .LBB334_33
; %bb.3:
	s_load_b32 s19, s[0:1], 0x60
	s_lshr_b32 s24, ttmp7, 16
	s_wait_kmcnt 0x0
	s_cmp_ge_u32 s24, s19
	s_cbranch_scc1 .LBB334_33
; %bb.4:
	v_dual_mov_b32 v34, 0 :: v_dual_and_b32 v1, 0x3ff, v0
	v_bfe_u32 v2, v0, 10, 10
	v_and_b32_e32 v26, 7, v0
	s_clause 0x4
	s_load_b32 s26, s[0:1], 0x18
	s_load_b32 s28, s[0:1], 0x30
	s_load_b96 s[16:18], s[0:1], 0x48
	s_load_b64 s[30:31], s[0:1], 0x58
	s_load_b128 s[8:11], s[0:1], 0x20
	v_lshl_add_u32 v0, v2, 4, v1
	v_lshlrev_b32_e32 v6, 3, v26
	s_lshl_b32 s0, ttmp7, 5
	s_lshl_b32 s1, ttmp9, 5
	s_and_b32 s2, s0, 0x1fffe0
	v_and_b32_e32 v3, 31, v0
	v_lshrrev_b32_e32 v5, 3, v0
	v_lshrrev_b32_e32 v27, 5, v0
	v_cmp_neq_f64_e64 s5, s[22:23], 0
	v_cmp_neq_f64_e64 s33, s[14:15], 0
	v_lshlrev_b32_e32 v0, 3, v3
	v_or_b32_e32 v4, s1, v3
	v_add_nc_u32_e32 v14, s2, v5
	v_lshl_or_b32 v3, v5, 6, v6
	v_add_nc_u32_e32 v5, s2, v2
	v_lshl_or_b32 v28, v27, 8, v0
	v_add_nc_u32_e32 v0, s1, v1
	v_lshl_add_u32 v31, v2, 6, 0x800
	s_wait_kmcnt 0x0
	s_ashr_i32 s27, s26, 31
	s_ashr_i32 s29, s28, 31
	s_cmp_gt_i32 s21, 0
	v_cmp_le_i32_e32 vcc_lo, v5, v0
	v_cmp_gt_i32_e64 s2, s20, v0
	v_add_nc_u32_e32 v2, 16, v0
	v_mad_co_i64_i32 v[8:9], null, v27, s26, 0
	s_cselect_b32 s36, -1, 0
	v_mad_co_i64_i32 v[6:7], null, v5, s18, 0
	s_and_b32 s34, vcc_lo, s2
	v_cmp_le_i32_e32 vcc_lo, v5, v2
	v_add_nc_u32_e32 v5, 16, v5
	v_cmp_gt_i32_e64 s3, s20, v2
	v_cmp_gt_i32_e64 s0, s20, v4
	;; [unrolled: 1-line block ×3, first 2 shown]
	v_lshlrev_b64_e32 v[8:9], 3, v[8:9]
	v_cmp_le_i32_e64 s4, v5, v0
	s_and_b32 s20, vcc_lo, s3
	v_cmp_le_i32_e32 vcc_lo, v5, v2
	v_mad_co_i64_i32 v[12:13], null, s28, v26, 0
	v_mad_co_i64_i32 v[10:11], null, v5, s18, 0
	v_ashrrev_i32_e32 v5, 31, v4
	s_and_b32 s18, s4, s2
	s_and_b32 s35, vcc_lo, s3
	s_lshl_b64 s[2:3], s[8:9], 3
	v_add_nc_u32_e32 v29, 0x800, v3
	v_lshlrev_b64_e32 v[4:5], 3, v[4:5]
	s_wait_alu 0xfffe
	v_add_co_u32 v15, vcc_lo, v8, s2
	s_delay_alu instid0(VALU_DEP_1) | instskip(SKIP_1) | instid1(VALU_DEP_3)
	v_add_co_ci_u32_e64 v16, null, s3, v9, vcc_lo
	v_lshlrev_b64_e32 v[8:9], 3, v[12:13]
	v_add_co_u32 v32, vcc_lo, v15, v4
	s_lshl_b64 s[2:3], s[12:13], 3
	s_wait_alu 0xfffd
	v_add_co_ci_u32_e64 v33, null, v16, v5, vcc_lo
	v_lshlrev_b32_e32 v4, 3, v14
	s_wait_alu 0xfffe
	v_add_co_u32 v5, vcc_lo, v8, s2
	s_wait_alu 0xfffd
	v_add_co_ci_u32_e64 v8, null, s3, v9, vcc_lo
	v_lshlrev_b32_e32 v30, 3, v1
	s_delay_alu instid0(VALU_DEP_3)
	v_add_co_u32 v35, vcc_lo, v5, v4
	v_lshlrev_b64_e32 v[4:5], 3, v[6:7]
	v_lshlrev_b64_e32 v[6:7], 3, v[10:11]
	v_ashrrev_i32_e32 v1, 31, v0
	v_ashrrev_i32_e32 v3, 31, v2
	s_wait_alu 0xfffd
	v_add_co_ci_u32_e64 v36, null, 0, v8, vcc_lo
	s_mov_b32 s25, 0
	s_and_b32 s36, s5, s36
	s_lshl_b64 s[2:3], s[26:27], 6
	s_lshl_b64 s[4:5], s[28:29], 6
	;; [unrolled: 1-line block ×3, first 2 shown]
	s_branch .LBB334_6
.LBB334_5:                              ;   in Loop: Header=BB334_6 Depth=1
	s_wait_alu 0xfffe
	s_or_b32 exec_lo, exec_lo, s12
	s_add_co_i32 s24, s24, 0x10000
	s_delay_alu instid0(SALU_CYCLE_1)
	s_cmp_lt_u32 s24, s19
	s_cbranch_scc0 .LBB334_33
.LBB334_6:                              ; =>This Loop Header: Depth=1
                                        ;     Child Loop BB334_9 Depth 2
	s_lshl_b64 s[12:13], s[24:25], 3
	v_mov_b32_e32 v20, 0
	s_wait_alu 0xfffe
	s_add_nc_u64 s[26:27], s[16:17], s[12:13]
	v_mov_b32_e32 v10, 0
	global_load_b64 v[12:13], v34, s[26:27]
	v_dual_mov_b32 v21, 0 :: v_dual_mov_b32 v14, 0
	v_dual_mov_b32 v11, 0 :: v_dual_mov_b32 v8, 0
	v_mov_b32_e32 v15, 0
	v_mov_b32_e32 v9, 0
	s_and_not1_b32 vcc_lo, exec_lo, s36
	s_wait_alu 0xfffe
	s_cbranch_vccnz .LBB334_13
; %bb.7:                                ;   in Loop: Header=BB334_6 Depth=1
	s_add_nc_u64 s[26:27], s[6:7], s[12:13]
	s_add_nc_u64 s[12:13], s[10:11], s[12:13]
	s_clause 0x1
	global_load_b64 v[16:17], v34, s[26:27]
	global_load_b64 v[18:19], v34, s[12:13]
	v_mov_b32_e32 v8, 0
	v_dual_mov_b32 v14, 0 :: v_dual_mov_b32 v9, 0
	v_dual_mov_b32 v10, 0 :: v_dual_mov_b32 v15, 0
	;; [unrolled: 1-line block ×3, first 2 shown]
	v_mov_b32_e32 v21, 0
	s_mov_b32 s12, 0
	s_wait_loadcnt 0x1
	v_add_co_u32 v16, vcc_lo, v16, v32
	s_wait_alu 0xfffd
	v_add_co_ci_u32_e64 v17, null, v17, v33, vcc_lo
	s_wait_loadcnt 0x0
	v_add_co_u32 v18, vcc_lo, v18, v35
	s_wait_alu 0xfffd
	v_add_co_ci_u32_e64 v19, null, v19, v36, vcc_lo
	s_branch .LBB334_9
.LBB334_8:                              ;   in Loop: Header=BB334_9 Depth=2
	s_wait_alu 0xfffe
	s_or_b32 exec_lo, exec_lo, s13
	s_wait_loadcnt_dscnt 0x0
	ds_store_b64 v29, v[24:25]
	s_wait_dscnt 0x0
	s_barrier_signal -1
	s_barrier_wait -1
	global_inv scope:SCOPE_SE
	ds_load_b128 v[22:25], v31
	ds_load_2addr_b64 v[37:40], v30 offset1:16
	ds_load_b128 v[41:44], v31 offset:1024
	ds_load_b128 v[45:48], v31 offset:16
	;; [unrolled: 1-line block ×3, first 2 shown]
	v_add_co_u32 v16, vcc_lo, v16, s2
	s_wait_alu 0xfffd
	v_add_co_ci_u32_e64 v17, null, s3, v17, vcc_lo
	v_add_co_u32 v18, vcc_lo, v18, s4
	s_wait_alu 0xfffd
	v_add_co_ci_u32_e64 v19, null, s5, v19, vcc_lo
	s_add_co_i32 s12, s12, 8
	s_wait_alu 0xfffe
	s_cmp_lt_i32 s12, s21
	s_wait_dscnt 0x3
	v_fma_f64 v[20:21], v[37:38], v[22:23], v[20:21]
	v_fma_f64 v[14:15], v[39:40], v[22:23], v[14:15]
	s_wait_dscnt 0x2
	v_fma_f64 v[22:23], v[37:38], v[41:42], v[10:11]
	v_fma_f64 v[37:38], v[39:40], v[41:42], v[8:9]
	ds_load_2addr_b64 v[8:11], v30 offset0:32 offset1:48
	s_wait_dscnt 0x0
	v_fma_f64 v[20:21], v[8:9], v[24:25], v[20:21]
	v_fma_f64 v[14:15], v[10:11], v[24:25], v[14:15]
	v_fma_f64 v[22:23], v[8:9], v[43:44], v[22:23]
	v_fma_f64 v[24:25], v[10:11], v[43:44], v[37:38]
	ds_load_2addr_b64 v[8:11], v30 offset0:64 offset1:80
	s_wait_dscnt 0x0
	v_fma_f64 v[20:21], v[8:9], v[45:46], v[20:21]
	v_fma_f64 v[14:15], v[10:11], v[45:46], v[14:15]
	;; [unrolled: 6-line block ×3, first 2 shown]
	v_fma_f64 v[53:54], v[8:9], v[51:52], v[22:23]
	v_fma_f64 v[24:25], v[10:11], v[51:52], v[24:25]
	ds_load_b128 v[8:11], v31 offset:32
	ds_load_2addr_b64 v[20:23], v30 offset0:128 offset1:144
	ds_load_b128 v[37:40], v31 offset:1056
	ds_load_b128 v[41:44], v31 offset:48
	;; [unrolled: 1-line block ×3, first 2 shown]
	s_wait_dscnt 0x3
	v_fma_f64 v[49:50], v[20:21], v[8:9], v[49:50]
	v_fma_f64 v[8:9], v[22:23], v[8:9], v[14:15]
	s_wait_dscnt 0x2
	v_fma_f64 v[14:15], v[20:21], v[37:38], v[53:54]
	v_fma_f64 v[24:25], v[22:23], v[37:38], v[24:25]
	ds_load_2addr_b64 v[20:23], v30 offset0:160 offset1:176
	s_wait_dscnt 0x0
	v_fma_f64 v[37:38], v[20:21], v[10:11], v[49:50]
	v_fma_f64 v[49:50], v[22:23], v[10:11], v[8:9]
	;; [unrolled: 1-line block ×4, first 2 shown]
	ds_load_2addr_b64 v[8:11], v30 offset0:192 offset1:208
	ds_load_2addr_b64 v[22:25], v30 offset0:224 offset1:240
	s_wait_loadcnt_dscnt 0x0
	s_barrier_signal -1
	s_barrier_wait -1
	global_inv scope:SCOPE_SE
	v_fma_f64 v[37:38], v[8:9], v[41:42], v[37:38]
	v_fma_f64 v[39:40], v[10:11], v[41:42], v[49:50]
	;; [unrolled: 1-line block ×4, first 2 shown]
	s_delay_alu instid0(VALU_DEP_4) | instskip(NEXT) | instid1(VALU_DEP_4)
	v_fma_f64 v[20:21], v[22:23], v[43:44], v[37:38]
	v_fma_f64 v[14:15], v[24:25], v[43:44], v[39:40]
	s_delay_alu instid0(VALU_DEP_4) | instskip(NEXT) | instid1(VALU_DEP_4)
	v_fma_f64 v[10:11], v[22:23], v[47:48], v[8:9]
	v_fma_f64 v[8:9], v[24:25], v[47:48], v[41:42]
	s_cbranch_scc0 .LBB334_13
.LBB334_9:                              ;   Parent Loop BB334_6 Depth=1
                                        ; =>  This Inner Loop Header: Depth=2
	s_wait_alu 0xfffe
	v_add_nc_u32_e32 v22, s12, v27
	s_delay_alu instid0(VALU_DEP_1)
	v_cmp_gt_i32_e32 vcc_lo, s21, v22
	v_mov_b32_e32 v22, 0
	v_mov_b32_e32 v23, 0
	s_and_b32 s26, s0, vcc_lo
	s_wait_alu 0xfffe
	s_and_saveexec_b32 s13, s26
	s_cbranch_execz .LBB334_11
; %bb.10:                               ;   in Loop: Header=BB334_9 Depth=2
	flat_load_b64 v[22:23], v[16:17]
.LBB334_11:                             ;   in Loop: Header=BB334_9 Depth=2
	s_wait_alu 0xfffe
	s_or_b32 exec_lo, exec_lo, s13
	v_add_nc_u32_e32 v24, s12, v26
	s_wait_loadcnt_dscnt 0x0
	ds_store_b64 v28, v[22:23]
	v_cmp_gt_i32_e32 vcc_lo, s21, v24
	v_mov_b32_e32 v24, 0
	v_mov_b32_e32 v25, 0
	s_and_b32 s26, vcc_lo, s1
	s_wait_alu 0xfffe
	s_and_saveexec_b32 s13, s26
	s_cbranch_execz .LBB334_8
; %bb.12:                               ;   in Loop: Header=BB334_9 Depth=2
	flat_load_b64 v[24:25], v[18:19]
	s_branch .LBB334_8
.LBB334_13:                             ;   in Loop: Header=BB334_6 Depth=1
	s_wait_loadcnt 0x0
	v_add_co_u32 v16, vcc_lo, v12, s8
	s_wait_alu 0xfffd
	v_add_co_ci_u32_e64 v17, null, s9, v13, vcc_lo
	s_delay_alu instid0(VALU_DEP_2) | instskip(SKIP_1) | instid1(VALU_DEP_2)
	v_add_co_u32 v18, vcc_lo, v16, v4
	s_wait_alu 0xfffd
	v_add_co_ci_u32_e64 v19, null, v17, v5, vcc_lo
	s_and_saveexec_b32 s12, s34
	s_cbranch_execz .LBB334_17
; %bb.14:                               ;   in Loop: Header=BB334_6 Depth=1
	v_mul_f64_e32 v[12:13], s[22:23], v[20:21]
	s_and_b32 vcc_lo, exec_lo, s33
	s_wait_alu 0xfffe
	s_cbranch_vccz .LBB334_28
; %bb.15:                               ;   in Loop: Header=BB334_6 Depth=1
	v_lshlrev_b64_e32 v[20:21], 3, v[0:1]
	s_delay_alu instid0(VALU_DEP_1) | instskip(SKIP_1) | instid1(VALU_DEP_2)
	v_add_co_u32 v20, vcc_lo, v18, v20
	s_wait_alu 0xfffd
	v_add_co_ci_u32_e64 v21, null, v19, v21, vcc_lo
	flat_load_b64 v[22:23], v[20:21]
	s_wait_loadcnt_dscnt 0x0
	v_fma_f64 v[22:23], s[14:15], v[22:23], v[12:13]
	flat_store_b64 v[20:21], v[22:23]
	s_cbranch_execnz .LBB334_17
.LBB334_16:                             ;   in Loop: Header=BB334_6 Depth=1
	v_lshlrev_b64_e32 v[20:21], 3, v[0:1]
	s_delay_alu instid0(VALU_DEP_1) | instskip(SKIP_1) | instid1(VALU_DEP_2)
	v_add_co_u32 v20, vcc_lo, v18, v20
	s_wait_alu 0xfffd
	v_add_co_ci_u32_e64 v21, null, v19, v21, vcc_lo
	flat_store_b64 v[20:21], v[12:13]
.LBB334_17:                             ;   in Loop: Header=BB334_6 Depth=1
	s_wait_alu 0xfffe
	s_or_b32 exec_lo, exec_lo, s12
	s_and_saveexec_b32 s12, s20
	s_cbranch_execz .LBB334_21
; %bb.18:                               ;   in Loop: Header=BB334_6 Depth=1
	v_mul_f64_e32 v[12:13], s[22:23], v[14:15]
	s_and_not1_b32 vcc_lo, exec_lo, s33
	s_wait_alu 0xfffe
	s_cbranch_vccnz .LBB334_29
; %bb.19:                               ;   in Loop: Header=BB334_6 Depth=1
	v_lshlrev_b64_e32 v[14:15], 3, v[2:3]
	s_delay_alu instid0(VALU_DEP_1) | instskip(SKIP_1) | instid1(VALU_DEP_2)
	v_add_co_u32 v14, vcc_lo, v18, v14
	s_wait_alu 0xfffd
	v_add_co_ci_u32_e64 v15, null, v19, v15, vcc_lo
	flat_load_b64 v[20:21], v[14:15]
	s_wait_loadcnt_dscnt 0x0
	v_fma_f64 v[20:21], s[14:15], v[20:21], v[12:13]
	flat_store_b64 v[14:15], v[20:21]
	s_cbranch_execnz .LBB334_21
.LBB334_20:                             ;   in Loop: Header=BB334_6 Depth=1
	v_lshlrev_b64_e32 v[14:15], 3, v[2:3]
	s_delay_alu instid0(VALU_DEP_1) | instskip(SKIP_1) | instid1(VALU_DEP_2)
	v_add_co_u32 v14, vcc_lo, v18, v14
	s_wait_alu 0xfffd
	v_add_co_ci_u32_e64 v15, null, v19, v15, vcc_lo
	flat_store_b64 v[14:15], v[12:13]
.LBB334_21:                             ;   in Loop: Header=BB334_6 Depth=1
	s_wait_alu 0xfffe
	s_or_b32 exec_lo, exec_lo, s12
	v_add_co_u32 v14, vcc_lo, v16, v6
	s_wait_alu 0xfffd
	v_add_co_ci_u32_e64 v15, null, v17, v7, vcc_lo
	s_and_saveexec_b32 s12, s18
	s_cbranch_execz .LBB334_25
; %bb.22:                               ;   in Loop: Header=BB334_6 Depth=1
	v_mul_f64_e32 v[10:11], s[22:23], v[10:11]
	v_lshlrev_b64_e32 v[12:13], 3, v[0:1]
	s_and_not1_b32 vcc_lo, exec_lo, s33
	s_wait_alu 0xfffe
	s_cbranch_vccnz .LBB334_30
; %bb.23:                               ;   in Loop: Header=BB334_6 Depth=1
	s_delay_alu instid0(VALU_DEP_1)
	v_add_co_u32 v16, vcc_lo, v14, v12
	s_wait_alu 0xfffd
	v_add_co_ci_u32_e64 v17, null, v15, v13, vcc_lo
	flat_load_b64 v[18:19], v[16:17]
	s_wait_loadcnt_dscnt 0x0
	v_fma_f64 v[18:19], s[14:15], v[18:19], v[10:11]
	flat_store_b64 v[16:17], v[18:19]
	s_cbranch_execnz .LBB334_25
.LBB334_24:                             ;   in Loop: Header=BB334_6 Depth=1
	s_delay_alu instid0(VALU_DEP_1)
	v_add_co_u32 v12, vcc_lo, v14, v12
	s_wait_alu 0xfffd
	v_add_co_ci_u32_e64 v13, null, v15, v13, vcc_lo
	flat_store_b64 v[12:13], v[10:11]
.LBB334_25:                             ;   in Loop: Header=BB334_6 Depth=1
	s_wait_alu 0xfffe
	s_or_b32 exec_lo, exec_lo, s12
	s_and_saveexec_b32 s12, s35
	s_cbranch_execz .LBB334_5
; %bb.26:                               ;   in Loop: Header=BB334_6 Depth=1
	v_mul_f64_e32 v[8:9], s[22:23], v[8:9]
	v_lshlrev_b64_e32 v[10:11], 3, v[2:3]
	s_and_not1_b32 vcc_lo, exec_lo, s33
	s_wait_alu 0xfffe
	s_cbranch_vccnz .LBB334_31
; %bb.27:                               ;   in Loop: Header=BB334_6 Depth=1
	s_delay_alu instid0(VALU_DEP_1)
	v_add_co_u32 v12, vcc_lo, v14, v10
	s_wait_alu 0xfffd
	v_add_co_ci_u32_e64 v13, null, v15, v11, vcc_lo
	flat_load_b64 v[16:17], v[12:13]
	s_wait_loadcnt_dscnt 0x0
	v_fma_f64 v[16:17], s[14:15], v[16:17], v[8:9]
	flat_store_b64 v[12:13], v[16:17]
	s_cbranch_execnz .LBB334_5
	s_branch .LBB334_32
.LBB334_28:                             ;   in Loop: Header=BB334_6 Depth=1
	s_branch .LBB334_16
.LBB334_29:                             ;   in Loop: Header=BB334_6 Depth=1
	s_branch .LBB334_20
.LBB334_30:                             ;   in Loop: Header=BB334_6 Depth=1
	s_branch .LBB334_24
.LBB334_31:                             ;   in Loop: Header=BB334_6 Depth=1
.LBB334_32:                             ;   in Loop: Header=BB334_6 Depth=1
	s_delay_alu instid0(VALU_DEP_1)
	v_add_co_u32 v10, vcc_lo, v14, v10
	s_wait_alu 0xfffd
	v_add_co_ci_u32_e64 v11, null, v15, v11, vcc_lo
	flat_store_b64 v[10:11], v[8:9]
	s_branch .LBB334_5
.LBB334_33:
	s_endpgm
	.section	.rodata,"a",@progbits
	.p2align	6, 0x0
	.amdhsa_kernel _ZL29rocblas_internal_gemmt_kernelIiLi16ELi32ELi8ELc78ELc84ELc76ELb0ELb0EdPKdPKS1_PKPdEviT_T9_T10_S7_lS9_S7_lS8_T11_S7_li
		.amdhsa_group_segment_fixed_size 4096
		.amdhsa_private_segment_fixed_size 0
		.amdhsa_kernarg_size 100
		.amdhsa_user_sgpr_count 2
		.amdhsa_user_sgpr_dispatch_ptr 0
		.amdhsa_user_sgpr_queue_ptr 0
		.amdhsa_user_sgpr_kernarg_segment_ptr 1
		.amdhsa_user_sgpr_dispatch_id 0
		.amdhsa_user_sgpr_private_segment_size 0
		.amdhsa_wavefront_size32 1
		.amdhsa_uses_dynamic_stack 0
		.amdhsa_enable_private_segment 0
		.amdhsa_system_sgpr_workgroup_id_x 1
		.amdhsa_system_sgpr_workgroup_id_y 1
		.amdhsa_system_sgpr_workgroup_id_z 1
		.amdhsa_system_sgpr_workgroup_info 0
		.amdhsa_system_vgpr_workitem_id 1
		.amdhsa_next_free_vgpr 55
		.amdhsa_next_free_sgpr 37
		.amdhsa_reserve_vcc 1
		.amdhsa_float_round_mode_32 0
		.amdhsa_float_round_mode_16_64 0
		.amdhsa_float_denorm_mode_32 3
		.amdhsa_float_denorm_mode_16_64 3
		.amdhsa_fp16_overflow 0
		.amdhsa_workgroup_processor_mode 1
		.amdhsa_memory_ordered 1
		.amdhsa_forward_progress 1
		.amdhsa_inst_pref_size 17
		.amdhsa_round_robin_scheduling 0
		.amdhsa_exception_fp_ieee_invalid_op 0
		.amdhsa_exception_fp_denorm_src 0
		.amdhsa_exception_fp_ieee_div_zero 0
		.amdhsa_exception_fp_ieee_overflow 0
		.amdhsa_exception_fp_ieee_underflow 0
		.amdhsa_exception_fp_ieee_inexact 0
		.amdhsa_exception_int_div_zero 0
	.end_amdhsa_kernel
	.section	.text._ZL29rocblas_internal_gemmt_kernelIiLi16ELi32ELi8ELc78ELc84ELc76ELb0ELb0EdPKdPKS1_PKPdEviT_T9_T10_S7_lS9_S7_lS8_T11_S7_li,"axG",@progbits,_ZL29rocblas_internal_gemmt_kernelIiLi16ELi32ELi8ELc78ELc84ELc76ELb0ELb0EdPKdPKS1_PKPdEviT_T9_T10_S7_lS9_S7_lS8_T11_S7_li,comdat
.Lfunc_end334:
	.size	_ZL29rocblas_internal_gemmt_kernelIiLi16ELi32ELi8ELc78ELc84ELc76ELb0ELb0EdPKdPKS1_PKPdEviT_T9_T10_S7_lS9_S7_lS8_T11_S7_li, .Lfunc_end334-_ZL29rocblas_internal_gemmt_kernelIiLi16ELi32ELi8ELc78ELc84ELc76ELb0ELb0EdPKdPKS1_PKPdEviT_T9_T10_S7_lS9_S7_lS8_T11_S7_li
                                        ; -- End function
	.set _ZL29rocblas_internal_gemmt_kernelIiLi16ELi32ELi8ELc78ELc84ELc76ELb0ELb0EdPKdPKS1_PKPdEviT_T9_T10_S7_lS9_S7_lS8_T11_S7_li.num_vgpr, 55
	.set _ZL29rocblas_internal_gemmt_kernelIiLi16ELi32ELi8ELc78ELc84ELc76ELb0ELb0EdPKdPKS1_PKPdEviT_T9_T10_S7_lS9_S7_lS8_T11_S7_li.num_agpr, 0
	.set _ZL29rocblas_internal_gemmt_kernelIiLi16ELi32ELi8ELc78ELc84ELc76ELb0ELb0EdPKdPKS1_PKPdEviT_T9_T10_S7_lS9_S7_lS8_T11_S7_li.numbered_sgpr, 37
	.set _ZL29rocblas_internal_gemmt_kernelIiLi16ELi32ELi8ELc78ELc84ELc76ELb0ELb0EdPKdPKS1_PKPdEviT_T9_T10_S7_lS9_S7_lS8_T11_S7_li.num_named_barrier, 0
	.set _ZL29rocblas_internal_gemmt_kernelIiLi16ELi32ELi8ELc78ELc84ELc76ELb0ELb0EdPKdPKS1_PKPdEviT_T9_T10_S7_lS9_S7_lS8_T11_S7_li.private_seg_size, 0
	.set _ZL29rocblas_internal_gemmt_kernelIiLi16ELi32ELi8ELc78ELc84ELc76ELb0ELb0EdPKdPKS1_PKPdEviT_T9_T10_S7_lS9_S7_lS8_T11_S7_li.uses_vcc, 1
	.set _ZL29rocblas_internal_gemmt_kernelIiLi16ELi32ELi8ELc78ELc84ELc76ELb0ELb0EdPKdPKS1_PKPdEviT_T9_T10_S7_lS9_S7_lS8_T11_S7_li.uses_flat_scratch, 0
	.set _ZL29rocblas_internal_gemmt_kernelIiLi16ELi32ELi8ELc78ELc84ELc76ELb0ELb0EdPKdPKS1_PKPdEviT_T9_T10_S7_lS9_S7_lS8_T11_S7_li.has_dyn_sized_stack, 0
	.set _ZL29rocblas_internal_gemmt_kernelIiLi16ELi32ELi8ELc78ELc84ELc76ELb0ELb0EdPKdPKS1_PKPdEviT_T9_T10_S7_lS9_S7_lS8_T11_S7_li.has_recursion, 0
	.set _ZL29rocblas_internal_gemmt_kernelIiLi16ELi32ELi8ELc78ELc84ELc76ELb0ELb0EdPKdPKS1_PKPdEviT_T9_T10_S7_lS9_S7_lS8_T11_S7_li.has_indirect_call, 0
	.section	.AMDGPU.csdata,"",@progbits
; Kernel info:
; codeLenInByte = 2128
; TotalNumSgprs: 39
; NumVgprs: 55
; ScratchSize: 0
; MemoryBound: 0
; FloatMode: 240
; IeeeMode: 1
; LDSByteSize: 4096 bytes/workgroup (compile time only)
; SGPRBlocks: 0
; VGPRBlocks: 6
; NumSGPRsForWavesPerEU: 39
; NumVGPRsForWavesPerEU: 55
; Occupancy: 16
; WaveLimiterHint : 1
; COMPUTE_PGM_RSRC2:SCRATCH_EN: 0
; COMPUTE_PGM_RSRC2:USER_SGPR: 2
; COMPUTE_PGM_RSRC2:TRAP_HANDLER: 0
; COMPUTE_PGM_RSRC2:TGID_X_EN: 1
; COMPUTE_PGM_RSRC2:TGID_Y_EN: 1
; COMPUTE_PGM_RSRC2:TGID_Z_EN: 1
; COMPUTE_PGM_RSRC2:TIDIG_COMP_CNT: 1
	.section	.text._ZL29rocblas_internal_gemmt_kernelIiLi16ELi32ELi8ELc78ELc67ELc76ELb0ELb0EdPKdPKS1_PKPdEviT_T9_T10_S7_lS9_S7_lS8_T11_S7_li,"axG",@progbits,_ZL29rocblas_internal_gemmt_kernelIiLi16ELi32ELi8ELc78ELc67ELc76ELb0ELb0EdPKdPKS1_PKPdEviT_T9_T10_S7_lS9_S7_lS8_T11_S7_li,comdat
	.globl	_ZL29rocblas_internal_gemmt_kernelIiLi16ELi32ELi8ELc78ELc67ELc76ELb0ELb0EdPKdPKS1_PKPdEviT_T9_T10_S7_lS9_S7_lS8_T11_S7_li ; -- Begin function _ZL29rocblas_internal_gemmt_kernelIiLi16ELi32ELi8ELc78ELc67ELc76ELb0ELb0EdPKdPKS1_PKPdEviT_T9_T10_S7_lS9_S7_lS8_T11_S7_li
	.p2align	8
	.type	_ZL29rocblas_internal_gemmt_kernelIiLi16ELi32ELi8ELc78ELc67ELc76ELb0ELb0EdPKdPKS1_PKPdEviT_T9_T10_S7_lS9_S7_lS8_T11_S7_li,@function
_ZL29rocblas_internal_gemmt_kernelIiLi16ELi32ELi8ELc78ELc67ELc76ELb0ELb0EdPKdPKS1_PKPdEviT_T9_T10_S7_lS9_S7_lS8_T11_S7_li: ; @_ZL29rocblas_internal_gemmt_kernelIiLi16ELi32ELi8ELc78ELc67ELc76ELb0ELb0EdPKdPKS1_PKPdEviT_T9_T10_S7_lS9_S7_lS8_T11_S7_li
; %bb.0:
	s_load_b128 s[12:15], s[0:1], 0x38
	s_wait_kmcnt 0x0
	s_load_b64 s[14:15], s[14:15], 0x0
	s_clause 0x1
	s_load_b128 s[4:7], s[0:1], 0x8
	s_load_b64 s[20:21], s[0:1], 0x0
	s_wait_kmcnt 0x0
	s_load_b64 s[22:23], s[4:5], 0x0
	v_cmp_neq_f64_e64 s2, s[14:15], 1.0
	s_and_b32 vcc_lo, exec_lo, s2
	s_cbranch_vccnz .LBB335_2
; %bb.1:
	s_wait_kmcnt 0x0
	v_cmp_neq_f64_e64 s2, s[22:23], 0
	s_cmp_lg_u32 s21, 0
	s_cselect_b32 s3, -1, 0
	s_delay_alu instid0(SALU_CYCLE_1)
	s_and_b32 s2, s3, s2
.LBB335_2:
	s_delay_alu instid0(SALU_CYCLE_1)
	s_and_not1_b32 vcc_lo, exec_lo, s2
	s_cbranch_vccnz .LBB335_33
; %bb.3:
	s_load_b32 s19, s[0:1], 0x60
	s_lshr_b32 s24, ttmp7, 16
	s_wait_kmcnt 0x0
	s_cmp_ge_u32 s24, s19
	s_cbranch_scc1 .LBB335_33
; %bb.4:
	v_dual_mov_b32 v34, 0 :: v_dual_and_b32 v1, 0x3ff, v0
	v_bfe_u32 v2, v0, 10, 10
	v_and_b32_e32 v26, 7, v0
	s_clause 0x4
	s_load_b32 s26, s[0:1], 0x18
	s_load_b32 s28, s[0:1], 0x30
	s_load_b96 s[16:18], s[0:1], 0x48
	s_load_b64 s[30:31], s[0:1], 0x58
	s_load_b128 s[8:11], s[0:1], 0x20
	v_lshl_add_u32 v0, v2, 4, v1
	v_lshlrev_b32_e32 v6, 3, v26
	s_lshl_b32 s0, ttmp7, 5
	s_lshl_b32 s1, ttmp9, 5
	s_and_b32 s2, s0, 0x1fffe0
	v_and_b32_e32 v3, 31, v0
	v_lshrrev_b32_e32 v5, 3, v0
	v_lshrrev_b32_e32 v27, 5, v0
	v_cmp_neq_f64_e64 s5, s[22:23], 0
	v_cmp_neq_f64_e64 s33, s[14:15], 0
	v_lshlrev_b32_e32 v0, 3, v3
	v_or_b32_e32 v4, s1, v3
	v_add_nc_u32_e32 v14, s2, v5
	v_lshl_or_b32 v3, v5, 6, v6
	v_add_nc_u32_e32 v5, s2, v2
	v_lshl_or_b32 v28, v27, 8, v0
	v_add_nc_u32_e32 v0, s1, v1
	v_lshl_add_u32 v31, v2, 6, 0x800
	s_wait_kmcnt 0x0
	s_ashr_i32 s27, s26, 31
	s_ashr_i32 s29, s28, 31
	s_cmp_gt_i32 s21, 0
	v_cmp_le_i32_e32 vcc_lo, v5, v0
	v_cmp_gt_i32_e64 s2, s20, v0
	v_add_nc_u32_e32 v2, 16, v0
	v_mad_co_i64_i32 v[8:9], null, v27, s26, 0
	s_cselect_b32 s36, -1, 0
	v_mad_co_i64_i32 v[6:7], null, v5, s18, 0
	s_and_b32 s34, vcc_lo, s2
	v_cmp_le_i32_e32 vcc_lo, v5, v2
	v_add_nc_u32_e32 v5, 16, v5
	v_cmp_gt_i32_e64 s3, s20, v2
	v_cmp_gt_i32_e64 s0, s20, v4
	;; [unrolled: 1-line block ×3, first 2 shown]
	v_lshlrev_b64_e32 v[8:9], 3, v[8:9]
	v_cmp_le_i32_e64 s4, v5, v0
	s_and_b32 s20, vcc_lo, s3
	v_cmp_le_i32_e32 vcc_lo, v5, v2
	v_mad_co_i64_i32 v[12:13], null, s28, v26, 0
	v_mad_co_i64_i32 v[10:11], null, v5, s18, 0
	v_ashrrev_i32_e32 v5, 31, v4
	s_and_b32 s18, s4, s2
	s_and_b32 s35, vcc_lo, s3
	s_lshl_b64 s[2:3], s[8:9], 3
	v_add_nc_u32_e32 v29, 0x800, v3
	v_lshlrev_b64_e32 v[4:5], 3, v[4:5]
	s_wait_alu 0xfffe
	v_add_co_u32 v15, vcc_lo, v8, s2
	s_delay_alu instid0(VALU_DEP_1) | instskip(SKIP_1) | instid1(VALU_DEP_3)
	v_add_co_ci_u32_e64 v16, null, s3, v9, vcc_lo
	v_lshlrev_b64_e32 v[8:9], 3, v[12:13]
	v_add_co_u32 v32, vcc_lo, v15, v4
	s_lshl_b64 s[2:3], s[12:13], 3
	s_wait_alu 0xfffd
	v_add_co_ci_u32_e64 v33, null, v16, v5, vcc_lo
	v_lshlrev_b32_e32 v4, 3, v14
	s_wait_alu 0xfffe
	v_add_co_u32 v5, vcc_lo, v8, s2
	s_wait_alu 0xfffd
	v_add_co_ci_u32_e64 v8, null, s3, v9, vcc_lo
	v_lshlrev_b32_e32 v30, 3, v1
	s_delay_alu instid0(VALU_DEP_3)
	v_add_co_u32 v35, vcc_lo, v5, v4
	v_lshlrev_b64_e32 v[4:5], 3, v[6:7]
	v_lshlrev_b64_e32 v[6:7], 3, v[10:11]
	v_ashrrev_i32_e32 v1, 31, v0
	v_ashrrev_i32_e32 v3, 31, v2
	s_wait_alu 0xfffd
	v_add_co_ci_u32_e64 v36, null, 0, v8, vcc_lo
	s_mov_b32 s25, 0
	s_and_b32 s36, s5, s36
	s_lshl_b64 s[2:3], s[26:27], 6
	s_lshl_b64 s[4:5], s[28:29], 6
	;; [unrolled: 1-line block ×3, first 2 shown]
	s_branch .LBB335_6
.LBB335_5:                              ;   in Loop: Header=BB335_6 Depth=1
	s_wait_alu 0xfffe
	s_or_b32 exec_lo, exec_lo, s12
	s_add_co_i32 s24, s24, 0x10000
	s_delay_alu instid0(SALU_CYCLE_1)
	s_cmp_lt_u32 s24, s19
	s_cbranch_scc0 .LBB335_33
.LBB335_6:                              ; =>This Loop Header: Depth=1
                                        ;     Child Loop BB335_9 Depth 2
	s_lshl_b64 s[12:13], s[24:25], 3
	v_mov_b32_e32 v20, 0
	s_wait_alu 0xfffe
	s_add_nc_u64 s[26:27], s[16:17], s[12:13]
	v_mov_b32_e32 v10, 0
	global_load_b64 v[12:13], v34, s[26:27]
	v_dual_mov_b32 v21, 0 :: v_dual_mov_b32 v14, 0
	v_dual_mov_b32 v11, 0 :: v_dual_mov_b32 v8, 0
	v_mov_b32_e32 v15, 0
	v_mov_b32_e32 v9, 0
	s_and_not1_b32 vcc_lo, exec_lo, s36
	s_wait_alu 0xfffe
	s_cbranch_vccnz .LBB335_13
; %bb.7:                                ;   in Loop: Header=BB335_6 Depth=1
	s_add_nc_u64 s[26:27], s[6:7], s[12:13]
	s_add_nc_u64 s[12:13], s[10:11], s[12:13]
	s_clause 0x1
	global_load_b64 v[16:17], v34, s[26:27]
	global_load_b64 v[18:19], v34, s[12:13]
	v_mov_b32_e32 v8, 0
	v_dual_mov_b32 v14, 0 :: v_dual_mov_b32 v9, 0
	v_dual_mov_b32 v10, 0 :: v_dual_mov_b32 v15, 0
	;; [unrolled: 1-line block ×3, first 2 shown]
	v_mov_b32_e32 v21, 0
	s_mov_b32 s12, 0
	s_wait_loadcnt 0x1
	v_add_co_u32 v16, vcc_lo, v16, v32
	s_wait_alu 0xfffd
	v_add_co_ci_u32_e64 v17, null, v17, v33, vcc_lo
	s_wait_loadcnt 0x0
	v_add_co_u32 v18, vcc_lo, v18, v35
	s_wait_alu 0xfffd
	v_add_co_ci_u32_e64 v19, null, v19, v36, vcc_lo
	s_branch .LBB335_9
.LBB335_8:                              ;   in Loop: Header=BB335_9 Depth=2
	s_wait_alu 0xfffe
	s_or_b32 exec_lo, exec_lo, s13
	s_wait_loadcnt_dscnt 0x0
	ds_store_b64 v29, v[24:25]
	s_wait_dscnt 0x0
	s_barrier_signal -1
	s_barrier_wait -1
	global_inv scope:SCOPE_SE
	ds_load_b128 v[22:25], v31
	ds_load_2addr_b64 v[37:40], v30 offset1:16
	ds_load_b128 v[41:44], v31 offset:1024
	ds_load_b128 v[45:48], v31 offset:16
	;; [unrolled: 1-line block ×3, first 2 shown]
	v_add_co_u32 v16, vcc_lo, v16, s2
	s_wait_alu 0xfffd
	v_add_co_ci_u32_e64 v17, null, s3, v17, vcc_lo
	v_add_co_u32 v18, vcc_lo, v18, s4
	s_wait_alu 0xfffd
	v_add_co_ci_u32_e64 v19, null, s5, v19, vcc_lo
	s_add_co_i32 s12, s12, 8
	s_wait_alu 0xfffe
	s_cmp_lt_i32 s12, s21
	s_wait_dscnt 0x3
	v_fma_f64 v[20:21], v[37:38], v[22:23], v[20:21]
	v_fma_f64 v[14:15], v[39:40], v[22:23], v[14:15]
	s_wait_dscnt 0x2
	v_fma_f64 v[22:23], v[37:38], v[41:42], v[10:11]
	v_fma_f64 v[37:38], v[39:40], v[41:42], v[8:9]
	ds_load_2addr_b64 v[8:11], v30 offset0:32 offset1:48
	s_wait_dscnt 0x0
	v_fma_f64 v[20:21], v[8:9], v[24:25], v[20:21]
	v_fma_f64 v[14:15], v[10:11], v[24:25], v[14:15]
	v_fma_f64 v[22:23], v[8:9], v[43:44], v[22:23]
	v_fma_f64 v[24:25], v[10:11], v[43:44], v[37:38]
	ds_load_2addr_b64 v[8:11], v30 offset0:64 offset1:80
	s_wait_dscnt 0x0
	v_fma_f64 v[20:21], v[8:9], v[45:46], v[20:21]
	v_fma_f64 v[14:15], v[10:11], v[45:46], v[14:15]
	;; [unrolled: 6-line block ×3, first 2 shown]
	v_fma_f64 v[53:54], v[8:9], v[51:52], v[22:23]
	v_fma_f64 v[24:25], v[10:11], v[51:52], v[24:25]
	ds_load_b128 v[8:11], v31 offset:32
	ds_load_2addr_b64 v[20:23], v30 offset0:128 offset1:144
	ds_load_b128 v[37:40], v31 offset:1056
	ds_load_b128 v[41:44], v31 offset:48
	;; [unrolled: 1-line block ×3, first 2 shown]
	s_wait_dscnt 0x3
	v_fma_f64 v[49:50], v[20:21], v[8:9], v[49:50]
	v_fma_f64 v[8:9], v[22:23], v[8:9], v[14:15]
	s_wait_dscnt 0x2
	v_fma_f64 v[14:15], v[20:21], v[37:38], v[53:54]
	v_fma_f64 v[24:25], v[22:23], v[37:38], v[24:25]
	ds_load_2addr_b64 v[20:23], v30 offset0:160 offset1:176
	s_wait_dscnt 0x0
	v_fma_f64 v[37:38], v[20:21], v[10:11], v[49:50]
	v_fma_f64 v[49:50], v[22:23], v[10:11], v[8:9]
	;; [unrolled: 1-line block ×4, first 2 shown]
	ds_load_2addr_b64 v[8:11], v30 offset0:192 offset1:208
	ds_load_2addr_b64 v[22:25], v30 offset0:224 offset1:240
	s_wait_loadcnt_dscnt 0x0
	s_barrier_signal -1
	s_barrier_wait -1
	global_inv scope:SCOPE_SE
	v_fma_f64 v[37:38], v[8:9], v[41:42], v[37:38]
	v_fma_f64 v[39:40], v[10:11], v[41:42], v[49:50]
	v_fma_f64 v[8:9], v[8:9], v[45:46], v[14:15]
	v_fma_f64 v[41:42], v[10:11], v[45:46], v[20:21]
	s_delay_alu instid0(VALU_DEP_4) | instskip(NEXT) | instid1(VALU_DEP_4)
	v_fma_f64 v[20:21], v[22:23], v[43:44], v[37:38]
	v_fma_f64 v[14:15], v[24:25], v[43:44], v[39:40]
	s_delay_alu instid0(VALU_DEP_4) | instskip(NEXT) | instid1(VALU_DEP_4)
	v_fma_f64 v[10:11], v[22:23], v[47:48], v[8:9]
	v_fma_f64 v[8:9], v[24:25], v[47:48], v[41:42]
	s_cbranch_scc0 .LBB335_13
.LBB335_9:                              ;   Parent Loop BB335_6 Depth=1
                                        ; =>  This Inner Loop Header: Depth=2
	s_wait_alu 0xfffe
	v_add_nc_u32_e32 v22, s12, v27
	s_delay_alu instid0(VALU_DEP_1)
	v_cmp_gt_i32_e32 vcc_lo, s21, v22
	v_mov_b32_e32 v22, 0
	v_mov_b32_e32 v23, 0
	s_and_b32 s26, s0, vcc_lo
	s_wait_alu 0xfffe
	s_and_saveexec_b32 s13, s26
	s_cbranch_execz .LBB335_11
; %bb.10:                               ;   in Loop: Header=BB335_9 Depth=2
	flat_load_b64 v[22:23], v[16:17]
.LBB335_11:                             ;   in Loop: Header=BB335_9 Depth=2
	s_wait_alu 0xfffe
	s_or_b32 exec_lo, exec_lo, s13
	v_add_nc_u32_e32 v24, s12, v26
	s_wait_loadcnt_dscnt 0x0
	ds_store_b64 v28, v[22:23]
	v_cmp_gt_i32_e32 vcc_lo, s21, v24
	v_mov_b32_e32 v24, 0
	v_mov_b32_e32 v25, 0
	s_and_b32 s26, vcc_lo, s1
	s_wait_alu 0xfffe
	s_and_saveexec_b32 s13, s26
	s_cbranch_execz .LBB335_8
; %bb.12:                               ;   in Loop: Header=BB335_9 Depth=2
	flat_load_b64 v[24:25], v[18:19]
	s_branch .LBB335_8
.LBB335_13:                             ;   in Loop: Header=BB335_6 Depth=1
	s_wait_loadcnt 0x0
	v_add_co_u32 v16, vcc_lo, v12, s8
	s_wait_alu 0xfffd
	v_add_co_ci_u32_e64 v17, null, s9, v13, vcc_lo
	s_delay_alu instid0(VALU_DEP_2) | instskip(SKIP_1) | instid1(VALU_DEP_2)
	v_add_co_u32 v18, vcc_lo, v16, v4
	s_wait_alu 0xfffd
	v_add_co_ci_u32_e64 v19, null, v17, v5, vcc_lo
	s_and_saveexec_b32 s12, s34
	s_cbranch_execz .LBB335_17
; %bb.14:                               ;   in Loop: Header=BB335_6 Depth=1
	v_mul_f64_e32 v[12:13], s[22:23], v[20:21]
	s_and_b32 vcc_lo, exec_lo, s33
	s_wait_alu 0xfffe
	s_cbranch_vccz .LBB335_28
; %bb.15:                               ;   in Loop: Header=BB335_6 Depth=1
	v_lshlrev_b64_e32 v[20:21], 3, v[0:1]
	s_delay_alu instid0(VALU_DEP_1) | instskip(SKIP_1) | instid1(VALU_DEP_2)
	v_add_co_u32 v20, vcc_lo, v18, v20
	s_wait_alu 0xfffd
	v_add_co_ci_u32_e64 v21, null, v19, v21, vcc_lo
	flat_load_b64 v[22:23], v[20:21]
	s_wait_loadcnt_dscnt 0x0
	v_fma_f64 v[22:23], s[14:15], v[22:23], v[12:13]
	flat_store_b64 v[20:21], v[22:23]
	s_cbranch_execnz .LBB335_17
.LBB335_16:                             ;   in Loop: Header=BB335_6 Depth=1
	v_lshlrev_b64_e32 v[20:21], 3, v[0:1]
	s_delay_alu instid0(VALU_DEP_1) | instskip(SKIP_1) | instid1(VALU_DEP_2)
	v_add_co_u32 v20, vcc_lo, v18, v20
	s_wait_alu 0xfffd
	v_add_co_ci_u32_e64 v21, null, v19, v21, vcc_lo
	flat_store_b64 v[20:21], v[12:13]
.LBB335_17:                             ;   in Loop: Header=BB335_6 Depth=1
	s_wait_alu 0xfffe
	s_or_b32 exec_lo, exec_lo, s12
	s_and_saveexec_b32 s12, s20
	s_cbranch_execz .LBB335_21
; %bb.18:                               ;   in Loop: Header=BB335_6 Depth=1
	v_mul_f64_e32 v[12:13], s[22:23], v[14:15]
	s_and_not1_b32 vcc_lo, exec_lo, s33
	s_wait_alu 0xfffe
	s_cbranch_vccnz .LBB335_29
; %bb.19:                               ;   in Loop: Header=BB335_6 Depth=1
	v_lshlrev_b64_e32 v[14:15], 3, v[2:3]
	s_delay_alu instid0(VALU_DEP_1) | instskip(SKIP_1) | instid1(VALU_DEP_2)
	v_add_co_u32 v14, vcc_lo, v18, v14
	s_wait_alu 0xfffd
	v_add_co_ci_u32_e64 v15, null, v19, v15, vcc_lo
	flat_load_b64 v[20:21], v[14:15]
	s_wait_loadcnt_dscnt 0x0
	v_fma_f64 v[20:21], s[14:15], v[20:21], v[12:13]
	flat_store_b64 v[14:15], v[20:21]
	s_cbranch_execnz .LBB335_21
.LBB335_20:                             ;   in Loop: Header=BB335_6 Depth=1
	v_lshlrev_b64_e32 v[14:15], 3, v[2:3]
	s_delay_alu instid0(VALU_DEP_1) | instskip(SKIP_1) | instid1(VALU_DEP_2)
	v_add_co_u32 v14, vcc_lo, v18, v14
	s_wait_alu 0xfffd
	v_add_co_ci_u32_e64 v15, null, v19, v15, vcc_lo
	flat_store_b64 v[14:15], v[12:13]
.LBB335_21:                             ;   in Loop: Header=BB335_6 Depth=1
	s_wait_alu 0xfffe
	s_or_b32 exec_lo, exec_lo, s12
	v_add_co_u32 v14, vcc_lo, v16, v6
	s_wait_alu 0xfffd
	v_add_co_ci_u32_e64 v15, null, v17, v7, vcc_lo
	s_and_saveexec_b32 s12, s18
	s_cbranch_execz .LBB335_25
; %bb.22:                               ;   in Loop: Header=BB335_6 Depth=1
	v_mul_f64_e32 v[10:11], s[22:23], v[10:11]
	v_lshlrev_b64_e32 v[12:13], 3, v[0:1]
	s_and_not1_b32 vcc_lo, exec_lo, s33
	s_wait_alu 0xfffe
	s_cbranch_vccnz .LBB335_30
; %bb.23:                               ;   in Loop: Header=BB335_6 Depth=1
	s_delay_alu instid0(VALU_DEP_1)
	v_add_co_u32 v16, vcc_lo, v14, v12
	s_wait_alu 0xfffd
	v_add_co_ci_u32_e64 v17, null, v15, v13, vcc_lo
	flat_load_b64 v[18:19], v[16:17]
	s_wait_loadcnt_dscnt 0x0
	v_fma_f64 v[18:19], s[14:15], v[18:19], v[10:11]
	flat_store_b64 v[16:17], v[18:19]
	s_cbranch_execnz .LBB335_25
.LBB335_24:                             ;   in Loop: Header=BB335_6 Depth=1
	s_delay_alu instid0(VALU_DEP_1)
	v_add_co_u32 v12, vcc_lo, v14, v12
	s_wait_alu 0xfffd
	v_add_co_ci_u32_e64 v13, null, v15, v13, vcc_lo
	flat_store_b64 v[12:13], v[10:11]
.LBB335_25:                             ;   in Loop: Header=BB335_6 Depth=1
	s_wait_alu 0xfffe
	s_or_b32 exec_lo, exec_lo, s12
	s_and_saveexec_b32 s12, s35
	s_cbranch_execz .LBB335_5
; %bb.26:                               ;   in Loop: Header=BB335_6 Depth=1
	v_mul_f64_e32 v[8:9], s[22:23], v[8:9]
	v_lshlrev_b64_e32 v[10:11], 3, v[2:3]
	s_and_not1_b32 vcc_lo, exec_lo, s33
	s_wait_alu 0xfffe
	s_cbranch_vccnz .LBB335_31
; %bb.27:                               ;   in Loop: Header=BB335_6 Depth=1
	s_delay_alu instid0(VALU_DEP_1)
	v_add_co_u32 v12, vcc_lo, v14, v10
	s_wait_alu 0xfffd
	v_add_co_ci_u32_e64 v13, null, v15, v11, vcc_lo
	flat_load_b64 v[16:17], v[12:13]
	s_wait_loadcnt_dscnt 0x0
	v_fma_f64 v[16:17], s[14:15], v[16:17], v[8:9]
	flat_store_b64 v[12:13], v[16:17]
	s_cbranch_execnz .LBB335_5
	s_branch .LBB335_32
.LBB335_28:                             ;   in Loop: Header=BB335_6 Depth=1
	s_branch .LBB335_16
.LBB335_29:                             ;   in Loop: Header=BB335_6 Depth=1
	s_branch .LBB335_20
.LBB335_30:                             ;   in Loop: Header=BB335_6 Depth=1
	s_branch .LBB335_24
.LBB335_31:                             ;   in Loop: Header=BB335_6 Depth=1
.LBB335_32:                             ;   in Loop: Header=BB335_6 Depth=1
	s_delay_alu instid0(VALU_DEP_1)
	v_add_co_u32 v10, vcc_lo, v14, v10
	s_wait_alu 0xfffd
	v_add_co_ci_u32_e64 v11, null, v15, v11, vcc_lo
	flat_store_b64 v[10:11], v[8:9]
	s_branch .LBB335_5
.LBB335_33:
	s_endpgm
	.section	.rodata,"a",@progbits
	.p2align	6, 0x0
	.amdhsa_kernel _ZL29rocblas_internal_gemmt_kernelIiLi16ELi32ELi8ELc78ELc67ELc76ELb0ELb0EdPKdPKS1_PKPdEviT_T9_T10_S7_lS9_S7_lS8_T11_S7_li
		.amdhsa_group_segment_fixed_size 4096
		.amdhsa_private_segment_fixed_size 0
		.amdhsa_kernarg_size 100
		.amdhsa_user_sgpr_count 2
		.amdhsa_user_sgpr_dispatch_ptr 0
		.amdhsa_user_sgpr_queue_ptr 0
		.amdhsa_user_sgpr_kernarg_segment_ptr 1
		.amdhsa_user_sgpr_dispatch_id 0
		.amdhsa_user_sgpr_private_segment_size 0
		.amdhsa_wavefront_size32 1
		.amdhsa_uses_dynamic_stack 0
		.amdhsa_enable_private_segment 0
		.amdhsa_system_sgpr_workgroup_id_x 1
		.amdhsa_system_sgpr_workgroup_id_y 1
		.amdhsa_system_sgpr_workgroup_id_z 1
		.amdhsa_system_sgpr_workgroup_info 0
		.amdhsa_system_vgpr_workitem_id 1
		.amdhsa_next_free_vgpr 55
		.amdhsa_next_free_sgpr 37
		.amdhsa_reserve_vcc 1
		.amdhsa_float_round_mode_32 0
		.amdhsa_float_round_mode_16_64 0
		.amdhsa_float_denorm_mode_32 3
		.amdhsa_float_denorm_mode_16_64 3
		.amdhsa_fp16_overflow 0
		.amdhsa_workgroup_processor_mode 1
		.amdhsa_memory_ordered 1
		.amdhsa_forward_progress 1
		.amdhsa_inst_pref_size 17
		.amdhsa_round_robin_scheduling 0
		.amdhsa_exception_fp_ieee_invalid_op 0
		.amdhsa_exception_fp_denorm_src 0
		.amdhsa_exception_fp_ieee_div_zero 0
		.amdhsa_exception_fp_ieee_overflow 0
		.amdhsa_exception_fp_ieee_underflow 0
		.amdhsa_exception_fp_ieee_inexact 0
		.amdhsa_exception_int_div_zero 0
	.end_amdhsa_kernel
	.section	.text._ZL29rocblas_internal_gemmt_kernelIiLi16ELi32ELi8ELc78ELc67ELc76ELb0ELb0EdPKdPKS1_PKPdEviT_T9_T10_S7_lS9_S7_lS8_T11_S7_li,"axG",@progbits,_ZL29rocblas_internal_gemmt_kernelIiLi16ELi32ELi8ELc78ELc67ELc76ELb0ELb0EdPKdPKS1_PKPdEviT_T9_T10_S7_lS9_S7_lS8_T11_S7_li,comdat
.Lfunc_end335:
	.size	_ZL29rocblas_internal_gemmt_kernelIiLi16ELi32ELi8ELc78ELc67ELc76ELb0ELb0EdPKdPKS1_PKPdEviT_T9_T10_S7_lS9_S7_lS8_T11_S7_li, .Lfunc_end335-_ZL29rocblas_internal_gemmt_kernelIiLi16ELi32ELi8ELc78ELc67ELc76ELb0ELb0EdPKdPKS1_PKPdEviT_T9_T10_S7_lS9_S7_lS8_T11_S7_li
                                        ; -- End function
	.set _ZL29rocblas_internal_gemmt_kernelIiLi16ELi32ELi8ELc78ELc67ELc76ELb0ELb0EdPKdPKS1_PKPdEviT_T9_T10_S7_lS9_S7_lS8_T11_S7_li.num_vgpr, 55
	.set _ZL29rocblas_internal_gemmt_kernelIiLi16ELi32ELi8ELc78ELc67ELc76ELb0ELb0EdPKdPKS1_PKPdEviT_T9_T10_S7_lS9_S7_lS8_T11_S7_li.num_agpr, 0
	.set _ZL29rocblas_internal_gemmt_kernelIiLi16ELi32ELi8ELc78ELc67ELc76ELb0ELb0EdPKdPKS1_PKPdEviT_T9_T10_S7_lS9_S7_lS8_T11_S7_li.numbered_sgpr, 37
	.set _ZL29rocblas_internal_gemmt_kernelIiLi16ELi32ELi8ELc78ELc67ELc76ELb0ELb0EdPKdPKS1_PKPdEviT_T9_T10_S7_lS9_S7_lS8_T11_S7_li.num_named_barrier, 0
	.set _ZL29rocblas_internal_gemmt_kernelIiLi16ELi32ELi8ELc78ELc67ELc76ELb0ELb0EdPKdPKS1_PKPdEviT_T9_T10_S7_lS9_S7_lS8_T11_S7_li.private_seg_size, 0
	.set _ZL29rocblas_internal_gemmt_kernelIiLi16ELi32ELi8ELc78ELc67ELc76ELb0ELb0EdPKdPKS1_PKPdEviT_T9_T10_S7_lS9_S7_lS8_T11_S7_li.uses_vcc, 1
	.set _ZL29rocblas_internal_gemmt_kernelIiLi16ELi32ELi8ELc78ELc67ELc76ELb0ELb0EdPKdPKS1_PKPdEviT_T9_T10_S7_lS9_S7_lS8_T11_S7_li.uses_flat_scratch, 0
	.set _ZL29rocblas_internal_gemmt_kernelIiLi16ELi32ELi8ELc78ELc67ELc76ELb0ELb0EdPKdPKS1_PKPdEviT_T9_T10_S7_lS9_S7_lS8_T11_S7_li.has_dyn_sized_stack, 0
	.set _ZL29rocblas_internal_gemmt_kernelIiLi16ELi32ELi8ELc78ELc67ELc76ELb0ELb0EdPKdPKS1_PKPdEviT_T9_T10_S7_lS9_S7_lS8_T11_S7_li.has_recursion, 0
	.set _ZL29rocblas_internal_gemmt_kernelIiLi16ELi32ELi8ELc78ELc67ELc76ELb0ELb0EdPKdPKS1_PKPdEviT_T9_T10_S7_lS9_S7_lS8_T11_S7_li.has_indirect_call, 0
	.section	.AMDGPU.csdata,"",@progbits
; Kernel info:
; codeLenInByte = 2128
; TotalNumSgprs: 39
; NumVgprs: 55
; ScratchSize: 0
; MemoryBound: 0
; FloatMode: 240
; IeeeMode: 1
; LDSByteSize: 4096 bytes/workgroup (compile time only)
; SGPRBlocks: 0
; VGPRBlocks: 6
; NumSGPRsForWavesPerEU: 39
; NumVGPRsForWavesPerEU: 55
; Occupancy: 16
; WaveLimiterHint : 1
; COMPUTE_PGM_RSRC2:SCRATCH_EN: 0
; COMPUTE_PGM_RSRC2:USER_SGPR: 2
; COMPUTE_PGM_RSRC2:TRAP_HANDLER: 0
; COMPUTE_PGM_RSRC2:TGID_X_EN: 1
; COMPUTE_PGM_RSRC2:TGID_Y_EN: 1
; COMPUTE_PGM_RSRC2:TGID_Z_EN: 1
; COMPUTE_PGM_RSRC2:TIDIG_COMP_CNT: 1
	.section	.text._ZL29rocblas_internal_gemmt_kernelIiLi16ELi32ELi8ELc84ELc78ELc76ELb0ELb0EdPKdPKS1_PKPdEviT_T9_T10_S7_lS9_S7_lS8_T11_S7_li,"axG",@progbits,_ZL29rocblas_internal_gemmt_kernelIiLi16ELi32ELi8ELc84ELc78ELc76ELb0ELb0EdPKdPKS1_PKPdEviT_T9_T10_S7_lS9_S7_lS8_T11_S7_li,comdat
	.globl	_ZL29rocblas_internal_gemmt_kernelIiLi16ELi32ELi8ELc84ELc78ELc76ELb0ELb0EdPKdPKS1_PKPdEviT_T9_T10_S7_lS9_S7_lS8_T11_S7_li ; -- Begin function _ZL29rocblas_internal_gemmt_kernelIiLi16ELi32ELi8ELc84ELc78ELc76ELb0ELb0EdPKdPKS1_PKPdEviT_T9_T10_S7_lS9_S7_lS8_T11_S7_li
	.p2align	8
	.type	_ZL29rocblas_internal_gemmt_kernelIiLi16ELi32ELi8ELc84ELc78ELc76ELb0ELb0EdPKdPKS1_PKPdEviT_T9_T10_S7_lS9_S7_lS8_T11_S7_li,@function
_ZL29rocblas_internal_gemmt_kernelIiLi16ELi32ELi8ELc84ELc78ELc76ELb0ELb0EdPKdPKS1_PKPdEviT_T9_T10_S7_lS9_S7_lS8_T11_S7_li: ; @_ZL29rocblas_internal_gemmt_kernelIiLi16ELi32ELi8ELc84ELc78ELc76ELb0ELb0EdPKdPKS1_PKPdEviT_T9_T10_S7_lS9_S7_lS8_T11_S7_li
; %bb.0:
	s_load_b128 s[12:15], s[0:1], 0x38
	s_wait_kmcnt 0x0
	s_load_b64 s[14:15], s[14:15], 0x0
	s_clause 0x1
	s_load_b128 s[4:7], s[0:1], 0x8
	s_load_b64 s[20:21], s[0:1], 0x0
	s_wait_kmcnt 0x0
	s_load_b64 s[22:23], s[4:5], 0x0
	v_cmp_neq_f64_e64 s2, s[14:15], 1.0
	s_and_b32 vcc_lo, exec_lo, s2
	s_cbranch_vccnz .LBB336_2
; %bb.1:
	s_wait_kmcnt 0x0
	v_cmp_neq_f64_e64 s2, s[22:23], 0
	s_cmp_lg_u32 s21, 0
	s_cselect_b32 s3, -1, 0
	s_delay_alu instid0(SALU_CYCLE_1)
	s_and_b32 s2, s3, s2
.LBB336_2:
	s_delay_alu instid0(SALU_CYCLE_1)
	s_and_not1_b32 vcc_lo, exec_lo, s2
	s_cbranch_vccnz .LBB336_33
; %bb.3:
	s_load_b32 s19, s[0:1], 0x60
	s_lshr_b32 s24, ttmp7, 16
	s_wait_kmcnt 0x0
	s_cmp_ge_u32 s24, s19
	s_cbranch_scc1 .LBB336_33
; %bb.4:
	v_dual_mov_b32 v32, 0 :: v_dual_and_b32 v1, 0x3ff, v0
	v_bfe_u32 v2, v0, 10, 10
	v_and_b32_e32 v26, 7, v0
	s_clause 0x4
	s_load_b32 s5, s[0:1], 0x18
	s_load_b128 s[8:11], s[0:1], 0x20
	s_load_b32 s30, s[0:1], 0x30
	s_load_b96 s[16:18], s[0:1], 0x48
	s_load_b64 s[26:27], s[0:1], 0x58
	v_cmp_neq_f64_e64 s31, s[22:23], 0
	s_lshl_b32 s2, ttmp9, 5
	v_lshl_add_u32 v0, v2, 4, v1
	v_cmp_neq_f64_e64 s28, s[14:15], 0
	v_lshlrev_b32_e32 v12, 3, v26
	v_add_nc_u32_e32 v6, s2, v1
	s_lshl_b32 s0, ttmp7, 5
	v_and_b32_e32 v3, 31, v0
	v_lshrrev_b32_e32 v4, 3, v0
	v_lshrrev_b32_e32 v27, 5, v0
	s_and_b32 s3, s0, 0x1fffe0
	v_lshl_add_u32 v31, v2, 6, 0x800
	v_lshlrev_b32_e32 v0, 3, v3
	v_or_b32_e32 v5, s2, v3
	s_wait_alu 0xfffe
	v_add_nc_u32_e32 v8, s3, v4
	v_lshl_or_b32 v3, v4, 6, v12
	v_add_nc_u32_e32 v9, s3, v2
	v_lshl_or_b32 v28, v27, 8, v0
	v_add_nc_u32_e32 v0, 16, v6
	v_cmp_gt_i32_e64 s0, s20, v5
	s_wait_kmcnt 0x0
	v_mad_co_i64_i32 v[4:5], null, s5, v5, 0
	v_cmp_gt_i32_e64 s1, s20, v8
	v_add_nc_u32_e32 v29, 0x800, v3
	v_cmp_le_i32_e32 vcc_lo, v9, v6
	v_mad_co_i64_i32 v[2:3], null, v9, s18, 0
	v_cmp_le_i32_e64 s3, v9, v0
	v_add_nc_u32_e32 v13, 16, v9
	v_mad_co_i64_i32 v[8:9], null, s30, v8, 0
	v_lshlrev_b64_e32 v[4:5], 3, v[4:5]
	s_cmp_gt_i32 s21, 0
	v_cmp_gt_i32_e64 s2, s20, v6
	v_cmp_gt_i32_e64 s4, s20, v0
	s_cselect_b32 s33, -1, 0
	s_lshl_b64 s[8:9], s[8:9], 3
	v_lshlrev_b64_e32 v[8:9], 3, v[8:9]
	v_add_co_u32 v4, s5, v4, s8
	s_and_b32 s20, vcc_lo, s2
	s_and_b32 s29, s3, s4
	v_mad_co_i64_i32 v[10:11], null, v13, s18, 0
	v_cmp_le_i32_e32 vcc_lo, v13, v6
	v_cmp_le_i32_e64 s3, v13, v0
	v_add_co_ci_u32_e64 v5, null, s9, v5, s5
	v_lshlrev_b32_e32 v13, 3, v27
	s_lshl_b64 s[8:9], s[12:13], 3
	v_ashrrev_i32_e32 v7, 31, v6
	s_wait_alu 0xfffe
	v_add_co_u32 v8, s5, v8, s8
	s_wait_alu 0xf1ff
	v_add_co_ci_u32_e64 v9, null, s9, v9, s5
	v_add_co_u32 v33, s5, v4, v13
	s_wait_alu 0xf1ff
	v_add_co_ci_u32_e64 v34, null, 0, v5, s5
	v_add_co_u32 v35, s5, v8, v12
	v_lshlrev_b64_e32 v[2:3], 3, v[2:3]
	v_lshlrev_b64_e32 v[4:5], 3, v[10:11]
	;; [unrolled: 1-line block ×3, first 2 shown]
	v_lshlrev_b32_e32 v30, 3, v1
	v_ashrrev_i32_e32 v1, 31, v0
	s_wait_alu 0xf1ff
	v_add_co_ci_u32_e64 v36, null, 0, v9, s5
	s_mov_b32 s25, 0
	s_and_b32 s8, s31, s33
	s_and_b32 s9, vcc_lo, s2
	s_and_b32 s12, s3, s4
	s_lshl_b64 s[2:3], s[26:27], 3
	s_branch .LBB336_6
.LBB336_5:                              ;   in Loop: Header=BB336_6 Depth=1
	s_wait_alu 0xfffe
	s_or_b32 exec_lo, exec_lo, s4
	s_add_co_i32 s24, s24, 0x10000
	s_delay_alu instid0(SALU_CYCLE_1)
	s_cmp_lt_u32 s24, s19
	s_cbranch_scc0 .LBB336_33
.LBB336_6:                              ; =>This Loop Header: Depth=1
                                        ;     Child Loop BB336_9 Depth 2
	s_lshl_b64 s[4:5], s[24:25], 3
	v_mov_b32_e32 v20, 0
	s_wait_alu 0xfffe
	s_add_nc_u64 s[26:27], s[16:17], s[4:5]
	v_mov_b32_e32 v12, 0
	global_load_b64 v[10:11], v32, s[26:27]
	v_dual_mov_b32 v21, 0 :: v_dual_mov_b32 v14, 0
	v_dual_mov_b32 v13, 0 :: v_dual_mov_b32 v8, 0
	v_mov_b32_e32 v15, 0
	v_mov_b32_e32 v9, 0
	s_and_not1_b32 vcc_lo, exec_lo, s8
	s_wait_alu 0xfffe
	s_cbranch_vccnz .LBB336_13
; %bb.7:                                ;   in Loop: Header=BB336_6 Depth=1
	s_add_nc_u64 s[26:27], s[6:7], s[4:5]
	s_add_nc_u64 s[4:5], s[10:11], s[4:5]
	s_clause 0x1
	global_load_b64 v[16:17], v32, s[26:27]
	global_load_b64 v[18:19], v32, s[4:5]
	v_mov_b32_e32 v8, 0
	v_dual_mov_b32 v14, 0 :: v_dual_mov_b32 v9, 0
	v_dual_mov_b32 v12, 0 :: v_dual_mov_b32 v15, 0
	;; [unrolled: 1-line block ×3, first 2 shown]
	v_mov_b32_e32 v21, 0
	s_mov_b32 s4, 0
	s_wait_loadcnt 0x1
	v_add_co_u32 v16, vcc_lo, v16, v33
	s_wait_alu 0xfffd
	v_add_co_ci_u32_e64 v17, null, v17, v34, vcc_lo
	s_wait_loadcnt 0x0
	v_add_co_u32 v18, vcc_lo, v18, v35
	s_wait_alu 0xfffd
	v_add_co_ci_u32_e64 v19, null, v19, v36, vcc_lo
	s_branch .LBB336_9
.LBB336_8:                              ;   in Loop: Header=BB336_9 Depth=2
	s_wait_alu 0xfffe
	s_or_b32 exec_lo, exec_lo, s5
	s_wait_loadcnt_dscnt 0x0
	ds_store_b64 v29, v[24:25]
	s_wait_dscnt 0x0
	s_barrier_signal -1
	s_barrier_wait -1
	global_inv scope:SCOPE_SE
	ds_load_b128 v[22:25], v31
	ds_load_2addr_b64 v[37:40], v30 offset1:16
	ds_load_b128 v[41:44], v31 offset:1024
	ds_load_b128 v[45:48], v31 offset:16
	;; [unrolled: 1-line block ×3, first 2 shown]
	v_add_co_u32 v16, vcc_lo, v16, 64
	s_wait_alu 0xfffd
	v_add_co_ci_u32_e64 v17, null, 0, v17, vcc_lo
	v_add_co_u32 v18, vcc_lo, v18, 64
	s_wait_alu 0xfffd
	v_add_co_ci_u32_e64 v19, null, 0, v19, vcc_lo
	s_add_co_i32 s4, s4, 8
	s_wait_alu 0xfffe
	s_cmp_lt_i32 s4, s21
	s_wait_dscnt 0x3
	v_fma_f64 v[20:21], v[37:38], v[22:23], v[20:21]
	v_fma_f64 v[22:23], v[39:40], v[22:23], v[14:15]
	s_wait_dscnt 0x2
	v_fma_f64 v[37:38], v[37:38], v[41:42], v[12:13]
	v_fma_f64 v[8:9], v[39:40], v[41:42], v[8:9]
	ds_load_2addr_b64 v[12:15], v30 offset0:32 offset1:48
	s_wait_dscnt 0x0
	v_fma_f64 v[20:21], v[12:13], v[24:25], v[20:21]
	v_fma_f64 v[22:23], v[14:15], v[24:25], v[22:23]
	v_fma_f64 v[24:25], v[12:13], v[43:44], v[37:38]
	v_fma_f64 v[8:9], v[14:15], v[43:44], v[8:9]
	ds_load_2addr_b64 v[12:15], v30 offset0:64 offset1:80
	s_wait_dscnt 0x0
	v_fma_f64 v[20:21], v[12:13], v[45:46], v[20:21]
	v_fma_f64 v[22:23], v[14:15], v[45:46], v[22:23]
	v_fma_f64 v[24:25], v[12:13], v[49:50], v[24:25]
	v_fma_f64 v[8:9], v[14:15], v[49:50], v[8:9]
	ds_load_2addr_b64 v[12:15], v30 offset0:96 offset1:112
	s_wait_dscnt 0x0
	v_fma_f64 v[49:50], v[12:13], v[47:48], v[20:21]
	v_fma_f64 v[53:54], v[14:15], v[47:48], v[22:23]
	v_fma_f64 v[24:25], v[12:13], v[51:52], v[24:25]
	v_fma_f64 v[8:9], v[14:15], v[51:52], v[8:9]
	ds_load_b128 v[12:15], v31 offset:32
	ds_load_2addr_b64 v[20:23], v30 offset0:128 offset1:144
	ds_load_b128 v[37:40], v31 offset:1056
	ds_load_b128 v[41:44], v31 offset:48
	;; [unrolled: 1-line block ×3, first 2 shown]
	s_wait_dscnt 0x3
	v_fma_f64 v[49:50], v[20:21], v[12:13], v[49:50]
	v_fma_f64 v[12:13], v[22:23], v[12:13], v[53:54]
	s_wait_dscnt 0x2
	v_fma_f64 v[24:25], v[20:21], v[37:38], v[24:25]
	v_fma_f64 v[8:9], v[22:23], v[37:38], v[8:9]
	ds_load_2addr_b64 v[20:23], v30 offset0:160 offset1:176
	s_wait_dscnt 0x0
	v_fma_f64 v[37:38], v[20:21], v[14:15], v[49:50]
	v_fma_f64 v[49:50], v[22:23], v[14:15], v[12:13]
	v_fma_f64 v[20:21], v[20:21], v[39:40], v[24:25]
	v_fma_f64 v[8:9], v[22:23], v[39:40], v[8:9]
	ds_load_2addr_b64 v[12:15], v30 offset0:192 offset1:208
	ds_load_2addr_b64 v[22:25], v30 offset0:224 offset1:240
	s_wait_loadcnt_dscnt 0x0
	s_barrier_signal -1
	s_barrier_wait -1
	global_inv scope:SCOPE_SE
	v_fma_f64 v[37:38], v[12:13], v[41:42], v[37:38]
	v_fma_f64 v[39:40], v[14:15], v[41:42], v[49:50]
	;; [unrolled: 1-line block ×4, first 2 shown]
	s_delay_alu instid0(VALU_DEP_4) | instskip(NEXT) | instid1(VALU_DEP_4)
	v_fma_f64 v[20:21], v[22:23], v[43:44], v[37:38]
	v_fma_f64 v[14:15], v[24:25], v[43:44], v[39:40]
	s_delay_alu instid0(VALU_DEP_4) | instskip(NEXT) | instid1(VALU_DEP_4)
	v_fma_f64 v[12:13], v[22:23], v[47:48], v[12:13]
	v_fma_f64 v[8:9], v[24:25], v[47:48], v[8:9]
	s_cbranch_scc0 .LBB336_13
.LBB336_9:                              ;   Parent Loop BB336_6 Depth=1
                                        ; =>  This Inner Loop Header: Depth=2
	s_wait_alu 0xfffe
	v_add_nc_u32_e32 v22, s4, v27
	s_delay_alu instid0(VALU_DEP_1) | instskip(SKIP_3) | instid1(SALU_CYCLE_1)
	v_cmp_gt_i32_e32 vcc_lo, s21, v22
	v_mov_b32_e32 v22, 0
	v_mov_b32_e32 v23, 0
	s_and_b32 s13, s0, vcc_lo
	s_and_saveexec_b32 s5, s13
	s_cbranch_execz .LBB336_11
; %bb.10:                               ;   in Loop: Header=BB336_9 Depth=2
	flat_load_b64 v[22:23], v[16:17]
.LBB336_11:                             ;   in Loop: Header=BB336_9 Depth=2
	s_wait_alu 0xfffe
	s_or_b32 exec_lo, exec_lo, s5
	v_add_nc_u32_e32 v24, s4, v26
	s_wait_loadcnt_dscnt 0x0
	ds_store_b64 v28, v[22:23]
	v_cmp_gt_i32_e32 vcc_lo, s21, v24
	v_mov_b32_e32 v24, 0
	v_mov_b32_e32 v25, 0
	s_and_b32 s13, vcc_lo, s1
	s_delay_alu instid0(SALU_CYCLE_1)
	s_and_saveexec_b32 s5, s13
	s_cbranch_execz .LBB336_8
; %bb.12:                               ;   in Loop: Header=BB336_9 Depth=2
	flat_load_b64 v[24:25], v[18:19]
	s_branch .LBB336_8
.LBB336_13:                             ;   in Loop: Header=BB336_6 Depth=1
	s_wait_loadcnt 0x0
	v_add_co_u32 v16, vcc_lo, v10, s2
	s_wait_alu 0xfffd
	v_add_co_ci_u32_e64 v17, null, s3, v11, vcc_lo
	s_delay_alu instid0(VALU_DEP_2) | instskip(SKIP_1) | instid1(VALU_DEP_2)
	v_add_co_u32 v18, vcc_lo, v16, v2
	s_wait_alu 0xfffd
	v_add_co_ci_u32_e64 v19, null, v17, v3, vcc_lo
	s_and_saveexec_b32 s4, s20
	s_cbranch_execz .LBB336_17
; %bb.14:                               ;   in Loop: Header=BB336_6 Depth=1
	v_mul_f64_e32 v[10:11], s[22:23], v[20:21]
	s_and_b32 vcc_lo, exec_lo, s28
	s_wait_alu 0xfffe
	s_cbranch_vccz .LBB336_28
; %bb.15:                               ;   in Loop: Header=BB336_6 Depth=1
	v_add_co_u32 v20, vcc_lo, v18, v6
	s_wait_alu 0xfffd
	v_add_co_ci_u32_e64 v21, null, v19, v7, vcc_lo
	flat_load_b64 v[22:23], v[20:21]
	s_wait_loadcnt_dscnt 0x0
	v_fma_f64 v[22:23], s[14:15], v[22:23], v[10:11]
	flat_store_b64 v[20:21], v[22:23]
	s_cbranch_execnz .LBB336_17
.LBB336_16:                             ;   in Loop: Header=BB336_6 Depth=1
	v_add_co_u32 v20, vcc_lo, v18, v6
	s_wait_alu 0xfffd
	v_add_co_ci_u32_e64 v21, null, v19, v7, vcc_lo
	flat_store_b64 v[20:21], v[10:11]
.LBB336_17:                             ;   in Loop: Header=BB336_6 Depth=1
	s_wait_alu 0xfffe
	s_or_b32 exec_lo, exec_lo, s4
	s_and_saveexec_b32 s4, s29
	s_cbranch_execz .LBB336_21
; %bb.18:                               ;   in Loop: Header=BB336_6 Depth=1
	v_mul_f64_e32 v[10:11], s[22:23], v[14:15]
	s_and_not1_b32 vcc_lo, exec_lo, s28
	s_wait_alu 0xfffe
	s_cbranch_vccnz .LBB336_29
; %bb.19:                               ;   in Loop: Header=BB336_6 Depth=1
	v_lshlrev_b64_e32 v[14:15], 3, v[0:1]
	s_delay_alu instid0(VALU_DEP_1) | instskip(SKIP_1) | instid1(VALU_DEP_2)
	v_add_co_u32 v14, vcc_lo, v18, v14
	s_wait_alu 0xfffd
	v_add_co_ci_u32_e64 v15, null, v19, v15, vcc_lo
	flat_load_b64 v[20:21], v[14:15]
	s_wait_loadcnt_dscnt 0x0
	v_fma_f64 v[20:21], s[14:15], v[20:21], v[10:11]
	flat_store_b64 v[14:15], v[20:21]
	s_cbranch_execnz .LBB336_21
.LBB336_20:                             ;   in Loop: Header=BB336_6 Depth=1
	v_lshlrev_b64_e32 v[14:15], 3, v[0:1]
	s_delay_alu instid0(VALU_DEP_1) | instskip(SKIP_1) | instid1(VALU_DEP_2)
	v_add_co_u32 v14, vcc_lo, v18, v14
	s_wait_alu 0xfffd
	v_add_co_ci_u32_e64 v15, null, v19, v15, vcc_lo
	flat_store_b64 v[14:15], v[10:11]
.LBB336_21:                             ;   in Loop: Header=BB336_6 Depth=1
	s_wait_alu 0xfffe
	s_or_b32 exec_lo, exec_lo, s4
	v_add_co_u32 v14, vcc_lo, v16, v4
	s_wait_alu 0xfffd
	v_add_co_ci_u32_e64 v15, null, v17, v5, vcc_lo
	s_and_saveexec_b32 s4, s9
	s_cbranch_execz .LBB336_25
; %bb.22:                               ;   in Loop: Header=BB336_6 Depth=1
	v_mul_f64_e32 v[10:11], s[22:23], v[12:13]
	s_and_not1_b32 vcc_lo, exec_lo, s28
	s_wait_alu 0xfffe
	s_cbranch_vccnz .LBB336_30
; %bb.23:                               ;   in Loop: Header=BB336_6 Depth=1
	v_add_co_u32 v12, vcc_lo, v14, v6
	s_wait_alu 0xfffd
	v_add_co_ci_u32_e64 v13, null, v15, v7, vcc_lo
	flat_load_b64 v[16:17], v[12:13]
	s_wait_loadcnt_dscnt 0x0
	v_fma_f64 v[16:17], s[14:15], v[16:17], v[10:11]
	flat_store_b64 v[12:13], v[16:17]
	s_cbranch_execnz .LBB336_25
.LBB336_24:                             ;   in Loop: Header=BB336_6 Depth=1
	v_add_co_u32 v12, vcc_lo, v14, v6
	s_wait_alu 0xfffd
	v_add_co_ci_u32_e64 v13, null, v15, v7, vcc_lo
	flat_store_b64 v[12:13], v[10:11]
.LBB336_25:                             ;   in Loop: Header=BB336_6 Depth=1
	s_wait_alu 0xfffe
	s_or_b32 exec_lo, exec_lo, s4
	s_and_saveexec_b32 s4, s12
	s_cbranch_execz .LBB336_5
; %bb.26:                               ;   in Loop: Header=BB336_6 Depth=1
	v_mul_f64_e32 v[8:9], s[22:23], v[8:9]
	v_lshlrev_b64_e32 v[10:11], 3, v[0:1]
	s_and_not1_b32 vcc_lo, exec_lo, s28
	s_wait_alu 0xfffe
	s_cbranch_vccnz .LBB336_31
; %bb.27:                               ;   in Loop: Header=BB336_6 Depth=1
	s_delay_alu instid0(VALU_DEP_1)
	v_add_co_u32 v12, vcc_lo, v14, v10
	s_wait_alu 0xfffd
	v_add_co_ci_u32_e64 v13, null, v15, v11, vcc_lo
	flat_load_b64 v[16:17], v[12:13]
	s_wait_loadcnt_dscnt 0x0
	v_fma_f64 v[16:17], s[14:15], v[16:17], v[8:9]
	flat_store_b64 v[12:13], v[16:17]
	s_cbranch_execnz .LBB336_5
	s_branch .LBB336_32
.LBB336_28:                             ;   in Loop: Header=BB336_6 Depth=1
	s_branch .LBB336_16
.LBB336_29:                             ;   in Loop: Header=BB336_6 Depth=1
	s_branch .LBB336_20
.LBB336_30:                             ;   in Loop: Header=BB336_6 Depth=1
	s_branch .LBB336_24
.LBB336_31:                             ;   in Loop: Header=BB336_6 Depth=1
.LBB336_32:                             ;   in Loop: Header=BB336_6 Depth=1
	s_delay_alu instid0(VALU_DEP_1)
	v_add_co_u32 v10, vcc_lo, v14, v10
	s_wait_alu 0xfffd
	v_add_co_ci_u32_e64 v11, null, v15, v11, vcc_lo
	flat_store_b64 v[10:11], v[8:9]
	s_branch .LBB336_5
.LBB336_33:
	s_endpgm
	.section	.rodata,"a",@progbits
	.p2align	6, 0x0
	.amdhsa_kernel _ZL29rocblas_internal_gemmt_kernelIiLi16ELi32ELi8ELc84ELc78ELc76ELb0ELb0EdPKdPKS1_PKPdEviT_T9_T10_S7_lS9_S7_lS8_T11_S7_li
		.amdhsa_group_segment_fixed_size 4096
		.amdhsa_private_segment_fixed_size 0
		.amdhsa_kernarg_size 100
		.amdhsa_user_sgpr_count 2
		.amdhsa_user_sgpr_dispatch_ptr 0
		.amdhsa_user_sgpr_queue_ptr 0
		.amdhsa_user_sgpr_kernarg_segment_ptr 1
		.amdhsa_user_sgpr_dispatch_id 0
		.amdhsa_user_sgpr_private_segment_size 0
		.amdhsa_wavefront_size32 1
		.amdhsa_uses_dynamic_stack 0
		.amdhsa_enable_private_segment 0
		.amdhsa_system_sgpr_workgroup_id_x 1
		.amdhsa_system_sgpr_workgroup_id_y 1
		.amdhsa_system_sgpr_workgroup_id_z 1
		.amdhsa_system_sgpr_workgroup_info 0
		.amdhsa_system_vgpr_workitem_id 1
		.amdhsa_next_free_vgpr 55
		.amdhsa_next_free_sgpr 34
		.amdhsa_reserve_vcc 1
		.amdhsa_float_round_mode_32 0
		.amdhsa_float_round_mode_16_64 0
		.amdhsa_float_denorm_mode_32 3
		.amdhsa_float_denorm_mode_16_64 3
		.amdhsa_fp16_overflow 0
		.amdhsa_workgroup_processor_mode 1
		.amdhsa_memory_ordered 1
		.amdhsa_forward_progress 1
		.amdhsa_inst_pref_size 17
		.amdhsa_round_robin_scheduling 0
		.amdhsa_exception_fp_ieee_invalid_op 0
		.amdhsa_exception_fp_denorm_src 0
		.amdhsa_exception_fp_ieee_div_zero 0
		.amdhsa_exception_fp_ieee_overflow 0
		.amdhsa_exception_fp_ieee_underflow 0
		.amdhsa_exception_fp_ieee_inexact 0
		.amdhsa_exception_int_div_zero 0
	.end_amdhsa_kernel
	.section	.text._ZL29rocblas_internal_gemmt_kernelIiLi16ELi32ELi8ELc84ELc78ELc76ELb0ELb0EdPKdPKS1_PKPdEviT_T9_T10_S7_lS9_S7_lS8_T11_S7_li,"axG",@progbits,_ZL29rocblas_internal_gemmt_kernelIiLi16ELi32ELi8ELc84ELc78ELc76ELb0ELb0EdPKdPKS1_PKPdEviT_T9_T10_S7_lS9_S7_lS8_T11_S7_li,comdat
.Lfunc_end336:
	.size	_ZL29rocblas_internal_gemmt_kernelIiLi16ELi32ELi8ELc84ELc78ELc76ELb0ELb0EdPKdPKS1_PKPdEviT_T9_T10_S7_lS9_S7_lS8_T11_S7_li, .Lfunc_end336-_ZL29rocblas_internal_gemmt_kernelIiLi16ELi32ELi8ELc84ELc78ELc76ELb0ELb0EdPKdPKS1_PKPdEviT_T9_T10_S7_lS9_S7_lS8_T11_S7_li
                                        ; -- End function
	.set _ZL29rocblas_internal_gemmt_kernelIiLi16ELi32ELi8ELc84ELc78ELc76ELb0ELb0EdPKdPKS1_PKPdEviT_T9_T10_S7_lS9_S7_lS8_T11_S7_li.num_vgpr, 55
	.set _ZL29rocblas_internal_gemmt_kernelIiLi16ELi32ELi8ELc84ELc78ELc76ELb0ELb0EdPKdPKS1_PKPdEviT_T9_T10_S7_lS9_S7_lS8_T11_S7_li.num_agpr, 0
	.set _ZL29rocblas_internal_gemmt_kernelIiLi16ELi32ELi8ELc84ELc78ELc76ELb0ELb0EdPKdPKS1_PKPdEviT_T9_T10_S7_lS9_S7_lS8_T11_S7_li.numbered_sgpr, 34
	.set _ZL29rocblas_internal_gemmt_kernelIiLi16ELi32ELi8ELc84ELc78ELc76ELb0ELb0EdPKdPKS1_PKPdEviT_T9_T10_S7_lS9_S7_lS8_T11_S7_li.num_named_barrier, 0
	.set _ZL29rocblas_internal_gemmt_kernelIiLi16ELi32ELi8ELc84ELc78ELc76ELb0ELb0EdPKdPKS1_PKPdEviT_T9_T10_S7_lS9_S7_lS8_T11_S7_li.private_seg_size, 0
	.set _ZL29rocblas_internal_gemmt_kernelIiLi16ELi32ELi8ELc84ELc78ELc76ELb0ELb0EdPKdPKS1_PKPdEviT_T9_T10_S7_lS9_S7_lS8_T11_S7_li.uses_vcc, 1
	.set _ZL29rocblas_internal_gemmt_kernelIiLi16ELi32ELi8ELc84ELc78ELc76ELb0ELb0EdPKdPKS1_PKPdEviT_T9_T10_S7_lS9_S7_lS8_T11_S7_li.uses_flat_scratch, 0
	.set _ZL29rocblas_internal_gemmt_kernelIiLi16ELi32ELi8ELc84ELc78ELc76ELb0ELb0EdPKdPKS1_PKPdEviT_T9_T10_S7_lS9_S7_lS8_T11_S7_li.has_dyn_sized_stack, 0
	.set _ZL29rocblas_internal_gemmt_kernelIiLi16ELi32ELi8ELc84ELc78ELc76ELb0ELb0EdPKdPKS1_PKPdEviT_T9_T10_S7_lS9_S7_lS8_T11_S7_li.has_recursion, 0
	.set _ZL29rocblas_internal_gemmt_kernelIiLi16ELi32ELi8ELc84ELc78ELc76ELb0ELb0EdPKdPKS1_PKPdEviT_T9_T10_S7_lS9_S7_lS8_T11_S7_li.has_indirect_call, 0
	.section	.AMDGPU.csdata,"",@progbits
; Kernel info:
; codeLenInByte = 2072
; TotalNumSgprs: 36
; NumVgprs: 55
; ScratchSize: 0
; MemoryBound: 0
; FloatMode: 240
; IeeeMode: 1
; LDSByteSize: 4096 bytes/workgroup (compile time only)
; SGPRBlocks: 0
; VGPRBlocks: 6
; NumSGPRsForWavesPerEU: 36
; NumVGPRsForWavesPerEU: 55
; Occupancy: 16
; WaveLimiterHint : 1
; COMPUTE_PGM_RSRC2:SCRATCH_EN: 0
; COMPUTE_PGM_RSRC2:USER_SGPR: 2
; COMPUTE_PGM_RSRC2:TRAP_HANDLER: 0
; COMPUTE_PGM_RSRC2:TGID_X_EN: 1
; COMPUTE_PGM_RSRC2:TGID_Y_EN: 1
; COMPUTE_PGM_RSRC2:TGID_Z_EN: 1
; COMPUTE_PGM_RSRC2:TIDIG_COMP_CNT: 1
	.section	.text._ZL29rocblas_internal_gemmt_kernelIiLi16ELi32ELi8ELc84ELc84ELc76ELb0ELb0EdPKdPKS1_PKPdEviT_T9_T10_S7_lS9_S7_lS8_T11_S7_li,"axG",@progbits,_ZL29rocblas_internal_gemmt_kernelIiLi16ELi32ELi8ELc84ELc84ELc76ELb0ELb0EdPKdPKS1_PKPdEviT_T9_T10_S7_lS9_S7_lS8_T11_S7_li,comdat
	.globl	_ZL29rocblas_internal_gemmt_kernelIiLi16ELi32ELi8ELc84ELc84ELc76ELb0ELb0EdPKdPKS1_PKPdEviT_T9_T10_S7_lS9_S7_lS8_T11_S7_li ; -- Begin function _ZL29rocblas_internal_gemmt_kernelIiLi16ELi32ELi8ELc84ELc84ELc76ELb0ELb0EdPKdPKS1_PKPdEviT_T9_T10_S7_lS9_S7_lS8_T11_S7_li
	.p2align	8
	.type	_ZL29rocblas_internal_gemmt_kernelIiLi16ELi32ELi8ELc84ELc84ELc76ELb0ELb0EdPKdPKS1_PKPdEviT_T9_T10_S7_lS9_S7_lS8_T11_S7_li,@function
_ZL29rocblas_internal_gemmt_kernelIiLi16ELi32ELi8ELc84ELc84ELc76ELb0ELb0EdPKdPKS1_PKPdEviT_T9_T10_S7_lS9_S7_lS8_T11_S7_li: ; @_ZL29rocblas_internal_gemmt_kernelIiLi16ELi32ELi8ELc84ELc84ELc76ELb0ELb0EdPKdPKS1_PKPdEviT_T9_T10_S7_lS9_S7_lS8_T11_S7_li
; %bb.0:
	s_load_b128 s[12:15], s[0:1], 0x38
	s_wait_kmcnt 0x0
	s_load_b64 s[14:15], s[14:15], 0x0
	s_clause 0x1
	s_load_b128 s[4:7], s[0:1], 0x8
	s_load_b64 s[20:21], s[0:1], 0x0
	s_wait_kmcnt 0x0
	s_load_b64 s[4:5], s[4:5], 0x0
	v_cmp_neq_f64_e64 s2, s[14:15], 1.0
	s_and_b32 vcc_lo, exec_lo, s2
	s_cbranch_vccnz .LBB337_2
; %bb.1:
	s_wait_kmcnt 0x0
	v_cmp_neq_f64_e64 s2, s[4:5], 0
	s_cmp_lg_u32 s21, 0
	s_cselect_b32 s3, -1, 0
	s_delay_alu instid0(SALU_CYCLE_1)
	s_and_b32 s2, s3, s2
.LBB337_2:
	s_delay_alu instid0(SALU_CYCLE_1)
	s_and_not1_b32 vcc_lo, exec_lo, s2
	s_cbranch_vccnz .LBB337_33
; %bb.3:
	s_load_b32 s19, s[0:1], 0x60
	s_lshr_b32 s22, ttmp7, 16
	s_wait_kmcnt 0x0
	s_cmp_ge_u32 s22, s19
	s_cbranch_scc1 .LBB337_33
; %bb.4:
	v_dual_mov_b32 v32, 0 :: v_dual_and_b32 v1, 0x3ff, v0
	v_bfe_u32 v2, v0, 10, 10
	s_load_b32 s24, s[0:1], 0x30
	v_and_b32_e32 v26, 7, v0
	s_clause 0x3
	s_load_b32 s30, s[0:1], 0x18
	s_load_b128 s[8:11], s[0:1], 0x20
	s_load_b96 s[16:18], s[0:1], 0x48
	s_load_b64 s[26:27], s[0:1], 0x58
	v_lshl_add_u32 v0, v2, 4, v1
	s_lshl_b32 s0, ttmp7, 5
	v_lshlrev_b32_e32 v4, 3, v26
	s_lshl_b32 s1, ttmp9, 5
	s_and_b32 s2, s0, 0x1fffe0
	v_and_b32_e32 v3, 31, v0
	v_lshrrev_b32_e32 v27, 5, v0
	v_lshrrev_b32_e32 v0, 3, v0
	v_cmp_neq_f64_e64 s31, s[4:5], 0
	v_add_nc_u32_e32 v6, s1, v1
	v_cmp_neq_f64_e64 s28, s[14:15], 0
	v_or_b32_e32 v5, s1, v3
	v_add_nc_u32_e32 v12, s2, v0
	v_lshl_or_b32 v0, v0, 6, v4
	v_add_nc_u32_e32 v4, s2, v2
	v_lshlrev_b32_e32 v3, 3, v3
	v_cmp_gt_i32_e64 s2, s20, v6
	s_wait_kmcnt 0x0
	s_ashr_i32 s25, s24, 31
	v_add_nc_u32_e32 v29, 0x800, v0
	v_cmp_le_i32_e32 vcc_lo, v4, v6
	v_add_nc_u32_e32 v0, 16, v6
	s_cmp_gt_i32 s21, 0
	v_cmp_gt_i32_e64 s0, s20, v5
	s_cselect_b32 s33, -1, 0
	v_lshl_or_b32 v28, v27, 8, v3
	v_lshl_add_u32 v31, v2, 6, 0x800
	v_mad_co_i64_i32 v[2:3], null, v4, s18, 0
	s_and_b32 s29, vcc_lo, s2
	v_cmp_le_i32_e32 vcc_lo, v4, v0
	v_add_nc_u32_e32 v13, 16, v4
	v_mad_co_i64_i32 v[4:5], null, s30, v5, 0
	v_cmp_gt_i32_e64 s3, s20, v0
	v_mad_co_i64_i32 v[8:9], null, s24, v26, 0
	v_cmp_gt_i32_e64 s1, s20, v12
	s_lshl_b64 s[8:9], s[8:9], 3
	s_and_b32 s20, vcc_lo, s3
	v_lshlrev_b64_e32 v[4:5], 3, v[4:5]
	v_cmp_le_i32_e32 vcc_lo, v13, v6
	v_mad_co_i64_i32 v[10:11], null, v13, s18, 0
	v_lshlrev_b64_e32 v[8:9], 3, v[8:9]
	v_lshlrev_b32_e32 v12, 3, v12
	s_and_b32 s18, vcc_lo, s2
	v_add_co_u32 v4, s2, v4, s8
	v_cmp_le_i32_e32 vcc_lo, v13, v0
	s_wait_alu 0xf1ff
	v_add_co_ci_u32_e64 v5, null, s9, v5, s2
	v_lshlrev_b32_e32 v13, 3, v27
	s_lshl_b64 s[8:9], s[12:13], 3
	v_ashrrev_i32_e32 v7, 31, v6
	s_wait_alu 0xfffe
	v_add_co_u32 v8, s2, v8, s8
	s_wait_alu 0xf1ff
	v_add_co_ci_u32_e64 v9, null, s9, v9, s2
	v_add_co_u32 v33, s2, v4, v13
	s_wait_alu 0xf1ff
	v_add_co_ci_u32_e64 v34, null, 0, v5, s2
	v_add_co_u32 v35, s2, v8, v12
	v_lshlrev_b64_e32 v[2:3], 3, v[2:3]
	v_lshlrev_b64_e32 v[4:5], 3, v[10:11]
	;; [unrolled: 1-line block ×3, first 2 shown]
	v_lshlrev_b32_e32 v30, 3, v1
	v_ashrrev_i32_e32 v1, 31, v0
	s_wait_alu 0xf1ff
	v_add_co_ci_u32_e64 v36, null, 0, v9, s2
	s_mov_b32 s23, 0
	s_and_b32 s30, s31, s33
	s_and_b32 s31, vcc_lo, s3
	s_lshl_b64 s[2:3], s[24:25], 6
	s_lshl_b64 s[8:9], s[26:27], 3
	s_branch .LBB337_6
.LBB337_5:                              ;   in Loop: Header=BB337_6 Depth=1
	s_wait_alu 0xfffe
	s_or_b32 exec_lo, exec_lo, s12
	s_add_co_i32 s22, s22, 0x10000
	s_delay_alu instid0(SALU_CYCLE_1)
	s_cmp_lt_u32 s22, s19
	s_cbranch_scc0 .LBB337_33
.LBB337_6:                              ; =>This Loop Header: Depth=1
                                        ;     Child Loop BB337_9 Depth 2
	s_lshl_b64 s[12:13], s[22:23], 3
	v_mov_b32_e32 v20, 0
	s_wait_alu 0xfffe
	s_add_nc_u64 s[24:25], s[16:17], s[12:13]
	v_mov_b32_e32 v12, 0
	global_load_b64 v[10:11], v32, s[24:25]
	v_dual_mov_b32 v21, 0 :: v_dual_mov_b32 v14, 0
	v_dual_mov_b32 v13, 0 :: v_dual_mov_b32 v8, 0
	v_mov_b32_e32 v15, 0
	v_mov_b32_e32 v9, 0
	s_and_not1_b32 vcc_lo, exec_lo, s30
	s_wait_alu 0xfffe
	s_cbranch_vccnz .LBB337_13
; %bb.7:                                ;   in Loop: Header=BB337_6 Depth=1
	s_add_nc_u64 s[24:25], s[6:7], s[12:13]
	s_add_nc_u64 s[12:13], s[10:11], s[12:13]
	s_clause 0x1
	global_load_b64 v[16:17], v32, s[24:25]
	global_load_b64 v[18:19], v32, s[12:13]
	v_mov_b32_e32 v8, 0
	v_dual_mov_b32 v14, 0 :: v_dual_mov_b32 v9, 0
	v_dual_mov_b32 v12, 0 :: v_dual_mov_b32 v15, 0
	;; [unrolled: 1-line block ×3, first 2 shown]
	v_mov_b32_e32 v21, 0
	s_mov_b32 s12, 0
	s_wait_loadcnt 0x1
	v_add_co_u32 v16, vcc_lo, v16, v33
	s_wait_alu 0xfffd
	v_add_co_ci_u32_e64 v17, null, v17, v34, vcc_lo
	s_wait_loadcnt 0x0
	v_add_co_u32 v18, vcc_lo, v18, v35
	s_wait_alu 0xfffd
	v_add_co_ci_u32_e64 v19, null, v19, v36, vcc_lo
	s_branch .LBB337_9
.LBB337_8:                              ;   in Loop: Header=BB337_9 Depth=2
	s_wait_alu 0xfffe
	s_or_b32 exec_lo, exec_lo, s13
	s_wait_loadcnt_dscnt 0x0
	ds_store_b64 v29, v[24:25]
	s_wait_dscnt 0x0
	s_barrier_signal -1
	s_barrier_wait -1
	global_inv scope:SCOPE_SE
	ds_load_b128 v[22:25], v31
	ds_load_2addr_b64 v[37:40], v30 offset1:16
	ds_load_b128 v[41:44], v31 offset:1024
	ds_load_b128 v[45:48], v31 offset:16
	;; [unrolled: 1-line block ×3, first 2 shown]
	v_add_co_u32 v16, vcc_lo, v16, 64
	s_wait_alu 0xfffd
	v_add_co_ci_u32_e64 v17, null, 0, v17, vcc_lo
	v_add_co_u32 v18, vcc_lo, v18, s2
	s_wait_alu 0xfffd
	v_add_co_ci_u32_e64 v19, null, s3, v19, vcc_lo
	s_add_co_i32 s12, s12, 8
	s_wait_alu 0xfffe
	s_cmp_lt_i32 s12, s21
	s_wait_dscnt 0x3
	v_fma_f64 v[20:21], v[37:38], v[22:23], v[20:21]
	v_fma_f64 v[22:23], v[39:40], v[22:23], v[14:15]
	s_wait_dscnt 0x2
	v_fma_f64 v[37:38], v[37:38], v[41:42], v[12:13]
	v_fma_f64 v[8:9], v[39:40], v[41:42], v[8:9]
	ds_load_2addr_b64 v[12:15], v30 offset0:32 offset1:48
	s_wait_dscnt 0x0
	v_fma_f64 v[20:21], v[12:13], v[24:25], v[20:21]
	v_fma_f64 v[22:23], v[14:15], v[24:25], v[22:23]
	v_fma_f64 v[24:25], v[12:13], v[43:44], v[37:38]
	v_fma_f64 v[8:9], v[14:15], v[43:44], v[8:9]
	ds_load_2addr_b64 v[12:15], v30 offset0:64 offset1:80
	s_wait_dscnt 0x0
	v_fma_f64 v[20:21], v[12:13], v[45:46], v[20:21]
	v_fma_f64 v[22:23], v[14:15], v[45:46], v[22:23]
	;; [unrolled: 6-line block ×3, first 2 shown]
	v_fma_f64 v[24:25], v[12:13], v[51:52], v[24:25]
	v_fma_f64 v[8:9], v[14:15], v[51:52], v[8:9]
	ds_load_b128 v[12:15], v31 offset:32
	ds_load_2addr_b64 v[20:23], v30 offset0:128 offset1:144
	ds_load_b128 v[37:40], v31 offset:1056
	ds_load_b128 v[41:44], v31 offset:48
	;; [unrolled: 1-line block ×3, first 2 shown]
	s_wait_dscnt 0x3
	v_fma_f64 v[49:50], v[20:21], v[12:13], v[49:50]
	v_fma_f64 v[12:13], v[22:23], v[12:13], v[53:54]
	s_wait_dscnt 0x2
	v_fma_f64 v[24:25], v[20:21], v[37:38], v[24:25]
	v_fma_f64 v[8:9], v[22:23], v[37:38], v[8:9]
	ds_load_2addr_b64 v[20:23], v30 offset0:160 offset1:176
	s_wait_dscnt 0x0
	v_fma_f64 v[37:38], v[20:21], v[14:15], v[49:50]
	v_fma_f64 v[49:50], v[22:23], v[14:15], v[12:13]
	;; [unrolled: 1-line block ×4, first 2 shown]
	ds_load_2addr_b64 v[12:15], v30 offset0:192 offset1:208
	ds_load_2addr_b64 v[22:25], v30 offset0:224 offset1:240
	s_wait_loadcnt_dscnt 0x0
	s_barrier_signal -1
	s_barrier_wait -1
	global_inv scope:SCOPE_SE
	v_fma_f64 v[37:38], v[12:13], v[41:42], v[37:38]
	v_fma_f64 v[39:40], v[14:15], v[41:42], v[49:50]
	;; [unrolled: 1-line block ×4, first 2 shown]
	s_delay_alu instid0(VALU_DEP_4) | instskip(NEXT) | instid1(VALU_DEP_4)
	v_fma_f64 v[20:21], v[22:23], v[43:44], v[37:38]
	v_fma_f64 v[14:15], v[24:25], v[43:44], v[39:40]
	s_delay_alu instid0(VALU_DEP_4) | instskip(NEXT) | instid1(VALU_DEP_4)
	v_fma_f64 v[12:13], v[22:23], v[47:48], v[12:13]
	v_fma_f64 v[8:9], v[24:25], v[47:48], v[8:9]
	s_cbranch_scc0 .LBB337_13
.LBB337_9:                              ;   Parent Loop BB337_6 Depth=1
                                        ; =>  This Inner Loop Header: Depth=2
	s_wait_alu 0xfffe
	v_add_nc_u32_e32 v22, s12, v27
	s_delay_alu instid0(VALU_DEP_1)
	v_cmp_gt_i32_e32 vcc_lo, s21, v22
	v_mov_b32_e32 v22, 0
	v_mov_b32_e32 v23, 0
	s_and_b32 s24, s0, vcc_lo
	s_wait_alu 0xfffe
	s_and_saveexec_b32 s13, s24
	s_cbranch_execz .LBB337_11
; %bb.10:                               ;   in Loop: Header=BB337_9 Depth=2
	flat_load_b64 v[22:23], v[16:17]
.LBB337_11:                             ;   in Loop: Header=BB337_9 Depth=2
	s_wait_alu 0xfffe
	s_or_b32 exec_lo, exec_lo, s13
	v_add_nc_u32_e32 v24, s12, v26
	s_wait_loadcnt_dscnt 0x0
	ds_store_b64 v28, v[22:23]
	v_cmp_gt_i32_e32 vcc_lo, s21, v24
	v_mov_b32_e32 v24, 0
	v_mov_b32_e32 v25, 0
	s_and_b32 s24, vcc_lo, s1
	s_wait_alu 0xfffe
	s_and_saveexec_b32 s13, s24
	s_cbranch_execz .LBB337_8
; %bb.12:                               ;   in Loop: Header=BB337_9 Depth=2
	flat_load_b64 v[24:25], v[18:19]
	s_branch .LBB337_8
.LBB337_13:                             ;   in Loop: Header=BB337_6 Depth=1
	s_wait_loadcnt 0x0
	v_add_co_u32 v16, vcc_lo, v10, s8
	s_wait_alu 0xfffd
	v_add_co_ci_u32_e64 v17, null, s9, v11, vcc_lo
	s_delay_alu instid0(VALU_DEP_2) | instskip(SKIP_1) | instid1(VALU_DEP_2)
	v_add_co_u32 v18, vcc_lo, v16, v2
	s_wait_alu 0xfffd
	v_add_co_ci_u32_e64 v19, null, v17, v3, vcc_lo
	s_and_saveexec_b32 s12, s29
	s_cbranch_execz .LBB337_17
; %bb.14:                               ;   in Loop: Header=BB337_6 Depth=1
	v_mul_f64_e32 v[10:11], s[4:5], v[20:21]
	s_and_b32 vcc_lo, exec_lo, s28
	s_wait_alu 0xfffe
	s_cbranch_vccz .LBB337_28
; %bb.15:                               ;   in Loop: Header=BB337_6 Depth=1
	v_add_co_u32 v20, vcc_lo, v18, v6
	s_wait_alu 0xfffd
	v_add_co_ci_u32_e64 v21, null, v19, v7, vcc_lo
	flat_load_b64 v[22:23], v[20:21]
	s_wait_loadcnt_dscnt 0x0
	v_fma_f64 v[22:23], s[14:15], v[22:23], v[10:11]
	flat_store_b64 v[20:21], v[22:23]
	s_cbranch_execnz .LBB337_17
.LBB337_16:                             ;   in Loop: Header=BB337_6 Depth=1
	v_add_co_u32 v20, vcc_lo, v18, v6
	s_wait_alu 0xfffd
	v_add_co_ci_u32_e64 v21, null, v19, v7, vcc_lo
	flat_store_b64 v[20:21], v[10:11]
.LBB337_17:                             ;   in Loop: Header=BB337_6 Depth=1
	s_wait_alu 0xfffe
	s_or_b32 exec_lo, exec_lo, s12
	s_and_saveexec_b32 s12, s20
	s_cbranch_execz .LBB337_21
; %bb.18:                               ;   in Loop: Header=BB337_6 Depth=1
	v_mul_f64_e32 v[10:11], s[4:5], v[14:15]
	s_and_not1_b32 vcc_lo, exec_lo, s28
	s_wait_alu 0xfffe
	s_cbranch_vccnz .LBB337_29
; %bb.19:                               ;   in Loop: Header=BB337_6 Depth=1
	v_lshlrev_b64_e32 v[14:15], 3, v[0:1]
	s_delay_alu instid0(VALU_DEP_1) | instskip(SKIP_1) | instid1(VALU_DEP_2)
	v_add_co_u32 v14, vcc_lo, v18, v14
	s_wait_alu 0xfffd
	v_add_co_ci_u32_e64 v15, null, v19, v15, vcc_lo
	flat_load_b64 v[20:21], v[14:15]
	s_wait_loadcnt_dscnt 0x0
	v_fma_f64 v[20:21], s[14:15], v[20:21], v[10:11]
	flat_store_b64 v[14:15], v[20:21]
	s_cbranch_execnz .LBB337_21
.LBB337_20:                             ;   in Loop: Header=BB337_6 Depth=1
	v_lshlrev_b64_e32 v[14:15], 3, v[0:1]
	s_delay_alu instid0(VALU_DEP_1) | instskip(SKIP_1) | instid1(VALU_DEP_2)
	v_add_co_u32 v14, vcc_lo, v18, v14
	s_wait_alu 0xfffd
	v_add_co_ci_u32_e64 v15, null, v19, v15, vcc_lo
	flat_store_b64 v[14:15], v[10:11]
.LBB337_21:                             ;   in Loop: Header=BB337_6 Depth=1
	s_wait_alu 0xfffe
	s_or_b32 exec_lo, exec_lo, s12
	v_add_co_u32 v14, vcc_lo, v16, v4
	s_wait_alu 0xfffd
	v_add_co_ci_u32_e64 v15, null, v17, v5, vcc_lo
	s_and_saveexec_b32 s12, s18
	s_cbranch_execz .LBB337_25
; %bb.22:                               ;   in Loop: Header=BB337_6 Depth=1
	v_mul_f64_e32 v[10:11], s[4:5], v[12:13]
	s_and_not1_b32 vcc_lo, exec_lo, s28
	s_wait_alu 0xfffe
	s_cbranch_vccnz .LBB337_30
; %bb.23:                               ;   in Loop: Header=BB337_6 Depth=1
	v_add_co_u32 v12, vcc_lo, v14, v6
	s_wait_alu 0xfffd
	v_add_co_ci_u32_e64 v13, null, v15, v7, vcc_lo
	flat_load_b64 v[16:17], v[12:13]
	s_wait_loadcnt_dscnt 0x0
	v_fma_f64 v[16:17], s[14:15], v[16:17], v[10:11]
	flat_store_b64 v[12:13], v[16:17]
	s_cbranch_execnz .LBB337_25
.LBB337_24:                             ;   in Loop: Header=BB337_6 Depth=1
	v_add_co_u32 v12, vcc_lo, v14, v6
	s_wait_alu 0xfffd
	v_add_co_ci_u32_e64 v13, null, v15, v7, vcc_lo
	flat_store_b64 v[12:13], v[10:11]
.LBB337_25:                             ;   in Loop: Header=BB337_6 Depth=1
	s_wait_alu 0xfffe
	s_or_b32 exec_lo, exec_lo, s12
	s_and_saveexec_b32 s12, s31
	s_cbranch_execz .LBB337_5
; %bb.26:                               ;   in Loop: Header=BB337_6 Depth=1
	v_mul_f64_e32 v[8:9], s[4:5], v[8:9]
	v_lshlrev_b64_e32 v[10:11], 3, v[0:1]
	s_and_not1_b32 vcc_lo, exec_lo, s28
	s_wait_alu 0xfffe
	s_cbranch_vccnz .LBB337_31
; %bb.27:                               ;   in Loop: Header=BB337_6 Depth=1
	s_delay_alu instid0(VALU_DEP_1)
	v_add_co_u32 v12, vcc_lo, v14, v10
	s_wait_alu 0xfffd
	v_add_co_ci_u32_e64 v13, null, v15, v11, vcc_lo
	flat_load_b64 v[16:17], v[12:13]
	s_wait_loadcnt_dscnt 0x0
	v_fma_f64 v[16:17], s[14:15], v[16:17], v[8:9]
	flat_store_b64 v[12:13], v[16:17]
	s_cbranch_execnz .LBB337_5
	s_branch .LBB337_32
.LBB337_28:                             ;   in Loop: Header=BB337_6 Depth=1
	s_branch .LBB337_16
.LBB337_29:                             ;   in Loop: Header=BB337_6 Depth=1
	s_branch .LBB337_20
.LBB337_30:                             ;   in Loop: Header=BB337_6 Depth=1
	s_branch .LBB337_24
.LBB337_31:                             ;   in Loop: Header=BB337_6 Depth=1
.LBB337_32:                             ;   in Loop: Header=BB337_6 Depth=1
	s_delay_alu instid0(VALU_DEP_1)
	v_add_co_u32 v10, vcc_lo, v14, v10
	s_wait_alu 0xfffd
	v_add_co_ci_u32_e64 v11, null, v15, v11, vcc_lo
	flat_store_b64 v[10:11], v[8:9]
	s_branch .LBB337_5
.LBB337_33:
	s_endpgm
	.section	.rodata,"a",@progbits
	.p2align	6, 0x0
	.amdhsa_kernel _ZL29rocblas_internal_gemmt_kernelIiLi16ELi32ELi8ELc84ELc84ELc76ELb0ELb0EdPKdPKS1_PKPdEviT_T9_T10_S7_lS9_S7_lS8_T11_S7_li
		.amdhsa_group_segment_fixed_size 4096
		.amdhsa_private_segment_fixed_size 0
		.amdhsa_kernarg_size 100
		.amdhsa_user_sgpr_count 2
		.amdhsa_user_sgpr_dispatch_ptr 0
		.amdhsa_user_sgpr_queue_ptr 0
		.amdhsa_user_sgpr_kernarg_segment_ptr 1
		.amdhsa_user_sgpr_dispatch_id 0
		.amdhsa_user_sgpr_private_segment_size 0
		.amdhsa_wavefront_size32 1
		.amdhsa_uses_dynamic_stack 0
		.amdhsa_enable_private_segment 0
		.amdhsa_system_sgpr_workgroup_id_x 1
		.amdhsa_system_sgpr_workgroup_id_y 1
		.amdhsa_system_sgpr_workgroup_id_z 1
		.amdhsa_system_sgpr_workgroup_info 0
		.amdhsa_system_vgpr_workitem_id 1
		.amdhsa_next_free_vgpr 55
		.amdhsa_next_free_sgpr 34
		.amdhsa_reserve_vcc 1
		.amdhsa_float_round_mode_32 0
		.amdhsa_float_round_mode_16_64 0
		.amdhsa_float_denorm_mode_32 3
		.amdhsa_float_denorm_mode_16_64 3
		.amdhsa_fp16_overflow 0
		.amdhsa_workgroup_processor_mode 1
		.amdhsa_memory_ordered 1
		.amdhsa_forward_progress 1
		.amdhsa_inst_pref_size 17
		.amdhsa_round_robin_scheduling 0
		.amdhsa_exception_fp_ieee_invalid_op 0
		.amdhsa_exception_fp_denorm_src 0
		.amdhsa_exception_fp_ieee_div_zero 0
		.amdhsa_exception_fp_ieee_overflow 0
		.amdhsa_exception_fp_ieee_underflow 0
		.amdhsa_exception_fp_ieee_inexact 0
		.amdhsa_exception_int_div_zero 0
	.end_amdhsa_kernel
	.section	.text._ZL29rocblas_internal_gemmt_kernelIiLi16ELi32ELi8ELc84ELc84ELc76ELb0ELb0EdPKdPKS1_PKPdEviT_T9_T10_S7_lS9_S7_lS8_T11_S7_li,"axG",@progbits,_ZL29rocblas_internal_gemmt_kernelIiLi16ELi32ELi8ELc84ELc84ELc76ELb0ELb0EdPKdPKS1_PKPdEviT_T9_T10_S7_lS9_S7_lS8_T11_S7_li,comdat
.Lfunc_end337:
	.size	_ZL29rocblas_internal_gemmt_kernelIiLi16ELi32ELi8ELc84ELc84ELc76ELb0ELb0EdPKdPKS1_PKPdEviT_T9_T10_S7_lS9_S7_lS8_T11_S7_li, .Lfunc_end337-_ZL29rocblas_internal_gemmt_kernelIiLi16ELi32ELi8ELc84ELc84ELc76ELb0ELb0EdPKdPKS1_PKPdEviT_T9_T10_S7_lS9_S7_lS8_T11_S7_li
                                        ; -- End function
	.set _ZL29rocblas_internal_gemmt_kernelIiLi16ELi32ELi8ELc84ELc84ELc76ELb0ELb0EdPKdPKS1_PKPdEviT_T9_T10_S7_lS9_S7_lS8_T11_S7_li.num_vgpr, 55
	.set _ZL29rocblas_internal_gemmt_kernelIiLi16ELi32ELi8ELc84ELc84ELc76ELb0ELb0EdPKdPKS1_PKPdEviT_T9_T10_S7_lS9_S7_lS8_T11_S7_li.num_agpr, 0
	.set _ZL29rocblas_internal_gemmt_kernelIiLi16ELi32ELi8ELc84ELc84ELc76ELb0ELb0EdPKdPKS1_PKPdEviT_T9_T10_S7_lS9_S7_lS8_T11_S7_li.numbered_sgpr, 34
	.set _ZL29rocblas_internal_gemmt_kernelIiLi16ELi32ELi8ELc84ELc84ELc76ELb0ELb0EdPKdPKS1_PKPdEviT_T9_T10_S7_lS9_S7_lS8_T11_S7_li.num_named_barrier, 0
	.set _ZL29rocblas_internal_gemmt_kernelIiLi16ELi32ELi8ELc84ELc84ELc76ELb0ELb0EdPKdPKS1_PKPdEviT_T9_T10_S7_lS9_S7_lS8_T11_S7_li.private_seg_size, 0
	.set _ZL29rocblas_internal_gemmt_kernelIiLi16ELi32ELi8ELc84ELc84ELc76ELb0ELb0EdPKdPKS1_PKPdEviT_T9_T10_S7_lS9_S7_lS8_T11_S7_li.uses_vcc, 1
	.set _ZL29rocblas_internal_gemmt_kernelIiLi16ELi32ELi8ELc84ELc84ELc76ELb0ELb0EdPKdPKS1_PKPdEviT_T9_T10_S7_lS9_S7_lS8_T11_S7_li.uses_flat_scratch, 0
	.set _ZL29rocblas_internal_gemmt_kernelIiLi16ELi32ELi8ELc84ELc84ELc76ELb0ELb0EdPKdPKS1_PKPdEviT_T9_T10_S7_lS9_S7_lS8_T11_S7_li.has_dyn_sized_stack, 0
	.set _ZL29rocblas_internal_gemmt_kernelIiLi16ELi32ELi8ELc84ELc84ELc76ELb0ELb0EdPKdPKS1_PKPdEviT_T9_T10_S7_lS9_S7_lS8_T11_S7_li.has_recursion, 0
	.set _ZL29rocblas_internal_gemmt_kernelIiLi16ELi32ELi8ELc84ELc84ELc76ELb0ELb0EdPKdPKS1_PKPdEviT_T9_T10_S7_lS9_S7_lS8_T11_S7_li.has_indirect_call, 0
	.section	.AMDGPU.csdata,"",@progbits
; Kernel info:
; codeLenInByte = 2080
; TotalNumSgprs: 36
; NumVgprs: 55
; ScratchSize: 0
; MemoryBound: 0
; FloatMode: 240
; IeeeMode: 1
; LDSByteSize: 4096 bytes/workgroup (compile time only)
; SGPRBlocks: 0
; VGPRBlocks: 6
; NumSGPRsForWavesPerEU: 36
; NumVGPRsForWavesPerEU: 55
; Occupancy: 16
; WaveLimiterHint : 1
; COMPUTE_PGM_RSRC2:SCRATCH_EN: 0
; COMPUTE_PGM_RSRC2:USER_SGPR: 2
; COMPUTE_PGM_RSRC2:TRAP_HANDLER: 0
; COMPUTE_PGM_RSRC2:TGID_X_EN: 1
; COMPUTE_PGM_RSRC2:TGID_Y_EN: 1
; COMPUTE_PGM_RSRC2:TGID_Z_EN: 1
; COMPUTE_PGM_RSRC2:TIDIG_COMP_CNT: 1
	.section	.text._ZL29rocblas_internal_gemmt_kernelIiLi16ELi32ELi8ELc84ELc67ELc76ELb0ELb0EdPKdPKS1_PKPdEviT_T9_T10_S7_lS9_S7_lS8_T11_S7_li,"axG",@progbits,_ZL29rocblas_internal_gemmt_kernelIiLi16ELi32ELi8ELc84ELc67ELc76ELb0ELb0EdPKdPKS1_PKPdEviT_T9_T10_S7_lS9_S7_lS8_T11_S7_li,comdat
	.globl	_ZL29rocblas_internal_gemmt_kernelIiLi16ELi32ELi8ELc84ELc67ELc76ELb0ELb0EdPKdPKS1_PKPdEviT_T9_T10_S7_lS9_S7_lS8_T11_S7_li ; -- Begin function _ZL29rocblas_internal_gemmt_kernelIiLi16ELi32ELi8ELc84ELc67ELc76ELb0ELb0EdPKdPKS1_PKPdEviT_T9_T10_S7_lS9_S7_lS8_T11_S7_li
	.p2align	8
	.type	_ZL29rocblas_internal_gemmt_kernelIiLi16ELi32ELi8ELc84ELc67ELc76ELb0ELb0EdPKdPKS1_PKPdEviT_T9_T10_S7_lS9_S7_lS8_T11_S7_li,@function
_ZL29rocblas_internal_gemmt_kernelIiLi16ELi32ELi8ELc84ELc67ELc76ELb0ELb0EdPKdPKS1_PKPdEviT_T9_T10_S7_lS9_S7_lS8_T11_S7_li: ; @_ZL29rocblas_internal_gemmt_kernelIiLi16ELi32ELi8ELc84ELc67ELc76ELb0ELb0EdPKdPKS1_PKPdEviT_T9_T10_S7_lS9_S7_lS8_T11_S7_li
; %bb.0:
	s_load_b128 s[12:15], s[0:1], 0x38
	s_wait_kmcnt 0x0
	s_load_b64 s[14:15], s[14:15], 0x0
	s_clause 0x1
	s_load_b128 s[4:7], s[0:1], 0x8
	s_load_b64 s[20:21], s[0:1], 0x0
	s_wait_kmcnt 0x0
	s_load_b64 s[4:5], s[4:5], 0x0
	v_cmp_neq_f64_e64 s2, s[14:15], 1.0
	s_and_b32 vcc_lo, exec_lo, s2
	s_cbranch_vccnz .LBB338_2
; %bb.1:
	s_wait_kmcnt 0x0
	v_cmp_neq_f64_e64 s2, s[4:5], 0
	s_cmp_lg_u32 s21, 0
	s_cselect_b32 s3, -1, 0
	s_delay_alu instid0(SALU_CYCLE_1)
	s_and_b32 s2, s3, s2
.LBB338_2:
	s_delay_alu instid0(SALU_CYCLE_1)
	s_and_not1_b32 vcc_lo, exec_lo, s2
	s_cbranch_vccnz .LBB338_33
; %bb.3:
	s_load_b32 s19, s[0:1], 0x60
	s_lshr_b32 s22, ttmp7, 16
	s_wait_kmcnt 0x0
	s_cmp_ge_u32 s22, s19
	s_cbranch_scc1 .LBB338_33
; %bb.4:
	v_dual_mov_b32 v32, 0 :: v_dual_and_b32 v1, 0x3ff, v0
	v_bfe_u32 v2, v0, 10, 10
	s_load_b32 s24, s[0:1], 0x30
	v_and_b32_e32 v26, 7, v0
	s_clause 0x3
	s_load_b32 s30, s[0:1], 0x18
	s_load_b128 s[8:11], s[0:1], 0x20
	s_load_b96 s[16:18], s[0:1], 0x48
	s_load_b64 s[26:27], s[0:1], 0x58
	v_lshl_add_u32 v0, v2, 4, v1
	s_lshl_b32 s0, ttmp7, 5
	v_lshlrev_b32_e32 v4, 3, v26
	s_lshl_b32 s1, ttmp9, 5
	s_and_b32 s2, s0, 0x1fffe0
	v_and_b32_e32 v3, 31, v0
	v_lshrrev_b32_e32 v27, 5, v0
	v_lshrrev_b32_e32 v0, 3, v0
	v_cmp_neq_f64_e64 s31, s[4:5], 0
	v_add_nc_u32_e32 v6, s1, v1
	v_cmp_neq_f64_e64 s28, s[14:15], 0
	v_or_b32_e32 v5, s1, v3
	v_add_nc_u32_e32 v12, s2, v0
	v_lshl_or_b32 v0, v0, 6, v4
	v_add_nc_u32_e32 v4, s2, v2
	v_lshlrev_b32_e32 v3, 3, v3
	v_cmp_gt_i32_e64 s2, s20, v6
	s_wait_kmcnt 0x0
	s_ashr_i32 s25, s24, 31
	v_add_nc_u32_e32 v29, 0x800, v0
	v_cmp_le_i32_e32 vcc_lo, v4, v6
	v_add_nc_u32_e32 v0, 16, v6
	s_cmp_gt_i32 s21, 0
	v_cmp_gt_i32_e64 s0, s20, v5
	s_cselect_b32 s33, -1, 0
	v_lshl_or_b32 v28, v27, 8, v3
	v_lshl_add_u32 v31, v2, 6, 0x800
	v_mad_co_i64_i32 v[2:3], null, v4, s18, 0
	s_and_b32 s29, vcc_lo, s2
	v_cmp_le_i32_e32 vcc_lo, v4, v0
	v_add_nc_u32_e32 v13, 16, v4
	v_mad_co_i64_i32 v[4:5], null, s30, v5, 0
	v_cmp_gt_i32_e64 s3, s20, v0
	v_mad_co_i64_i32 v[8:9], null, s24, v26, 0
	v_cmp_gt_i32_e64 s1, s20, v12
	s_lshl_b64 s[8:9], s[8:9], 3
	s_and_b32 s20, vcc_lo, s3
	v_lshlrev_b64_e32 v[4:5], 3, v[4:5]
	v_cmp_le_i32_e32 vcc_lo, v13, v6
	v_mad_co_i64_i32 v[10:11], null, v13, s18, 0
	v_lshlrev_b64_e32 v[8:9], 3, v[8:9]
	v_lshlrev_b32_e32 v12, 3, v12
	s_and_b32 s18, vcc_lo, s2
	v_add_co_u32 v4, s2, v4, s8
	v_cmp_le_i32_e32 vcc_lo, v13, v0
	s_wait_alu 0xf1ff
	v_add_co_ci_u32_e64 v5, null, s9, v5, s2
	v_lshlrev_b32_e32 v13, 3, v27
	s_lshl_b64 s[8:9], s[12:13], 3
	v_ashrrev_i32_e32 v7, 31, v6
	s_wait_alu 0xfffe
	v_add_co_u32 v8, s2, v8, s8
	s_wait_alu 0xf1ff
	v_add_co_ci_u32_e64 v9, null, s9, v9, s2
	v_add_co_u32 v33, s2, v4, v13
	s_wait_alu 0xf1ff
	v_add_co_ci_u32_e64 v34, null, 0, v5, s2
	v_add_co_u32 v35, s2, v8, v12
	v_lshlrev_b64_e32 v[2:3], 3, v[2:3]
	v_lshlrev_b64_e32 v[4:5], 3, v[10:11]
	;; [unrolled: 1-line block ×3, first 2 shown]
	v_lshlrev_b32_e32 v30, 3, v1
	v_ashrrev_i32_e32 v1, 31, v0
	s_wait_alu 0xf1ff
	v_add_co_ci_u32_e64 v36, null, 0, v9, s2
	s_mov_b32 s23, 0
	s_and_b32 s30, s31, s33
	s_and_b32 s31, vcc_lo, s3
	s_lshl_b64 s[2:3], s[24:25], 6
	s_lshl_b64 s[8:9], s[26:27], 3
	s_branch .LBB338_6
.LBB338_5:                              ;   in Loop: Header=BB338_6 Depth=1
	s_wait_alu 0xfffe
	s_or_b32 exec_lo, exec_lo, s12
	s_add_co_i32 s22, s22, 0x10000
	s_delay_alu instid0(SALU_CYCLE_1)
	s_cmp_lt_u32 s22, s19
	s_cbranch_scc0 .LBB338_33
.LBB338_6:                              ; =>This Loop Header: Depth=1
                                        ;     Child Loop BB338_9 Depth 2
	s_lshl_b64 s[12:13], s[22:23], 3
	v_mov_b32_e32 v20, 0
	s_wait_alu 0xfffe
	s_add_nc_u64 s[24:25], s[16:17], s[12:13]
	v_mov_b32_e32 v12, 0
	global_load_b64 v[10:11], v32, s[24:25]
	v_dual_mov_b32 v21, 0 :: v_dual_mov_b32 v14, 0
	v_dual_mov_b32 v13, 0 :: v_dual_mov_b32 v8, 0
	v_mov_b32_e32 v15, 0
	v_mov_b32_e32 v9, 0
	s_and_not1_b32 vcc_lo, exec_lo, s30
	s_wait_alu 0xfffe
	s_cbranch_vccnz .LBB338_13
; %bb.7:                                ;   in Loop: Header=BB338_6 Depth=1
	s_add_nc_u64 s[24:25], s[6:7], s[12:13]
	s_add_nc_u64 s[12:13], s[10:11], s[12:13]
	s_clause 0x1
	global_load_b64 v[16:17], v32, s[24:25]
	global_load_b64 v[18:19], v32, s[12:13]
	v_mov_b32_e32 v8, 0
	v_dual_mov_b32 v14, 0 :: v_dual_mov_b32 v9, 0
	v_dual_mov_b32 v12, 0 :: v_dual_mov_b32 v15, 0
	;; [unrolled: 1-line block ×3, first 2 shown]
	v_mov_b32_e32 v21, 0
	s_mov_b32 s12, 0
	s_wait_loadcnt 0x1
	v_add_co_u32 v16, vcc_lo, v16, v33
	s_wait_alu 0xfffd
	v_add_co_ci_u32_e64 v17, null, v17, v34, vcc_lo
	s_wait_loadcnt 0x0
	v_add_co_u32 v18, vcc_lo, v18, v35
	s_wait_alu 0xfffd
	v_add_co_ci_u32_e64 v19, null, v19, v36, vcc_lo
	s_branch .LBB338_9
.LBB338_8:                              ;   in Loop: Header=BB338_9 Depth=2
	s_wait_alu 0xfffe
	s_or_b32 exec_lo, exec_lo, s13
	s_wait_loadcnt_dscnt 0x0
	ds_store_b64 v29, v[24:25]
	s_wait_dscnt 0x0
	s_barrier_signal -1
	s_barrier_wait -1
	global_inv scope:SCOPE_SE
	ds_load_b128 v[22:25], v31
	ds_load_2addr_b64 v[37:40], v30 offset1:16
	ds_load_b128 v[41:44], v31 offset:1024
	ds_load_b128 v[45:48], v31 offset:16
	;; [unrolled: 1-line block ×3, first 2 shown]
	v_add_co_u32 v16, vcc_lo, v16, 64
	s_wait_alu 0xfffd
	v_add_co_ci_u32_e64 v17, null, 0, v17, vcc_lo
	v_add_co_u32 v18, vcc_lo, v18, s2
	s_wait_alu 0xfffd
	v_add_co_ci_u32_e64 v19, null, s3, v19, vcc_lo
	s_add_co_i32 s12, s12, 8
	s_wait_alu 0xfffe
	s_cmp_lt_i32 s12, s21
	s_wait_dscnt 0x3
	v_fma_f64 v[20:21], v[37:38], v[22:23], v[20:21]
	v_fma_f64 v[22:23], v[39:40], v[22:23], v[14:15]
	s_wait_dscnt 0x2
	v_fma_f64 v[37:38], v[37:38], v[41:42], v[12:13]
	v_fma_f64 v[8:9], v[39:40], v[41:42], v[8:9]
	ds_load_2addr_b64 v[12:15], v30 offset0:32 offset1:48
	s_wait_dscnt 0x0
	v_fma_f64 v[20:21], v[12:13], v[24:25], v[20:21]
	v_fma_f64 v[22:23], v[14:15], v[24:25], v[22:23]
	v_fma_f64 v[24:25], v[12:13], v[43:44], v[37:38]
	v_fma_f64 v[8:9], v[14:15], v[43:44], v[8:9]
	ds_load_2addr_b64 v[12:15], v30 offset0:64 offset1:80
	s_wait_dscnt 0x0
	v_fma_f64 v[20:21], v[12:13], v[45:46], v[20:21]
	v_fma_f64 v[22:23], v[14:15], v[45:46], v[22:23]
	;; [unrolled: 6-line block ×3, first 2 shown]
	v_fma_f64 v[24:25], v[12:13], v[51:52], v[24:25]
	v_fma_f64 v[8:9], v[14:15], v[51:52], v[8:9]
	ds_load_b128 v[12:15], v31 offset:32
	ds_load_2addr_b64 v[20:23], v30 offset0:128 offset1:144
	ds_load_b128 v[37:40], v31 offset:1056
	ds_load_b128 v[41:44], v31 offset:48
	;; [unrolled: 1-line block ×3, first 2 shown]
	s_wait_dscnt 0x3
	v_fma_f64 v[49:50], v[20:21], v[12:13], v[49:50]
	v_fma_f64 v[12:13], v[22:23], v[12:13], v[53:54]
	s_wait_dscnt 0x2
	v_fma_f64 v[24:25], v[20:21], v[37:38], v[24:25]
	v_fma_f64 v[8:9], v[22:23], v[37:38], v[8:9]
	ds_load_2addr_b64 v[20:23], v30 offset0:160 offset1:176
	s_wait_dscnt 0x0
	v_fma_f64 v[37:38], v[20:21], v[14:15], v[49:50]
	v_fma_f64 v[49:50], v[22:23], v[14:15], v[12:13]
	;; [unrolled: 1-line block ×4, first 2 shown]
	ds_load_2addr_b64 v[12:15], v30 offset0:192 offset1:208
	ds_load_2addr_b64 v[22:25], v30 offset0:224 offset1:240
	s_wait_loadcnt_dscnt 0x0
	s_barrier_signal -1
	s_barrier_wait -1
	global_inv scope:SCOPE_SE
	v_fma_f64 v[37:38], v[12:13], v[41:42], v[37:38]
	v_fma_f64 v[39:40], v[14:15], v[41:42], v[49:50]
	;; [unrolled: 1-line block ×4, first 2 shown]
	s_delay_alu instid0(VALU_DEP_4) | instskip(NEXT) | instid1(VALU_DEP_4)
	v_fma_f64 v[20:21], v[22:23], v[43:44], v[37:38]
	v_fma_f64 v[14:15], v[24:25], v[43:44], v[39:40]
	s_delay_alu instid0(VALU_DEP_4) | instskip(NEXT) | instid1(VALU_DEP_4)
	v_fma_f64 v[12:13], v[22:23], v[47:48], v[12:13]
	v_fma_f64 v[8:9], v[24:25], v[47:48], v[8:9]
	s_cbranch_scc0 .LBB338_13
.LBB338_9:                              ;   Parent Loop BB338_6 Depth=1
                                        ; =>  This Inner Loop Header: Depth=2
	s_wait_alu 0xfffe
	v_add_nc_u32_e32 v22, s12, v27
	s_delay_alu instid0(VALU_DEP_1)
	v_cmp_gt_i32_e32 vcc_lo, s21, v22
	v_mov_b32_e32 v22, 0
	v_mov_b32_e32 v23, 0
	s_and_b32 s24, s0, vcc_lo
	s_wait_alu 0xfffe
	s_and_saveexec_b32 s13, s24
	s_cbranch_execz .LBB338_11
; %bb.10:                               ;   in Loop: Header=BB338_9 Depth=2
	flat_load_b64 v[22:23], v[16:17]
.LBB338_11:                             ;   in Loop: Header=BB338_9 Depth=2
	s_wait_alu 0xfffe
	s_or_b32 exec_lo, exec_lo, s13
	v_add_nc_u32_e32 v24, s12, v26
	s_wait_loadcnt_dscnt 0x0
	ds_store_b64 v28, v[22:23]
	v_cmp_gt_i32_e32 vcc_lo, s21, v24
	v_mov_b32_e32 v24, 0
	v_mov_b32_e32 v25, 0
	s_and_b32 s24, vcc_lo, s1
	s_wait_alu 0xfffe
	s_and_saveexec_b32 s13, s24
	s_cbranch_execz .LBB338_8
; %bb.12:                               ;   in Loop: Header=BB338_9 Depth=2
	flat_load_b64 v[24:25], v[18:19]
	s_branch .LBB338_8
.LBB338_13:                             ;   in Loop: Header=BB338_6 Depth=1
	s_wait_loadcnt 0x0
	v_add_co_u32 v16, vcc_lo, v10, s8
	s_wait_alu 0xfffd
	v_add_co_ci_u32_e64 v17, null, s9, v11, vcc_lo
	s_delay_alu instid0(VALU_DEP_2) | instskip(SKIP_1) | instid1(VALU_DEP_2)
	v_add_co_u32 v18, vcc_lo, v16, v2
	s_wait_alu 0xfffd
	v_add_co_ci_u32_e64 v19, null, v17, v3, vcc_lo
	s_and_saveexec_b32 s12, s29
	s_cbranch_execz .LBB338_17
; %bb.14:                               ;   in Loop: Header=BB338_6 Depth=1
	v_mul_f64_e32 v[10:11], s[4:5], v[20:21]
	s_and_b32 vcc_lo, exec_lo, s28
	s_wait_alu 0xfffe
	s_cbranch_vccz .LBB338_28
; %bb.15:                               ;   in Loop: Header=BB338_6 Depth=1
	v_add_co_u32 v20, vcc_lo, v18, v6
	s_wait_alu 0xfffd
	v_add_co_ci_u32_e64 v21, null, v19, v7, vcc_lo
	flat_load_b64 v[22:23], v[20:21]
	s_wait_loadcnt_dscnt 0x0
	v_fma_f64 v[22:23], s[14:15], v[22:23], v[10:11]
	flat_store_b64 v[20:21], v[22:23]
	s_cbranch_execnz .LBB338_17
.LBB338_16:                             ;   in Loop: Header=BB338_6 Depth=1
	v_add_co_u32 v20, vcc_lo, v18, v6
	s_wait_alu 0xfffd
	v_add_co_ci_u32_e64 v21, null, v19, v7, vcc_lo
	flat_store_b64 v[20:21], v[10:11]
.LBB338_17:                             ;   in Loop: Header=BB338_6 Depth=1
	s_wait_alu 0xfffe
	s_or_b32 exec_lo, exec_lo, s12
	s_and_saveexec_b32 s12, s20
	s_cbranch_execz .LBB338_21
; %bb.18:                               ;   in Loop: Header=BB338_6 Depth=1
	v_mul_f64_e32 v[10:11], s[4:5], v[14:15]
	s_and_not1_b32 vcc_lo, exec_lo, s28
	s_wait_alu 0xfffe
	s_cbranch_vccnz .LBB338_29
; %bb.19:                               ;   in Loop: Header=BB338_6 Depth=1
	v_lshlrev_b64_e32 v[14:15], 3, v[0:1]
	s_delay_alu instid0(VALU_DEP_1) | instskip(SKIP_1) | instid1(VALU_DEP_2)
	v_add_co_u32 v14, vcc_lo, v18, v14
	s_wait_alu 0xfffd
	v_add_co_ci_u32_e64 v15, null, v19, v15, vcc_lo
	flat_load_b64 v[20:21], v[14:15]
	s_wait_loadcnt_dscnt 0x0
	v_fma_f64 v[20:21], s[14:15], v[20:21], v[10:11]
	flat_store_b64 v[14:15], v[20:21]
	s_cbranch_execnz .LBB338_21
.LBB338_20:                             ;   in Loop: Header=BB338_6 Depth=1
	v_lshlrev_b64_e32 v[14:15], 3, v[0:1]
	s_delay_alu instid0(VALU_DEP_1) | instskip(SKIP_1) | instid1(VALU_DEP_2)
	v_add_co_u32 v14, vcc_lo, v18, v14
	s_wait_alu 0xfffd
	v_add_co_ci_u32_e64 v15, null, v19, v15, vcc_lo
	flat_store_b64 v[14:15], v[10:11]
.LBB338_21:                             ;   in Loop: Header=BB338_6 Depth=1
	s_wait_alu 0xfffe
	s_or_b32 exec_lo, exec_lo, s12
	v_add_co_u32 v14, vcc_lo, v16, v4
	s_wait_alu 0xfffd
	v_add_co_ci_u32_e64 v15, null, v17, v5, vcc_lo
	s_and_saveexec_b32 s12, s18
	s_cbranch_execz .LBB338_25
; %bb.22:                               ;   in Loop: Header=BB338_6 Depth=1
	v_mul_f64_e32 v[10:11], s[4:5], v[12:13]
	s_and_not1_b32 vcc_lo, exec_lo, s28
	s_wait_alu 0xfffe
	s_cbranch_vccnz .LBB338_30
; %bb.23:                               ;   in Loop: Header=BB338_6 Depth=1
	v_add_co_u32 v12, vcc_lo, v14, v6
	s_wait_alu 0xfffd
	v_add_co_ci_u32_e64 v13, null, v15, v7, vcc_lo
	flat_load_b64 v[16:17], v[12:13]
	s_wait_loadcnt_dscnt 0x0
	v_fma_f64 v[16:17], s[14:15], v[16:17], v[10:11]
	flat_store_b64 v[12:13], v[16:17]
	s_cbranch_execnz .LBB338_25
.LBB338_24:                             ;   in Loop: Header=BB338_6 Depth=1
	v_add_co_u32 v12, vcc_lo, v14, v6
	s_wait_alu 0xfffd
	v_add_co_ci_u32_e64 v13, null, v15, v7, vcc_lo
	flat_store_b64 v[12:13], v[10:11]
.LBB338_25:                             ;   in Loop: Header=BB338_6 Depth=1
	s_wait_alu 0xfffe
	s_or_b32 exec_lo, exec_lo, s12
	s_and_saveexec_b32 s12, s31
	s_cbranch_execz .LBB338_5
; %bb.26:                               ;   in Loop: Header=BB338_6 Depth=1
	v_mul_f64_e32 v[8:9], s[4:5], v[8:9]
	v_lshlrev_b64_e32 v[10:11], 3, v[0:1]
	s_and_not1_b32 vcc_lo, exec_lo, s28
	s_wait_alu 0xfffe
	s_cbranch_vccnz .LBB338_31
; %bb.27:                               ;   in Loop: Header=BB338_6 Depth=1
	s_delay_alu instid0(VALU_DEP_1)
	v_add_co_u32 v12, vcc_lo, v14, v10
	s_wait_alu 0xfffd
	v_add_co_ci_u32_e64 v13, null, v15, v11, vcc_lo
	flat_load_b64 v[16:17], v[12:13]
	s_wait_loadcnt_dscnt 0x0
	v_fma_f64 v[16:17], s[14:15], v[16:17], v[8:9]
	flat_store_b64 v[12:13], v[16:17]
	s_cbranch_execnz .LBB338_5
	s_branch .LBB338_32
.LBB338_28:                             ;   in Loop: Header=BB338_6 Depth=1
	s_branch .LBB338_16
.LBB338_29:                             ;   in Loop: Header=BB338_6 Depth=1
	s_branch .LBB338_20
.LBB338_30:                             ;   in Loop: Header=BB338_6 Depth=1
	s_branch .LBB338_24
.LBB338_31:                             ;   in Loop: Header=BB338_6 Depth=1
.LBB338_32:                             ;   in Loop: Header=BB338_6 Depth=1
	s_delay_alu instid0(VALU_DEP_1)
	v_add_co_u32 v10, vcc_lo, v14, v10
	s_wait_alu 0xfffd
	v_add_co_ci_u32_e64 v11, null, v15, v11, vcc_lo
	flat_store_b64 v[10:11], v[8:9]
	s_branch .LBB338_5
.LBB338_33:
	s_endpgm
	.section	.rodata,"a",@progbits
	.p2align	6, 0x0
	.amdhsa_kernel _ZL29rocblas_internal_gemmt_kernelIiLi16ELi32ELi8ELc84ELc67ELc76ELb0ELb0EdPKdPKS1_PKPdEviT_T9_T10_S7_lS9_S7_lS8_T11_S7_li
		.amdhsa_group_segment_fixed_size 4096
		.amdhsa_private_segment_fixed_size 0
		.amdhsa_kernarg_size 100
		.amdhsa_user_sgpr_count 2
		.amdhsa_user_sgpr_dispatch_ptr 0
		.amdhsa_user_sgpr_queue_ptr 0
		.amdhsa_user_sgpr_kernarg_segment_ptr 1
		.amdhsa_user_sgpr_dispatch_id 0
		.amdhsa_user_sgpr_private_segment_size 0
		.amdhsa_wavefront_size32 1
		.amdhsa_uses_dynamic_stack 0
		.amdhsa_enable_private_segment 0
		.amdhsa_system_sgpr_workgroup_id_x 1
		.amdhsa_system_sgpr_workgroup_id_y 1
		.amdhsa_system_sgpr_workgroup_id_z 1
		.amdhsa_system_sgpr_workgroup_info 0
		.amdhsa_system_vgpr_workitem_id 1
		.amdhsa_next_free_vgpr 55
		.amdhsa_next_free_sgpr 34
		.amdhsa_reserve_vcc 1
		.amdhsa_float_round_mode_32 0
		.amdhsa_float_round_mode_16_64 0
		.amdhsa_float_denorm_mode_32 3
		.amdhsa_float_denorm_mode_16_64 3
		.amdhsa_fp16_overflow 0
		.amdhsa_workgroup_processor_mode 1
		.amdhsa_memory_ordered 1
		.amdhsa_forward_progress 1
		.amdhsa_inst_pref_size 17
		.amdhsa_round_robin_scheduling 0
		.amdhsa_exception_fp_ieee_invalid_op 0
		.amdhsa_exception_fp_denorm_src 0
		.amdhsa_exception_fp_ieee_div_zero 0
		.amdhsa_exception_fp_ieee_overflow 0
		.amdhsa_exception_fp_ieee_underflow 0
		.amdhsa_exception_fp_ieee_inexact 0
		.amdhsa_exception_int_div_zero 0
	.end_amdhsa_kernel
	.section	.text._ZL29rocblas_internal_gemmt_kernelIiLi16ELi32ELi8ELc84ELc67ELc76ELb0ELb0EdPKdPKS1_PKPdEviT_T9_T10_S7_lS9_S7_lS8_T11_S7_li,"axG",@progbits,_ZL29rocblas_internal_gemmt_kernelIiLi16ELi32ELi8ELc84ELc67ELc76ELb0ELb0EdPKdPKS1_PKPdEviT_T9_T10_S7_lS9_S7_lS8_T11_S7_li,comdat
.Lfunc_end338:
	.size	_ZL29rocblas_internal_gemmt_kernelIiLi16ELi32ELi8ELc84ELc67ELc76ELb0ELb0EdPKdPKS1_PKPdEviT_T9_T10_S7_lS9_S7_lS8_T11_S7_li, .Lfunc_end338-_ZL29rocblas_internal_gemmt_kernelIiLi16ELi32ELi8ELc84ELc67ELc76ELb0ELb0EdPKdPKS1_PKPdEviT_T9_T10_S7_lS9_S7_lS8_T11_S7_li
                                        ; -- End function
	.set _ZL29rocblas_internal_gemmt_kernelIiLi16ELi32ELi8ELc84ELc67ELc76ELb0ELb0EdPKdPKS1_PKPdEviT_T9_T10_S7_lS9_S7_lS8_T11_S7_li.num_vgpr, 55
	.set _ZL29rocblas_internal_gemmt_kernelIiLi16ELi32ELi8ELc84ELc67ELc76ELb0ELb0EdPKdPKS1_PKPdEviT_T9_T10_S7_lS9_S7_lS8_T11_S7_li.num_agpr, 0
	.set _ZL29rocblas_internal_gemmt_kernelIiLi16ELi32ELi8ELc84ELc67ELc76ELb0ELb0EdPKdPKS1_PKPdEviT_T9_T10_S7_lS9_S7_lS8_T11_S7_li.numbered_sgpr, 34
	.set _ZL29rocblas_internal_gemmt_kernelIiLi16ELi32ELi8ELc84ELc67ELc76ELb0ELb0EdPKdPKS1_PKPdEviT_T9_T10_S7_lS9_S7_lS8_T11_S7_li.num_named_barrier, 0
	.set _ZL29rocblas_internal_gemmt_kernelIiLi16ELi32ELi8ELc84ELc67ELc76ELb0ELb0EdPKdPKS1_PKPdEviT_T9_T10_S7_lS9_S7_lS8_T11_S7_li.private_seg_size, 0
	.set _ZL29rocblas_internal_gemmt_kernelIiLi16ELi32ELi8ELc84ELc67ELc76ELb0ELb0EdPKdPKS1_PKPdEviT_T9_T10_S7_lS9_S7_lS8_T11_S7_li.uses_vcc, 1
	.set _ZL29rocblas_internal_gemmt_kernelIiLi16ELi32ELi8ELc84ELc67ELc76ELb0ELb0EdPKdPKS1_PKPdEviT_T9_T10_S7_lS9_S7_lS8_T11_S7_li.uses_flat_scratch, 0
	.set _ZL29rocblas_internal_gemmt_kernelIiLi16ELi32ELi8ELc84ELc67ELc76ELb0ELb0EdPKdPKS1_PKPdEviT_T9_T10_S7_lS9_S7_lS8_T11_S7_li.has_dyn_sized_stack, 0
	.set _ZL29rocblas_internal_gemmt_kernelIiLi16ELi32ELi8ELc84ELc67ELc76ELb0ELb0EdPKdPKS1_PKPdEviT_T9_T10_S7_lS9_S7_lS8_T11_S7_li.has_recursion, 0
	.set _ZL29rocblas_internal_gemmt_kernelIiLi16ELi32ELi8ELc84ELc67ELc76ELb0ELb0EdPKdPKS1_PKPdEviT_T9_T10_S7_lS9_S7_lS8_T11_S7_li.has_indirect_call, 0
	.section	.AMDGPU.csdata,"",@progbits
; Kernel info:
; codeLenInByte = 2080
; TotalNumSgprs: 36
; NumVgprs: 55
; ScratchSize: 0
; MemoryBound: 0
; FloatMode: 240
; IeeeMode: 1
; LDSByteSize: 4096 bytes/workgroup (compile time only)
; SGPRBlocks: 0
; VGPRBlocks: 6
; NumSGPRsForWavesPerEU: 36
; NumVGPRsForWavesPerEU: 55
; Occupancy: 16
; WaveLimiterHint : 1
; COMPUTE_PGM_RSRC2:SCRATCH_EN: 0
; COMPUTE_PGM_RSRC2:USER_SGPR: 2
; COMPUTE_PGM_RSRC2:TRAP_HANDLER: 0
; COMPUTE_PGM_RSRC2:TGID_X_EN: 1
; COMPUTE_PGM_RSRC2:TGID_Y_EN: 1
; COMPUTE_PGM_RSRC2:TGID_Z_EN: 1
; COMPUTE_PGM_RSRC2:TIDIG_COMP_CNT: 1
	.section	.text._ZL29rocblas_internal_gemmt_kernelIiLi16ELi32ELi8ELc67ELc78ELc76ELb0ELb0EdPKdPKS1_PKPdEviT_T9_T10_S7_lS9_S7_lS8_T11_S7_li,"axG",@progbits,_ZL29rocblas_internal_gemmt_kernelIiLi16ELi32ELi8ELc67ELc78ELc76ELb0ELb0EdPKdPKS1_PKPdEviT_T9_T10_S7_lS9_S7_lS8_T11_S7_li,comdat
	.globl	_ZL29rocblas_internal_gemmt_kernelIiLi16ELi32ELi8ELc67ELc78ELc76ELb0ELb0EdPKdPKS1_PKPdEviT_T9_T10_S7_lS9_S7_lS8_T11_S7_li ; -- Begin function _ZL29rocblas_internal_gemmt_kernelIiLi16ELi32ELi8ELc67ELc78ELc76ELb0ELb0EdPKdPKS1_PKPdEviT_T9_T10_S7_lS9_S7_lS8_T11_S7_li
	.p2align	8
	.type	_ZL29rocblas_internal_gemmt_kernelIiLi16ELi32ELi8ELc67ELc78ELc76ELb0ELb0EdPKdPKS1_PKPdEviT_T9_T10_S7_lS9_S7_lS8_T11_S7_li,@function
_ZL29rocblas_internal_gemmt_kernelIiLi16ELi32ELi8ELc67ELc78ELc76ELb0ELb0EdPKdPKS1_PKPdEviT_T9_T10_S7_lS9_S7_lS8_T11_S7_li: ; @_ZL29rocblas_internal_gemmt_kernelIiLi16ELi32ELi8ELc67ELc78ELc76ELb0ELb0EdPKdPKS1_PKPdEviT_T9_T10_S7_lS9_S7_lS8_T11_S7_li
; %bb.0:
	s_load_b128 s[12:15], s[0:1], 0x38
	s_wait_kmcnt 0x0
	s_load_b64 s[14:15], s[14:15], 0x0
	s_clause 0x1
	s_load_b128 s[4:7], s[0:1], 0x8
	s_load_b64 s[20:21], s[0:1], 0x0
	s_wait_kmcnt 0x0
	s_load_b64 s[22:23], s[4:5], 0x0
	v_cmp_neq_f64_e64 s2, s[14:15], 1.0
	s_and_b32 vcc_lo, exec_lo, s2
	s_cbranch_vccnz .LBB339_2
; %bb.1:
	s_wait_kmcnt 0x0
	v_cmp_neq_f64_e64 s2, s[22:23], 0
	s_cmp_lg_u32 s21, 0
	s_cselect_b32 s3, -1, 0
	s_delay_alu instid0(SALU_CYCLE_1)
	s_and_b32 s2, s3, s2
.LBB339_2:
	s_delay_alu instid0(SALU_CYCLE_1)
	s_and_not1_b32 vcc_lo, exec_lo, s2
	s_cbranch_vccnz .LBB339_33
; %bb.3:
	s_load_b32 s19, s[0:1], 0x60
	s_lshr_b32 s24, ttmp7, 16
	s_wait_kmcnt 0x0
	s_cmp_ge_u32 s24, s19
	s_cbranch_scc1 .LBB339_33
; %bb.4:
	v_dual_mov_b32 v32, 0 :: v_dual_and_b32 v1, 0x3ff, v0
	v_bfe_u32 v2, v0, 10, 10
	v_and_b32_e32 v26, 7, v0
	s_clause 0x4
	s_load_b32 s5, s[0:1], 0x18
	s_load_b128 s[8:11], s[0:1], 0x20
	s_load_b32 s30, s[0:1], 0x30
	s_load_b96 s[16:18], s[0:1], 0x48
	s_load_b64 s[26:27], s[0:1], 0x58
	v_cmp_neq_f64_e64 s31, s[22:23], 0
	s_lshl_b32 s2, ttmp9, 5
	v_lshl_add_u32 v0, v2, 4, v1
	v_cmp_neq_f64_e64 s28, s[14:15], 0
	v_lshlrev_b32_e32 v12, 3, v26
	v_add_nc_u32_e32 v6, s2, v1
	s_lshl_b32 s0, ttmp7, 5
	v_and_b32_e32 v3, 31, v0
	v_lshrrev_b32_e32 v4, 3, v0
	v_lshrrev_b32_e32 v27, 5, v0
	s_and_b32 s3, s0, 0x1fffe0
	v_lshl_add_u32 v31, v2, 6, 0x800
	v_lshlrev_b32_e32 v0, 3, v3
	v_or_b32_e32 v5, s2, v3
	s_wait_alu 0xfffe
	v_add_nc_u32_e32 v8, s3, v4
	v_lshl_or_b32 v3, v4, 6, v12
	v_add_nc_u32_e32 v9, s3, v2
	v_lshl_or_b32 v28, v27, 8, v0
	v_add_nc_u32_e32 v0, 16, v6
	v_cmp_gt_i32_e64 s0, s20, v5
	s_wait_kmcnt 0x0
	v_mad_co_i64_i32 v[4:5], null, s5, v5, 0
	v_cmp_gt_i32_e64 s1, s20, v8
	v_add_nc_u32_e32 v29, 0x800, v3
	v_cmp_le_i32_e32 vcc_lo, v9, v6
	v_mad_co_i64_i32 v[2:3], null, v9, s18, 0
	v_cmp_le_i32_e64 s3, v9, v0
	v_add_nc_u32_e32 v13, 16, v9
	v_mad_co_i64_i32 v[8:9], null, s30, v8, 0
	v_lshlrev_b64_e32 v[4:5], 3, v[4:5]
	s_cmp_gt_i32 s21, 0
	v_cmp_gt_i32_e64 s2, s20, v6
	v_cmp_gt_i32_e64 s4, s20, v0
	s_cselect_b32 s33, -1, 0
	s_lshl_b64 s[8:9], s[8:9], 3
	v_lshlrev_b64_e32 v[8:9], 3, v[8:9]
	v_add_co_u32 v4, s5, v4, s8
	s_and_b32 s20, vcc_lo, s2
	s_and_b32 s29, s3, s4
	v_mad_co_i64_i32 v[10:11], null, v13, s18, 0
	v_cmp_le_i32_e32 vcc_lo, v13, v6
	v_cmp_le_i32_e64 s3, v13, v0
	v_add_co_ci_u32_e64 v5, null, s9, v5, s5
	v_lshlrev_b32_e32 v13, 3, v27
	s_lshl_b64 s[8:9], s[12:13], 3
	v_ashrrev_i32_e32 v7, 31, v6
	s_wait_alu 0xfffe
	v_add_co_u32 v8, s5, v8, s8
	s_wait_alu 0xf1ff
	v_add_co_ci_u32_e64 v9, null, s9, v9, s5
	v_add_co_u32 v33, s5, v4, v13
	s_wait_alu 0xf1ff
	v_add_co_ci_u32_e64 v34, null, 0, v5, s5
	v_add_co_u32 v35, s5, v8, v12
	v_lshlrev_b64_e32 v[2:3], 3, v[2:3]
	v_lshlrev_b64_e32 v[4:5], 3, v[10:11]
	;; [unrolled: 1-line block ×3, first 2 shown]
	v_lshlrev_b32_e32 v30, 3, v1
	v_ashrrev_i32_e32 v1, 31, v0
	s_wait_alu 0xf1ff
	v_add_co_ci_u32_e64 v36, null, 0, v9, s5
	s_mov_b32 s25, 0
	s_and_b32 s8, s31, s33
	s_and_b32 s9, vcc_lo, s2
	s_and_b32 s12, s3, s4
	s_lshl_b64 s[2:3], s[26:27], 3
	s_branch .LBB339_6
.LBB339_5:                              ;   in Loop: Header=BB339_6 Depth=1
	s_wait_alu 0xfffe
	s_or_b32 exec_lo, exec_lo, s4
	s_add_co_i32 s24, s24, 0x10000
	s_delay_alu instid0(SALU_CYCLE_1)
	s_cmp_lt_u32 s24, s19
	s_cbranch_scc0 .LBB339_33
.LBB339_6:                              ; =>This Loop Header: Depth=1
                                        ;     Child Loop BB339_9 Depth 2
	s_lshl_b64 s[4:5], s[24:25], 3
	v_mov_b32_e32 v20, 0
	s_wait_alu 0xfffe
	s_add_nc_u64 s[26:27], s[16:17], s[4:5]
	v_mov_b32_e32 v12, 0
	global_load_b64 v[10:11], v32, s[26:27]
	v_dual_mov_b32 v21, 0 :: v_dual_mov_b32 v14, 0
	v_dual_mov_b32 v13, 0 :: v_dual_mov_b32 v8, 0
	v_mov_b32_e32 v15, 0
	v_mov_b32_e32 v9, 0
	s_and_not1_b32 vcc_lo, exec_lo, s8
	s_wait_alu 0xfffe
	s_cbranch_vccnz .LBB339_13
; %bb.7:                                ;   in Loop: Header=BB339_6 Depth=1
	s_add_nc_u64 s[26:27], s[6:7], s[4:5]
	s_add_nc_u64 s[4:5], s[10:11], s[4:5]
	s_clause 0x1
	global_load_b64 v[16:17], v32, s[26:27]
	global_load_b64 v[18:19], v32, s[4:5]
	v_mov_b32_e32 v8, 0
	v_dual_mov_b32 v14, 0 :: v_dual_mov_b32 v9, 0
	v_dual_mov_b32 v12, 0 :: v_dual_mov_b32 v15, 0
	;; [unrolled: 1-line block ×3, first 2 shown]
	v_mov_b32_e32 v21, 0
	s_mov_b32 s4, 0
	s_wait_loadcnt 0x1
	v_add_co_u32 v16, vcc_lo, v16, v33
	s_wait_alu 0xfffd
	v_add_co_ci_u32_e64 v17, null, v17, v34, vcc_lo
	s_wait_loadcnt 0x0
	v_add_co_u32 v18, vcc_lo, v18, v35
	s_wait_alu 0xfffd
	v_add_co_ci_u32_e64 v19, null, v19, v36, vcc_lo
	s_branch .LBB339_9
.LBB339_8:                              ;   in Loop: Header=BB339_9 Depth=2
	s_wait_alu 0xfffe
	s_or_b32 exec_lo, exec_lo, s5
	s_wait_loadcnt_dscnt 0x0
	ds_store_b64 v29, v[24:25]
	s_wait_dscnt 0x0
	s_barrier_signal -1
	s_barrier_wait -1
	global_inv scope:SCOPE_SE
	ds_load_b128 v[22:25], v31
	ds_load_2addr_b64 v[37:40], v30 offset1:16
	ds_load_b128 v[41:44], v31 offset:1024
	ds_load_b128 v[45:48], v31 offset:16
	;; [unrolled: 1-line block ×3, first 2 shown]
	v_add_co_u32 v16, vcc_lo, v16, 64
	s_wait_alu 0xfffd
	v_add_co_ci_u32_e64 v17, null, 0, v17, vcc_lo
	v_add_co_u32 v18, vcc_lo, v18, 64
	s_wait_alu 0xfffd
	v_add_co_ci_u32_e64 v19, null, 0, v19, vcc_lo
	s_add_co_i32 s4, s4, 8
	s_wait_alu 0xfffe
	s_cmp_lt_i32 s4, s21
	s_wait_dscnt 0x3
	v_fma_f64 v[20:21], v[37:38], v[22:23], v[20:21]
	v_fma_f64 v[22:23], v[39:40], v[22:23], v[14:15]
	s_wait_dscnt 0x2
	v_fma_f64 v[37:38], v[37:38], v[41:42], v[12:13]
	v_fma_f64 v[8:9], v[39:40], v[41:42], v[8:9]
	ds_load_2addr_b64 v[12:15], v30 offset0:32 offset1:48
	s_wait_dscnt 0x0
	v_fma_f64 v[20:21], v[12:13], v[24:25], v[20:21]
	v_fma_f64 v[22:23], v[14:15], v[24:25], v[22:23]
	v_fma_f64 v[24:25], v[12:13], v[43:44], v[37:38]
	v_fma_f64 v[8:9], v[14:15], v[43:44], v[8:9]
	ds_load_2addr_b64 v[12:15], v30 offset0:64 offset1:80
	s_wait_dscnt 0x0
	v_fma_f64 v[20:21], v[12:13], v[45:46], v[20:21]
	v_fma_f64 v[22:23], v[14:15], v[45:46], v[22:23]
	;; [unrolled: 6-line block ×3, first 2 shown]
	v_fma_f64 v[24:25], v[12:13], v[51:52], v[24:25]
	v_fma_f64 v[8:9], v[14:15], v[51:52], v[8:9]
	ds_load_b128 v[12:15], v31 offset:32
	ds_load_2addr_b64 v[20:23], v30 offset0:128 offset1:144
	ds_load_b128 v[37:40], v31 offset:1056
	ds_load_b128 v[41:44], v31 offset:48
	;; [unrolled: 1-line block ×3, first 2 shown]
	s_wait_dscnt 0x3
	v_fma_f64 v[49:50], v[20:21], v[12:13], v[49:50]
	v_fma_f64 v[12:13], v[22:23], v[12:13], v[53:54]
	s_wait_dscnt 0x2
	v_fma_f64 v[24:25], v[20:21], v[37:38], v[24:25]
	v_fma_f64 v[8:9], v[22:23], v[37:38], v[8:9]
	ds_load_2addr_b64 v[20:23], v30 offset0:160 offset1:176
	s_wait_dscnt 0x0
	v_fma_f64 v[37:38], v[20:21], v[14:15], v[49:50]
	v_fma_f64 v[49:50], v[22:23], v[14:15], v[12:13]
	;; [unrolled: 1-line block ×4, first 2 shown]
	ds_load_2addr_b64 v[12:15], v30 offset0:192 offset1:208
	ds_load_2addr_b64 v[22:25], v30 offset0:224 offset1:240
	s_wait_loadcnt_dscnt 0x0
	s_barrier_signal -1
	s_barrier_wait -1
	global_inv scope:SCOPE_SE
	v_fma_f64 v[37:38], v[12:13], v[41:42], v[37:38]
	v_fma_f64 v[39:40], v[14:15], v[41:42], v[49:50]
	;; [unrolled: 1-line block ×4, first 2 shown]
	s_delay_alu instid0(VALU_DEP_4) | instskip(NEXT) | instid1(VALU_DEP_4)
	v_fma_f64 v[20:21], v[22:23], v[43:44], v[37:38]
	v_fma_f64 v[14:15], v[24:25], v[43:44], v[39:40]
	s_delay_alu instid0(VALU_DEP_4) | instskip(NEXT) | instid1(VALU_DEP_4)
	v_fma_f64 v[12:13], v[22:23], v[47:48], v[12:13]
	v_fma_f64 v[8:9], v[24:25], v[47:48], v[8:9]
	s_cbranch_scc0 .LBB339_13
.LBB339_9:                              ;   Parent Loop BB339_6 Depth=1
                                        ; =>  This Inner Loop Header: Depth=2
	s_wait_alu 0xfffe
	v_add_nc_u32_e32 v22, s4, v27
	s_delay_alu instid0(VALU_DEP_1) | instskip(SKIP_3) | instid1(SALU_CYCLE_1)
	v_cmp_gt_i32_e32 vcc_lo, s21, v22
	v_mov_b32_e32 v22, 0
	v_mov_b32_e32 v23, 0
	s_and_b32 s13, s0, vcc_lo
	s_and_saveexec_b32 s5, s13
	s_cbranch_execz .LBB339_11
; %bb.10:                               ;   in Loop: Header=BB339_9 Depth=2
	flat_load_b64 v[22:23], v[16:17]
.LBB339_11:                             ;   in Loop: Header=BB339_9 Depth=2
	s_wait_alu 0xfffe
	s_or_b32 exec_lo, exec_lo, s5
	v_add_nc_u32_e32 v24, s4, v26
	s_wait_loadcnt_dscnt 0x0
	ds_store_b64 v28, v[22:23]
	v_cmp_gt_i32_e32 vcc_lo, s21, v24
	v_mov_b32_e32 v24, 0
	v_mov_b32_e32 v25, 0
	s_and_b32 s13, vcc_lo, s1
	s_delay_alu instid0(SALU_CYCLE_1)
	s_and_saveexec_b32 s5, s13
	s_cbranch_execz .LBB339_8
; %bb.12:                               ;   in Loop: Header=BB339_9 Depth=2
	flat_load_b64 v[24:25], v[18:19]
	s_branch .LBB339_8
.LBB339_13:                             ;   in Loop: Header=BB339_6 Depth=1
	s_wait_loadcnt 0x0
	v_add_co_u32 v16, vcc_lo, v10, s2
	s_wait_alu 0xfffd
	v_add_co_ci_u32_e64 v17, null, s3, v11, vcc_lo
	s_delay_alu instid0(VALU_DEP_2) | instskip(SKIP_1) | instid1(VALU_DEP_2)
	v_add_co_u32 v18, vcc_lo, v16, v2
	s_wait_alu 0xfffd
	v_add_co_ci_u32_e64 v19, null, v17, v3, vcc_lo
	s_and_saveexec_b32 s4, s20
	s_cbranch_execz .LBB339_17
; %bb.14:                               ;   in Loop: Header=BB339_6 Depth=1
	v_mul_f64_e32 v[10:11], s[22:23], v[20:21]
	s_and_b32 vcc_lo, exec_lo, s28
	s_wait_alu 0xfffe
	s_cbranch_vccz .LBB339_28
; %bb.15:                               ;   in Loop: Header=BB339_6 Depth=1
	v_add_co_u32 v20, vcc_lo, v18, v6
	s_wait_alu 0xfffd
	v_add_co_ci_u32_e64 v21, null, v19, v7, vcc_lo
	flat_load_b64 v[22:23], v[20:21]
	s_wait_loadcnt_dscnt 0x0
	v_fma_f64 v[22:23], s[14:15], v[22:23], v[10:11]
	flat_store_b64 v[20:21], v[22:23]
	s_cbranch_execnz .LBB339_17
.LBB339_16:                             ;   in Loop: Header=BB339_6 Depth=1
	v_add_co_u32 v20, vcc_lo, v18, v6
	s_wait_alu 0xfffd
	v_add_co_ci_u32_e64 v21, null, v19, v7, vcc_lo
	flat_store_b64 v[20:21], v[10:11]
.LBB339_17:                             ;   in Loop: Header=BB339_6 Depth=1
	s_wait_alu 0xfffe
	s_or_b32 exec_lo, exec_lo, s4
	s_and_saveexec_b32 s4, s29
	s_cbranch_execz .LBB339_21
; %bb.18:                               ;   in Loop: Header=BB339_6 Depth=1
	v_mul_f64_e32 v[10:11], s[22:23], v[14:15]
	s_and_not1_b32 vcc_lo, exec_lo, s28
	s_wait_alu 0xfffe
	s_cbranch_vccnz .LBB339_29
; %bb.19:                               ;   in Loop: Header=BB339_6 Depth=1
	v_lshlrev_b64_e32 v[14:15], 3, v[0:1]
	s_delay_alu instid0(VALU_DEP_1) | instskip(SKIP_1) | instid1(VALU_DEP_2)
	v_add_co_u32 v14, vcc_lo, v18, v14
	s_wait_alu 0xfffd
	v_add_co_ci_u32_e64 v15, null, v19, v15, vcc_lo
	flat_load_b64 v[20:21], v[14:15]
	s_wait_loadcnt_dscnt 0x0
	v_fma_f64 v[20:21], s[14:15], v[20:21], v[10:11]
	flat_store_b64 v[14:15], v[20:21]
	s_cbranch_execnz .LBB339_21
.LBB339_20:                             ;   in Loop: Header=BB339_6 Depth=1
	v_lshlrev_b64_e32 v[14:15], 3, v[0:1]
	s_delay_alu instid0(VALU_DEP_1) | instskip(SKIP_1) | instid1(VALU_DEP_2)
	v_add_co_u32 v14, vcc_lo, v18, v14
	s_wait_alu 0xfffd
	v_add_co_ci_u32_e64 v15, null, v19, v15, vcc_lo
	flat_store_b64 v[14:15], v[10:11]
.LBB339_21:                             ;   in Loop: Header=BB339_6 Depth=1
	s_wait_alu 0xfffe
	s_or_b32 exec_lo, exec_lo, s4
	v_add_co_u32 v14, vcc_lo, v16, v4
	s_wait_alu 0xfffd
	v_add_co_ci_u32_e64 v15, null, v17, v5, vcc_lo
	s_and_saveexec_b32 s4, s9
	s_cbranch_execz .LBB339_25
; %bb.22:                               ;   in Loop: Header=BB339_6 Depth=1
	v_mul_f64_e32 v[10:11], s[22:23], v[12:13]
	s_and_not1_b32 vcc_lo, exec_lo, s28
	s_wait_alu 0xfffe
	s_cbranch_vccnz .LBB339_30
; %bb.23:                               ;   in Loop: Header=BB339_6 Depth=1
	v_add_co_u32 v12, vcc_lo, v14, v6
	s_wait_alu 0xfffd
	v_add_co_ci_u32_e64 v13, null, v15, v7, vcc_lo
	flat_load_b64 v[16:17], v[12:13]
	s_wait_loadcnt_dscnt 0x0
	v_fma_f64 v[16:17], s[14:15], v[16:17], v[10:11]
	flat_store_b64 v[12:13], v[16:17]
	s_cbranch_execnz .LBB339_25
.LBB339_24:                             ;   in Loop: Header=BB339_6 Depth=1
	v_add_co_u32 v12, vcc_lo, v14, v6
	s_wait_alu 0xfffd
	v_add_co_ci_u32_e64 v13, null, v15, v7, vcc_lo
	flat_store_b64 v[12:13], v[10:11]
.LBB339_25:                             ;   in Loop: Header=BB339_6 Depth=1
	s_wait_alu 0xfffe
	s_or_b32 exec_lo, exec_lo, s4
	s_and_saveexec_b32 s4, s12
	s_cbranch_execz .LBB339_5
; %bb.26:                               ;   in Loop: Header=BB339_6 Depth=1
	v_mul_f64_e32 v[8:9], s[22:23], v[8:9]
	v_lshlrev_b64_e32 v[10:11], 3, v[0:1]
	s_and_not1_b32 vcc_lo, exec_lo, s28
	s_wait_alu 0xfffe
	s_cbranch_vccnz .LBB339_31
; %bb.27:                               ;   in Loop: Header=BB339_6 Depth=1
	s_delay_alu instid0(VALU_DEP_1)
	v_add_co_u32 v12, vcc_lo, v14, v10
	s_wait_alu 0xfffd
	v_add_co_ci_u32_e64 v13, null, v15, v11, vcc_lo
	flat_load_b64 v[16:17], v[12:13]
	s_wait_loadcnt_dscnt 0x0
	v_fma_f64 v[16:17], s[14:15], v[16:17], v[8:9]
	flat_store_b64 v[12:13], v[16:17]
	s_cbranch_execnz .LBB339_5
	s_branch .LBB339_32
.LBB339_28:                             ;   in Loop: Header=BB339_6 Depth=1
	s_branch .LBB339_16
.LBB339_29:                             ;   in Loop: Header=BB339_6 Depth=1
	s_branch .LBB339_20
.LBB339_30:                             ;   in Loop: Header=BB339_6 Depth=1
	s_branch .LBB339_24
.LBB339_31:                             ;   in Loop: Header=BB339_6 Depth=1
.LBB339_32:                             ;   in Loop: Header=BB339_6 Depth=1
	s_delay_alu instid0(VALU_DEP_1)
	v_add_co_u32 v10, vcc_lo, v14, v10
	s_wait_alu 0xfffd
	v_add_co_ci_u32_e64 v11, null, v15, v11, vcc_lo
	flat_store_b64 v[10:11], v[8:9]
	s_branch .LBB339_5
.LBB339_33:
	s_endpgm
	.section	.rodata,"a",@progbits
	.p2align	6, 0x0
	.amdhsa_kernel _ZL29rocblas_internal_gemmt_kernelIiLi16ELi32ELi8ELc67ELc78ELc76ELb0ELb0EdPKdPKS1_PKPdEviT_T9_T10_S7_lS9_S7_lS8_T11_S7_li
		.amdhsa_group_segment_fixed_size 4096
		.amdhsa_private_segment_fixed_size 0
		.amdhsa_kernarg_size 100
		.amdhsa_user_sgpr_count 2
		.amdhsa_user_sgpr_dispatch_ptr 0
		.amdhsa_user_sgpr_queue_ptr 0
		.amdhsa_user_sgpr_kernarg_segment_ptr 1
		.amdhsa_user_sgpr_dispatch_id 0
		.amdhsa_user_sgpr_private_segment_size 0
		.amdhsa_wavefront_size32 1
		.amdhsa_uses_dynamic_stack 0
		.amdhsa_enable_private_segment 0
		.amdhsa_system_sgpr_workgroup_id_x 1
		.amdhsa_system_sgpr_workgroup_id_y 1
		.amdhsa_system_sgpr_workgroup_id_z 1
		.amdhsa_system_sgpr_workgroup_info 0
		.amdhsa_system_vgpr_workitem_id 1
		.amdhsa_next_free_vgpr 55
		.amdhsa_next_free_sgpr 34
		.amdhsa_reserve_vcc 1
		.amdhsa_float_round_mode_32 0
		.amdhsa_float_round_mode_16_64 0
		.amdhsa_float_denorm_mode_32 3
		.amdhsa_float_denorm_mode_16_64 3
		.amdhsa_fp16_overflow 0
		.amdhsa_workgroup_processor_mode 1
		.amdhsa_memory_ordered 1
		.amdhsa_forward_progress 1
		.amdhsa_inst_pref_size 17
		.amdhsa_round_robin_scheduling 0
		.amdhsa_exception_fp_ieee_invalid_op 0
		.amdhsa_exception_fp_denorm_src 0
		.amdhsa_exception_fp_ieee_div_zero 0
		.amdhsa_exception_fp_ieee_overflow 0
		.amdhsa_exception_fp_ieee_underflow 0
		.amdhsa_exception_fp_ieee_inexact 0
		.amdhsa_exception_int_div_zero 0
	.end_amdhsa_kernel
	.section	.text._ZL29rocblas_internal_gemmt_kernelIiLi16ELi32ELi8ELc67ELc78ELc76ELb0ELb0EdPKdPKS1_PKPdEviT_T9_T10_S7_lS9_S7_lS8_T11_S7_li,"axG",@progbits,_ZL29rocblas_internal_gemmt_kernelIiLi16ELi32ELi8ELc67ELc78ELc76ELb0ELb0EdPKdPKS1_PKPdEviT_T9_T10_S7_lS9_S7_lS8_T11_S7_li,comdat
.Lfunc_end339:
	.size	_ZL29rocblas_internal_gemmt_kernelIiLi16ELi32ELi8ELc67ELc78ELc76ELb0ELb0EdPKdPKS1_PKPdEviT_T9_T10_S7_lS9_S7_lS8_T11_S7_li, .Lfunc_end339-_ZL29rocblas_internal_gemmt_kernelIiLi16ELi32ELi8ELc67ELc78ELc76ELb0ELb0EdPKdPKS1_PKPdEviT_T9_T10_S7_lS9_S7_lS8_T11_S7_li
                                        ; -- End function
	.set _ZL29rocblas_internal_gemmt_kernelIiLi16ELi32ELi8ELc67ELc78ELc76ELb0ELb0EdPKdPKS1_PKPdEviT_T9_T10_S7_lS9_S7_lS8_T11_S7_li.num_vgpr, 55
	.set _ZL29rocblas_internal_gemmt_kernelIiLi16ELi32ELi8ELc67ELc78ELc76ELb0ELb0EdPKdPKS1_PKPdEviT_T9_T10_S7_lS9_S7_lS8_T11_S7_li.num_agpr, 0
	.set _ZL29rocblas_internal_gemmt_kernelIiLi16ELi32ELi8ELc67ELc78ELc76ELb0ELb0EdPKdPKS1_PKPdEviT_T9_T10_S7_lS9_S7_lS8_T11_S7_li.numbered_sgpr, 34
	.set _ZL29rocblas_internal_gemmt_kernelIiLi16ELi32ELi8ELc67ELc78ELc76ELb0ELb0EdPKdPKS1_PKPdEviT_T9_T10_S7_lS9_S7_lS8_T11_S7_li.num_named_barrier, 0
	.set _ZL29rocblas_internal_gemmt_kernelIiLi16ELi32ELi8ELc67ELc78ELc76ELb0ELb0EdPKdPKS1_PKPdEviT_T9_T10_S7_lS9_S7_lS8_T11_S7_li.private_seg_size, 0
	.set _ZL29rocblas_internal_gemmt_kernelIiLi16ELi32ELi8ELc67ELc78ELc76ELb0ELb0EdPKdPKS1_PKPdEviT_T9_T10_S7_lS9_S7_lS8_T11_S7_li.uses_vcc, 1
	.set _ZL29rocblas_internal_gemmt_kernelIiLi16ELi32ELi8ELc67ELc78ELc76ELb0ELb0EdPKdPKS1_PKPdEviT_T9_T10_S7_lS9_S7_lS8_T11_S7_li.uses_flat_scratch, 0
	.set _ZL29rocblas_internal_gemmt_kernelIiLi16ELi32ELi8ELc67ELc78ELc76ELb0ELb0EdPKdPKS1_PKPdEviT_T9_T10_S7_lS9_S7_lS8_T11_S7_li.has_dyn_sized_stack, 0
	.set _ZL29rocblas_internal_gemmt_kernelIiLi16ELi32ELi8ELc67ELc78ELc76ELb0ELb0EdPKdPKS1_PKPdEviT_T9_T10_S7_lS9_S7_lS8_T11_S7_li.has_recursion, 0
	.set _ZL29rocblas_internal_gemmt_kernelIiLi16ELi32ELi8ELc67ELc78ELc76ELb0ELb0EdPKdPKS1_PKPdEviT_T9_T10_S7_lS9_S7_lS8_T11_S7_li.has_indirect_call, 0
	.section	.AMDGPU.csdata,"",@progbits
; Kernel info:
; codeLenInByte = 2072
; TotalNumSgprs: 36
; NumVgprs: 55
; ScratchSize: 0
; MemoryBound: 0
; FloatMode: 240
; IeeeMode: 1
; LDSByteSize: 4096 bytes/workgroup (compile time only)
; SGPRBlocks: 0
; VGPRBlocks: 6
; NumSGPRsForWavesPerEU: 36
; NumVGPRsForWavesPerEU: 55
; Occupancy: 16
; WaveLimiterHint : 1
; COMPUTE_PGM_RSRC2:SCRATCH_EN: 0
; COMPUTE_PGM_RSRC2:USER_SGPR: 2
; COMPUTE_PGM_RSRC2:TRAP_HANDLER: 0
; COMPUTE_PGM_RSRC2:TGID_X_EN: 1
; COMPUTE_PGM_RSRC2:TGID_Y_EN: 1
; COMPUTE_PGM_RSRC2:TGID_Z_EN: 1
; COMPUTE_PGM_RSRC2:TIDIG_COMP_CNT: 1
	.section	.text._ZL29rocblas_internal_gemmt_kernelIiLi16ELi32ELi8ELc67ELc84ELc76ELb0ELb0EdPKdPKS1_PKPdEviT_T9_T10_S7_lS9_S7_lS8_T11_S7_li,"axG",@progbits,_ZL29rocblas_internal_gemmt_kernelIiLi16ELi32ELi8ELc67ELc84ELc76ELb0ELb0EdPKdPKS1_PKPdEviT_T9_T10_S7_lS9_S7_lS8_T11_S7_li,comdat
	.globl	_ZL29rocblas_internal_gemmt_kernelIiLi16ELi32ELi8ELc67ELc84ELc76ELb0ELb0EdPKdPKS1_PKPdEviT_T9_T10_S7_lS9_S7_lS8_T11_S7_li ; -- Begin function _ZL29rocblas_internal_gemmt_kernelIiLi16ELi32ELi8ELc67ELc84ELc76ELb0ELb0EdPKdPKS1_PKPdEviT_T9_T10_S7_lS9_S7_lS8_T11_S7_li
	.p2align	8
	.type	_ZL29rocblas_internal_gemmt_kernelIiLi16ELi32ELi8ELc67ELc84ELc76ELb0ELb0EdPKdPKS1_PKPdEviT_T9_T10_S7_lS9_S7_lS8_T11_S7_li,@function
_ZL29rocblas_internal_gemmt_kernelIiLi16ELi32ELi8ELc67ELc84ELc76ELb0ELb0EdPKdPKS1_PKPdEviT_T9_T10_S7_lS9_S7_lS8_T11_S7_li: ; @_ZL29rocblas_internal_gemmt_kernelIiLi16ELi32ELi8ELc67ELc84ELc76ELb0ELb0EdPKdPKS1_PKPdEviT_T9_T10_S7_lS9_S7_lS8_T11_S7_li
; %bb.0:
	s_load_b128 s[12:15], s[0:1], 0x38
	s_wait_kmcnt 0x0
	s_load_b64 s[14:15], s[14:15], 0x0
	s_clause 0x1
	s_load_b128 s[4:7], s[0:1], 0x8
	s_load_b64 s[20:21], s[0:1], 0x0
	s_wait_kmcnt 0x0
	s_load_b64 s[4:5], s[4:5], 0x0
	v_cmp_neq_f64_e64 s2, s[14:15], 1.0
	s_and_b32 vcc_lo, exec_lo, s2
	s_cbranch_vccnz .LBB340_2
; %bb.1:
	s_wait_kmcnt 0x0
	v_cmp_neq_f64_e64 s2, s[4:5], 0
	s_cmp_lg_u32 s21, 0
	s_cselect_b32 s3, -1, 0
	s_delay_alu instid0(SALU_CYCLE_1)
	s_and_b32 s2, s3, s2
.LBB340_2:
	s_delay_alu instid0(SALU_CYCLE_1)
	s_and_not1_b32 vcc_lo, exec_lo, s2
	s_cbranch_vccnz .LBB340_33
; %bb.3:
	s_load_b32 s19, s[0:1], 0x60
	s_lshr_b32 s22, ttmp7, 16
	s_wait_kmcnt 0x0
	s_cmp_ge_u32 s22, s19
	s_cbranch_scc1 .LBB340_33
; %bb.4:
	v_dual_mov_b32 v32, 0 :: v_dual_and_b32 v1, 0x3ff, v0
	v_bfe_u32 v2, v0, 10, 10
	s_load_b32 s24, s[0:1], 0x30
	v_and_b32_e32 v26, 7, v0
	s_clause 0x3
	s_load_b32 s30, s[0:1], 0x18
	s_load_b128 s[8:11], s[0:1], 0x20
	s_load_b96 s[16:18], s[0:1], 0x48
	s_load_b64 s[26:27], s[0:1], 0x58
	v_lshl_add_u32 v0, v2, 4, v1
	s_lshl_b32 s0, ttmp7, 5
	v_lshlrev_b32_e32 v4, 3, v26
	s_lshl_b32 s1, ttmp9, 5
	s_and_b32 s2, s0, 0x1fffe0
	v_and_b32_e32 v3, 31, v0
	v_lshrrev_b32_e32 v27, 5, v0
	v_lshrrev_b32_e32 v0, 3, v0
	v_cmp_neq_f64_e64 s31, s[4:5], 0
	v_add_nc_u32_e32 v6, s1, v1
	v_cmp_neq_f64_e64 s28, s[14:15], 0
	v_or_b32_e32 v5, s1, v3
	v_add_nc_u32_e32 v12, s2, v0
	v_lshl_or_b32 v0, v0, 6, v4
	v_add_nc_u32_e32 v4, s2, v2
	v_lshlrev_b32_e32 v3, 3, v3
	v_cmp_gt_i32_e64 s2, s20, v6
	s_wait_kmcnt 0x0
	s_ashr_i32 s25, s24, 31
	v_add_nc_u32_e32 v29, 0x800, v0
	v_cmp_le_i32_e32 vcc_lo, v4, v6
	v_add_nc_u32_e32 v0, 16, v6
	s_cmp_gt_i32 s21, 0
	v_cmp_gt_i32_e64 s0, s20, v5
	s_cselect_b32 s33, -1, 0
	v_lshl_or_b32 v28, v27, 8, v3
	v_lshl_add_u32 v31, v2, 6, 0x800
	v_mad_co_i64_i32 v[2:3], null, v4, s18, 0
	s_and_b32 s29, vcc_lo, s2
	v_cmp_le_i32_e32 vcc_lo, v4, v0
	v_add_nc_u32_e32 v13, 16, v4
	v_mad_co_i64_i32 v[4:5], null, s30, v5, 0
	v_cmp_gt_i32_e64 s3, s20, v0
	v_mad_co_i64_i32 v[8:9], null, s24, v26, 0
	v_cmp_gt_i32_e64 s1, s20, v12
	s_lshl_b64 s[8:9], s[8:9], 3
	s_and_b32 s20, vcc_lo, s3
	v_lshlrev_b64_e32 v[4:5], 3, v[4:5]
	v_cmp_le_i32_e32 vcc_lo, v13, v6
	v_mad_co_i64_i32 v[10:11], null, v13, s18, 0
	v_lshlrev_b64_e32 v[8:9], 3, v[8:9]
	v_lshlrev_b32_e32 v12, 3, v12
	s_and_b32 s18, vcc_lo, s2
	v_add_co_u32 v4, s2, v4, s8
	v_cmp_le_i32_e32 vcc_lo, v13, v0
	s_wait_alu 0xf1ff
	v_add_co_ci_u32_e64 v5, null, s9, v5, s2
	v_lshlrev_b32_e32 v13, 3, v27
	s_lshl_b64 s[8:9], s[12:13], 3
	v_ashrrev_i32_e32 v7, 31, v6
	s_wait_alu 0xfffe
	v_add_co_u32 v8, s2, v8, s8
	s_wait_alu 0xf1ff
	v_add_co_ci_u32_e64 v9, null, s9, v9, s2
	v_add_co_u32 v33, s2, v4, v13
	s_wait_alu 0xf1ff
	v_add_co_ci_u32_e64 v34, null, 0, v5, s2
	v_add_co_u32 v35, s2, v8, v12
	v_lshlrev_b64_e32 v[2:3], 3, v[2:3]
	v_lshlrev_b64_e32 v[4:5], 3, v[10:11]
	;; [unrolled: 1-line block ×3, first 2 shown]
	v_lshlrev_b32_e32 v30, 3, v1
	v_ashrrev_i32_e32 v1, 31, v0
	s_wait_alu 0xf1ff
	v_add_co_ci_u32_e64 v36, null, 0, v9, s2
	s_mov_b32 s23, 0
	s_and_b32 s30, s31, s33
	s_and_b32 s31, vcc_lo, s3
	s_lshl_b64 s[2:3], s[24:25], 6
	s_lshl_b64 s[8:9], s[26:27], 3
	s_branch .LBB340_6
.LBB340_5:                              ;   in Loop: Header=BB340_6 Depth=1
	s_wait_alu 0xfffe
	s_or_b32 exec_lo, exec_lo, s12
	s_add_co_i32 s22, s22, 0x10000
	s_delay_alu instid0(SALU_CYCLE_1)
	s_cmp_lt_u32 s22, s19
	s_cbranch_scc0 .LBB340_33
.LBB340_6:                              ; =>This Loop Header: Depth=1
                                        ;     Child Loop BB340_9 Depth 2
	s_lshl_b64 s[12:13], s[22:23], 3
	v_mov_b32_e32 v20, 0
	s_wait_alu 0xfffe
	s_add_nc_u64 s[24:25], s[16:17], s[12:13]
	v_mov_b32_e32 v12, 0
	global_load_b64 v[10:11], v32, s[24:25]
	v_dual_mov_b32 v21, 0 :: v_dual_mov_b32 v14, 0
	v_dual_mov_b32 v13, 0 :: v_dual_mov_b32 v8, 0
	v_mov_b32_e32 v15, 0
	v_mov_b32_e32 v9, 0
	s_and_not1_b32 vcc_lo, exec_lo, s30
	s_wait_alu 0xfffe
	s_cbranch_vccnz .LBB340_13
; %bb.7:                                ;   in Loop: Header=BB340_6 Depth=1
	s_add_nc_u64 s[24:25], s[6:7], s[12:13]
	s_add_nc_u64 s[12:13], s[10:11], s[12:13]
	s_clause 0x1
	global_load_b64 v[16:17], v32, s[24:25]
	global_load_b64 v[18:19], v32, s[12:13]
	v_mov_b32_e32 v8, 0
	v_dual_mov_b32 v14, 0 :: v_dual_mov_b32 v9, 0
	v_dual_mov_b32 v12, 0 :: v_dual_mov_b32 v15, 0
	;; [unrolled: 1-line block ×3, first 2 shown]
	v_mov_b32_e32 v21, 0
	s_mov_b32 s12, 0
	s_wait_loadcnt 0x1
	v_add_co_u32 v16, vcc_lo, v16, v33
	s_wait_alu 0xfffd
	v_add_co_ci_u32_e64 v17, null, v17, v34, vcc_lo
	s_wait_loadcnt 0x0
	v_add_co_u32 v18, vcc_lo, v18, v35
	s_wait_alu 0xfffd
	v_add_co_ci_u32_e64 v19, null, v19, v36, vcc_lo
	s_branch .LBB340_9
.LBB340_8:                              ;   in Loop: Header=BB340_9 Depth=2
	s_wait_alu 0xfffe
	s_or_b32 exec_lo, exec_lo, s13
	s_wait_loadcnt_dscnt 0x0
	ds_store_b64 v29, v[24:25]
	s_wait_dscnt 0x0
	s_barrier_signal -1
	s_barrier_wait -1
	global_inv scope:SCOPE_SE
	ds_load_b128 v[22:25], v31
	ds_load_2addr_b64 v[37:40], v30 offset1:16
	ds_load_b128 v[41:44], v31 offset:1024
	ds_load_b128 v[45:48], v31 offset:16
	;; [unrolled: 1-line block ×3, first 2 shown]
	v_add_co_u32 v16, vcc_lo, v16, 64
	s_wait_alu 0xfffd
	v_add_co_ci_u32_e64 v17, null, 0, v17, vcc_lo
	v_add_co_u32 v18, vcc_lo, v18, s2
	s_wait_alu 0xfffd
	v_add_co_ci_u32_e64 v19, null, s3, v19, vcc_lo
	s_add_co_i32 s12, s12, 8
	s_wait_alu 0xfffe
	s_cmp_lt_i32 s12, s21
	s_wait_dscnt 0x3
	v_fma_f64 v[20:21], v[37:38], v[22:23], v[20:21]
	v_fma_f64 v[22:23], v[39:40], v[22:23], v[14:15]
	s_wait_dscnt 0x2
	v_fma_f64 v[37:38], v[37:38], v[41:42], v[12:13]
	v_fma_f64 v[8:9], v[39:40], v[41:42], v[8:9]
	ds_load_2addr_b64 v[12:15], v30 offset0:32 offset1:48
	s_wait_dscnt 0x0
	v_fma_f64 v[20:21], v[12:13], v[24:25], v[20:21]
	v_fma_f64 v[22:23], v[14:15], v[24:25], v[22:23]
	v_fma_f64 v[24:25], v[12:13], v[43:44], v[37:38]
	v_fma_f64 v[8:9], v[14:15], v[43:44], v[8:9]
	ds_load_2addr_b64 v[12:15], v30 offset0:64 offset1:80
	s_wait_dscnt 0x0
	v_fma_f64 v[20:21], v[12:13], v[45:46], v[20:21]
	v_fma_f64 v[22:23], v[14:15], v[45:46], v[22:23]
	;; [unrolled: 6-line block ×3, first 2 shown]
	v_fma_f64 v[24:25], v[12:13], v[51:52], v[24:25]
	v_fma_f64 v[8:9], v[14:15], v[51:52], v[8:9]
	ds_load_b128 v[12:15], v31 offset:32
	ds_load_2addr_b64 v[20:23], v30 offset0:128 offset1:144
	ds_load_b128 v[37:40], v31 offset:1056
	ds_load_b128 v[41:44], v31 offset:48
	;; [unrolled: 1-line block ×3, first 2 shown]
	s_wait_dscnt 0x3
	v_fma_f64 v[49:50], v[20:21], v[12:13], v[49:50]
	v_fma_f64 v[12:13], v[22:23], v[12:13], v[53:54]
	s_wait_dscnt 0x2
	v_fma_f64 v[24:25], v[20:21], v[37:38], v[24:25]
	v_fma_f64 v[8:9], v[22:23], v[37:38], v[8:9]
	ds_load_2addr_b64 v[20:23], v30 offset0:160 offset1:176
	s_wait_dscnt 0x0
	v_fma_f64 v[37:38], v[20:21], v[14:15], v[49:50]
	v_fma_f64 v[49:50], v[22:23], v[14:15], v[12:13]
	v_fma_f64 v[20:21], v[20:21], v[39:40], v[24:25]
	v_fma_f64 v[8:9], v[22:23], v[39:40], v[8:9]
	ds_load_2addr_b64 v[12:15], v30 offset0:192 offset1:208
	ds_load_2addr_b64 v[22:25], v30 offset0:224 offset1:240
	s_wait_loadcnt_dscnt 0x0
	s_barrier_signal -1
	s_barrier_wait -1
	global_inv scope:SCOPE_SE
	v_fma_f64 v[37:38], v[12:13], v[41:42], v[37:38]
	v_fma_f64 v[39:40], v[14:15], v[41:42], v[49:50]
	;; [unrolled: 1-line block ×4, first 2 shown]
	s_delay_alu instid0(VALU_DEP_4) | instskip(NEXT) | instid1(VALU_DEP_4)
	v_fma_f64 v[20:21], v[22:23], v[43:44], v[37:38]
	v_fma_f64 v[14:15], v[24:25], v[43:44], v[39:40]
	s_delay_alu instid0(VALU_DEP_4) | instskip(NEXT) | instid1(VALU_DEP_4)
	v_fma_f64 v[12:13], v[22:23], v[47:48], v[12:13]
	v_fma_f64 v[8:9], v[24:25], v[47:48], v[8:9]
	s_cbranch_scc0 .LBB340_13
.LBB340_9:                              ;   Parent Loop BB340_6 Depth=1
                                        ; =>  This Inner Loop Header: Depth=2
	s_wait_alu 0xfffe
	v_add_nc_u32_e32 v22, s12, v27
	s_delay_alu instid0(VALU_DEP_1)
	v_cmp_gt_i32_e32 vcc_lo, s21, v22
	v_mov_b32_e32 v22, 0
	v_mov_b32_e32 v23, 0
	s_and_b32 s24, s0, vcc_lo
	s_wait_alu 0xfffe
	s_and_saveexec_b32 s13, s24
	s_cbranch_execz .LBB340_11
; %bb.10:                               ;   in Loop: Header=BB340_9 Depth=2
	flat_load_b64 v[22:23], v[16:17]
.LBB340_11:                             ;   in Loop: Header=BB340_9 Depth=2
	s_wait_alu 0xfffe
	s_or_b32 exec_lo, exec_lo, s13
	v_add_nc_u32_e32 v24, s12, v26
	s_wait_loadcnt_dscnt 0x0
	ds_store_b64 v28, v[22:23]
	v_cmp_gt_i32_e32 vcc_lo, s21, v24
	v_mov_b32_e32 v24, 0
	v_mov_b32_e32 v25, 0
	s_and_b32 s24, vcc_lo, s1
	s_wait_alu 0xfffe
	s_and_saveexec_b32 s13, s24
	s_cbranch_execz .LBB340_8
; %bb.12:                               ;   in Loop: Header=BB340_9 Depth=2
	flat_load_b64 v[24:25], v[18:19]
	s_branch .LBB340_8
.LBB340_13:                             ;   in Loop: Header=BB340_6 Depth=1
	s_wait_loadcnt 0x0
	v_add_co_u32 v16, vcc_lo, v10, s8
	s_wait_alu 0xfffd
	v_add_co_ci_u32_e64 v17, null, s9, v11, vcc_lo
	s_delay_alu instid0(VALU_DEP_2) | instskip(SKIP_1) | instid1(VALU_DEP_2)
	v_add_co_u32 v18, vcc_lo, v16, v2
	s_wait_alu 0xfffd
	v_add_co_ci_u32_e64 v19, null, v17, v3, vcc_lo
	s_and_saveexec_b32 s12, s29
	s_cbranch_execz .LBB340_17
; %bb.14:                               ;   in Loop: Header=BB340_6 Depth=1
	v_mul_f64_e32 v[10:11], s[4:5], v[20:21]
	s_and_b32 vcc_lo, exec_lo, s28
	s_wait_alu 0xfffe
	s_cbranch_vccz .LBB340_28
; %bb.15:                               ;   in Loop: Header=BB340_6 Depth=1
	v_add_co_u32 v20, vcc_lo, v18, v6
	s_wait_alu 0xfffd
	v_add_co_ci_u32_e64 v21, null, v19, v7, vcc_lo
	flat_load_b64 v[22:23], v[20:21]
	s_wait_loadcnt_dscnt 0x0
	v_fma_f64 v[22:23], s[14:15], v[22:23], v[10:11]
	flat_store_b64 v[20:21], v[22:23]
	s_cbranch_execnz .LBB340_17
.LBB340_16:                             ;   in Loop: Header=BB340_6 Depth=1
	v_add_co_u32 v20, vcc_lo, v18, v6
	s_wait_alu 0xfffd
	v_add_co_ci_u32_e64 v21, null, v19, v7, vcc_lo
	flat_store_b64 v[20:21], v[10:11]
.LBB340_17:                             ;   in Loop: Header=BB340_6 Depth=1
	s_wait_alu 0xfffe
	s_or_b32 exec_lo, exec_lo, s12
	s_and_saveexec_b32 s12, s20
	s_cbranch_execz .LBB340_21
; %bb.18:                               ;   in Loop: Header=BB340_6 Depth=1
	v_mul_f64_e32 v[10:11], s[4:5], v[14:15]
	s_and_not1_b32 vcc_lo, exec_lo, s28
	s_wait_alu 0xfffe
	s_cbranch_vccnz .LBB340_29
; %bb.19:                               ;   in Loop: Header=BB340_6 Depth=1
	v_lshlrev_b64_e32 v[14:15], 3, v[0:1]
	s_delay_alu instid0(VALU_DEP_1) | instskip(SKIP_1) | instid1(VALU_DEP_2)
	v_add_co_u32 v14, vcc_lo, v18, v14
	s_wait_alu 0xfffd
	v_add_co_ci_u32_e64 v15, null, v19, v15, vcc_lo
	flat_load_b64 v[20:21], v[14:15]
	s_wait_loadcnt_dscnt 0x0
	v_fma_f64 v[20:21], s[14:15], v[20:21], v[10:11]
	flat_store_b64 v[14:15], v[20:21]
	s_cbranch_execnz .LBB340_21
.LBB340_20:                             ;   in Loop: Header=BB340_6 Depth=1
	v_lshlrev_b64_e32 v[14:15], 3, v[0:1]
	s_delay_alu instid0(VALU_DEP_1) | instskip(SKIP_1) | instid1(VALU_DEP_2)
	v_add_co_u32 v14, vcc_lo, v18, v14
	s_wait_alu 0xfffd
	v_add_co_ci_u32_e64 v15, null, v19, v15, vcc_lo
	flat_store_b64 v[14:15], v[10:11]
.LBB340_21:                             ;   in Loop: Header=BB340_6 Depth=1
	s_wait_alu 0xfffe
	s_or_b32 exec_lo, exec_lo, s12
	v_add_co_u32 v14, vcc_lo, v16, v4
	s_wait_alu 0xfffd
	v_add_co_ci_u32_e64 v15, null, v17, v5, vcc_lo
	s_and_saveexec_b32 s12, s18
	s_cbranch_execz .LBB340_25
; %bb.22:                               ;   in Loop: Header=BB340_6 Depth=1
	v_mul_f64_e32 v[10:11], s[4:5], v[12:13]
	s_and_not1_b32 vcc_lo, exec_lo, s28
	s_wait_alu 0xfffe
	s_cbranch_vccnz .LBB340_30
; %bb.23:                               ;   in Loop: Header=BB340_6 Depth=1
	v_add_co_u32 v12, vcc_lo, v14, v6
	s_wait_alu 0xfffd
	v_add_co_ci_u32_e64 v13, null, v15, v7, vcc_lo
	flat_load_b64 v[16:17], v[12:13]
	s_wait_loadcnt_dscnt 0x0
	v_fma_f64 v[16:17], s[14:15], v[16:17], v[10:11]
	flat_store_b64 v[12:13], v[16:17]
	s_cbranch_execnz .LBB340_25
.LBB340_24:                             ;   in Loop: Header=BB340_6 Depth=1
	v_add_co_u32 v12, vcc_lo, v14, v6
	s_wait_alu 0xfffd
	v_add_co_ci_u32_e64 v13, null, v15, v7, vcc_lo
	flat_store_b64 v[12:13], v[10:11]
.LBB340_25:                             ;   in Loop: Header=BB340_6 Depth=1
	s_wait_alu 0xfffe
	s_or_b32 exec_lo, exec_lo, s12
	s_and_saveexec_b32 s12, s31
	s_cbranch_execz .LBB340_5
; %bb.26:                               ;   in Loop: Header=BB340_6 Depth=1
	v_mul_f64_e32 v[8:9], s[4:5], v[8:9]
	v_lshlrev_b64_e32 v[10:11], 3, v[0:1]
	s_and_not1_b32 vcc_lo, exec_lo, s28
	s_wait_alu 0xfffe
	s_cbranch_vccnz .LBB340_31
; %bb.27:                               ;   in Loop: Header=BB340_6 Depth=1
	s_delay_alu instid0(VALU_DEP_1)
	v_add_co_u32 v12, vcc_lo, v14, v10
	s_wait_alu 0xfffd
	v_add_co_ci_u32_e64 v13, null, v15, v11, vcc_lo
	flat_load_b64 v[16:17], v[12:13]
	s_wait_loadcnt_dscnt 0x0
	v_fma_f64 v[16:17], s[14:15], v[16:17], v[8:9]
	flat_store_b64 v[12:13], v[16:17]
	s_cbranch_execnz .LBB340_5
	s_branch .LBB340_32
.LBB340_28:                             ;   in Loop: Header=BB340_6 Depth=1
	s_branch .LBB340_16
.LBB340_29:                             ;   in Loop: Header=BB340_6 Depth=1
	s_branch .LBB340_20
.LBB340_30:                             ;   in Loop: Header=BB340_6 Depth=1
	s_branch .LBB340_24
.LBB340_31:                             ;   in Loop: Header=BB340_6 Depth=1
.LBB340_32:                             ;   in Loop: Header=BB340_6 Depth=1
	s_delay_alu instid0(VALU_DEP_1)
	v_add_co_u32 v10, vcc_lo, v14, v10
	s_wait_alu 0xfffd
	v_add_co_ci_u32_e64 v11, null, v15, v11, vcc_lo
	flat_store_b64 v[10:11], v[8:9]
	s_branch .LBB340_5
.LBB340_33:
	s_endpgm
	.section	.rodata,"a",@progbits
	.p2align	6, 0x0
	.amdhsa_kernel _ZL29rocblas_internal_gemmt_kernelIiLi16ELi32ELi8ELc67ELc84ELc76ELb0ELb0EdPKdPKS1_PKPdEviT_T9_T10_S7_lS9_S7_lS8_T11_S7_li
		.amdhsa_group_segment_fixed_size 4096
		.amdhsa_private_segment_fixed_size 0
		.amdhsa_kernarg_size 100
		.amdhsa_user_sgpr_count 2
		.amdhsa_user_sgpr_dispatch_ptr 0
		.amdhsa_user_sgpr_queue_ptr 0
		.amdhsa_user_sgpr_kernarg_segment_ptr 1
		.amdhsa_user_sgpr_dispatch_id 0
		.amdhsa_user_sgpr_private_segment_size 0
		.amdhsa_wavefront_size32 1
		.amdhsa_uses_dynamic_stack 0
		.amdhsa_enable_private_segment 0
		.amdhsa_system_sgpr_workgroup_id_x 1
		.amdhsa_system_sgpr_workgroup_id_y 1
		.amdhsa_system_sgpr_workgroup_id_z 1
		.amdhsa_system_sgpr_workgroup_info 0
		.amdhsa_system_vgpr_workitem_id 1
		.amdhsa_next_free_vgpr 55
		.amdhsa_next_free_sgpr 34
		.amdhsa_reserve_vcc 1
		.amdhsa_float_round_mode_32 0
		.amdhsa_float_round_mode_16_64 0
		.amdhsa_float_denorm_mode_32 3
		.amdhsa_float_denorm_mode_16_64 3
		.amdhsa_fp16_overflow 0
		.amdhsa_workgroup_processor_mode 1
		.amdhsa_memory_ordered 1
		.amdhsa_forward_progress 1
		.amdhsa_inst_pref_size 17
		.amdhsa_round_robin_scheduling 0
		.amdhsa_exception_fp_ieee_invalid_op 0
		.amdhsa_exception_fp_denorm_src 0
		.amdhsa_exception_fp_ieee_div_zero 0
		.amdhsa_exception_fp_ieee_overflow 0
		.amdhsa_exception_fp_ieee_underflow 0
		.amdhsa_exception_fp_ieee_inexact 0
		.amdhsa_exception_int_div_zero 0
	.end_amdhsa_kernel
	.section	.text._ZL29rocblas_internal_gemmt_kernelIiLi16ELi32ELi8ELc67ELc84ELc76ELb0ELb0EdPKdPKS1_PKPdEviT_T9_T10_S7_lS9_S7_lS8_T11_S7_li,"axG",@progbits,_ZL29rocblas_internal_gemmt_kernelIiLi16ELi32ELi8ELc67ELc84ELc76ELb0ELb0EdPKdPKS1_PKPdEviT_T9_T10_S7_lS9_S7_lS8_T11_S7_li,comdat
.Lfunc_end340:
	.size	_ZL29rocblas_internal_gemmt_kernelIiLi16ELi32ELi8ELc67ELc84ELc76ELb0ELb0EdPKdPKS1_PKPdEviT_T9_T10_S7_lS9_S7_lS8_T11_S7_li, .Lfunc_end340-_ZL29rocblas_internal_gemmt_kernelIiLi16ELi32ELi8ELc67ELc84ELc76ELb0ELb0EdPKdPKS1_PKPdEviT_T9_T10_S7_lS9_S7_lS8_T11_S7_li
                                        ; -- End function
	.set _ZL29rocblas_internal_gemmt_kernelIiLi16ELi32ELi8ELc67ELc84ELc76ELb0ELb0EdPKdPKS1_PKPdEviT_T9_T10_S7_lS9_S7_lS8_T11_S7_li.num_vgpr, 55
	.set _ZL29rocblas_internal_gemmt_kernelIiLi16ELi32ELi8ELc67ELc84ELc76ELb0ELb0EdPKdPKS1_PKPdEviT_T9_T10_S7_lS9_S7_lS8_T11_S7_li.num_agpr, 0
	.set _ZL29rocblas_internal_gemmt_kernelIiLi16ELi32ELi8ELc67ELc84ELc76ELb0ELb0EdPKdPKS1_PKPdEviT_T9_T10_S7_lS9_S7_lS8_T11_S7_li.numbered_sgpr, 34
	.set _ZL29rocblas_internal_gemmt_kernelIiLi16ELi32ELi8ELc67ELc84ELc76ELb0ELb0EdPKdPKS1_PKPdEviT_T9_T10_S7_lS9_S7_lS8_T11_S7_li.num_named_barrier, 0
	.set _ZL29rocblas_internal_gemmt_kernelIiLi16ELi32ELi8ELc67ELc84ELc76ELb0ELb0EdPKdPKS1_PKPdEviT_T9_T10_S7_lS9_S7_lS8_T11_S7_li.private_seg_size, 0
	.set _ZL29rocblas_internal_gemmt_kernelIiLi16ELi32ELi8ELc67ELc84ELc76ELb0ELb0EdPKdPKS1_PKPdEviT_T9_T10_S7_lS9_S7_lS8_T11_S7_li.uses_vcc, 1
	.set _ZL29rocblas_internal_gemmt_kernelIiLi16ELi32ELi8ELc67ELc84ELc76ELb0ELb0EdPKdPKS1_PKPdEviT_T9_T10_S7_lS9_S7_lS8_T11_S7_li.uses_flat_scratch, 0
	.set _ZL29rocblas_internal_gemmt_kernelIiLi16ELi32ELi8ELc67ELc84ELc76ELb0ELb0EdPKdPKS1_PKPdEviT_T9_T10_S7_lS9_S7_lS8_T11_S7_li.has_dyn_sized_stack, 0
	.set _ZL29rocblas_internal_gemmt_kernelIiLi16ELi32ELi8ELc67ELc84ELc76ELb0ELb0EdPKdPKS1_PKPdEviT_T9_T10_S7_lS9_S7_lS8_T11_S7_li.has_recursion, 0
	.set _ZL29rocblas_internal_gemmt_kernelIiLi16ELi32ELi8ELc67ELc84ELc76ELb0ELb0EdPKdPKS1_PKPdEviT_T9_T10_S7_lS9_S7_lS8_T11_S7_li.has_indirect_call, 0
	.section	.AMDGPU.csdata,"",@progbits
; Kernel info:
; codeLenInByte = 2080
; TotalNumSgprs: 36
; NumVgprs: 55
; ScratchSize: 0
; MemoryBound: 0
; FloatMode: 240
; IeeeMode: 1
; LDSByteSize: 4096 bytes/workgroup (compile time only)
; SGPRBlocks: 0
; VGPRBlocks: 6
; NumSGPRsForWavesPerEU: 36
; NumVGPRsForWavesPerEU: 55
; Occupancy: 16
; WaveLimiterHint : 1
; COMPUTE_PGM_RSRC2:SCRATCH_EN: 0
; COMPUTE_PGM_RSRC2:USER_SGPR: 2
; COMPUTE_PGM_RSRC2:TRAP_HANDLER: 0
; COMPUTE_PGM_RSRC2:TGID_X_EN: 1
; COMPUTE_PGM_RSRC2:TGID_Y_EN: 1
; COMPUTE_PGM_RSRC2:TGID_Z_EN: 1
; COMPUTE_PGM_RSRC2:TIDIG_COMP_CNT: 1
	.section	.text._ZL29rocblas_internal_gemmt_kernelIiLi16ELi32ELi8ELc67ELc67ELc76ELb0ELb0EdPKdPKS1_PKPdEviT_T9_T10_S7_lS9_S7_lS8_T11_S7_li,"axG",@progbits,_ZL29rocblas_internal_gemmt_kernelIiLi16ELi32ELi8ELc67ELc67ELc76ELb0ELb0EdPKdPKS1_PKPdEviT_T9_T10_S7_lS9_S7_lS8_T11_S7_li,comdat
	.globl	_ZL29rocblas_internal_gemmt_kernelIiLi16ELi32ELi8ELc67ELc67ELc76ELb0ELb0EdPKdPKS1_PKPdEviT_T9_T10_S7_lS9_S7_lS8_T11_S7_li ; -- Begin function _ZL29rocblas_internal_gemmt_kernelIiLi16ELi32ELi8ELc67ELc67ELc76ELb0ELb0EdPKdPKS1_PKPdEviT_T9_T10_S7_lS9_S7_lS8_T11_S7_li
	.p2align	8
	.type	_ZL29rocblas_internal_gemmt_kernelIiLi16ELi32ELi8ELc67ELc67ELc76ELb0ELb0EdPKdPKS1_PKPdEviT_T9_T10_S7_lS9_S7_lS8_T11_S7_li,@function
_ZL29rocblas_internal_gemmt_kernelIiLi16ELi32ELi8ELc67ELc67ELc76ELb0ELb0EdPKdPKS1_PKPdEviT_T9_T10_S7_lS9_S7_lS8_T11_S7_li: ; @_ZL29rocblas_internal_gemmt_kernelIiLi16ELi32ELi8ELc67ELc67ELc76ELb0ELb0EdPKdPKS1_PKPdEviT_T9_T10_S7_lS9_S7_lS8_T11_S7_li
; %bb.0:
	s_load_b128 s[12:15], s[0:1], 0x38
	s_wait_kmcnt 0x0
	s_load_b64 s[14:15], s[14:15], 0x0
	s_clause 0x1
	s_load_b128 s[4:7], s[0:1], 0x8
	s_load_b64 s[20:21], s[0:1], 0x0
	s_wait_kmcnt 0x0
	s_load_b64 s[4:5], s[4:5], 0x0
	v_cmp_neq_f64_e64 s2, s[14:15], 1.0
	s_and_b32 vcc_lo, exec_lo, s2
	s_cbranch_vccnz .LBB341_2
; %bb.1:
	s_wait_kmcnt 0x0
	v_cmp_neq_f64_e64 s2, s[4:5], 0
	s_cmp_lg_u32 s21, 0
	s_cselect_b32 s3, -1, 0
	s_delay_alu instid0(SALU_CYCLE_1)
	s_and_b32 s2, s3, s2
.LBB341_2:
	s_delay_alu instid0(SALU_CYCLE_1)
	s_and_not1_b32 vcc_lo, exec_lo, s2
	s_cbranch_vccnz .LBB341_33
; %bb.3:
	s_load_b32 s19, s[0:1], 0x60
	s_lshr_b32 s22, ttmp7, 16
	s_wait_kmcnt 0x0
	s_cmp_ge_u32 s22, s19
	s_cbranch_scc1 .LBB341_33
; %bb.4:
	v_dual_mov_b32 v32, 0 :: v_dual_and_b32 v1, 0x3ff, v0
	v_bfe_u32 v2, v0, 10, 10
	s_load_b32 s24, s[0:1], 0x30
	v_and_b32_e32 v26, 7, v0
	s_clause 0x3
	s_load_b32 s30, s[0:1], 0x18
	s_load_b128 s[8:11], s[0:1], 0x20
	s_load_b96 s[16:18], s[0:1], 0x48
	s_load_b64 s[26:27], s[0:1], 0x58
	v_lshl_add_u32 v0, v2, 4, v1
	s_lshl_b32 s0, ttmp7, 5
	v_lshlrev_b32_e32 v4, 3, v26
	s_lshl_b32 s1, ttmp9, 5
	s_and_b32 s2, s0, 0x1fffe0
	v_and_b32_e32 v3, 31, v0
	v_lshrrev_b32_e32 v27, 5, v0
	v_lshrrev_b32_e32 v0, 3, v0
	v_cmp_neq_f64_e64 s31, s[4:5], 0
	v_add_nc_u32_e32 v6, s1, v1
	v_cmp_neq_f64_e64 s28, s[14:15], 0
	v_or_b32_e32 v5, s1, v3
	v_add_nc_u32_e32 v12, s2, v0
	v_lshl_or_b32 v0, v0, 6, v4
	v_add_nc_u32_e32 v4, s2, v2
	v_lshlrev_b32_e32 v3, 3, v3
	v_cmp_gt_i32_e64 s2, s20, v6
	s_wait_kmcnt 0x0
	s_ashr_i32 s25, s24, 31
	v_add_nc_u32_e32 v29, 0x800, v0
	v_cmp_le_i32_e32 vcc_lo, v4, v6
	v_add_nc_u32_e32 v0, 16, v6
	s_cmp_gt_i32 s21, 0
	v_cmp_gt_i32_e64 s0, s20, v5
	s_cselect_b32 s33, -1, 0
	v_lshl_or_b32 v28, v27, 8, v3
	v_lshl_add_u32 v31, v2, 6, 0x800
	v_mad_co_i64_i32 v[2:3], null, v4, s18, 0
	s_and_b32 s29, vcc_lo, s2
	v_cmp_le_i32_e32 vcc_lo, v4, v0
	v_add_nc_u32_e32 v13, 16, v4
	v_mad_co_i64_i32 v[4:5], null, s30, v5, 0
	v_cmp_gt_i32_e64 s3, s20, v0
	v_mad_co_i64_i32 v[8:9], null, s24, v26, 0
	v_cmp_gt_i32_e64 s1, s20, v12
	s_lshl_b64 s[8:9], s[8:9], 3
	s_and_b32 s20, vcc_lo, s3
	v_lshlrev_b64_e32 v[4:5], 3, v[4:5]
	v_cmp_le_i32_e32 vcc_lo, v13, v6
	v_mad_co_i64_i32 v[10:11], null, v13, s18, 0
	v_lshlrev_b64_e32 v[8:9], 3, v[8:9]
	v_lshlrev_b32_e32 v12, 3, v12
	s_and_b32 s18, vcc_lo, s2
	v_add_co_u32 v4, s2, v4, s8
	v_cmp_le_i32_e32 vcc_lo, v13, v0
	s_wait_alu 0xf1ff
	v_add_co_ci_u32_e64 v5, null, s9, v5, s2
	v_lshlrev_b32_e32 v13, 3, v27
	s_lshl_b64 s[8:9], s[12:13], 3
	v_ashrrev_i32_e32 v7, 31, v6
	s_wait_alu 0xfffe
	v_add_co_u32 v8, s2, v8, s8
	s_wait_alu 0xf1ff
	v_add_co_ci_u32_e64 v9, null, s9, v9, s2
	v_add_co_u32 v33, s2, v4, v13
	s_wait_alu 0xf1ff
	v_add_co_ci_u32_e64 v34, null, 0, v5, s2
	v_add_co_u32 v35, s2, v8, v12
	v_lshlrev_b64_e32 v[2:3], 3, v[2:3]
	v_lshlrev_b64_e32 v[4:5], 3, v[10:11]
	;; [unrolled: 1-line block ×3, first 2 shown]
	v_lshlrev_b32_e32 v30, 3, v1
	v_ashrrev_i32_e32 v1, 31, v0
	s_wait_alu 0xf1ff
	v_add_co_ci_u32_e64 v36, null, 0, v9, s2
	s_mov_b32 s23, 0
	s_and_b32 s30, s31, s33
	s_and_b32 s31, vcc_lo, s3
	s_lshl_b64 s[2:3], s[24:25], 6
	s_lshl_b64 s[8:9], s[26:27], 3
	s_branch .LBB341_6
.LBB341_5:                              ;   in Loop: Header=BB341_6 Depth=1
	s_wait_alu 0xfffe
	s_or_b32 exec_lo, exec_lo, s12
	s_add_co_i32 s22, s22, 0x10000
	s_delay_alu instid0(SALU_CYCLE_1)
	s_cmp_lt_u32 s22, s19
	s_cbranch_scc0 .LBB341_33
.LBB341_6:                              ; =>This Loop Header: Depth=1
                                        ;     Child Loop BB341_9 Depth 2
	s_lshl_b64 s[12:13], s[22:23], 3
	v_mov_b32_e32 v20, 0
	s_wait_alu 0xfffe
	s_add_nc_u64 s[24:25], s[16:17], s[12:13]
	v_mov_b32_e32 v12, 0
	global_load_b64 v[10:11], v32, s[24:25]
	v_dual_mov_b32 v21, 0 :: v_dual_mov_b32 v14, 0
	v_dual_mov_b32 v13, 0 :: v_dual_mov_b32 v8, 0
	v_mov_b32_e32 v15, 0
	v_mov_b32_e32 v9, 0
	s_and_not1_b32 vcc_lo, exec_lo, s30
	s_wait_alu 0xfffe
	s_cbranch_vccnz .LBB341_13
; %bb.7:                                ;   in Loop: Header=BB341_6 Depth=1
	s_add_nc_u64 s[24:25], s[6:7], s[12:13]
	s_add_nc_u64 s[12:13], s[10:11], s[12:13]
	s_clause 0x1
	global_load_b64 v[16:17], v32, s[24:25]
	global_load_b64 v[18:19], v32, s[12:13]
	v_mov_b32_e32 v8, 0
	v_dual_mov_b32 v14, 0 :: v_dual_mov_b32 v9, 0
	v_dual_mov_b32 v12, 0 :: v_dual_mov_b32 v15, 0
	;; [unrolled: 1-line block ×3, first 2 shown]
	v_mov_b32_e32 v21, 0
	s_mov_b32 s12, 0
	s_wait_loadcnt 0x1
	v_add_co_u32 v16, vcc_lo, v16, v33
	s_wait_alu 0xfffd
	v_add_co_ci_u32_e64 v17, null, v17, v34, vcc_lo
	s_wait_loadcnt 0x0
	v_add_co_u32 v18, vcc_lo, v18, v35
	s_wait_alu 0xfffd
	v_add_co_ci_u32_e64 v19, null, v19, v36, vcc_lo
	s_branch .LBB341_9
.LBB341_8:                              ;   in Loop: Header=BB341_9 Depth=2
	s_wait_alu 0xfffe
	s_or_b32 exec_lo, exec_lo, s13
	s_wait_loadcnt_dscnt 0x0
	ds_store_b64 v29, v[24:25]
	s_wait_dscnt 0x0
	s_barrier_signal -1
	s_barrier_wait -1
	global_inv scope:SCOPE_SE
	ds_load_b128 v[22:25], v31
	ds_load_2addr_b64 v[37:40], v30 offset1:16
	ds_load_b128 v[41:44], v31 offset:1024
	ds_load_b128 v[45:48], v31 offset:16
	;; [unrolled: 1-line block ×3, first 2 shown]
	v_add_co_u32 v16, vcc_lo, v16, 64
	s_wait_alu 0xfffd
	v_add_co_ci_u32_e64 v17, null, 0, v17, vcc_lo
	v_add_co_u32 v18, vcc_lo, v18, s2
	s_wait_alu 0xfffd
	v_add_co_ci_u32_e64 v19, null, s3, v19, vcc_lo
	s_add_co_i32 s12, s12, 8
	s_wait_alu 0xfffe
	s_cmp_lt_i32 s12, s21
	s_wait_dscnt 0x3
	v_fma_f64 v[20:21], v[37:38], v[22:23], v[20:21]
	v_fma_f64 v[22:23], v[39:40], v[22:23], v[14:15]
	s_wait_dscnt 0x2
	v_fma_f64 v[37:38], v[37:38], v[41:42], v[12:13]
	v_fma_f64 v[8:9], v[39:40], v[41:42], v[8:9]
	ds_load_2addr_b64 v[12:15], v30 offset0:32 offset1:48
	s_wait_dscnt 0x0
	v_fma_f64 v[20:21], v[12:13], v[24:25], v[20:21]
	v_fma_f64 v[22:23], v[14:15], v[24:25], v[22:23]
	v_fma_f64 v[24:25], v[12:13], v[43:44], v[37:38]
	v_fma_f64 v[8:9], v[14:15], v[43:44], v[8:9]
	ds_load_2addr_b64 v[12:15], v30 offset0:64 offset1:80
	s_wait_dscnt 0x0
	v_fma_f64 v[20:21], v[12:13], v[45:46], v[20:21]
	v_fma_f64 v[22:23], v[14:15], v[45:46], v[22:23]
	;; [unrolled: 6-line block ×3, first 2 shown]
	v_fma_f64 v[24:25], v[12:13], v[51:52], v[24:25]
	v_fma_f64 v[8:9], v[14:15], v[51:52], v[8:9]
	ds_load_b128 v[12:15], v31 offset:32
	ds_load_2addr_b64 v[20:23], v30 offset0:128 offset1:144
	ds_load_b128 v[37:40], v31 offset:1056
	ds_load_b128 v[41:44], v31 offset:48
	;; [unrolled: 1-line block ×3, first 2 shown]
	s_wait_dscnt 0x3
	v_fma_f64 v[49:50], v[20:21], v[12:13], v[49:50]
	v_fma_f64 v[12:13], v[22:23], v[12:13], v[53:54]
	s_wait_dscnt 0x2
	v_fma_f64 v[24:25], v[20:21], v[37:38], v[24:25]
	v_fma_f64 v[8:9], v[22:23], v[37:38], v[8:9]
	ds_load_2addr_b64 v[20:23], v30 offset0:160 offset1:176
	s_wait_dscnt 0x0
	v_fma_f64 v[37:38], v[20:21], v[14:15], v[49:50]
	v_fma_f64 v[49:50], v[22:23], v[14:15], v[12:13]
	;; [unrolled: 1-line block ×4, first 2 shown]
	ds_load_2addr_b64 v[12:15], v30 offset0:192 offset1:208
	ds_load_2addr_b64 v[22:25], v30 offset0:224 offset1:240
	s_wait_loadcnt_dscnt 0x0
	s_barrier_signal -1
	s_barrier_wait -1
	global_inv scope:SCOPE_SE
	v_fma_f64 v[37:38], v[12:13], v[41:42], v[37:38]
	v_fma_f64 v[39:40], v[14:15], v[41:42], v[49:50]
	v_fma_f64 v[12:13], v[12:13], v[45:46], v[20:21]
	v_fma_f64 v[8:9], v[14:15], v[45:46], v[8:9]
	s_delay_alu instid0(VALU_DEP_4) | instskip(NEXT) | instid1(VALU_DEP_4)
	v_fma_f64 v[20:21], v[22:23], v[43:44], v[37:38]
	v_fma_f64 v[14:15], v[24:25], v[43:44], v[39:40]
	s_delay_alu instid0(VALU_DEP_4) | instskip(NEXT) | instid1(VALU_DEP_4)
	v_fma_f64 v[12:13], v[22:23], v[47:48], v[12:13]
	v_fma_f64 v[8:9], v[24:25], v[47:48], v[8:9]
	s_cbranch_scc0 .LBB341_13
.LBB341_9:                              ;   Parent Loop BB341_6 Depth=1
                                        ; =>  This Inner Loop Header: Depth=2
	s_wait_alu 0xfffe
	v_add_nc_u32_e32 v22, s12, v27
	s_delay_alu instid0(VALU_DEP_1)
	v_cmp_gt_i32_e32 vcc_lo, s21, v22
	v_mov_b32_e32 v22, 0
	v_mov_b32_e32 v23, 0
	s_and_b32 s24, s0, vcc_lo
	s_wait_alu 0xfffe
	s_and_saveexec_b32 s13, s24
	s_cbranch_execz .LBB341_11
; %bb.10:                               ;   in Loop: Header=BB341_9 Depth=2
	flat_load_b64 v[22:23], v[16:17]
.LBB341_11:                             ;   in Loop: Header=BB341_9 Depth=2
	s_wait_alu 0xfffe
	s_or_b32 exec_lo, exec_lo, s13
	v_add_nc_u32_e32 v24, s12, v26
	s_wait_loadcnt_dscnt 0x0
	ds_store_b64 v28, v[22:23]
	v_cmp_gt_i32_e32 vcc_lo, s21, v24
	v_mov_b32_e32 v24, 0
	v_mov_b32_e32 v25, 0
	s_and_b32 s24, vcc_lo, s1
	s_wait_alu 0xfffe
	s_and_saveexec_b32 s13, s24
	s_cbranch_execz .LBB341_8
; %bb.12:                               ;   in Loop: Header=BB341_9 Depth=2
	flat_load_b64 v[24:25], v[18:19]
	s_branch .LBB341_8
.LBB341_13:                             ;   in Loop: Header=BB341_6 Depth=1
	s_wait_loadcnt 0x0
	v_add_co_u32 v16, vcc_lo, v10, s8
	s_wait_alu 0xfffd
	v_add_co_ci_u32_e64 v17, null, s9, v11, vcc_lo
	s_delay_alu instid0(VALU_DEP_2) | instskip(SKIP_1) | instid1(VALU_DEP_2)
	v_add_co_u32 v18, vcc_lo, v16, v2
	s_wait_alu 0xfffd
	v_add_co_ci_u32_e64 v19, null, v17, v3, vcc_lo
	s_and_saveexec_b32 s12, s29
	s_cbranch_execz .LBB341_17
; %bb.14:                               ;   in Loop: Header=BB341_6 Depth=1
	v_mul_f64_e32 v[10:11], s[4:5], v[20:21]
	s_and_b32 vcc_lo, exec_lo, s28
	s_wait_alu 0xfffe
	s_cbranch_vccz .LBB341_28
; %bb.15:                               ;   in Loop: Header=BB341_6 Depth=1
	v_add_co_u32 v20, vcc_lo, v18, v6
	s_wait_alu 0xfffd
	v_add_co_ci_u32_e64 v21, null, v19, v7, vcc_lo
	flat_load_b64 v[22:23], v[20:21]
	s_wait_loadcnt_dscnt 0x0
	v_fma_f64 v[22:23], s[14:15], v[22:23], v[10:11]
	flat_store_b64 v[20:21], v[22:23]
	s_cbranch_execnz .LBB341_17
.LBB341_16:                             ;   in Loop: Header=BB341_6 Depth=1
	v_add_co_u32 v20, vcc_lo, v18, v6
	s_wait_alu 0xfffd
	v_add_co_ci_u32_e64 v21, null, v19, v7, vcc_lo
	flat_store_b64 v[20:21], v[10:11]
.LBB341_17:                             ;   in Loop: Header=BB341_6 Depth=1
	s_wait_alu 0xfffe
	s_or_b32 exec_lo, exec_lo, s12
	s_and_saveexec_b32 s12, s20
	s_cbranch_execz .LBB341_21
; %bb.18:                               ;   in Loop: Header=BB341_6 Depth=1
	v_mul_f64_e32 v[10:11], s[4:5], v[14:15]
	s_and_not1_b32 vcc_lo, exec_lo, s28
	s_wait_alu 0xfffe
	s_cbranch_vccnz .LBB341_29
; %bb.19:                               ;   in Loop: Header=BB341_6 Depth=1
	v_lshlrev_b64_e32 v[14:15], 3, v[0:1]
	s_delay_alu instid0(VALU_DEP_1) | instskip(SKIP_1) | instid1(VALU_DEP_2)
	v_add_co_u32 v14, vcc_lo, v18, v14
	s_wait_alu 0xfffd
	v_add_co_ci_u32_e64 v15, null, v19, v15, vcc_lo
	flat_load_b64 v[20:21], v[14:15]
	s_wait_loadcnt_dscnt 0x0
	v_fma_f64 v[20:21], s[14:15], v[20:21], v[10:11]
	flat_store_b64 v[14:15], v[20:21]
	s_cbranch_execnz .LBB341_21
.LBB341_20:                             ;   in Loop: Header=BB341_6 Depth=1
	v_lshlrev_b64_e32 v[14:15], 3, v[0:1]
	s_delay_alu instid0(VALU_DEP_1) | instskip(SKIP_1) | instid1(VALU_DEP_2)
	v_add_co_u32 v14, vcc_lo, v18, v14
	s_wait_alu 0xfffd
	v_add_co_ci_u32_e64 v15, null, v19, v15, vcc_lo
	flat_store_b64 v[14:15], v[10:11]
.LBB341_21:                             ;   in Loop: Header=BB341_6 Depth=1
	s_wait_alu 0xfffe
	s_or_b32 exec_lo, exec_lo, s12
	v_add_co_u32 v14, vcc_lo, v16, v4
	s_wait_alu 0xfffd
	v_add_co_ci_u32_e64 v15, null, v17, v5, vcc_lo
	s_and_saveexec_b32 s12, s18
	s_cbranch_execz .LBB341_25
; %bb.22:                               ;   in Loop: Header=BB341_6 Depth=1
	v_mul_f64_e32 v[10:11], s[4:5], v[12:13]
	s_and_not1_b32 vcc_lo, exec_lo, s28
	s_wait_alu 0xfffe
	s_cbranch_vccnz .LBB341_30
; %bb.23:                               ;   in Loop: Header=BB341_6 Depth=1
	v_add_co_u32 v12, vcc_lo, v14, v6
	s_wait_alu 0xfffd
	v_add_co_ci_u32_e64 v13, null, v15, v7, vcc_lo
	flat_load_b64 v[16:17], v[12:13]
	s_wait_loadcnt_dscnt 0x0
	v_fma_f64 v[16:17], s[14:15], v[16:17], v[10:11]
	flat_store_b64 v[12:13], v[16:17]
	s_cbranch_execnz .LBB341_25
.LBB341_24:                             ;   in Loop: Header=BB341_6 Depth=1
	v_add_co_u32 v12, vcc_lo, v14, v6
	s_wait_alu 0xfffd
	v_add_co_ci_u32_e64 v13, null, v15, v7, vcc_lo
	flat_store_b64 v[12:13], v[10:11]
.LBB341_25:                             ;   in Loop: Header=BB341_6 Depth=1
	s_wait_alu 0xfffe
	s_or_b32 exec_lo, exec_lo, s12
	s_and_saveexec_b32 s12, s31
	s_cbranch_execz .LBB341_5
; %bb.26:                               ;   in Loop: Header=BB341_6 Depth=1
	v_mul_f64_e32 v[8:9], s[4:5], v[8:9]
	v_lshlrev_b64_e32 v[10:11], 3, v[0:1]
	s_and_not1_b32 vcc_lo, exec_lo, s28
	s_wait_alu 0xfffe
	s_cbranch_vccnz .LBB341_31
; %bb.27:                               ;   in Loop: Header=BB341_6 Depth=1
	s_delay_alu instid0(VALU_DEP_1)
	v_add_co_u32 v12, vcc_lo, v14, v10
	s_wait_alu 0xfffd
	v_add_co_ci_u32_e64 v13, null, v15, v11, vcc_lo
	flat_load_b64 v[16:17], v[12:13]
	s_wait_loadcnt_dscnt 0x0
	v_fma_f64 v[16:17], s[14:15], v[16:17], v[8:9]
	flat_store_b64 v[12:13], v[16:17]
	s_cbranch_execnz .LBB341_5
	s_branch .LBB341_32
.LBB341_28:                             ;   in Loop: Header=BB341_6 Depth=1
	s_branch .LBB341_16
.LBB341_29:                             ;   in Loop: Header=BB341_6 Depth=1
	s_branch .LBB341_20
.LBB341_30:                             ;   in Loop: Header=BB341_6 Depth=1
	s_branch .LBB341_24
.LBB341_31:                             ;   in Loop: Header=BB341_6 Depth=1
.LBB341_32:                             ;   in Loop: Header=BB341_6 Depth=1
	s_delay_alu instid0(VALU_DEP_1)
	v_add_co_u32 v10, vcc_lo, v14, v10
	s_wait_alu 0xfffd
	v_add_co_ci_u32_e64 v11, null, v15, v11, vcc_lo
	flat_store_b64 v[10:11], v[8:9]
	s_branch .LBB341_5
.LBB341_33:
	s_endpgm
	.section	.rodata,"a",@progbits
	.p2align	6, 0x0
	.amdhsa_kernel _ZL29rocblas_internal_gemmt_kernelIiLi16ELi32ELi8ELc67ELc67ELc76ELb0ELb0EdPKdPKS1_PKPdEviT_T9_T10_S7_lS9_S7_lS8_T11_S7_li
		.amdhsa_group_segment_fixed_size 4096
		.amdhsa_private_segment_fixed_size 0
		.amdhsa_kernarg_size 100
		.amdhsa_user_sgpr_count 2
		.amdhsa_user_sgpr_dispatch_ptr 0
		.amdhsa_user_sgpr_queue_ptr 0
		.amdhsa_user_sgpr_kernarg_segment_ptr 1
		.amdhsa_user_sgpr_dispatch_id 0
		.amdhsa_user_sgpr_private_segment_size 0
		.amdhsa_wavefront_size32 1
		.amdhsa_uses_dynamic_stack 0
		.amdhsa_enable_private_segment 0
		.amdhsa_system_sgpr_workgroup_id_x 1
		.amdhsa_system_sgpr_workgroup_id_y 1
		.amdhsa_system_sgpr_workgroup_id_z 1
		.amdhsa_system_sgpr_workgroup_info 0
		.amdhsa_system_vgpr_workitem_id 1
		.amdhsa_next_free_vgpr 55
		.amdhsa_next_free_sgpr 34
		.amdhsa_reserve_vcc 1
		.amdhsa_float_round_mode_32 0
		.amdhsa_float_round_mode_16_64 0
		.amdhsa_float_denorm_mode_32 3
		.amdhsa_float_denorm_mode_16_64 3
		.amdhsa_fp16_overflow 0
		.amdhsa_workgroup_processor_mode 1
		.amdhsa_memory_ordered 1
		.amdhsa_forward_progress 1
		.amdhsa_inst_pref_size 17
		.amdhsa_round_robin_scheduling 0
		.amdhsa_exception_fp_ieee_invalid_op 0
		.amdhsa_exception_fp_denorm_src 0
		.amdhsa_exception_fp_ieee_div_zero 0
		.amdhsa_exception_fp_ieee_overflow 0
		.amdhsa_exception_fp_ieee_underflow 0
		.amdhsa_exception_fp_ieee_inexact 0
		.amdhsa_exception_int_div_zero 0
	.end_amdhsa_kernel
	.section	.text._ZL29rocblas_internal_gemmt_kernelIiLi16ELi32ELi8ELc67ELc67ELc76ELb0ELb0EdPKdPKS1_PKPdEviT_T9_T10_S7_lS9_S7_lS8_T11_S7_li,"axG",@progbits,_ZL29rocblas_internal_gemmt_kernelIiLi16ELi32ELi8ELc67ELc67ELc76ELb0ELb0EdPKdPKS1_PKPdEviT_T9_T10_S7_lS9_S7_lS8_T11_S7_li,comdat
.Lfunc_end341:
	.size	_ZL29rocblas_internal_gemmt_kernelIiLi16ELi32ELi8ELc67ELc67ELc76ELb0ELb0EdPKdPKS1_PKPdEviT_T9_T10_S7_lS9_S7_lS8_T11_S7_li, .Lfunc_end341-_ZL29rocblas_internal_gemmt_kernelIiLi16ELi32ELi8ELc67ELc67ELc76ELb0ELb0EdPKdPKS1_PKPdEviT_T9_T10_S7_lS9_S7_lS8_T11_S7_li
                                        ; -- End function
	.set _ZL29rocblas_internal_gemmt_kernelIiLi16ELi32ELi8ELc67ELc67ELc76ELb0ELb0EdPKdPKS1_PKPdEviT_T9_T10_S7_lS9_S7_lS8_T11_S7_li.num_vgpr, 55
	.set _ZL29rocblas_internal_gemmt_kernelIiLi16ELi32ELi8ELc67ELc67ELc76ELb0ELb0EdPKdPKS1_PKPdEviT_T9_T10_S7_lS9_S7_lS8_T11_S7_li.num_agpr, 0
	.set _ZL29rocblas_internal_gemmt_kernelIiLi16ELi32ELi8ELc67ELc67ELc76ELb0ELb0EdPKdPKS1_PKPdEviT_T9_T10_S7_lS9_S7_lS8_T11_S7_li.numbered_sgpr, 34
	.set _ZL29rocblas_internal_gemmt_kernelIiLi16ELi32ELi8ELc67ELc67ELc76ELb0ELb0EdPKdPKS1_PKPdEviT_T9_T10_S7_lS9_S7_lS8_T11_S7_li.num_named_barrier, 0
	.set _ZL29rocblas_internal_gemmt_kernelIiLi16ELi32ELi8ELc67ELc67ELc76ELb0ELb0EdPKdPKS1_PKPdEviT_T9_T10_S7_lS9_S7_lS8_T11_S7_li.private_seg_size, 0
	.set _ZL29rocblas_internal_gemmt_kernelIiLi16ELi32ELi8ELc67ELc67ELc76ELb0ELb0EdPKdPKS1_PKPdEviT_T9_T10_S7_lS9_S7_lS8_T11_S7_li.uses_vcc, 1
	.set _ZL29rocblas_internal_gemmt_kernelIiLi16ELi32ELi8ELc67ELc67ELc76ELb0ELb0EdPKdPKS1_PKPdEviT_T9_T10_S7_lS9_S7_lS8_T11_S7_li.uses_flat_scratch, 0
	.set _ZL29rocblas_internal_gemmt_kernelIiLi16ELi32ELi8ELc67ELc67ELc76ELb0ELb0EdPKdPKS1_PKPdEviT_T9_T10_S7_lS9_S7_lS8_T11_S7_li.has_dyn_sized_stack, 0
	.set _ZL29rocblas_internal_gemmt_kernelIiLi16ELi32ELi8ELc67ELc67ELc76ELb0ELb0EdPKdPKS1_PKPdEviT_T9_T10_S7_lS9_S7_lS8_T11_S7_li.has_recursion, 0
	.set _ZL29rocblas_internal_gemmt_kernelIiLi16ELi32ELi8ELc67ELc67ELc76ELb0ELb0EdPKdPKS1_PKPdEviT_T9_T10_S7_lS9_S7_lS8_T11_S7_li.has_indirect_call, 0
	.section	.AMDGPU.csdata,"",@progbits
; Kernel info:
; codeLenInByte = 2080
; TotalNumSgprs: 36
; NumVgprs: 55
; ScratchSize: 0
; MemoryBound: 0
; FloatMode: 240
; IeeeMode: 1
; LDSByteSize: 4096 bytes/workgroup (compile time only)
; SGPRBlocks: 0
; VGPRBlocks: 6
; NumSGPRsForWavesPerEU: 36
; NumVGPRsForWavesPerEU: 55
; Occupancy: 16
; WaveLimiterHint : 1
; COMPUTE_PGM_RSRC2:SCRATCH_EN: 0
; COMPUTE_PGM_RSRC2:USER_SGPR: 2
; COMPUTE_PGM_RSRC2:TRAP_HANDLER: 0
; COMPUTE_PGM_RSRC2:TGID_X_EN: 1
; COMPUTE_PGM_RSRC2:TGID_Y_EN: 1
; COMPUTE_PGM_RSRC2:TGID_Z_EN: 1
; COMPUTE_PGM_RSRC2:TIDIG_COMP_CNT: 1
	.section	.text._ZL29rocblas_internal_gemmt_kernelIiLi16ELi32ELi8ELc78ELc78ELc85ELb0ELb0EddPKPKdPKPdEviT_T9_T10_S7_lS9_S7_lS8_T11_S7_li,"axG",@progbits,_ZL29rocblas_internal_gemmt_kernelIiLi16ELi32ELi8ELc78ELc78ELc85ELb0ELb0EddPKPKdPKPdEviT_T9_T10_S7_lS9_S7_lS8_T11_S7_li,comdat
	.globl	_ZL29rocblas_internal_gemmt_kernelIiLi16ELi32ELi8ELc78ELc78ELc85ELb0ELb0EddPKPKdPKPdEviT_T9_T10_S7_lS9_S7_lS8_T11_S7_li ; -- Begin function _ZL29rocblas_internal_gemmt_kernelIiLi16ELi32ELi8ELc78ELc78ELc85ELb0ELb0EddPKPKdPKPdEviT_T9_T10_S7_lS9_S7_lS8_T11_S7_li
	.p2align	8
	.type	_ZL29rocblas_internal_gemmt_kernelIiLi16ELi32ELi8ELc78ELc78ELc85ELb0ELb0EddPKPKdPKPdEviT_T9_T10_S7_lS9_S7_lS8_T11_S7_li,@function
_ZL29rocblas_internal_gemmt_kernelIiLi16ELi32ELi8ELc78ELc78ELc85ELb0ELb0EddPKPKdPKPdEviT_T9_T10_S7_lS9_S7_lS8_T11_S7_li: ; @_ZL29rocblas_internal_gemmt_kernelIiLi16ELi32ELi8ELc78ELc78ELc85ELb0ELb0EddPKPKdPKPdEviT_T9_T10_S7_lS9_S7_lS8_T11_S7_li
; %bb.0:
	s_clause 0x2
	s_load_b128 s[8:11], s[0:1], 0x38
	s_load_b64 s[4:5], s[0:1], 0x0
	s_load_b128 s[12:15], s[0:1], 0x8
	s_wait_kmcnt 0x0
	v_cmp_neq_f64_e64 s2, s[10:11], 1.0
	s_and_b32 vcc_lo, exec_lo, s2
	s_cbranch_vccnz .LBB342_2
; %bb.1:
	v_cmp_neq_f64_e64 s2, s[12:13], 0
	s_cmp_lg_u32 s5, 0
	s_cselect_b32 s3, -1, 0
	s_delay_alu instid0(SALU_CYCLE_1)
	s_and_b32 s2, s3, s2
.LBB342_2:
	s_delay_alu instid0(SALU_CYCLE_1)
	s_and_not1_b32 vcc_lo, exec_lo, s2
	s_cbranch_vccnz .LBB342_33
; %bb.3:
	s_load_b32 s23, s[0:1], 0x60
	s_lshr_b32 s6, ttmp7, 16
	s_wait_kmcnt 0x0
	s_cmp_ge_u32 s6, s23
	s_cbranch_scc1 .LBB342_33
; %bb.4:
	v_dual_mov_b32 v34, 0 :: v_dual_and_b32 v1, 0x3ff, v0
	v_bfe_u32 v2, v0, 10, 10
	s_load_b32 s24, s[0:1], 0x18
	v_and_b32_e32 v26, 7, v0
	s_clause 0x3
	s_load_b128 s[16:19], s[0:1], 0x20
	s_load_b32 s31, s[0:1], 0x30
	s_load_b96 s[20:22], s[0:1], 0x48
	s_load_b64 s[26:27], s[0:1], 0x58
	s_lshl_b32 s2, ttmp9, 5
	v_lshl_add_u32 v0, v2, 4, v1
	s_lshl_b32 s0, ttmp7, 5
	v_lshlrev_b32_e32 v14, 3, v26
	v_cmp_neq_f64_e64 s33, s[12:13], 0
	s_and_b32 s3, s0, 0x1fffe0
	v_and_b32_e32 v3, 31, v0
	v_lshrrev_b32_e32 v27, 5, v0
	v_lshrrev_b32_e32 v0, 3, v0
	v_cmp_neq_f64_e64 s28, s[10:11], 0
	v_lshl_add_u32 v31, v2, 6, 0x800
	v_or_b32_e32 v4, s2, v3
	v_lshlrev_b32_e32 v3, 3, v3
	v_add_nc_u32_e32 v12, s3, v0
	v_lshl_or_b32 v5, v0, 6, v14
	v_add_nc_u32_e32 v0, s2, v1
	v_cmp_gt_i32_e64 s0, s4, v4
	v_lshl_or_b32 v28, v27, 8, v3
	v_add_nc_u32_e32 v3, s3, v2
	s_wait_kmcnt 0x0
	v_mad_co_i64_i32 v[8:9], null, v27, s24, 0
	v_add_nc_u32_e32 v2, 16, v0
	s_ashr_i32 s25, s24, 31
	v_cmp_gt_i32_e32 vcc_lo, s4, v3
	v_cmp_le_i32_e64 s2, v0, v3
	s_cmp_gt_i32 s5, 0
	v_cmp_gt_i32_e64 s1, s4, v12
	v_lshlrev_b64_e32 v[8:9], 3, v[8:9]
	v_mad_co_i64_i32 v[12:13], null, s31, v12, 0
	s_cselect_b32 s34, -1, 0
	v_add_nc_u32_e32 v29, 0x800, v5
	s_and_b32 s29, vcc_lo, s2
	v_add_nc_u32_e32 v15, 16, v3
	v_cmp_le_i32_e64 s2, v2, v3
	v_ashrrev_i32_e32 v5, 31, v4
	s_lshl_b64 s[16:17], s[16:17], 3
	s_lshl_b64 s[8:9], s[8:9], 3
	v_cmp_gt_i32_e64 s3, s4, v15
	v_cmp_le_i32_e64 s4, v0, v15
	s_and_b32 s30, vcc_lo, s2
	v_mad_co_i64_i32 v[10:11], null, v15, s22, 0
	v_cmp_le_i32_e32 vcc_lo, v2, v15
	v_lshlrev_b64_e32 v[4:5], 3, v[4:5]
	v_add_co_u32 v15, s2, v8, s16
	s_wait_alu 0xf1ff
	v_add_co_ci_u32_e64 v16, null, s17, v9, s2
	v_lshlrev_b64_e32 v[8:9], 3, v[12:13]
	s_delay_alu instid0(VALU_DEP_3) | instskip(SKIP_3) | instid1(VALU_DEP_4)
	v_add_co_u32 v32, s2, v15, v4
	v_mad_co_i64_i32 v[6:7], null, v3, s22, 0
	s_wait_alu 0xf1ff
	v_add_co_ci_u32_e64 v33, null, v16, v5, s2
	v_add_co_u32 v4, s2, v8, s8
	s_wait_alu 0xf1ff
	v_add_co_ci_u32_e64 v5, null, s9, v9, s2
	v_lshlrev_b32_e32 v30, 3, v1
	s_delay_alu instid0(VALU_DEP_3) | instskip(SKIP_1) | instid1(VALU_DEP_3)
	v_add_co_u32 v35, s2, v4, v14
	s_wait_alu 0xf1ff
	v_add_co_ci_u32_e64 v36, null, 0, v5, s2
	v_lshlrev_b64_e32 v[4:5], 3, v[6:7]
	v_lshlrev_b64_e32 v[6:7], 3, v[10:11]
	v_ashrrev_i32_e32 v1, 31, v0
	v_ashrrev_i32_e32 v3, 31, v2
	s_mov_b32 s7, 0
	s_and_b32 s4, s3, s4
	s_and_b32 s22, s33, s34
	s_and_b32 s31, s3, vcc_lo
	s_wait_alu 0xfffe
	s_lshl_b64 s[2:3], s[24:25], 6
	s_lshl_b64 s[8:9], s[26:27], 3
	s_branch .LBB342_6
.LBB342_5:                              ;   in Loop: Header=BB342_6 Depth=1
	s_wait_alu 0xfffe
	s_or_b32 exec_lo, exec_lo, s16
	s_add_co_i32 s6, s6, 0x10000
	s_delay_alu instid0(SALU_CYCLE_1)
	s_cmp_lt_u32 s6, s23
	s_cbranch_scc0 .LBB342_33
.LBB342_6:                              ; =>This Loop Header: Depth=1
                                        ;     Child Loop BB342_9 Depth 2
	s_lshl_b64 s[16:17], s[6:7], 3
	v_mov_b32_e32 v20, 0
	s_wait_alu 0xfffe
	s_add_nc_u64 s[24:25], s[20:21], s[16:17]
	v_mov_b32_e32 v10, 0
	global_load_b64 v[12:13], v34, s[24:25]
	v_dual_mov_b32 v21, 0 :: v_dual_mov_b32 v14, 0
	v_dual_mov_b32 v11, 0 :: v_dual_mov_b32 v8, 0
	v_mov_b32_e32 v15, 0
	v_mov_b32_e32 v9, 0
	s_and_not1_b32 vcc_lo, exec_lo, s22
	s_wait_alu 0xfffe
	s_cbranch_vccnz .LBB342_13
; %bb.7:                                ;   in Loop: Header=BB342_6 Depth=1
	s_add_nc_u64 s[24:25], s[14:15], s[16:17]
	s_add_nc_u64 s[16:17], s[18:19], s[16:17]
	s_clause 0x1
	global_load_b64 v[16:17], v34, s[24:25]
	global_load_b64 v[18:19], v34, s[16:17]
	v_mov_b32_e32 v8, 0
	v_dual_mov_b32 v14, 0 :: v_dual_mov_b32 v9, 0
	v_dual_mov_b32 v10, 0 :: v_dual_mov_b32 v15, 0
	;; [unrolled: 1-line block ×3, first 2 shown]
	v_mov_b32_e32 v21, 0
	s_mov_b32 s16, 0
	s_wait_loadcnt 0x1
	v_add_co_u32 v16, vcc_lo, v16, v32
	s_wait_alu 0xfffd
	v_add_co_ci_u32_e64 v17, null, v17, v33, vcc_lo
	s_wait_loadcnt 0x0
	v_add_co_u32 v18, vcc_lo, v18, v35
	s_wait_alu 0xfffd
	v_add_co_ci_u32_e64 v19, null, v19, v36, vcc_lo
	s_branch .LBB342_9
.LBB342_8:                              ;   in Loop: Header=BB342_9 Depth=2
	s_wait_alu 0xfffe
	s_or_b32 exec_lo, exec_lo, s17
	s_wait_loadcnt_dscnt 0x0
	ds_store_b64 v29, v[24:25]
	s_wait_dscnt 0x0
	s_barrier_signal -1
	s_barrier_wait -1
	global_inv scope:SCOPE_SE
	ds_load_b128 v[22:25], v31
	ds_load_2addr_b64 v[37:40], v30 offset1:16
	ds_load_b128 v[41:44], v31 offset:1024
	ds_load_b128 v[45:48], v31 offset:16
	;; [unrolled: 1-line block ×3, first 2 shown]
	v_add_co_u32 v16, vcc_lo, v16, s2
	s_wait_alu 0xfffd
	v_add_co_ci_u32_e64 v17, null, s3, v17, vcc_lo
	v_add_co_u32 v18, vcc_lo, v18, 64
	s_wait_alu 0xfffd
	v_add_co_ci_u32_e64 v19, null, 0, v19, vcc_lo
	s_add_co_i32 s16, s16, 8
	s_wait_alu 0xfffe
	s_cmp_lt_i32 s16, s5
	s_wait_dscnt 0x3
	v_fma_f64 v[20:21], v[37:38], v[22:23], v[20:21]
	v_fma_f64 v[14:15], v[39:40], v[22:23], v[14:15]
	s_wait_dscnt 0x2
	v_fma_f64 v[22:23], v[37:38], v[41:42], v[10:11]
	v_fma_f64 v[37:38], v[39:40], v[41:42], v[8:9]
	ds_load_2addr_b64 v[8:11], v30 offset0:32 offset1:48
	s_wait_dscnt 0x0
	v_fma_f64 v[20:21], v[8:9], v[24:25], v[20:21]
	v_fma_f64 v[14:15], v[10:11], v[24:25], v[14:15]
	v_fma_f64 v[22:23], v[8:9], v[43:44], v[22:23]
	v_fma_f64 v[24:25], v[10:11], v[43:44], v[37:38]
	ds_load_2addr_b64 v[8:11], v30 offset0:64 offset1:80
	s_wait_dscnt 0x0
	v_fma_f64 v[20:21], v[8:9], v[45:46], v[20:21]
	v_fma_f64 v[14:15], v[10:11], v[45:46], v[14:15]
	;; [unrolled: 6-line block ×3, first 2 shown]
	v_fma_f64 v[53:54], v[8:9], v[51:52], v[22:23]
	v_fma_f64 v[24:25], v[10:11], v[51:52], v[24:25]
	ds_load_b128 v[8:11], v31 offset:32
	ds_load_2addr_b64 v[20:23], v30 offset0:128 offset1:144
	ds_load_b128 v[37:40], v31 offset:1056
	ds_load_b128 v[41:44], v31 offset:48
	;; [unrolled: 1-line block ×3, first 2 shown]
	s_wait_dscnt 0x3
	v_fma_f64 v[49:50], v[20:21], v[8:9], v[49:50]
	v_fma_f64 v[8:9], v[22:23], v[8:9], v[14:15]
	s_wait_dscnt 0x2
	v_fma_f64 v[14:15], v[20:21], v[37:38], v[53:54]
	v_fma_f64 v[24:25], v[22:23], v[37:38], v[24:25]
	ds_load_2addr_b64 v[20:23], v30 offset0:160 offset1:176
	s_wait_dscnt 0x0
	v_fma_f64 v[37:38], v[20:21], v[10:11], v[49:50]
	v_fma_f64 v[49:50], v[22:23], v[10:11], v[8:9]
	;; [unrolled: 1-line block ×4, first 2 shown]
	ds_load_2addr_b64 v[8:11], v30 offset0:192 offset1:208
	ds_load_2addr_b64 v[22:25], v30 offset0:224 offset1:240
	s_wait_loadcnt_dscnt 0x0
	s_barrier_signal -1
	s_barrier_wait -1
	global_inv scope:SCOPE_SE
	v_fma_f64 v[37:38], v[8:9], v[41:42], v[37:38]
	v_fma_f64 v[39:40], v[10:11], v[41:42], v[49:50]
	;; [unrolled: 1-line block ×4, first 2 shown]
	s_delay_alu instid0(VALU_DEP_4) | instskip(NEXT) | instid1(VALU_DEP_4)
	v_fma_f64 v[20:21], v[22:23], v[43:44], v[37:38]
	v_fma_f64 v[14:15], v[24:25], v[43:44], v[39:40]
	s_delay_alu instid0(VALU_DEP_4) | instskip(NEXT) | instid1(VALU_DEP_4)
	v_fma_f64 v[10:11], v[22:23], v[47:48], v[8:9]
	v_fma_f64 v[8:9], v[24:25], v[47:48], v[41:42]
	s_cbranch_scc0 .LBB342_13
.LBB342_9:                              ;   Parent Loop BB342_6 Depth=1
                                        ; =>  This Inner Loop Header: Depth=2
	s_wait_alu 0xfffe
	v_add_nc_u32_e32 v22, s16, v27
	s_delay_alu instid0(VALU_DEP_1)
	v_cmp_gt_i32_e32 vcc_lo, s5, v22
	v_mov_b32_e32 v22, 0
	v_mov_b32_e32 v23, 0
	s_and_b32 s24, s0, vcc_lo
	s_wait_alu 0xfffe
	s_and_saveexec_b32 s17, s24
	s_cbranch_execz .LBB342_11
; %bb.10:                               ;   in Loop: Header=BB342_9 Depth=2
	flat_load_b64 v[22:23], v[16:17]
.LBB342_11:                             ;   in Loop: Header=BB342_9 Depth=2
	s_wait_alu 0xfffe
	s_or_b32 exec_lo, exec_lo, s17
	v_add_nc_u32_e32 v24, s16, v26
	s_wait_loadcnt_dscnt 0x0
	ds_store_b64 v28, v[22:23]
	v_cmp_gt_i32_e32 vcc_lo, s5, v24
	v_mov_b32_e32 v24, 0
	v_mov_b32_e32 v25, 0
	s_and_b32 s24, vcc_lo, s1
	s_wait_alu 0xfffe
	s_and_saveexec_b32 s17, s24
	s_cbranch_execz .LBB342_8
; %bb.12:                               ;   in Loop: Header=BB342_9 Depth=2
	flat_load_b64 v[24:25], v[18:19]
	s_branch .LBB342_8
.LBB342_13:                             ;   in Loop: Header=BB342_6 Depth=1
	s_wait_loadcnt 0x0
	v_add_co_u32 v16, vcc_lo, v12, s8
	s_wait_alu 0xfffd
	v_add_co_ci_u32_e64 v17, null, s9, v13, vcc_lo
	s_delay_alu instid0(VALU_DEP_2) | instskip(SKIP_1) | instid1(VALU_DEP_2)
	v_add_co_u32 v18, vcc_lo, v16, v4
	s_wait_alu 0xfffd
	v_add_co_ci_u32_e64 v19, null, v17, v5, vcc_lo
	s_and_saveexec_b32 s16, s29
	s_cbranch_execz .LBB342_17
; %bb.14:                               ;   in Loop: Header=BB342_6 Depth=1
	v_mul_f64_e32 v[12:13], s[12:13], v[20:21]
	s_and_b32 vcc_lo, exec_lo, s28
	s_wait_alu 0xfffe
	s_cbranch_vccz .LBB342_28
; %bb.15:                               ;   in Loop: Header=BB342_6 Depth=1
	v_lshlrev_b64_e32 v[20:21], 3, v[0:1]
	s_delay_alu instid0(VALU_DEP_1) | instskip(SKIP_1) | instid1(VALU_DEP_2)
	v_add_co_u32 v20, vcc_lo, v18, v20
	s_wait_alu 0xfffd
	v_add_co_ci_u32_e64 v21, null, v19, v21, vcc_lo
	flat_load_b64 v[22:23], v[20:21]
	s_wait_loadcnt_dscnt 0x0
	v_fma_f64 v[22:23], s[10:11], v[22:23], v[12:13]
	flat_store_b64 v[20:21], v[22:23]
	s_cbranch_execnz .LBB342_17
.LBB342_16:                             ;   in Loop: Header=BB342_6 Depth=1
	v_lshlrev_b64_e32 v[20:21], 3, v[0:1]
	s_delay_alu instid0(VALU_DEP_1) | instskip(SKIP_1) | instid1(VALU_DEP_2)
	v_add_co_u32 v20, vcc_lo, v18, v20
	s_wait_alu 0xfffd
	v_add_co_ci_u32_e64 v21, null, v19, v21, vcc_lo
	flat_store_b64 v[20:21], v[12:13]
.LBB342_17:                             ;   in Loop: Header=BB342_6 Depth=1
	s_wait_alu 0xfffe
	s_or_b32 exec_lo, exec_lo, s16
	s_and_saveexec_b32 s16, s30
	s_cbranch_execz .LBB342_21
; %bb.18:                               ;   in Loop: Header=BB342_6 Depth=1
	v_mul_f64_e32 v[12:13], s[12:13], v[14:15]
	s_and_not1_b32 vcc_lo, exec_lo, s28
	s_wait_alu 0xfffe
	s_cbranch_vccnz .LBB342_29
; %bb.19:                               ;   in Loop: Header=BB342_6 Depth=1
	v_lshlrev_b64_e32 v[14:15], 3, v[2:3]
	s_delay_alu instid0(VALU_DEP_1) | instskip(SKIP_1) | instid1(VALU_DEP_2)
	v_add_co_u32 v14, vcc_lo, v18, v14
	s_wait_alu 0xfffd
	v_add_co_ci_u32_e64 v15, null, v19, v15, vcc_lo
	flat_load_b64 v[20:21], v[14:15]
	s_wait_loadcnt_dscnt 0x0
	v_fma_f64 v[20:21], s[10:11], v[20:21], v[12:13]
	flat_store_b64 v[14:15], v[20:21]
	s_cbranch_execnz .LBB342_21
.LBB342_20:                             ;   in Loop: Header=BB342_6 Depth=1
	v_lshlrev_b64_e32 v[14:15], 3, v[2:3]
	s_delay_alu instid0(VALU_DEP_1) | instskip(SKIP_1) | instid1(VALU_DEP_2)
	v_add_co_u32 v14, vcc_lo, v18, v14
	s_wait_alu 0xfffd
	v_add_co_ci_u32_e64 v15, null, v19, v15, vcc_lo
	flat_store_b64 v[14:15], v[12:13]
.LBB342_21:                             ;   in Loop: Header=BB342_6 Depth=1
	s_wait_alu 0xfffe
	s_or_b32 exec_lo, exec_lo, s16
	v_add_co_u32 v14, vcc_lo, v16, v6
	s_wait_alu 0xfffd
	v_add_co_ci_u32_e64 v15, null, v17, v7, vcc_lo
	s_and_saveexec_b32 s16, s4
	s_cbranch_execz .LBB342_25
; %bb.22:                               ;   in Loop: Header=BB342_6 Depth=1
	v_mul_f64_e32 v[10:11], s[12:13], v[10:11]
	v_lshlrev_b64_e32 v[12:13], 3, v[0:1]
	s_and_not1_b32 vcc_lo, exec_lo, s28
	s_wait_alu 0xfffe
	s_cbranch_vccnz .LBB342_30
; %bb.23:                               ;   in Loop: Header=BB342_6 Depth=1
	s_delay_alu instid0(VALU_DEP_1)
	v_add_co_u32 v16, vcc_lo, v14, v12
	s_wait_alu 0xfffd
	v_add_co_ci_u32_e64 v17, null, v15, v13, vcc_lo
	flat_load_b64 v[18:19], v[16:17]
	s_wait_loadcnt_dscnt 0x0
	v_fma_f64 v[18:19], s[10:11], v[18:19], v[10:11]
	flat_store_b64 v[16:17], v[18:19]
	s_cbranch_execnz .LBB342_25
.LBB342_24:                             ;   in Loop: Header=BB342_6 Depth=1
	s_delay_alu instid0(VALU_DEP_1)
	v_add_co_u32 v12, vcc_lo, v14, v12
	s_wait_alu 0xfffd
	v_add_co_ci_u32_e64 v13, null, v15, v13, vcc_lo
	flat_store_b64 v[12:13], v[10:11]
.LBB342_25:                             ;   in Loop: Header=BB342_6 Depth=1
	s_wait_alu 0xfffe
	s_or_b32 exec_lo, exec_lo, s16
	s_and_saveexec_b32 s16, s31
	s_cbranch_execz .LBB342_5
; %bb.26:                               ;   in Loop: Header=BB342_6 Depth=1
	v_mul_f64_e32 v[8:9], s[12:13], v[8:9]
	v_lshlrev_b64_e32 v[10:11], 3, v[2:3]
	s_and_not1_b32 vcc_lo, exec_lo, s28
	s_wait_alu 0xfffe
	s_cbranch_vccnz .LBB342_31
; %bb.27:                               ;   in Loop: Header=BB342_6 Depth=1
	s_delay_alu instid0(VALU_DEP_1)
	v_add_co_u32 v12, vcc_lo, v14, v10
	s_wait_alu 0xfffd
	v_add_co_ci_u32_e64 v13, null, v15, v11, vcc_lo
	flat_load_b64 v[16:17], v[12:13]
	s_wait_loadcnt_dscnt 0x0
	v_fma_f64 v[16:17], s[10:11], v[16:17], v[8:9]
	flat_store_b64 v[12:13], v[16:17]
	s_cbranch_execnz .LBB342_5
	s_branch .LBB342_32
.LBB342_28:                             ;   in Loop: Header=BB342_6 Depth=1
	s_branch .LBB342_16
.LBB342_29:                             ;   in Loop: Header=BB342_6 Depth=1
	s_branch .LBB342_20
.LBB342_30:                             ;   in Loop: Header=BB342_6 Depth=1
	s_branch .LBB342_24
.LBB342_31:                             ;   in Loop: Header=BB342_6 Depth=1
.LBB342_32:                             ;   in Loop: Header=BB342_6 Depth=1
	s_delay_alu instid0(VALU_DEP_1)
	v_add_co_u32 v10, vcc_lo, v14, v10
	s_wait_alu 0xfffd
	v_add_co_ci_u32_e64 v11, null, v15, v11, vcc_lo
	flat_store_b64 v[10:11], v[8:9]
	s_branch .LBB342_5
.LBB342_33:
	s_endpgm
	.section	.rodata,"a",@progbits
	.p2align	6, 0x0
	.amdhsa_kernel _ZL29rocblas_internal_gemmt_kernelIiLi16ELi32ELi8ELc78ELc78ELc85ELb0ELb0EddPKPKdPKPdEviT_T9_T10_S7_lS9_S7_lS8_T11_S7_li
		.amdhsa_group_segment_fixed_size 4096
		.amdhsa_private_segment_fixed_size 0
		.amdhsa_kernarg_size 100
		.amdhsa_user_sgpr_count 2
		.amdhsa_user_sgpr_dispatch_ptr 0
		.amdhsa_user_sgpr_queue_ptr 0
		.amdhsa_user_sgpr_kernarg_segment_ptr 1
		.amdhsa_user_sgpr_dispatch_id 0
		.amdhsa_user_sgpr_private_segment_size 0
		.amdhsa_wavefront_size32 1
		.amdhsa_uses_dynamic_stack 0
		.amdhsa_enable_private_segment 0
		.amdhsa_system_sgpr_workgroup_id_x 1
		.amdhsa_system_sgpr_workgroup_id_y 1
		.amdhsa_system_sgpr_workgroup_id_z 1
		.amdhsa_system_sgpr_workgroup_info 0
		.amdhsa_system_vgpr_workitem_id 1
		.amdhsa_next_free_vgpr 55
		.amdhsa_next_free_sgpr 35
		.amdhsa_reserve_vcc 1
		.amdhsa_float_round_mode_32 0
		.amdhsa_float_round_mode_16_64 0
		.amdhsa_float_denorm_mode_32 3
		.amdhsa_float_denorm_mode_16_64 3
		.amdhsa_fp16_overflow 0
		.amdhsa_workgroup_processor_mode 1
		.amdhsa_memory_ordered 1
		.amdhsa_forward_progress 1
		.amdhsa_inst_pref_size 17
		.amdhsa_round_robin_scheduling 0
		.amdhsa_exception_fp_ieee_invalid_op 0
		.amdhsa_exception_fp_denorm_src 0
		.amdhsa_exception_fp_ieee_div_zero 0
		.amdhsa_exception_fp_ieee_overflow 0
		.amdhsa_exception_fp_ieee_underflow 0
		.amdhsa_exception_fp_ieee_inexact 0
		.amdhsa_exception_int_div_zero 0
	.end_amdhsa_kernel
	.section	.text._ZL29rocblas_internal_gemmt_kernelIiLi16ELi32ELi8ELc78ELc78ELc85ELb0ELb0EddPKPKdPKPdEviT_T9_T10_S7_lS9_S7_lS8_T11_S7_li,"axG",@progbits,_ZL29rocblas_internal_gemmt_kernelIiLi16ELi32ELi8ELc78ELc78ELc85ELb0ELb0EddPKPKdPKPdEviT_T9_T10_S7_lS9_S7_lS8_T11_S7_li,comdat
.Lfunc_end342:
	.size	_ZL29rocblas_internal_gemmt_kernelIiLi16ELi32ELi8ELc78ELc78ELc85ELb0ELb0EddPKPKdPKPdEviT_T9_T10_S7_lS9_S7_lS8_T11_S7_li, .Lfunc_end342-_ZL29rocblas_internal_gemmt_kernelIiLi16ELi32ELi8ELc78ELc78ELc85ELb0ELb0EddPKPKdPKPdEviT_T9_T10_S7_lS9_S7_lS8_T11_S7_li
                                        ; -- End function
	.set _ZL29rocblas_internal_gemmt_kernelIiLi16ELi32ELi8ELc78ELc78ELc85ELb0ELb0EddPKPKdPKPdEviT_T9_T10_S7_lS9_S7_lS8_T11_S7_li.num_vgpr, 55
	.set _ZL29rocblas_internal_gemmt_kernelIiLi16ELi32ELi8ELc78ELc78ELc85ELb0ELb0EddPKPKdPKPdEviT_T9_T10_S7_lS9_S7_lS8_T11_S7_li.num_agpr, 0
	.set _ZL29rocblas_internal_gemmt_kernelIiLi16ELi32ELi8ELc78ELc78ELc85ELb0ELb0EddPKPKdPKPdEviT_T9_T10_S7_lS9_S7_lS8_T11_S7_li.numbered_sgpr, 35
	.set _ZL29rocblas_internal_gemmt_kernelIiLi16ELi32ELi8ELc78ELc78ELc85ELb0ELb0EddPKPKdPKPdEviT_T9_T10_S7_lS9_S7_lS8_T11_S7_li.num_named_barrier, 0
	.set _ZL29rocblas_internal_gemmt_kernelIiLi16ELi32ELi8ELc78ELc78ELc85ELb0ELb0EddPKPKdPKPdEviT_T9_T10_S7_lS9_S7_lS8_T11_S7_li.private_seg_size, 0
	.set _ZL29rocblas_internal_gemmt_kernelIiLi16ELi32ELi8ELc78ELc78ELc85ELb0ELb0EddPKPKdPKPdEviT_T9_T10_S7_lS9_S7_lS8_T11_S7_li.uses_vcc, 1
	.set _ZL29rocblas_internal_gemmt_kernelIiLi16ELi32ELi8ELc78ELc78ELc85ELb0ELb0EddPKPKdPKPdEviT_T9_T10_S7_lS9_S7_lS8_T11_S7_li.uses_flat_scratch, 0
	.set _ZL29rocblas_internal_gemmt_kernelIiLi16ELi32ELi8ELc78ELc78ELc85ELb0ELb0EddPKPKdPKPdEviT_T9_T10_S7_lS9_S7_lS8_T11_S7_li.has_dyn_sized_stack, 0
	.set _ZL29rocblas_internal_gemmt_kernelIiLi16ELi32ELi8ELc78ELc78ELc85ELb0ELb0EddPKPKdPKPdEviT_T9_T10_S7_lS9_S7_lS8_T11_S7_li.has_recursion, 0
	.set _ZL29rocblas_internal_gemmt_kernelIiLi16ELi32ELi8ELc78ELc78ELc85ELb0ELb0EddPKPKdPKPdEviT_T9_T10_S7_lS9_S7_lS8_T11_S7_li.has_indirect_call, 0
	.section	.AMDGPU.csdata,"",@progbits
; Kernel info:
; codeLenInByte = 2096
; TotalNumSgprs: 37
; NumVgprs: 55
; ScratchSize: 0
; MemoryBound: 0
; FloatMode: 240
; IeeeMode: 1
; LDSByteSize: 4096 bytes/workgroup (compile time only)
; SGPRBlocks: 0
; VGPRBlocks: 6
; NumSGPRsForWavesPerEU: 37
; NumVGPRsForWavesPerEU: 55
; Occupancy: 16
; WaveLimiterHint : 1
; COMPUTE_PGM_RSRC2:SCRATCH_EN: 0
; COMPUTE_PGM_RSRC2:USER_SGPR: 2
; COMPUTE_PGM_RSRC2:TRAP_HANDLER: 0
; COMPUTE_PGM_RSRC2:TGID_X_EN: 1
; COMPUTE_PGM_RSRC2:TGID_Y_EN: 1
; COMPUTE_PGM_RSRC2:TGID_Z_EN: 1
; COMPUTE_PGM_RSRC2:TIDIG_COMP_CNT: 1
	.section	.text._ZL29rocblas_internal_gemmt_kernelIiLi16ELi32ELi8ELc78ELc84ELc85ELb0ELb0EddPKPKdPKPdEviT_T9_T10_S7_lS9_S7_lS8_T11_S7_li,"axG",@progbits,_ZL29rocblas_internal_gemmt_kernelIiLi16ELi32ELi8ELc78ELc84ELc85ELb0ELb0EddPKPKdPKPdEviT_T9_T10_S7_lS9_S7_lS8_T11_S7_li,comdat
	.globl	_ZL29rocblas_internal_gemmt_kernelIiLi16ELi32ELi8ELc78ELc84ELc85ELb0ELb0EddPKPKdPKPdEviT_T9_T10_S7_lS9_S7_lS8_T11_S7_li ; -- Begin function _ZL29rocblas_internal_gemmt_kernelIiLi16ELi32ELi8ELc78ELc84ELc85ELb0ELb0EddPKPKdPKPdEviT_T9_T10_S7_lS9_S7_lS8_T11_S7_li
	.p2align	8
	.type	_ZL29rocblas_internal_gemmt_kernelIiLi16ELi32ELi8ELc78ELc84ELc85ELb0ELb0EddPKPKdPKPdEviT_T9_T10_S7_lS9_S7_lS8_T11_S7_li,@function
_ZL29rocblas_internal_gemmt_kernelIiLi16ELi32ELi8ELc78ELc84ELc85ELb0ELb0EddPKPKdPKPdEviT_T9_T10_S7_lS9_S7_lS8_T11_S7_li: ; @_ZL29rocblas_internal_gemmt_kernelIiLi16ELi32ELi8ELc78ELc84ELc85ELb0ELb0EddPKPKdPKPdEviT_T9_T10_S7_lS9_S7_lS8_T11_S7_li
; %bb.0:
	s_clause 0x2
	s_load_b128 s[8:11], s[0:1], 0x38
	s_load_b64 s[4:5], s[0:1], 0x0
	s_load_b128 s[12:15], s[0:1], 0x8
	s_wait_kmcnt 0x0
	v_cmp_neq_f64_e64 s2, s[10:11], 1.0
	s_and_b32 vcc_lo, exec_lo, s2
	s_cbranch_vccnz .LBB343_2
; %bb.1:
	v_cmp_neq_f64_e64 s2, s[12:13], 0
	s_cmp_lg_u32 s5, 0
	s_cselect_b32 s3, -1, 0
	s_delay_alu instid0(SALU_CYCLE_1)
	s_and_b32 s2, s3, s2
.LBB343_2:
	s_delay_alu instid0(SALU_CYCLE_1)
	s_and_not1_b32 vcc_lo, exec_lo, s2
	s_cbranch_vccnz .LBB343_33
; %bb.3:
	s_load_b32 s30, s[0:1], 0x60
	s_lshr_b32 s6, ttmp7, 16
	s_wait_kmcnt 0x0
	s_cmp_ge_u32 s6, s30
	s_cbranch_scc1 .LBB343_33
; %bb.4:
	v_dual_mov_b32 v34, 0 :: v_dual_and_b32 v1, 0x3ff, v0
	v_bfe_u32 v2, v0, 10, 10
	v_and_b32_e32 v26, 7, v0
	s_clause 0x1
	s_load_b32 s24, s[0:1], 0x18
	s_load_b32 s26, s[0:1], 0x30
	s_lshl_b32 s2, ttmp9, 5
	s_load_b128 s[16:19], s[0:1], 0x20
	v_lshl_add_u32 v0, v2, 4, v1
	v_lshlrev_b32_e32 v6, 3, v26
	s_clause 0x1
	s_load_b96 s[20:22], s[0:1], 0x48
	s_load_b64 s[28:29], s[0:1], 0x58
	s_lshl_b32 s0, ttmp7, 5
	v_cmp_neq_f64_e64 s23, s[12:13], 0
	v_and_b32_e32 v3, 31, v0
	v_lshrrev_b32_e32 v5, 3, v0
	v_lshrrev_b32_e32 v27, 5, v0
	s_and_b32 s3, s0, 0x1fffe0
	v_cmp_neq_f64_e64 s31, s[10:11], 0
	v_or_b32_e32 v4, s2, v3
	v_lshlrev_b32_e32 v0, 3, v3
	v_lshl_or_b32 v3, v5, 6, v6
	v_lshl_add_u32 v31, v2, 6, 0x800
	v_add_nc_u32_e32 v14, s3, v5
	v_cmp_gt_i32_e64 s0, s4, v4
	v_lshl_or_b32 v28, v27, 8, v0
	v_add_nc_u32_e32 v29, 0x800, v3
	v_add_nc_u32_e32 v3, s3, v2
	;; [unrolled: 1-line block ×3, first 2 shown]
	s_wait_kmcnt 0x0
	s_ashr_i32 s25, s24, 31
	s_ashr_i32 s27, s26, 31
	s_cmp_gt_i32 s5, 0
	v_cmp_gt_i32_e32 vcc_lo, s4, v3
	v_cmp_le_i32_e64 s2, v0, v3
	v_add_nc_u32_e32 v2, 16, v0
	v_mad_co_i64_i32 v[8:9], null, v27, s24, 0
	s_cselect_b32 s36, -1, 0
	v_add_nc_u32_e32 v5, 16, v3
	s_and_b32 s33, vcc_lo, s2
	v_cmp_le_i32_e64 s2, v2, v3
	v_cmp_gt_i32_e64 s1, s4, v14
	v_mad_co_i64_i32 v[12:13], null, s26, v26, 0
	v_cmp_gt_i32_e64 s3, s4, v5
	v_cmp_le_i32_e64 s4, v0, v5
	s_and_b32 s34, vcc_lo, s2
	v_cmp_le_i32_e32 vcc_lo, v2, v5
	v_lshlrev_b64_e32 v[8:9], 3, v[8:9]
	v_mad_co_i64_i32 v[10:11], null, v5, s22, 0
	v_ashrrev_i32_e32 v5, 31, v4
	s_and_b32 s4, s3, s4
	s_and_b32 s35, s3, vcc_lo
	s_lshl_b64 s[2:3], s[16:17], 3
	v_mad_co_i64_i32 v[6:7], null, v3, s22, 0
	v_lshlrev_b64_e32 v[4:5], 3, v[4:5]
	s_wait_alu 0xfffe
	v_add_co_u32 v15, vcc_lo, v8, s2
	s_delay_alu instid0(VALU_DEP_1) | instskip(SKIP_1) | instid1(VALU_DEP_3)
	v_add_co_ci_u32_e64 v16, null, s3, v9, vcc_lo
	v_lshlrev_b64_e32 v[8:9], 3, v[12:13]
	v_add_co_u32 v32, vcc_lo, v15, v4
	s_lshl_b64 s[2:3], s[8:9], 3
	s_wait_alu 0xfffd
	v_add_co_ci_u32_e64 v33, null, v16, v5, vcc_lo
	v_lshlrev_b32_e32 v4, 3, v14
	s_wait_alu 0xfffe
	v_add_co_u32 v5, vcc_lo, v8, s2
	s_wait_alu 0xfffd
	v_add_co_ci_u32_e64 v8, null, s3, v9, vcc_lo
	v_lshlrev_b32_e32 v30, 3, v1
	s_delay_alu instid0(VALU_DEP_3)
	v_add_co_u32 v35, vcc_lo, v5, v4
	v_lshlrev_b64_e32 v[4:5], 3, v[6:7]
	v_lshlrev_b64_e32 v[6:7], 3, v[10:11]
	v_ashrrev_i32_e32 v1, 31, v0
	v_ashrrev_i32_e32 v3, 31, v2
	s_wait_alu 0xfffd
	v_add_co_ci_u32_e64 v36, null, 0, v8, vcc_lo
	s_mov_b32 s7, 0
	s_and_b32 s36, s23, s36
	s_lshl_b64 s[2:3], s[24:25], 6
	s_lshl_b64 s[8:9], s[26:27], 6
	;; [unrolled: 1-line block ×3, first 2 shown]
	s_branch .LBB343_6
.LBB343_5:                              ;   in Loop: Header=BB343_6 Depth=1
	s_wait_alu 0xfffe
	s_or_b32 exec_lo, exec_lo, s22
	s_add_co_i32 s6, s6, 0x10000
	s_delay_alu instid0(SALU_CYCLE_1)
	s_cmp_lt_u32 s6, s30
	s_cbranch_scc0 .LBB343_33
.LBB343_6:                              ; =>This Loop Header: Depth=1
                                        ;     Child Loop BB343_9 Depth 2
	s_lshl_b64 s[22:23], s[6:7], 3
	v_mov_b32_e32 v20, 0
	s_wait_alu 0xfffe
	s_add_nc_u64 s[24:25], s[20:21], s[22:23]
	v_mov_b32_e32 v10, 0
	global_load_b64 v[12:13], v34, s[24:25]
	v_dual_mov_b32 v21, 0 :: v_dual_mov_b32 v14, 0
	v_dual_mov_b32 v11, 0 :: v_dual_mov_b32 v8, 0
	v_mov_b32_e32 v15, 0
	v_mov_b32_e32 v9, 0
	s_and_not1_b32 vcc_lo, exec_lo, s36
	s_wait_alu 0xfffe
	s_cbranch_vccnz .LBB343_13
; %bb.7:                                ;   in Loop: Header=BB343_6 Depth=1
	s_add_nc_u64 s[24:25], s[14:15], s[22:23]
	s_add_nc_u64 s[22:23], s[18:19], s[22:23]
	s_clause 0x1
	global_load_b64 v[16:17], v34, s[24:25]
	global_load_b64 v[18:19], v34, s[22:23]
	v_mov_b32_e32 v8, 0
	v_dual_mov_b32 v14, 0 :: v_dual_mov_b32 v9, 0
	v_dual_mov_b32 v10, 0 :: v_dual_mov_b32 v15, 0
	;; [unrolled: 1-line block ×3, first 2 shown]
	v_mov_b32_e32 v21, 0
	s_mov_b32 s22, 0
	s_wait_loadcnt 0x1
	v_add_co_u32 v16, vcc_lo, v16, v32
	s_wait_alu 0xfffd
	v_add_co_ci_u32_e64 v17, null, v17, v33, vcc_lo
	s_wait_loadcnt 0x0
	v_add_co_u32 v18, vcc_lo, v18, v35
	s_wait_alu 0xfffd
	v_add_co_ci_u32_e64 v19, null, v19, v36, vcc_lo
	s_branch .LBB343_9
.LBB343_8:                              ;   in Loop: Header=BB343_9 Depth=2
	s_wait_alu 0xfffe
	s_or_b32 exec_lo, exec_lo, s23
	s_wait_loadcnt_dscnt 0x0
	ds_store_b64 v29, v[24:25]
	s_wait_dscnt 0x0
	s_barrier_signal -1
	s_barrier_wait -1
	global_inv scope:SCOPE_SE
	ds_load_b128 v[22:25], v31
	ds_load_2addr_b64 v[37:40], v30 offset1:16
	ds_load_b128 v[41:44], v31 offset:1024
	ds_load_b128 v[45:48], v31 offset:16
	;; [unrolled: 1-line block ×3, first 2 shown]
	v_add_co_u32 v16, vcc_lo, v16, s2
	s_wait_alu 0xfffd
	v_add_co_ci_u32_e64 v17, null, s3, v17, vcc_lo
	v_add_co_u32 v18, vcc_lo, v18, s8
	s_wait_alu 0xfffd
	v_add_co_ci_u32_e64 v19, null, s9, v19, vcc_lo
	s_add_co_i32 s22, s22, 8
	s_wait_alu 0xfffe
	s_cmp_lt_i32 s22, s5
	s_wait_dscnt 0x3
	v_fma_f64 v[20:21], v[37:38], v[22:23], v[20:21]
	v_fma_f64 v[14:15], v[39:40], v[22:23], v[14:15]
	s_wait_dscnt 0x2
	v_fma_f64 v[22:23], v[37:38], v[41:42], v[10:11]
	v_fma_f64 v[37:38], v[39:40], v[41:42], v[8:9]
	ds_load_2addr_b64 v[8:11], v30 offset0:32 offset1:48
	s_wait_dscnt 0x0
	v_fma_f64 v[20:21], v[8:9], v[24:25], v[20:21]
	v_fma_f64 v[14:15], v[10:11], v[24:25], v[14:15]
	v_fma_f64 v[22:23], v[8:9], v[43:44], v[22:23]
	v_fma_f64 v[24:25], v[10:11], v[43:44], v[37:38]
	ds_load_2addr_b64 v[8:11], v30 offset0:64 offset1:80
	s_wait_dscnt 0x0
	v_fma_f64 v[20:21], v[8:9], v[45:46], v[20:21]
	v_fma_f64 v[14:15], v[10:11], v[45:46], v[14:15]
	;; [unrolled: 6-line block ×3, first 2 shown]
	v_fma_f64 v[53:54], v[8:9], v[51:52], v[22:23]
	v_fma_f64 v[24:25], v[10:11], v[51:52], v[24:25]
	ds_load_b128 v[8:11], v31 offset:32
	ds_load_2addr_b64 v[20:23], v30 offset0:128 offset1:144
	ds_load_b128 v[37:40], v31 offset:1056
	ds_load_b128 v[41:44], v31 offset:48
	;; [unrolled: 1-line block ×3, first 2 shown]
	s_wait_dscnt 0x3
	v_fma_f64 v[49:50], v[20:21], v[8:9], v[49:50]
	v_fma_f64 v[8:9], v[22:23], v[8:9], v[14:15]
	s_wait_dscnt 0x2
	v_fma_f64 v[14:15], v[20:21], v[37:38], v[53:54]
	v_fma_f64 v[24:25], v[22:23], v[37:38], v[24:25]
	ds_load_2addr_b64 v[20:23], v30 offset0:160 offset1:176
	s_wait_dscnt 0x0
	v_fma_f64 v[37:38], v[20:21], v[10:11], v[49:50]
	v_fma_f64 v[49:50], v[22:23], v[10:11], v[8:9]
	;; [unrolled: 1-line block ×4, first 2 shown]
	ds_load_2addr_b64 v[8:11], v30 offset0:192 offset1:208
	ds_load_2addr_b64 v[22:25], v30 offset0:224 offset1:240
	s_wait_loadcnt_dscnt 0x0
	s_barrier_signal -1
	s_barrier_wait -1
	global_inv scope:SCOPE_SE
	v_fma_f64 v[37:38], v[8:9], v[41:42], v[37:38]
	v_fma_f64 v[39:40], v[10:11], v[41:42], v[49:50]
	;; [unrolled: 1-line block ×4, first 2 shown]
	s_delay_alu instid0(VALU_DEP_4) | instskip(NEXT) | instid1(VALU_DEP_4)
	v_fma_f64 v[20:21], v[22:23], v[43:44], v[37:38]
	v_fma_f64 v[14:15], v[24:25], v[43:44], v[39:40]
	s_delay_alu instid0(VALU_DEP_4) | instskip(NEXT) | instid1(VALU_DEP_4)
	v_fma_f64 v[10:11], v[22:23], v[47:48], v[8:9]
	v_fma_f64 v[8:9], v[24:25], v[47:48], v[41:42]
	s_cbranch_scc0 .LBB343_13
.LBB343_9:                              ;   Parent Loop BB343_6 Depth=1
                                        ; =>  This Inner Loop Header: Depth=2
	s_wait_alu 0xfffe
	v_add_nc_u32_e32 v22, s22, v27
	s_delay_alu instid0(VALU_DEP_1)
	v_cmp_gt_i32_e32 vcc_lo, s5, v22
	v_mov_b32_e32 v22, 0
	v_mov_b32_e32 v23, 0
	s_and_b32 s24, s0, vcc_lo
	s_wait_alu 0xfffe
	s_and_saveexec_b32 s23, s24
	s_cbranch_execz .LBB343_11
; %bb.10:                               ;   in Loop: Header=BB343_9 Depth=2
	flat_load_b64 v[22:23], v[16:17]
.LBB343_11:                             ;   in Loop: Header=BB343_9 Depth=2
	s_wait_alu 0xfffe
	s_or_b32 exec_lo, exec_lo, s23
	v_add_nc_u32_e32 v24, s22, v26
	s_wait_loadcnt_dscnt 0x0
	ds_store_b64 v28, v[22:23]
	v_cmp_gt_i32_e32 vcc_lo, s5, v24
	v_mov_b32_e32 v24, 0
	v_mov_b32_e32 v25, 0
	s_and_b32 s24, vcc_lo, s1
	s_wait_alu 0xfffe
	s_and_saveexec_b32 s23, s24
	s_cbranch_execz .LBB343_8
; %bb.12:                               ;   in Loop: Header=BB343_9 Depth=2
	flat_load_b64 v[24:25], v[18:19]
	s_branch .LBB343_8
.LBB343_13:                             ;   in Loop: Header=BB343_6 Depth=1
	s_wait_loadcnt 0x0
	v_add_co_u32 v16, vcc_lo, v12, s16
	s_wait_alu 0xfffd
	v_add_co_ci_u32_e64 v17, null, s17, v13, vcc_lo
	s_delay_alu instid0(VALU_DEP_2) | instskip(SKIP_1) | instid1(VALU_DEP_2)
	v_add_co_u32 v18, vcc_lo, v16, v4
	s_wait_alu 0xfffd
	v_add_co_ci_u32_e64 v19, null, v17, v5, vcc_lo
	s_and_saveexec_b32 s22, s33
	s_cbranch_execz .LBB343_17
; %bb.14:                               ;   in Loop: Header=BB343_6 Depth=1
	v_mul_f64_e32 v[12:13], s[12:13], v[20:21]
	s_and_b32 vcc_lo, exec_lo, s31
	s_wait_alu 0xfffe
	s_cbranch_vccz .LBB343_28
; %bb.15:                               ;   in Loop: Header=BB343_6 Depth=1
	v_lshlrev_b64_e32 v[20:21], 3, v[0:1]
	s_delay_alu instid0(VALU_DEP_1) | instskip(SKIP_1) | instid1(VALU_DEP_2)
	v_add_co_u32 v20, vcc_lo, v18, v20
	s_wait_alu 0xfffd
	v_add_co_ci_u32_e64 v21, null, v19, v21, vcc_lo
	flat_load_b64 v[22:23], v[20:21]
	s_wait_loadcnt_dscnt 0x0
	v_fma_f64 v[22:23], s[10:11], v[22:23], v[12:13]
	flat_store_b64 v[20:21], v[22:23]
	s_cbranch_execnz .LBB343_17
.LBB343_16:                             ;   in Loop: Header=BB343_6 Depth=1
	v_lshlrev_b64_e32 v[20:21], 3, v[0:1]
	s_delay_alu instid0(VALU_DEP_1) | instskip(SKIP_1) | instid1(VALU_DEP_2)
	v_add_co_u32 v20, vcc_lo, v18, v20
	s_wait_alu 0xfffd
	v_add_co_ci_u32_e64 v21, null, v19, v21, vcc_lo
	flat_store_b64 v[20:21], v[12:13]
.LBB343_17:                             ;   in Loop: Header=BB343_6 Depth=1
	s_wait_alu 0xfffe
	s_or_b32 exec_lo, exec_lo, s22
	s_and_saveexec_b32 s22, s34
	s_cbranch_execz .LBB343_21
; %bb.18:                               ;   in Loop: Header=BB343_6 Depth=1
	v_mul_f64_e32 v[12:13], s[12:13], v[14:15]
	s_and_not1_b32 vcc_lo, exec_lo, s31
	s_wait_alu 0xfffe
	s_cbranch_vccnz .LBB343_29
; %bb.19:                               ;   in Loop: Header=BB343_6 Depth=1
	v_lshlrev_b64_e32 v[14:15], 3, v[2:3]
	s_delay_alu instid0(VALU_DEP_1) | instskip(SKIP_1) | instid1(VALU_DEP_2)
	v_add_co_u32 v14, vcc_lo, v18, v14
	s_wait_alu 0xfffd
	v_add_co_ci_u32_e64 v15, null, v19, v15, vcc_lo
	flat_load_b64 v[20:21], v[14:15]
	s_wait_loadcnt_dscnt 0x0
	v_fma_f64 v[20:21], s[10:11], v[20:21], v[12:13]
	flat_store_b64 v[14:15], v[20:21]
	s_cbranch_execnz .LBB343_21
.LBB343_20:                             ;   in Loop: Header=BB343_6 Depth=1
	v_lshlrev_b64_e32 v[14:15], 3, v[2:3]
	s_delay_alu instid0(VALU_DEP_1) | instskip(SKIP_1) | instid1(VALU_DEP_2)
	v_add_co_u32 v14, vcc_lo, v18, v14
	s_wait_alu 0xfffd
	v_add_co_ci_u32_e64 v15, null, v19, v15, vcc_lo
	flat_store_b64 v[14:15], v[12:13]
.LBB343_21:                             ;   in Loop: Header=BB343_6 Depth=1
	s_wait_alu 0xfffe
	s_or_b32 exec_lo, exec_lo, s22
	v_add_co_u32 v14, vcc_lo, v16, v6
	s_wait_alu 0xfffd
	v_add_co_ci_u32_e64 v15, null, v17, v7, vcc_lo
	s_and_saveexec_b32 s22, s4
	s_cbranch_execz .LBB343_25
; %bb.22:                               ;   in Loop: Header=BB343_6 Depth=1
	v_mul_f64_e32 v[10:11], s[12:13], v[10:11]
	v_lshlrev_b64_e32 v[12:13], 3, v[0:1]
	s_and_not1_b32 vcc_lo, exec_lo, s31
	s_wait_alu 0xfffe
	s_cbranch_vccnz .LBB343_30
; %bb.23:                               ;   in Loop: Header=BB343_6 Depth=1
	s_delay_alu instid0(VALU_DEP_1)
	v_add_co_u32 v16, vcc_lo, v14, v12
	s_wait_alu 0xfffd
	v_add_co_ci_u32_e64 v17, null, v15, v13, vcc_lo
	flat_load_b64 v[18:19], v[16:17]
	s_wait_loadcnt_dscnt 0x0
	v_fma_f64 v[18:19], s[10:11], v[18:19], v[10:11]
	flat_store_b64 v[16:17], v[18:19]
	s_cbranch_execnz .LBB343_25
.LBB343_24:                             ;   in Loop: Header=BB343_6 Depth=1
	s_delay_alu instid0(VALU_DEP_1)
	v_add_co_u32 v12, vcc_lo, v14, v12
	s_wait_alu 0xfffd
	v_add_co_ci_u32_e64 v13, null, v15, v13, vcc_lo
	flat_store_b64 v[12:13], v[10:11]
.LBB343_25:                             ;   in Loop: Header=BB343_6 Depth=1
	s_wait_alu 0xfffe
	s_or_b32 exec_lo, exec_lo, s22
	s_and_saveexec_b32 s22, s35
	s_cbranch_execz .LBB343_5
; %bb.26:                               ;   in Loop: Header=BB343_6 Depth=1
	v_mul_f64_e32 v[8:9], s[12:13], v[8:9]
	v_lshlrev_b64_e32 v[10:11], 3, v[2:3]
	s_and_not1_b32 vcc_lo, exec_lo, s31
	s_wait_alu 0xfffe
	s_cbranch_vccnz .LBB343_31
; %bb.27:                               ;   in Loop: Header=BB343_6 Depth=1
	s_delay_alu instid0(VALU_DEP_1)
	v_add_co_u32 v12, vcc_lo, v14, v10
	s_wait_alu 0xfffd
	v_add_co_ci_u32_e64 v13, null, v15, v11, vcc_lo
	flat_load_b64 v[16:17], v[12:13]
	s_wait_loadcnt_dscnt 0x0
	v_fma_f64 v[16:17], s[10:11], v[16:17], v[8:9]
	flat_store_b64 v[12:13], v[16:17]
	s_cbranch_execnz .LBB343_5
	s_branch .LBB343_32
.LBB343_28:                             ;   in Loop: Header=BB343_6 Depth=1
	s_branch .LBB343_16
.LBB343_29:                             ;   in Loop: Header=BB343_6 Depth=1
	s_branch .LBB343_20
.LBB343_30:                             ;   in Loop: Header=BB343_6 Depth=1
	s_branch .LBB343_24
.LBB343_31:                             ;   in Loop: Header=BB343_6 Depth=1
.LBB343_32:                             ;   in Loop: Header=BB343_6 Depth=1
	s_delay_alu instid0(VALU_DEP_1)
	v_add_co_u32 v10, vcc_lo, v14, v10
	s_wait_alu 0xfffd
	v_add_co_ci_u32_e64 v11, null, v15, v11, vcc_lo
	flat_store_b64 v[10:11], v[8:9]
	s_branch .LBB343_5
.LBB343_33:
	s_endpgm
	.section	.rodata,"a",@progbits
	.p2align	6, 0x0
	.amdhsa_kernel _ZL29rocblas_internal_gemmt_kernelIiLi16ELi32ELi8ELc78ELc84ELc85ELb0ELb0EddPKPKdPKPdEviT_T9_T10_S7_lS9_S7_lS8_T11_S7_li
		.amdhsa_group_segment_fixed_size 4096
		.amdhsa_private_segment_fixed_size 0
		.amdhsa_kernarg_size 100
		.amdhsa_user_sgpr_count 2
		.amdhsa_user_sgpr_dispatch_ptr 0
		.amdhsa_user_sgpr_queue_ptr 0
		.amdhsa_user_sgpr_kernarg_segment_ptr 1
		.amdhsa_user_sgpr_dispatch_id 0
		.amdhsa_user_sgpr_private_segment_size 0
		.amdhsa_wavefront_size32 1
		.amdhsa_uses_dynamic_stack 0
		.amdhsa_enable_private_segment 0
		.amdhsa_system_sgpr_workgroup_id_x 1
		.amdhsa_system_sgpr_workgroup_id_y 1
		.amdhsa_system_sgpr_workgroup_id_z 1
		.amdhsa_system_sgpr_workgroup_info 0
		.amdhsa_system_vgpr_workitem_id 1
		.amdhsa_next_free_vgpr 55
		.amdhsa_next_free_sgpr 37
		.amdhsa_reserve_vcc 1
		.amdhsa_float_round_mode_32 0
		.amdhsa_float_round_mode_16_64 0
		.amdhsa_float_denorm_mode_32 3
		.amdhsa_float_denorm_mode_16_64 3
		.amdhsa_fp16_overflow 0
		.amdhsa_workgroup_processor_mode 1
		.amdhsa_memory_ordered 1
		.amdhsa_forward_progress 1
		.amdhsa_inst_pref_size 17
		.amdhsa_round_robin_scheduling 0
		.amdhsa_exception_fp_ieee_invalid_op 0
		.amdhsa_exception_fp_denorm_src 0
		.amdhsa_exception_fp_ieee_div_zero 0
		.amdhsa_exception_fp_ieee_overflow 0
		.amdhsa_exception_fp_ieee_underflow 0
		.amdhsa_exception_fp_ieee_inexact 0
		.amdhsa_exception_int_div_zero 0
	.end_amdhsa_kernel
	.section	.text._ZL29rocblas_internal_gemmt_kernelIiLi16ELi32ELi8ELc78ELc84ELc85ELb0ELb0EddPKPKdPKPdEviT_T9_T10_S7_lS9_S7_lS8_T11_S7_li,"axG",@progbits,_ZL29rocblas_internal_gemmt_kernelIiLi16ELi32ELi8ELc78ELc84ELc85ELb0ELb0EddPKPKdPKPdEviT_T9_T10_S7_lS9_S7_lS8_T11_S7_li,comdat
.Lfunc_end343:
	.size	_ZL29rocblas_internal_gemmt_kernelIiLi16ELi32ELi8ELc78ELc84ELc85ELb0ELb0EddPKPKdPKPdEviT_T9_T10_S7_lS9_S7_lS8_T11_S7_li, .Lfunc_end343-_ZL29rocblas_internal_gemmt_kernelIiLi16ELi32ELi8ELc78ELc84ELc85ELb0ELb0EddPKPKdPKPdEviT_T9_T10_S7_lS9_S7_lS8_T11_S7_li
                                        ; -- End function
	.set _ZL29rocblas_internal_gemmt_kernelIiLi16ELi32ELi8ELc78ELc84ELc85ELb0ELb0EddPKPKdPKPdEviT_T9_T10_S7_lS9_S7_lS8_T11_S7_li.num_vgpr, 55
	.set _ZL29rocblas_internal_gemmt_kernelIiLi16ELi32ELi8ELc78ELc84ELc85ELb0ELb0EddPKPKdPKPdEviT_T9_T10_S7_lS9_S7_lS8_T11_S7_li.num_agpr, 0
	.set _ZL29rocblas_internal_gemmt_kernelIiLi16ELi32ELi8ELc78ELc84ELc85ELb0ELb0EddPKPKdPKPdEviT_T9_T10_S7_lS9_S7_lS8_T11_S7_li.numbered_sgpr, 37
	.set _ZL29rocblas_internal_gemmt_kernelIiLi16ELi32ELi8ELc78ELc84ELc85ELb0ELb0EddPKPKdPKPdEviT_T9_T10_S7_lS9_S7_lS8_T11_S7_li.num_named_barrier, 0
	.set _ZL29rocblas_internal_gemmt_kernelIiLi16ELi32ELi8ELc78ELc84ELc85ELb0ELb0EddPKPKdPKPdEviT_T9_T10_S7_lS9_S7_lS8_T11_S7_li.private_seg_size, 0
	.set _ZL29rocblas_internal_gemmt_kernelIiLi16ELi32ELi8ELc78ELc84ELc85ELb0ELb0EddPKPKdPKPdEviT_T9_T10_S7_lS9_S7_lS8_T11_S7_li.uses_vcc, 1
	.set _ZL29rocblas_internal_gemmt_kernelIiLi16ELi32ELi8ELc78ELc84ELc85ELb0ELb0EddPKPKdPKPdEviT_T9_T10_S7_lS9_S7_lS8_T11_S7_li.uses_flat_scratch, 0
	.set _ZL29rocblas_internal_gemmt_kernelIiLi16ELi32ELi8ELc78ELc84ELc85ELb0ELb0EddPKPKdPKPdEviT_T9_T10_S7_lS9_S7_lS8_T11_S7_li.has_dyn_sized_stack, 0
	.set _ZL29rocblas_internal_gemmt_kernelIiLi16ELi32ELi8ELc78ELc84ELc85ELb0ELb0EddPKPKdPKPdEviT_T9_T10_S7_lS9_S7_lS8_T11_S7_li.has_recursion, 0
	.set _ZL29rocblas_internal_gemmt_kernelIiLi16ELi32ELi8ELc78ELc84ELc85ELb0ELb0EddPKPKdPKPdEviT_T9_T10_S7_lS9_S7_lS8_T11_S7_li.has_indirect_call, 0
	.section	.AMDGPU.csdata,"",@progbits
; Kernel info:
; codeLenInByte = 2112
; TotalNumSgprs: 39
; NumVgprs: 55
; ScratchSize: 0
; MemoryBound: 0
; FloatMode: 240
; IeeeMode: 1
; LDSByteSize: 4096 bytes/workgroup (compile time only)
; SGPRBlocks: 0
; VGPRBlocks: 6
; NumSGPRsForWavesPerEU: 39
; NumVGPRsForWavesPerEU: 55
; Occupancy: 16
; WaveLimiterHint : 1
; COMPUTE_PGM_RSRC2:SCRATCH_EN: 0
; COMPUTE_PGM_RSRC2:USER_SGPR: 2
; COMPUTE_PGM_RSRC2:TRAP_HANDLER: 0
; COMPUTE_PGM_RSRC2:TGID_X_EN: 1
; COMPUTE_PGM_RSRC2:TGID_Y_EN: 1
; COMPUTE_PGM_RSRC2:TGID_Z_EN: 1
; COMPUTE_PGM_RSRC2:TIDIG_COMP_CNT: 1
	.section	.text._ZL29rocblas_internal_gemmt_kernelIiLi16ELi32ELi8ELc78ELc67ELc85ELb0ELb0EddPKPKdPKPdEviT_T9_T10_S7_lS9_S7_lS8_T11_S7_li,"axG",@progbits,_ZL29rocblas_internal_gemmt_kernelIiLi16ELi32ELi8ELc78ELc67ELc85ELb0ELb0EddPKPKdPKPdEviT_T9_T10_S7_lS9_S7_lS8_T11_S7_li,comdat
	.globl	_ZL29rocblas_internal_gemmt_kernelIiLi16ELi32ELi8ELc78ELc67ELc85ELb0ELb0EddPKPKdPKPdEviT_T9_T10_S7_lS9_S7_lS8_T11_S7_li ; -- Begin function _ZL29rocblas_internal_gemmt_kernelIiLi16ELi32ELi8ELc78ELc67ELc85ELb0ELb0EddPKPKdPKPdEviT_T9_T10_S7_lS9_S7_lS8_T11_S7_li
	.p2align	8
	.type	_ZL29rocblas_internal_gemmt_kernelIiLi16ELi32ELi8ELc78ELc67ELc85ELb0ELb0EddPKPKdPKPdEviT_T9_T10_S7_lS9_S7_lS8_T11_S7_li,@function
_ZL29rocblas_internal_gemmt_kernelIiLi16ELi32ELi8ELc78ELc67ELc85ELb0ELb0EddPKPKdPKPdEviT_T9_T10_S7_lS9_S7_lS8_T11_S7_li: ; @_ZL29rocblas_internal_gemmt_kernelIiLi16ELi32ELi8ELc78ELc67ELc85ELb0ELb0EddPKPKdPKPdEviT_T9_T10_S7_lS9_S7_lS8_T11_S7_li
; %bb.0:
	s_clause 0x2
	s_load_b128 s[8:11], s[0:1], 0x38
	s_load_b64 s[4:5], s[0:1], 0x0
	s_load_b128 s[12:15], s[0:1], 0x8
	s_wait_kmcnt 0x0
	v_cmp_neq_f64_e64 s2, s[10:11], 1.0
	s_and_b32 vcc_lo, exec_lo, s2
	s_cbranch_vccnz .LBB344_2
; %bb.1:
	v_cmp_neq_f64_e64 s2, s[12:13], 0
	s_cmp_lg_u32 s5, 0
	s_cselect_b32 s3, -1, 0
	s_delay_alu instid0(SALU_CYCLE_1)
	s_and_b32 s2, s3, s2
.LBB344_2:
	s_delay_alu instid0(SALU_CYCLE_1)
	s_and_not1_b32 vcc_lo, exec_lo, s2
	s_cbranch_vccnz .LBB344_33
; %bb.3:
	s_load_b32 s30, s[0:1], 0x60
	s_lshr_b32 s6, ttmp7, 16
	s_wait_kmcnt 0x0
	s_cmp_ge_u32 s6, s30
	s_cbranch_scc1 .LBB344_33
; %bb.4:
	v_dual_mov_b32 v34, 0 :: v_dual_and_b32 v1, 0x3ff, v0
	v_bfe_u32 v2, v0, 10, 10
	v_and_b32_e32 v26, 7, v0
	s_clause 0x1
	s_load_b32 s24, s[0:1], 0x18
	s_load_b32 s26, s[0:1], 0x30
	s_lshl_b32 s2, ttmp9, 5
	s_load_b128 s[16:19], s[0:1], 0x20
	v_lshl_add_u32 v0, v2, 4, v1
	v_lshlrev_b32_e32 v6, 3, v26
	s_clause 0x1
	s_load_b96 s[20:22], s[0:1], 0x48
	s_load_b64 s[28:29], s[0:1], 0x58
	s_lshl_b32 s0, ttmp7, 5
	v_cmp_neq_f64_e64 s23, s[12:13], 0
	v_and_b32_e32 v3, 31, v0
	v_lshrrev_b32_e32 v5, 3, v0
	v_lshrrev_b32_e32 v27, 5, v0
	s_and_b32 s3, s0, 0x1fffe0
	v_cmp_neq_f64_e64 s31, s[10:11], 0
	v_or_b32_e32 v4, s2, v3
	v_lshlrev_b32_e32 v0, 3, v3
	v_lshl_or_b32 v3, v5, 6, v6
	v_lshl_add_u32 v31, v2, 6, 0x800
	v_add_nc_u32_e32 v14, s3, v5
	v_cmp_gt_i32_e64 s0, s4, v4
	v_lshl_or_b32 v28, v27, 8, v0
	v_add_nc_u32_e32 v29, 0x800, v3
	v_add_nc_u32_e32 v3, s3, v2
	;; [unrolled: 1-line block ×3, first 2 shown]
	s_wait_kmcnt 0x0
	s_ashr_i32 s25, s24, 31
	s_ashr_i32 s27, s26, 31
	s_cmp_gt_i32 s5, 0
	v_cmp_gt_i32_e32 vcc_lo, s4, v3
	v_cmp_le_i32_e64 s2, v0, v3
	v_add_nc_u32_e32 v2, 16, v0
	v_mad_co_i64_i32 v[8:9], null, v27, s24, 0
	s_cselect_b32 s36, -1, 0
	v_add_nc_u32_e32 v5, 16, v3
	s_and_b32 s33, vcc_lo, s2
	v_cmp_le_i32_e64 s2, v2, v3
	v_cmp_gt_i32_e64 s1, s4, v14
	v_mad_co_i64_i32 v[12:13], null, s26, v26, 0
	v_cmp_gt_i32_e64 s3, s4, v5
	v_cmp_le_i32_e64 s4, v0, v5
	s_and_b32 s34, vcc_lo, s2
	v_cmp_le_i32_e32 vcc_lo, v2, v5
	v_lshlrev_b64_e32 v[8:9], 3, v[8:9]
	v_mad_co_i64_i32 v[10:11], null, v5, s22, 0
	v_ashrrev_i32_e32 v5, 31, v4
	s_and_b32 s4, s3, s4
	s_and_b32 s35, s3, vcc_lo
	s_lshl_b64 s[2:3], s[16:17], 3
	v_mad_co_i64_i32 v[6:7], null, v3, s22, 0
	v_lshlrev_b64_e32 v[4:5], 3, v[4:5]
	s_wait_alu 0xfffe
	v_add_co_u32 v15, vcc_lo, v8, s2
	s_delay_alu instid0(VALU_DEP_1) | instskip(SKIP_1) | instid1(VALU_DEP_3)
	v_add_co_ci_u32_e64 v16, null, s3, v9, vcc_lo
	v_lshlrev_b64_e32 v[8:9], 3, v[12:13]
	v_add_co_u32 v32, vcc_lo, v15, v4
	s_lshl_b64 s[2:3], s[8:9], 3
	s_wait_alu 0xfffd
	v_add_co_ci_u32_e64 v33, null, v16, v5, vcc_lo
	v_lshlrev_b32_e32 v4, 3, v14
	s_wait_alu 0xfffe
	v_add_co_u32 v5, vcc_lo, v8, s2
	s_wait_alu 0xfffd
	v_add_co_ci_u32_e64 v8, null, s3, v9, vcc_lo
	v_lshlrev_b32_e32 v30, 3, v1
	s_delay_alu instid0(VALU_DEP_3)
	v_add_co_u32 v35, vcc_lo, v5, v4
	v_lshlrev_b64_e32 v[4:5], 3, v[6:7]
	v_lshlrev_b64_e32 v[6:7], 3, v[10:11]
	v_ashrrev_i32_e32 v1, 31, v0
	v_ashrrev_i32_e32 v3, 31, v2
	s_wait_alu 0xfffd
	v_add_co_ci_u32_e64 v36, null, 0, v8, vcc_lo
	s_mov_b32 s7, 0
	s_and_b32 s36, s23, s36
	s_lshl_b64 s[2:3], s[24:25], 6
	s_lshl_b64 s[8:9], s[26:27], 6
	;; [unrolled: 1-line block ×3, first 2 shown]
	s_branch .LBB344_6
.LBB344_5:                              ;   in Loop: Header=BB344_6 Depth=1
	s_wait_alu 0xfffe
	s_or_b32 exec_lo, exec_lo, s22
	s_add_co_i32 s6, s6, 0x10000
	s_delay_alu instid0(SALU_CYCLE_1)
	s_cmp_lt_u32 s6, s30
	s_cbranch_scc0 .LBB344_33
.LBB344_6:                              ; =>This Loop Header: Depth=1
                                        ;     Child Loop BB344_9 Depth 2
	s_lshl_b64 s[22:23], s[6:7], 3
	v_mov_b32_e32 v20, 0
	s_wait_alu 0xfffe
	s_add_nc_u64 s[24:25], s[20:21], s[22:23]
	v_mov_b32_e32 v10, 0
	global_load_b64 v[12:13], v34, s[24:25]
	v_dual_mov_b32 v21, 0 :: v_dual_mov_b32 v14, 0
	v_dual_mov_b32 v11, 0 :: v_dual_mov_b32 v8, 0
	v_mov_b32_e32 v15, 0
	v_mov_b32_e32 v9, 0
	s_and_not1_b32 vcc_lo, exec_lo, s36
	s_wait_alu 0xfffe
	s_cbranch_vccnz .LBB344_13
; %bb.7:                                ;   in Loop: Header=BB344_6 Depth=1
	s_add_nc_u64 s[24:25], s[14:15], s[22:23]
	s_add_nc_u64 s[22:23], s[18:19], s[22:23]
	s_clause 0x1
	global_load_b64 v[16:17], v34, s[24:25]
	global_load_b64 v[18:19], v34, s[22:23]
	v_mov_b32_e32 v8, 0
	v_dual_mov_b32 v14, 0 :: v_dual_mov_b32 v9, 0
	v_dual_mov_b32 v10, 0 :: v_dual_mov_b32 v15, 0
	;; [unrolled: 1-line block ×3, first 2 shown]
	v_mov_b32_e32 v21, 0
	s_mov_b32 s22, 0
	s_wait_loadcnt 0x1
	v_add_co_u32 v16, vcc_lo, v16, v32
	s_wait_alu 0xfffd
	v_add_co_ci_u32_e64 v17, null, v17, v33, vcc_lo
	s_wait_loadcnt 0x0
	v_add_co_u32 v18, vcc_lo, v18, v35
	s_wait_alu 0xfffd
	v_add_co_ci_u32_e64 v19, null, v19, v36, vcc_lo
	s_branch .LBB344_9
.LBB344_8:                              ;   in Loop: Header=BB344_9 Depth=2
	s_wait_alu 0xfffe
	s_or_b32 exec_lo, exec_lo, s23
	s_wait_loadcnt_dscnt 0x0
	ds_store_b64 v29, v[24:25]
	s_wait_dscnt 0x0
	s_barrier_signal -1
	s_barrier_wait -1
	global_inv scope:SCOPE_SE
	ds_load_b128 v[22:25], v31
	ds_load_2addr_b64 v[37:40], v30 offset1:16
	ds_load_b128 v[41:44], v31 offset:1024
	ds_load_b128 v[45:48], v31 offset:16
	;; [unrolled: 1-line block ×3, first 2 shown]
	v_add_co_u32 v16, vcc_lo, v16, s2
	s_wait_alu 0xfffd
	v_add_co_ci_u32_e64 v17, null, s3, v17, vcc_lo
	v_add_co_u32 v18, vcc_lo, v18, s8
	s_wait_alu 0xfffd
	v_add_co_ci_u32_e64 v19, null, s9, v19, vcc_lo
	s_add_co_i32 s22, s22, 8
	s_wait_alu 0xfffe
	s_cmp_lt_i32 s22, s5
	s_wait_dscnt 0x3
	v_fma_f64 v[20:21], v[37:38], v[22:23], v[20:21]
	v_fma_f64 v[14:15], v[39:40], v[22:23], v[14:15]
	s_wait_dscnt 0x2
	v_fma_f64 v[22:23], v[37:38], v[41:42], v[10:11]
	v_fma_f64 v[37:38], v[39:40], v[41:42], v[8:9]
	ds_load_2addr_b64 v[8:11], v30 offset0:32 offset1:48
	s_wait_dscnt 0x0
	v_fma_f64 v[20:21], v[8:9], v[24:25], v[20:21]
	v_fma_f64 v[14:15], v[10:11], v[24:25], v[14:15]
	v_fma_f64 v[22:23], v[8:9], v[43:44], v[22:23]
	v_fma_f64 v[24:25], v[10:11], v[43:44], v[37:38]
	ds_load_2addr_b64 v[8:11], v30 offset0:64 offset1:80
	s_wait_dscnt 0x0
	v_fma_f64 v[20:21], v[8:9], v[45:46], v[20:21]
	v_fma_f64 v[14:15], v[10:11], v[45:46], v[14:15]
	;; [unrolled: 6-line block ×3, first 2 shown]
	v_fma_f64 v[53:54], v[8:9], v[51:52], v[22:23]
	v_fma_f64 v[24:25], v[10:11], v[51:52], v[24:25]
	ds_load_b128 v[8:11], v31 offset:32
	ds_load_2addr_b64 v[20:23], v30 offset0:128 offset1:144
	ds_load_b128 v[37:40], v31 offset:1056
	ds_load_b128 v[41:44], v31 offset:48
	;; [unrolled: 1-line block ×3, first 2 shown]
	s_wait_dscnt 0x3
	v_fma_f64 v[49:50], v[20:21], v[8:9], v[49:50]
	v_fma_f64 v[8:9], v[22:23], v[8:9], v[14:15]
	s_wait_dscnt 0x2
	v_fma_f64 v[14:15], v[20:21], v[37:38], v[53:54]
	v_fma_f64 v[24:25], v[22:23], v[37:38], v[24:25]
	ds_load_2addr_b64 v[20:23], v30 offset0:160 offset1:176
	s_wait_dscnt 0x0
	v_fma_f64 v[37:38], v[20:21], v[10:11], v[49:50]
	v_fma_f64 v[49:50], v[22:23], v[10:11], v[8:9]
	;; [unrolled: 1-line block ×4, first 2 shown]
	ds_load_2addr_b64 v[8:11], v30 offset0:192 offset1:208
	ds_load_2addr_b64 v[22:25], v30 offset0:224 offset1:240
	s_wait_loadcnt_dscnt 0x0
	s_barrier_signal -1
	s_barrier_wait -1
	global_inv scope:SCOPE_SE
	v_fma_f64 v[37:38], v[8:9], v[41:42], v[37:38]
	v_fma_f64 v[39:40], v[10:11], v[41:42], v[49:50]
	;; [unrolled: 1-line block ×4, first 2 shown]
	s_delay_alu instid0(VALU_DEP_4) | instskip(NEXT) | instid1(VALU_DEP_4)
	v_fma_f64 v[20:21], v[22:23], v[43:44], v[37:38]
	v_fma_f64 v[14:15], v[24:25], v[43:44], v[39:40]
	s_delay_alu instid0(VALU_DEP_4) | instskip(NEXT) | instid1(VALU_DEP_4)
	v_fma_f64 v[10:11], v[22:23], v[47:48], v[8:9]
	v_fma_f64 v[8:9], v[24:25], v[47:48], v[41:42]
	s_cbranch_scc0 .LBB344_13
.LBB344_9:                              ;   Parent Loop BB344_6 Depth=1
                                        ; =>  This Inner Loop Header: Depth=2
	s_wait_alu 0xfffe
	v_add_nc_u32_e32 v22, s22, v27
	s_delay_alu instid0(VALU_DEP_1)
	v_cmp_gt_i32_e32 vcc_lo, s5, v22
	v_mov_b32_e32 v22, 0
	v_mov_b32_e32 v23, 0
	s_and_b32 s24, s0, vcc_lo
	s_wait_alu 0xfffe
	s_and_saveexec_b32 s23, s24
	s_cbranch_execz .LBB344_11
; %bb.10:                               ;   in Loop: Header=BB344_9 Depth=2
	flat_load_b64 v[22:23], v[16:17]
.LBB344_11:                             ;   in Loop: Header=BB344_9 Depth=2
	s_wait_alu 0xfffe
	s_or_b32 exec_lo, exec_lo, s23
	v_add_nc_u32_e32 v24, s22, v26
	s_wait_loadcnt_dscnt 0x0
	ds_store_b64 v28, v[22:23]
	v_cmp_gt_i32_e32 vcc_lo, s5, v24
	v_mov_b32_e32 v24, 0
	v_mov_b32_e32 v25, 0
	s_and_b32 s24, vcc_lo, s1
	s_wait_alu 0xfffe
	s_and_saveexec_b32 s23, s24
	s_cbranch_execz .LBB344_8
; %bb.12:                               ;   in Loop: Header=BB344_9 Depth=2
	flat_load_b64 v[24:25], v[18:19]
	s_branch .LBB344_8
.LBB344_13:                             ;   in Loop: Header=BB344_6 Depth=1
	s_wait_loadcnt 0x0
	v_add_co_u32 v16, vcc_lo, v12, s16
	s_wait_alu 0xfffd
	v_add_co_ci_u32_e64 v17, null, s17, v13, vcc_lo
	s_delay_alu instid0(VALU_DEP_2) | instskip(SKIP_1) | instid1(VALU_DEP_2)
	v_add_co_u32 v18, vcc_lo, v16, v4
	s_wait_alu 0xfffd
	v_add_co_ci_u32_e64 v19, null, v17, v5, vcc_lo
	s_and_saveexec_b32 s22, s33
	s_cbranch_execz .LBB344_17
; %bb.14:                               ;   in Loop: Header=BB344_6 Depth=1
	v_mul_f64_e32 v[12:13], s[12:13], v[20:21]
	s_and_b32 vcc_lo, exec_lo, s31
	s_wait_alu 0xfffe
	s_cbranch_vccz .LBB344_28
; %bb.15:                               ;   in Loop: Header=BB344_6 Depth=1
	v_lshlrev_b64_e32 v[20:21], 3, v[0:1]
	s_delay_alu instid0(VALU_DEP_1) | instskip(SKIP_1) | instid1(VALU_DEP_2)
	v_add_co_u32 v20, vcc_lo, v18, v20
	s_wait_alu 0xfffd
	v_add_co_ci_u32_e64 v21, null, v19, v21, vcc_lo
	flat_load_b64 v[22:23], v[20:21]
	s_wait_loadcnt_dscnt 0x0
	v_fma_f64 v[22:23], s[10:11], v[22:23], v[12:13]
	flat_store_b64 v[20:21], v[22:23]
	s_cbranch_execnz .LBB344_17
.LBB344_16:                             ;   in Loop: Header=BB344_6 Depth=1
	v_lshlrev_b64_e32 v[20:21], 3, v[0:1]
	s_delay_alu instid0(VALU_DEP_1) | instskip(SKIP_1) | instid1(VALU_DEP_2)
	v_add_co_u32 v20, vcc_lo, v18, v20
	s_wait_alu 0xfffd
	v_add_co_ci_u32_e64 v21, null, v19, v21, vcc_lo
	flat_store_b64 v[20:21], v[12:13]
.LBB344_17:                             ;   in Loop: Header=BB344_6 Depth=1
	s_wait_alu 0xfffe
	s_or_b32 exec_lo, exec_lo, s22
	s_and_saveexec_b32 s22, s34
	s_cbranch_execz .LBB344_21
; %bb.18:                               ;   in Loop: Header=BB344_6 Depth=1
	v_mul_f64_e32 v[12:13], s[12:13], v[14:15]
	s_and_not1_b32 vcc_lo, exec_lo, s31
	s_wait_alu 0xfffe
	s_cbranch_vccnz .LBB344_29
; %bb.19:                               ;   in Loop: Header=BB344_6 Depth=1
	v_lshlrev_b64_e32 v[14:15], 3, v[2:3]
	s_delay_alu instid0(VALU_DEP_1) | instskip(SKIP_1) | instid1(VALU_DEP_2)
	v_add_co_u32 v14, vcc_lo, v18, v14
	s_wait_alu 0xfffd
	v_add_co_ci_u32_e64 v15, null, v19, v15, vcc_lo
	flat_load_b64 v[20:21], v[14:15]
	s_wait_loadcnt_dscnt 0x0
	v_fma_f64 v[20:21], s[10:11], v[20:21], v[12:13]
	flat_store_b64 v[14:15], v[20:21]
	s_cbranch_execnz .LBB344_21
.LBB344_20:                             ;   in Loop: Header=BB344_6 Depth=1
	v_lshlrev_b64_e32 v[14:15], 3, v[2:3]
	s_delay_alu instid0(VALU_DEP_1) | instskip(SKIP_1) | instid1(VALU_DEP_2)
	v_add_co_u32 v14, vcc_lo, v18, v14
	s_wait_alu 0xfffd
	v_add_co_ci_u32_e64 v15, null, v19, v15, vcc_lo
	flat_store_b64 v[14:15], v[12:13]
.LBB344_21:                             ;   in Loop: Header=BB344_6 Depth=1
	s_wait_alu 0xfffe
	s_or_b32 exec_lo, exec_lo, s22
	v_add_co_u32 v14, vcc_lo, v16, v6
	s_wait_alu 0xfffd
	v_add_co_ci_u32_e64 v15, null, v17, v7, vcc_lo
	s_and_saveexec_b32 s22, s4
	s_cbranch_execz .LBB344_25
; %bb.22:                               ;   in Loop: Header=BB344_6 Depth=1
	v_mul_f64_e32 v[10:11], s[12:13], v[10:11]
	v_lshlrev_b64_e32 v[12:13], 3, v[0:1]
	s_and_not1_b32 vcc_lo, exec_lo, s31
	s_wait_alu 0xfffe
	s_cbranch_vccnz .LBB344_30
; %bb.23:                               ;   in Loop: Header=BB344_6 Depth=1
	s_delay_alu instid0(VALU_DEP_1)
	v_add_co_u32 v16, vcc_lo, v14, v12
	s_wait_alu 0xfffd
	v_add_co_ci_u32_e64 v17, null, v15, v13, vcc_lo
	flat_load_b64 v[18:19], v[16:17]
	s_wait_loadcnt_dscnt 0x0
	v_fma_f64 v[18:19], s[10:11], v[18:19], v[10:11]
	flat_store_b64 v[16:17], v[18:19]
	s_cbranch_execnz .LBB344_25
.LBB344_24:                             ;   in Loop: Header=BB344_6 Depth=1
	s_delay_alu instid0(VALU_DEP_1)
	v_add_co_u32 v12, vcc_lo, v14, v12
	s_wait_alu 0xfffd
	v_add_co_ci_u32_e64 v13, null, v15, v13, vcc_lo
	flat_store_b64 v[12:13], v[10:11]
.LBB344_25:                             ;   in Loop: Header=BB344_6 Depth=1
	s_wait_alu 0xfffe
	s_or_b32 exec_lo, exec_lo, s22
	s_and_saveexec_b32 s22, s35
	s_cbranch_execz .LBB344_5
; %bb.26:                               ;   in Loop: Header=BB344_6 Depth=1
	v_mul_f64_e32 v[8:9], s[12:13], v[8:9]
	v_lshlrev_b64_e32 v[10:11], 3, v[2:3]
	s_and_not1_b32 vcc_lo, exec_lo, s31
	s_wait_alu 0xfffe
	s_cbranch_vccnz .LBB344_31
; %bb.27:                               ;   in Loop: Header=BB344_6 Depth=1
	s_delay_alu instid0(VALU_DEP_1)
	v_add_co_u32 v12, vcc_lo, v14, v10
	s_wait_alu 0xfffd
	v_add_co_ci_u32_e64 v13, null, v15, v11, vcc_lo
	flat_load_b64 v[16:17], v[12:13]
	s_wait_loadcnt_dscnt 0x0
	v_fma_f64 v[16:17], s[10:11], v[16:17], v[8:9]
	flat_store_b64 v[12:13], v[16:17]
	s_cbranch_execnz .LBB344_5
	s_branch .LBB344_32
.LBB344_28:                             ;   in Loop: Header=BB344_6 Depth=1
	s_branch .LBB344_16
.LBB344_29:                             ;   in Loop: Header=BB344_6 Depth=1
	s_branch .LBB344_20
.LBB344_30:                             ;   in Loop: Header=BB344_6 Depth=1
	s_branch .LBB344_24
.LBB344_31:                             ;   in Loop: Header=BB344_6 Depth=1
.LBB344_32:                             ;   in Loop: Header=BB344_6 Depth=1
	s_delay_alu instid0(VALU_DEP_1)
	v_add_co_u32 v10, vcc_lo, v14, v10
	s_wait_alu 0xfffd
	v_add_co_ci_u32_e64 v11, null, v15, v11, vcc_lo
	flat_store_b64 v[10:11], v[8:9]
	s_branch .LBB344_5
.LBB344_33:
	s_endpgm
	.section	.rodata,"a",@progbits
	.p2align	6, 0x0
	.amdhsa_kernel _ZL29rocblas_internal_gemmt_kernelIiLi16ELi32ELi8ELc78ELc67ELc85ELb0ELb0EddPKPKdPKPdEviT_T9_T10_S7_lS9_S7_lS8_T11_S7_li
		.amdhsa_group_segment_fixed_size 4096
		.amdhsa_private_segment_fixed_size 0
		.amdhsa_kernarg_size 100
		.amdhsa_user_sgpr_count 2
		.amdhsa_user_sgpr_dispatch_ptr 0
		.amdhsa_user_sgpr_queue_ptr 0
		.amdhsa_user_sgpr_kernarg_segment_ptr 1
		.amdhsa_user_sgpr_dispatch_id 0
		.amdhsa_user_sgpr_private_segment_size 0
		.amdhsa_wavefront_size32 1
		.amdhsa_uses_dynamic_stack 0
		.amdhsa_enable_private_segment 0
		.amdhsa_system_sgpr_workgroup_id_x 1
		.amdhsa_system_sgpr_workgroup_id_y 1
		.amdhsa_system_sgpr_workgroup_id_z 1
		.amdhsa_system_sgpr_workgroup_info 0
		.amdhsa_system_vgpr_workitem_id 1
		.amdhsa_next_free_vgpr 55
		.amdhsa_next_free_sgpr 37
		.amdhsa_reserve_vcc 1
		.amdhsa_float_round_mode_32 0
		.amdhsa_float_round_mode_16_64 0
		.amdhsa_float_denorm_mode_32 3
		.amdhsa_float_denorm_mode_16_64 3
		.amdhsa_fp16_overflow 0
		.amdhsa_workgroup_processor_mode 1
		.amdhsa_memory_ordered 1
		.amdhsa_forward_progress 1
		.amdhsa_inst_pref_size 17
		.amdhsa_round_robin_scheduling 0
		.amdhsa_exception_fp_ieee_invalid_op 0
		.amdhsa_exception_fp_denorm_src 0
		.amdhsa_exception_fp_ieee_div_zero 0
		.amdhsa_exception_fp_ieee_overflow 0
		.amdhsa_exception_fp_ieee_underflow 0
		.amdhsa_exception_fp_ieee_inexact 0
		.amdhsa_exception_int_div_zero 0
	.end_amdhsa_kernel
	.section	.text._ZL29rocblas_internal_gemmt_kernelIiLi16ELi32ELi8ELc78ELc67ELc85ELb0ELb0EddPKPKdPKPdEviT_T9_T10_S7_lS9_S7_lS8_T11_S7_li,"axG",@progbits,_ZL29rocblas_internal_gemmt_kernelIiLi16ELi32ELi8ELc78ELc67ELc85ELb0ELb0EddPKPKdPKPdEviT_T9_T10_S7_lS9_S7_lS8_T11_S7_li,comdat
.Lfunc_end344:
	.size	_ZL29rocblas_internal_gemmt_kernelIiLi16ELi32ELi8ELc78ELc67ELc85ELb0ELb0EddPKPKdPKPdEviT_T9_T10_S7_lS9_S7_lS8_T11_S7_li, .Lfunc_end344-_ZL29rocblas_internal_gemmt_kernelIiLi16ELi32ELi8ELc78ELc67ELc85ELb0ELb0EddPKPKdPKPdEviT_T9_T10_S7_lS9_S7_lS8_T11_S7_li
                                        ; -- End function
	.set _ZL29rocblas_internal_gemmt_kernelIiLi16ELi32ELi8ELc78ELc67ELc85ELb0ELb0EddPKPKdPKPdEviT_T9_T10_S7_lS9_S7_lS8_T11_S7_li.num_vgpr, 55
	.set _ZL29rocblas_internal_gemmt_kernelIiLi16ELi32ELi8ELc78ELc67ELc85ELb0ELb0EddPKPKdPKPdEviT_T9_T10_S7_lS9_S7_lS8_T11_S7_li.num_agpr, 0
	.set _ZL29rocblas_internal_gemmt_kernelIiLi16ELi32ELi8ELc78ELc67ELc85ELb0ELb0EddPKPKdPKPdEviT_T9_T10_S7_lS9_S7_lS8_T11_S7_li.numbered_sgpr, 37
	.set _ZL29rocblas_internal_gemmt_kernelIiLi16ELi32ELi8ELc78ELc67ELc85ELb0ELb0EddPKPKdPKPdEviT_T9_T10_S7_lS9_S7_lS8_T11_S7_li.num_named_barrier, 0
	.set _ZL29rocblas_internal_gemmt_kernelIiLi16ELi32ELi8ELc78ELc67ELc85ELb0ELb0EddPKPKdPKPdEviT_T9_T10_S7_lS9_S7_lS8_T11_S7_li.private_seg_size, 0
	.set _ZL29rocblas_internal_gemmt_kernelIiLi16ELi32ELi8ELc78ELc67ELc85ELb0ELb0EddPKPKdPKPdEviT_T9_T10_S7_lS9_S7_lS8_T11_S7_li.uses_vcc, 1
	.set _ZL29rocblas_internal_gemmt_kernelIiLi16ELi32ELi8ELc78ELc67ELc85ELb0ELb0EddPKPKdPKPdEviT_T9_T10_S7_lS9_S7_lS8_T11_S7_li.uses_flat_scratch, 0
	.set _ZL29rocblas_internal_gemmt_kernelIiLi16ELi32ELi8ELc78ELc67ELc85ELb0ELb0EddPKPKdPKPdEviT_T9_T10_S7_lS9_S7_lS8_T11_S7_li.has_dyn_sized_stack, 0
	.set _ZL29rocblas_internal_gemmt_kernelIiLi16ELi32ELi8ELc78ELc67ELc85ELb0ELb0EddPKPKdPKPdEviT_T9_T10_S7_lS9_S7_lS8_T11_S7_li.has_recursion, 0
	.set _ZL29rocblas_internal_gemmt_kernelIiLi16ELi32ELi8ELc78ELc67ELc85ELb0ELb0EddPKPKdPKPdEviT_T9_T10_S7_lS9_S7_lS8_T11_S7_li.has_indirect_call, 0
	.section	.AMDGPU.csdata,"",@progbits
; Kernel info:
; codeLenInByte = 2112
; TotalNumSgprs: 39
; NumVgprs: 55
; ScratchSize: 0
; MemoryBound: 0
; FloatMode: 240
; IeeeMode: 1
; LDSByteSize: 4096 bytes/workgroup (compile time only)
; SGPRBlocks: 0
; VGPRBlocks: 6
; NumSGPRsForWavesPerEU: 39
; NumVGPRsForWavesPerEU: 55
; Occupancy: 16
; WaveLimiterHint : 1
; COMPUTE_PGM_RSRC2:SCRATCH_EN: 0
; COMPUTE_PGM_RSRC2:USER_SGPR: 2
; COMPUTE_PGM_RSRC2:TRAP_HANDLER: 0
; COMPUTE_PGM_RSRC2:TGID_X_EN: 1
; COMPUTE_PGM_RSRC2:TGID_Y_EN: 1
; COMPUTE_PGM_RSRC2:TGID_Z_EN: 1
; COMPUTE_PGM_RSRC2:TIDIG_COMP_CNT: 1
	.section	.text._ZL29rocblas_internal_gemmt_kernelIiLi16ELi32ELi8ELc84ELc78ELc85ELb0ELb0EddPKPKdPKPdEviT_T9_T10_S7_lS9_S7_lS8_T11_S7_li,"axG",@progbits,_ZL29rocblas_internal_gemmt_kernelIiLi16ELi32ELi8ELc84ELc78ELc85ELb0ELb0EddPKPKdPKPdEviT_T9_T10_S7_lS9_S7_lS8_T11_S7_li,comdat
	.globl	_ZL29rocblas_internal_gemmt_kernelIiLi16ELi32ELi8ELc84ELc78ELc85ELb0ELb0EddPKPKdPKPdEviT_T9_T10_S7_lS9_S7_lS8_T11_S7_li ; -- Begin function _ZL29rocblas_internal_gemmt_kernelIiLi16ELi32ELi8ELc84ELc78ELc85ELb0ELb0EddPKPKdPKPdEviT_T9_T10_S7_lS9_S7_lS8_T11_S7_li
	.p2align	8
	.type	_ZL29rocblas_internal_gemmt_kernelIiLi16ELi32ELi8ELc84ELc78ELc85ELb0ELb0EddPKPKdPKPdEviT_T9_T10_S7_lS9_S7_lS8_T11_S7_li,@function
_ZL29rocblas_internal_gemmt_kernelIiLi16ELi32ELi8ELc84ELc78ELc85ELb0ELb0EddPKPKdPKPdEviT_T9_T10_S7_lS9_S7_lS8_T11_S7_li: ; @_ZL29rocblas_internal_gemmt_kernelIiLi16ELi32ELi8ELc84ELc78ELc85ELb0ELb0EddPKPKdPKPdEviT_T9_T10_S7_lS9_S7_lS8_T11_S7_li
; %bb.0:
	s_clause 0x2
	s_load_b128 s[8:11], s[0:1], 0x38
	s_load_b64 s[20:21], s[0:1], 0x0
	s_load_b128 s[12:15], s[0:1], 0x8
	s_wait_kmcnt 0x0
	v_cmp_neq_f64_e64 s2, s[10:11], 1.0
	s_and_b32 vcc_lo, exec_lo, s2
	s_cbranch_vccnz .LBB345_2
; %bb.1:
	v_cmp_neq_f64_e64 s2, s[12:13], 0
	s_cmp_lg_u32 s21, 0
	s_cselect_b32 s3, -1, 0
	s_delay_alu instid0(SALU_CYCLE_1)
	s_and_b32 s2, s3, s2
.LBB345_2:
	s_delay_alu instid0(SALU_CYCLE_1)
	s_and_not1_b32 vcc_lo, exec_lo, s2
	s_cbranch_vccnz .LBB345_33
; %bb.3:
	s_load_b32 s19, s[0:1], 0x60
	s_lshr_b32 s22, ttmp7, 16
	s_wait_kmcnt 0x0
	s_cmp_ge_u32 s22, s19
	s_cbranch_scc1 .LBB345_33
; %bb.4:
	v_dual_mov_b32 v32, 0 :: v_dual_and_b32 v1, 0x3ff, v0
	v_bfe_u32 v2, v0, 10, 10
	v_and_b32_e32 v26, 7, v0
	s_clause 0x4
	s_load_b32 s3, s[0:1], 0x18
	s_load_b128 s[4:7], s[0:1], 0x20
	s_load_b32 s29, s[0:1], 0x30
	s_load_b96 s[16:18], s[0:1], 0x48
	s_load_b64 s[24:25], s[0:1], 0x58
	s_lshl_b32 s0, ttmp7, 5
	s_lshl_b32 s2, ttmp9, 5
	v_lshl_add_u32 v0, v2, 4, v1
	v_lshlrev_b32_e32 v12, 3, v26
	s_and_b32 s26, s0, 0x1fffe0
	v_cmp_neq_f64_e64 s30, s[12:13], 0
	v_add_nc_u32_e32 v6, s2, v1
	v_and_b32_e32 v3, 31, v0
	v_lshrrev_b32_e32 v4, 3, v0
	v_lshrrev_b32_e32 v27, 5, v0
	s_cmp_gt_i32 s21, 0
	v_lshl_add_u32 v31, v2, 6, 0x800
	v_or_b32_e32 v5, s2, v3
	v_add_nc_u32_e32 v8, s26, v4
	v_lshlrev_b32_e32 v0, 3, v3
	v_lshl_or_b32 v3, v4, 6, v12
	v_add_nc_u32_e32 v4, s26, v2
	v_cmp_neq_f64_e64 s26, s[10:11], 0
	s_cselect_b32 s31, -1, 0
	v_lshl_or_b32 v28, v27, 8, v0
	v_add_nc_u32_e32 v0, 16, v6
	v_cmp_gt_i32_e32 vcc_lo, s20, v4
	v_cmp_le_i32_e64 s2, v6, v4
	v_cmp_gt_i32_e64 s0, s20, v5
	v_add_nc_u32_e32 v29, 0x800, v3
	s_wait_kmcnt 0x0
	v_mad_co_i64_i32 v[2:3], null, v4, s18, 0
	s_and_b32 s27, vcc_lo, s2
	v_cmp_le_i32_e64 s2, v0, v4
	v_add_nc_u32_e32 v13, 16, v4
	v_mad_co_i64_i32 v[4:5], null, s3, v5, 0
	v_cmp_gt_i32_e64 s1, s20, v8
	v_mad_co_i64_i32 v[8:9], null, s29, v8, 0
	s_lshl_b64 s[4:5], s[4:5], 3
	s_and_b32 s28, vcc_lo, s2
	v_cmp_gt_i32_e32 vcc_lo, s20, v13
	v_lshlrev_b64_e32 v[4:5], 3, v[4:5]
	v_mad_co_i64_i32 v[10:11], null, v13, s18, 0
	v_lshlrev_b64_e32 v[8:9], 3, v[8:9]
	v_cmp_le_i32_e64 s2, v6, v13
	v_cmp_le_i32_e64 s3, v0, v13
	v_add_co_u32 v4, s4, v4, s4
	s_wait_alu 0xf1ff
	v_add_co_ci_u32_e64 v5, null, s5, v5, s4
	v_lshlrev_b32_e32 v13, 3, v27
	s_lshl_b64 s[4:5], s[8:9], 3
	v_ashrrev_i32_e32 v7, 31, v6
	s_wait_alu 0xfffe
	v_add_co_u32 v8, s4, v8, s4
	s_wait_alu 0xf1ff
	v_add_co_ci_u32_e64 v9, null, s5, v9, s4
	v_add_co_u32 v33, s4, v4, v13
	s_wait_alu 0xf1ff
	v_add_co_ci_u32_e64 v34, null, 0, v5, s4
	v_add_co_u32 v35, s4, v8, v12
	v_lshlrev_b64_e32 v[2:3], 3, v[2:3]
	v_lshlrev_b64_e32 v[4:5], 3, v[10:11]
	v_lshlrev_b64_e32 v[6:7], 3, v[6:7]
	v_lshlrev_b32_e32 v30, 3, v1
	v_ashrrev_i32_e32 v1, 31, v0
	s_wait_alu 0xf1ff
	v_add_co_ci_u32_e64 v36, null, 0, v9, s4
	s_mov_b32 s23, 0
	s_and_b32 s8, s30, s31
	s_and_b32 s9, vcc_lo, s2
	s_and_b32 s18, vcc_lo, s3
	s_lshl_b64 s[2:3], s[24:25], 3
	s_branch .LBB345_6
.LBB345_5:                              ;   in Loop: Header=BB345_6 Depth=1
	s_wait_alu 0xfffe
	s_or_b32 exec_lo, exec_lo, s4
	s_add_co_i32 s22, s22, 0x10000
	s_delay_alu instid0(SALU_CYCLE_1)
	s_cmp_lt_u32 s22, s19
	s_cbranch_scc0 .LBB345_33
.LBB345_6:                              ; =>This Loop Header: Depth=1
                                        ;     Child Loop BB345_9 Depth 2
	s_lshl_b64 s[4:5], s[22:23], 3
	v_mov_b32_e32 v20, 0
	s_wait_alu 0xfffe
	s_add_nc_u64 s[24:25], s[16:17], s[4:5]
	v_mov_b32_e32 v12, 0
	global_load_b64 v[10:11], v32, s[24:25]
	v_dual_mov_b32 v21, 0 :: v_dual_mov_b32 v14, 0
	v_dual_mov_b32 v13, 0 :: v_dual_mov_b32 v8, 0
	v_mov_b32_e32 v15, 0
	v_mov_b32_e32 v9, 0
	s_and_not1_b32 vcc_lo, exec_lo, s8
	s_wait_alu 0xfffe
	s_cbranch_vccnz .LBB345_13
; %bb.7:                                ;   in Loop: Header=BB345_6 Depth=1
	s_add_nc_u64 s[24:25], s[14:15], s[4:5]
	s_add_nc_u64 s[4:5], s[6:7], s[4:5]
	s_clause 0x1
	global_load_b64 v[16:17], v32, s[24:25]
	global_load_b64 v[18:19], v32, s[4:5]
	v_mov_b32_e32 v8, 0
	v_dual_mov_b32 v14, 0 :: v_dual_mov_b32 v9, 0
	v_dual_mov_b32 v12, 0 :: v_dual_mov_b32 v15, 0
	;; [unrolled: 1-line block ×3, first 2 shown]
	v_mov_b32_e32 v21, 0
	s_mov_b32 s4, 0
	s_wait_loadcnt 0x1
	v_add_co_u32 v16, vcc_lo, v16, v33
	s_wait_alu 0xfffd
	v_add_co_ci_u32_e64 v17, null, v17, v34, vcc_lo
	s_wait_loadcnt 0x0
	v_add_co_u32 v18, vcc_lo, v18, v35
	s_wait_alu 0xfffd
	v_add_co_ci_u32_e64 v19, null, v19, v36, vcc_lo
	s_branch .LBB345_9
.LBB345_8:                              ;   in Loop: Header=BB345_9 Depth=2
	s_wait_alu 0xfffe
	s_or_b32 exec_lo, exec_lo, s5
	s_wait_loadcnt_dscnt 0x0
	ds_store_b64 v29, v[24:25]
	s_wait_dscnt 0x0
	s_barrier_signal -1
	s_barrier_wait -1
	global_inv scope:SCOPE_SE
	ds_load_b128 v[22:25], v31
	ds_load_2addr_b64 v[37:40], v30 offset1:16
	ds_load_b128 v[41:44], v31 offset:1024
	ds_load_b128 v[45:48], v31 offset:16
	;; [unrolled: 1-line block ×3, first 2 shown]
	v_add_co_u32 v16, vcc_lo, v16, 64
	s_wait_alu 0xfffd
	v_add_co_ci_u32_e64 v17, null, 0, v17, vcc_lo
	v_add_co_u32 v18, vcc_lo, v18, 64
	s_wait_alu 0xfffd
	v_add_co_ci_u32_e64 v19, null, 0, v19, vcc_lo
	s_add_co_i32 s4, s4, 8
	s_wait_alu 0xfffe
	s_cmp_lt_i32 s4, s21
	s_wait_dscnt 0x3
	v_fma_f64 v[20:21], v[37:38], v[22:23], v[20:21]
	v_fma_f64 v[22:23], v[39:40], v[22:23], v[14:15]
	s_wait_dscnt 0x2
	v_fma_f64 v[37:38], v[37:38], v[41:42], v[12:13]
	v_fma_f64 v[8:9], v[39:40], v[41:42], v[8:9]
	ds_load_2addr_b64 v[12:15], v30 offset0:32 offset1:48
	s_wait_dscnt 0x0
	v_fma_f64 v[20:21], v[12:13], v[24:25], v[20:21]
	v_fma_f64 v[22:23], v[14:15], v[24:25], v[22:23]
	v_fma_f64 v[24:25], v[12:13], v[43:44], v[37:38]
	v_fma_f64 v[8:9], v[14:15], v[43:44], v[8:9]
	ds_load_2addr_b64 v[12:15], v30 offset0:64 offset1:80
	s_wait_dscnt 0x0
	v_fma_f64 v[20:21], v[12:13], v[45:46], v[20:21]
	v_fma_f64 v[22:23], v[14:15], v[45:46], v[22:23]
	;; [unrolled: 6-line block ×3, first 2 shown]
	v_fma_f64 v[24:25], v[12:13], v[51:52], v[24:25]
	v_fma_f64 v[8:9], v[14:15], v[51:52], v[8:9]
	ds_load_b128 v[12:15], v31 offset:32
	ds_load_2addr_b64 v[20:23], v30 offset0:128 offset1:144
	ds_load_b128 v[37:40], v31 offset:1056
	ds_load_b128 v[41:44], v31 offset:48
	;; [unrolled: 1-line block ×3, first 2 shown]
	s_wait_dscnt 0x3
	v_fma_f64 v[49:50], v[20:21], v[12:13], v[49:50]
	v_fma_f64 v[12:13], v[22:23], v[12:13], v[53:54]
	s_wait_dscnt 0x2
	v_fma_f64 v[24:25], v[20:21], v[37:38], v[24:25]
	v_fma_f64 v[8:9], v[22:23], v[37:38], v[8:9]
	ds_load_2addr_b64 v[20:23], v30 offset0:160 offset1:176
	s_wait_dscnt 0x0
	v_fma_f64 v[37:38], v[20:21], v[14:15], v[49:50]
	v_fma_f64 v[49:50], v[22:23], v[14:15], v[12:13]
	;; [unrolled: 1-line block ×4, first 2 shown]
	ds_load_2addr_b64 v[12:15], v30 offset0:192 offset1:208
	ds_load_2addr_b64 v[22:25], v30 offset0:224 offset1:240
	s_wait_loadcnt_dscnt 0x0
	s_barrier_signal -1
	s_barrier_wait -1
	global_inv scope:SCOPE_SE
	v_fma_f64 v[37:38], v[12:13], v[41:42], v[37:38]
	v_fma_f64 v[39:40], v[14:15], v[41:42], v[49:50]
	;; [unrolled: 1-line block ×4, first 2 shown]
	s_delay_alu instid0(VALU_DEP_4) | instskip(NEXT) | instid1(VALU_DEP_4)
	v_fma_f64 v[20:21], v[22:23], v[43:44], v[37:38]
	v_fma_f64 v[14:15], v[24:25], v[43:44], v[39:40]
	s_delay_alu instid0(VALU_DEP_4) | instskip(NEXT) | instid1(VALU_DEP_4)
	v_fma_f64 v[12:13], v[22:23], v[47:48], v[12:13]
	v_fma_f64 v[8:9], v[24:25], v[47:48], v[8:9]
	s_cbranch_scc0 .LBB345_13
.LBB345_9:                              ;   Parent Loop BB345_6 Depth=1
                                        ; =>  This Inner Loop Header: Depth=2
	s_wait_alu 0xfffe
	v_add_nc_u32_e32 v22, s4, v27
	s_delay_alu instid0(VALU_DEP_1)
	v_cmp_gt_i32_e32 vcc_lo, s21, v22
	v_mov_b32_e32 v22, 0
	v_mov_b32_e32 v23, 0
	s_and_b32 s20, s0, vcc_lo
	s_wait_alu 0xfffe
	s_and_saveexec_b32 s5, s20
	s_cbranch_execz .LBB345_11
; %bb.10:                               ;   in Loop: Header=BB345_9 Depth=2
	flat_load_b64 v[22:23], v[16:17]
.LBB345_11:                             ;   in Loop: Header=BB345_9 Depth=2
	s_wait_alu 0xfffe
	s_or_b32 exec_lo, exec_lo, s5
	v_add_nc_u32_e32 v24, s4, v26
	s_wait_loadcnt_dscnt 0x0
	ds_store_b64 v28, v[22:23]
	v_cmp_gt_i32_e32 vcc_lo, s21, v24
	v_mov_b32_e32 v24, 0
	v_mov_b32_e32 v25, 0
	s_and_b32 s20, vcc_lo, s1
	s_wait_alu 0xfffe
	s_and_saveexec_b32 s5, s20
	s_cbranch_execz .LBB345_8
; %bb.12:                               ;   in Loop: Header=BB345_9 Depth=2
	flat_load_b64 v[24:25], v[18:19]
	s_branch .LBB345_8
.LBB345_13:                             ;   in Loop: Header=BB345_6 Depth=1
	s_wait_loadcnt 0x0
	v_add_co_u32 v16, vcc_lo, v10, s2
	s_wait_alu 0xfffd
	v_add_co_ci_u32_e64 v17, null, s3, v11, vcc_lo
	s_delay_alu instid0(VALU_DEP_2) | instskip(SKIP_1) | instid1(VALU_DEP_2)
	v_add_co_u32 v18, vcc_lo, v16, v2
	s_wait_alu 0xfffd
	v_add_co_ci_u32_e64 v19, null, v17, v3, vcc_lo
	s_and_saveexec_b32 s4, s27
	s_cbranch_execz .LBB345_17
; %bb.14:                               ;   in Loop: Header=BB345_6 Depth=1
	v_mul_f64_e32 v[10:11], s[12:13], v[20:21]
	s_and_b32 vcc_lo, exec_lo, s26
	s_wait_alu 0xfffe
	s_cbranch_vccz .LBB345_28
; %bb.15:                               ;   in Loop: Header=BB345_6 Depth=1
	v_add_co_u32 v20, vcc_lo, v18, v6
	s_wait_alu 0xfffd
	v_add_co_ci_u32_e64 v21, null, v19, v7, vcc_lo
	flat_load_b64 v[22:23], v[20:21]
	s_wait_loadcnt_dscnt 0x0
	v_fma_f64 v[22:23], s[10:11], v[22:23], v[10:11]
	flat_store_b64 v[20:21], v[22:23]
	s_cbranch_execnz .LBB345_17
.LBB345_16:                             ;   in Loop: Header=BB345_6 Depth=1
	v_add_co_u32 v20, vcc_lo, v18, v6
	s_wait_alu 0xfffd
	v_add_co_ci_u32_e64 v21, null, v19, v7, vcc_lo
	flat_store_b64 v[20:21], v[10:11]
.LBB345_17:                             ;   in Loop: Header=BB345_6 Depth=1
	s_wait_alu 0xfffe
	s_or_b32 exec_lo, exec_lo, s4
	s_and_saveexec_b32 s4, s28
	s_cbranch_execz .LBB345_21
; %bb.18:                               ;   in Loop: Header=BB345_6 Depth=1
	v_mul_f64_e32 v[10:11], s[12:13], v[14:15]
	s_and_not1_b32 vcc_lo, exec_lo, s26
	s_wait_alu 0xfffe
	s_cbranch_vccnz .LBB345_29
; %bb.19:                               ;   in Loop: Header=BB345_6 Depth=1
	v_lshlrev_b64_e32 v[14:15], 3, v[0:1]
	s_delay_alu instid0(VALU_DEP_1) | instskip(SKIP_1) | instid1(VALU_DEP_2)
	v_add_co_u32 v14, vcc_lo, v18, v14
	s_wait_alu 0xfffd
	v_add_co_ci_u32_e64 v15, null, v19, v15, vcc_lo
	flat_load_b64 v[20:21], v[14:15]
	s_wait_loadcnt_dscnt 0x0
	v_fma_f64 v[20:21], s[10:11], v[20:21], v[10:11]
	flat_store_b64 v[14:15], v[20:21]
	s_cbranch_execnz .LBB345_21
.LBB345_20:                             ;   in Loop: Header=BB345_6 Depth=1
	v_lshlrev_b64_e32 v[14:15], 3, v[0:1]
	s_delay_alu instid0(VALU_DEP_1) | instskip(SKIP_1) | instid1(VALU_DEP_2)
	v_add_co_u32 v14, vcc_lo, v18, v14
	s_wait_alu 0xfffd
	v_add_co_ci_u32_e64 v15, null, v19, v15, vcc_lo
	flat_store_b64 v[14:15], v[10:11]
.LBB345_21:                             ;   in Loop: Header=BB345_6 Depth=1
	s_wait_alu 0xfffe
	s_or_b32 exec_lo, exec_lo, s4
	v_add_co_u32 v14, vcc_lo, v16, v4
	s_wait_alu 0xfffd
	v_add_co_ci_u32_e64 v15, null, v17, v5, vcc_lo
	s_and_saveexec_b32 s4, s9
	s_cbranch_execz .LBB345_25
; %bb.22:                               ;   in Loop: Header=BB345_6 Depth=1
	v_mul_f64_e32 v[10:11], s[12:13], v[12:13]
	s_and_not1_b32 vcc_lo, exec_lo, s26
	s_wait_alu 0xfffe
	s_cbranch_vccnz .LBB345_30
; %bb.23:                               ;   in Loop: Header=BB345_6 Depth=1
	v_add_co_u32 v12, vcc_lo, v14, v6
	s_wait_alu 0xfffd
	v_add_co_ci_u32_e64 v13, null, v15, v7, vcc_lo
	flat_load_b64 v[16:17], v[12:13]
	s_wait_loadcnt_dscnt 0x0
	v_fma_f64 v[16:17], s[10:11], v[16:17], v[10:11]
	flat_store_b64 v[12:13], v[16:17]
	s_cbranch_execnz .LBB345_25
.LBB345_24:                             ;   in Loop: Header=BB345_6 Depth=1
	v_add_co_u32 v12, vcc_lo, v14, v6
	s_wait_alu 0xfffd
	v_add_co_ci_u32_e64 v13, null, v15, v7, vcc_lo
	flat_store_b64 v[12:13], v[10:11]
.LBB345_25:                             ;   in Loop: Header=BB345_6 Depth=1
	s_wait_alu 0xfffe
	s_or_b32 exec_lo, exec_lo, s4
	s_and_saveexec_b32 s4, s18
	s_cbranch_execz .LBB345_5
; %bb.26:                               ;   in Loop: Header=BB345_6 Depth=1
	v_mul_f64_e32 v[8:9], s[12:13], v[8:9]
	v_lshlrev_b64_e32 v[10:11], 3, v[0:1]
	s_and_not1_b32 vcc_lo, exec_lo, s26
	s_wait_alu 0xfffe
	s_cbranch_vccnz .LBB345_31
; %bb.27:                               ;   in Loop: Header=BB345_6 Depth=1
	s_delay_alu instid0(VALU_DEP_1)
	v_add_co_u32 v12, vcc_lo, v14, v10
	s_wait_alu 0xfffd
	v_add_co_ci_u32_e64 v13, null, v15, v11, vcc_lo
	flat_load_b64 v[16:17], v[12:13]
	s_wait_loadcnt_dscnt 0x0
	v_fma_f64 v[16:17], s[10:11], v[16:17], v[8:9]
	flat_store_b64 v[12:13], v[16:17]
	s_cbranch_execnz .LBB345_5
	s_branch .LBB345_32
.LBB345_28:                             ;   in Loop: Header=BB345_6 Depth=1
	s_branch .LBB345_16
.LBB345_29:                             ;   in Loop: Header=BB345_6 Depth=1
	s_branch .LBB345_20
.LBB345_30:                             ;   in Loop: Header=BB345_6 Depth=1
	s_branch .LBB345_24
.LBB345_31:                             ;   in Loop: Header=BB345_6 Depth=1
.LBB345_32:                             ;   in Loop: Header=BB345_6 Depth=1
	s_delay_alu instid0(VALU_DEP_1)
	v_add_co_u32 v10, vcc_lo, v14, v10
	s_wait_alu 0xfffd
	v_add_co_ci_u32_e64 v11, null, v15, v11, vcc_lo
	flat_store_b64 v[10:11], v[8:9]
	s_branch .LBB345_5
.LBB345_33:
	s_endpgm
	.section	.rodata,"a",@progbits
	.p2align	6, 0x0
	.amdhsa_kernel _ZL29rocblas_internal_gemmt_kernelIiLi16ELi32ELi8ELc84ELc78ELc85ELb0ELb0EddPKPKdPKPdEviT_T9_T10_S7_lS9_S7_lS8_T11_S7_li
		.amdhsa_group_segment_fixed_size 4096
		.amdhsa_private_segment_fixed_size 0
		.amdhsa_kernarg_size 100
		.amdhsa_user_sgpr_count 2
		.amdhsa_user_sgpr_dispatch_ptr 0
		.amdhsa_user_sgpr_queue_ptr 0
		.amdhsa_user_sgpr_kernarg_segment_ptr 1
		.amdhsa_user_sgpr_dispatch_id 0
		.amdhsa_user_sgpr_private_segment_size 0
		.amdhsa_wavefront_size32 1
		.amdhsa_uses_dynamic_stack 0
		.amdhsa_enable_private_segment 0
		.amdhsa_system_sgpr_workgroup_id_x 1
		.amdhsa_system_sgpr_workgroup_id_y 1
		.amdhsa_system_sgpr_workgroup_id_z 1
		.amdhsa_system_sgpr_workgroup_info 0
		.amdhsa_system_vgpr_workitem_id 1
		.amdhsa_next_free_vgpr 55
		.amdhsa_next_free_sgpr 32
		.amdhsa_reserve_vcc 1
		.amdhsa_float_round_mode_32 0
		.amdhsa_float_round_mode_16_64 0
		.amdhsa_float_denorm_mode_32 3
		.amdhsa_float_denorm_mode_16_64 3
		.amdhsa_fp16_overflow 0
		.amdhsa_workgroup_processor_mode 1
		.amdhsa_memory_ordered 1
		.amdhsa_forward_progress 1
		.amdhsa_inst_pref_size 17
		.amdhsa_round_robin_scheduling 0
		.amdhsa_exception_fp_ieee_invalid_op 0
		.amdhsa_exception_fp_denorm_src 0
		.amdhsa_exception_fp_ieee_div_zero 0
		.amdhsa_exception_fp_ieee_overflow 0
		.amdhsa_exception_fp_ieee_underflow 0
		.amdhsa_exception_fp_ieee_inexact 0
		.amdhsa_exception_int_div_zero 0
	.end_amdhsa_kernel
	.section	.text._ZL29rocblas_internal_gemmt_kernelIiLi16ELi32ELi8ELc84ELc78ELc85ELb0ELb0EddPKPKdPKPdEviT_T9_T10_S7_lS9_S7_lS8_T11_S7_li,"axG",@progbits,_ZL29rocblas_internal_gemmt_kernelIiLi16ELi32ELi8ELc84ELc78ELc85ELb0ELb0EddPKPKdPKPdEviT_T9_T10_S7_lS9_S7_lS8_T11_S7_li,comdat
.Lfunc_end345:
	.size	_ZL29rocblas_internal_gemmt_kernelIiLi16ELi32ELi8ELc84ELc78ELc85ELb0ELb0EddPKPKdPKPdEviT_T9_T10_S7_lS9_S7_lS8_T11_S7_li, .Lfunc_end345-_ZL29rocblas_internal_gemmt_kernelIiLi16ELi32ELi8ELc84ELc78ELc85ELb0ELb0EddPKPKdPKPdEviT_T9_T10_S7_lS9_S7_lS8_T11_S7_li
                                        ; -- End function
	.set _ZL29rocblas_internal_gemmt_kernelIiLi16ELi32ELi8ELc84ELc78ELc85ELb0ELb0EddPKPKdPKPdEviT_T9_T10_S7_lS9_S7_lS8_T11_S7_li.num_vgpr, 55
	.set _ZL29rocblas_internal_gemmt_kernelIiLi16ELi32ELi8ELc84ELc78ELc85ELb0ELb0EddPKPKdPKPdEviT_T9_T10_S7_lS9_S7_lS8_T11_S7_li.num_agpr, 0
	.set _ZL29rocblas_internal_gemmt_kernelIiLi16ELi32ELi8ELc84ELc78ELc85ELb0ELb0EddPKPKdPKPdEviT_T9_T10_S7_lS9_S7_lS8_T11_S7_li.numbered_sgpr, 32
	.set _ZL29rocblas_internal_gemmt_kernelIiLi16ELi32ELi8ELc84ELc78ELc85ELb0ELb0EddPKPKdPKPdEviT_T9_T10_S7_lS9_S7_lS8_T11_S7_li.num_named_barrier, 0
	.set _ZL29rocblas_internal_gemmt_kernelIiLi16ELi32ELi8ELc84ELc78ELc85ELb0ELb0EddPKPKdPKPdEviT_T9_T10_S7_lS9_S7_lS8_T11_S7_li.private_seg_size, 0
	.set _ZL29rocblas_internal_gemmt_kernelIiLi16ELi32ELi8ELc84ELc78ELc85ELb0ELb0EddPKPKdPKPdEviT_T9_T10_S7_lS9_S7_lS8_T11_S7_li.uses_vcc, 1
	.set _ZL29rocblas_internal_gemmt_kernelIiLi16ELi32ELi8ELc84ELc78ELc85ELb0ELb0EddPKPKdPKPdEviT_T9_T10_S7_lS9_S7_lS8_T11_S7_li.uses_flat_scratch, 0
	.set _ZL29rocblas_internal_gemmt_kernelIiLi16ELi32ELi8ELc84ELc78ELc85ELb0ELb0EddPKPKdPKPdEviT_T9_T10_S7_lS9_S7_lS8_T11_S7_li.has_dyn_sized_stack, 0
	.set _ZL29rocblas_internal_gemmt_kernelIiLi16ELi32ELi8ELc84ELc78ELc85ELb0ELb0EddPKPKdPKPdEviT_T9_T10_S7_lS9_S7_lS8_T11_S7_li.has_recursion, 0
	.set _ZL29rocblas_internal_gemmt_kernelIiLi16ELi32ELi8ELc84ELc78ELc85ELb0ELb0EddPKPKdPKPdEviT_T9_T10_S7_lS9_S7_lS8_T11_S7_li.has_indirect_call, 0
	.section	.AMDGPU.csdata,"",@progbits
; Kernel info:
; codeLenInByte = 2052
; TotalNumSgprs: 34
; NumVgprs: 55
; ScratchSize: 0
; MemoryBound: 0
; FloatMode: 240
; IeeeMode: 1
; LDSByteSize: 4096 bytes/workgroup (compile time only)
; SGPRBlocks: 0
; VGPRBlocks: 6
; NumSGPRsForWavesPerEU: 34
; NumVGPRsForWavesPerEU: 55
; Occupancy: 16
; WaveLimiterHint : 1
; COMPUTE_PGM_RSRC2:SCRATCH_EN: 0
; COMPUTE_PGM_RSRC2:USER_SGPR: 2
; COMPUTE_PGM_RSRC2:TRAP_HANDLER: 0
; COMPUTE_PGM_RSRC2:TGID_X_EN: 1
; COMPUTE_PGM_RSRC2:TGID_Y_EN: 1
; COMPUTE_PGM_RSRC2:TGID_Z_EN: 1
; COMPUTE_PGM_RSRC2:TIDIG_COMP_CNT: 1
	.section	.text._ZL29rocblas_internal_gemmt_kernelIiLi16ELi32ELi8ELc84ELc84ELc85ELb0ELb0EddPKPKdPKPdEviT_T9_T10_S7_lS9_S7_lS8_T11_S7_li,"axG",@progbits,_ZL29rocblas_internal_gemmt_kernelIiLi16ELi32ELi8ELc84ELc84ELc85ELb0ELb0EddPKPKdPKPdEviT_T9_T10_S7_lS9_S7_lS8_T11_S7_li,comdat
	.globl	_ZL29rocblas_internal_gemmt_kernelIiLi16ELi32ELi8ELc84ELc84ELc85ELb0ELb0EddPKPKdPKPdEviT_T9_T10_S7_lS9_S7_lS8_T11_S7_li ; -- Begin function _ZL29rocblas_internal_gemmt_kernelIiLi16ELi32ELi8ELc84ELc84ELc85ELb0ELb0EddPKPKdPKPdEviT_T9_T10_S7_lS9_S7_lS8_T11_S7_li
	.p2align	8
	.type	_ZL29rocblas_internal_gemmt_kernelIiLi16ELi32ELi8ELc84ELc84ELc85ELb0ELb0EddPKPKdPKPdEviT_T9_T10_S7_lS9_S7_lS8_T11_S7_li,@function
_ZL29rocblas_internal_gemmt_kernelIiLi16ELi32ELi8ELc84ELc84ELc85ELb0ELb0EddPKPKdPKPdEviT_T9_T10_S7_lS9_S7_lS8_T11_S7_li: ; @_ZL29rocblas_internal_gemmt_kernelIiLi16ELi32ELi8ELc84ELc84ELc85ELb0ELb0EddPKPKdPKPdEviT_T9_T10_S7_lS9_S7_lS8_T11_S7_li
; %bb.0:
	s_clause 0x2
	s_load_b128 s[4:7], s[0:1], 0x38
	s_load_b64 s[20:21], s[0:1], 0x0
	s_load_b128 s[8:11], s[0:1], 0x8
	s_wait_kmcnt 0x0
	v_cmp_neq_f64_e64 s2, s[6:7], 1.0
	s_and_b32 vcc_lo, exec_lo, s2
	s_cbranch_vccnz .LBB346_2
; %bb.1:
	v_cmp_neq_f64_e64 s2, s[8:9], 0
	s_cmp_lg_u32 s21, 0
	s_cselect_b32 s3, -1, 0
	s_delay_alu instid0(SALU_CYCLE_1)
	s_and_b32 s2, s3, s2
.LBB346_2:
	s_delay_alu instid0(SALU_CYCLE_1)
	s_and_not1_b32 vcc_lo, exec_lo, s2
	s_cbranch_vccnz .LBB346_33
; %bb.3:
	s_load_b32 s19, s[0:1], 0x60
	s_lshr_b32 s22, ttmp7, 16
	s_wait_kmcnt 0x0
	s_cmp_ge_u32 s22, s19
	s_cbranch_scc1 .LBB346_33
; %bb.4:
	v_dual_mov_b32 v32, 0 :: v_dual_and_b32 v1, 0x3ff, v0
	v_bfe_u32 v2, v0, 10, 10
	v_and_b32_e32 v26, 7, v0
	s_clause 0x4
	s_load_b32 s31, s[0:1], 0x18
	s_load_b128 s[12:15], s[0:1], 0x20
	s_load_b96 s[16:18], s[0:1], 0x48
	s_load_b64 s[26:27], s[0:1], 0x58
	s_load_b32 s24, s[0:1], 0x30
	v_lshl_add_u32 v0, v2, 4, v1
	v_lshlrev_b32_e32 v4, 3, v26
	s_lshl_b32 s0, ttmp7, 5
	s_lshl_b32 s1, ttmp9, 5
	v_cmp_neq_f64_e64 s33, s[8:9], 0
	v_and_b32_e32 v3, 31, v0
	v_lshrrev_b32_e32 v27, 5, v0
	v_lshrrev_b32_e32 v0, 3, v0
	s_and_b32 s2, s0, 0x1fffe0
	v_add_nc_u32_e32 v6, s1, v1
	v_cmp_neq_f64_e64 s28, s[6:7], 0
	v_or_b32_e32 v5, s1, v3
	v_add_nc_u32_e32 v12, s2, v0
	v_lshl_or_b32 v0, v0, 6, v4
	v_lshlrev_b32_e32 v3, 3, v3
	v_add_nc_u32_e32 v4, s2, v2
	v_cmp_gt_i32_e64 s0, s20, v5
	v_lshl_add_u32 v31, v2, 6, 0x800
	v_add_nc_u32_e32 v29, 0x800, v0
	v_add_nc_u32_e32 v0, 16, v6
	v_lshl_or_b32 v28, v27, 8, v3
	v_cmp_gt_i32_e32 vcc_lo, s20, v4
	v_cmp_le_i32_e64 s2, v6, v4
	s_wait_kmcnt 0x0
	v_mad_co_i64_i32 v[2:3], null, v4, s18, 0
	v_cmp_le_i32_e64 s3, v0, v4
	v_add_nc_u32_e32 v13, 16, v4
	v_mad_co_i64_i32 v[4:5], null, s31, v5, 0
	v_mad_co_i64_i32 v[8:9], null, s24, v26, 0
	s_ashr_i32 s25, s24, 31
	s_cmp_gt_i32 s21, 0
	v_mad_co_i64_i32 v[10:11], null, v13, s18, 0
	v_lshlrev_b64_e32 v[4:5], 3, v[4:5]
	s_cselect_b32 s34, -1, 0
	s_and_b32 s29, vcc_lo, s2
	s_and_b32 s30, vcc_lo, s3
	v_cmp_gt_i32_e32 vcc_lo, s20, v13
	v_cmp_le_i32_e64 s2, v6, v13
	v_lshlrev_b64_e32 v[8:9], 3, v[8:9]
	s_lshl_b64 s[12:13], s[12:13], 3
	s_lshl_b64 s[4:5], s[4:5], 3
	v_add_co_u32 v4, s3, v4, s12
	s_and_b32 s18, vcc_lo, s2
	v_cmp_le_i32_e64 s2, v0, v13
	v_lshlrev_b32_e32 v13, 3, v27
	v_cmp_gt_i32_e64 s1, s20, v12
	v_add_co_ci_u32_e64 v5, null, s13, v5, s3
	v_add_co_u32 v8, s3, v8, s4
	v_lshlrev_b32_e32 v12, 3, v12
	v_ashrrev_i32_e32 v7, 31, v6
	s_wait_alu 0xf1ff
	v_add_co_ci_u32_e64 v9, null, s5, v9, s3
	v_add_co_u32 v33, s3, v4, v13
	s_wait_alu 0xf1ff
	v_add_co_ci_u32_e64 v34, null, 0, v5, s3
	v_add_co_u32 v35, s3, v8, v12
	v_lshlrev_b64_e32 v[2:3], 3, v[2:3]
	v_lshlrev_b64_e32 v[4:5], 3, v[10:11]
	;; [unrolled: 1-line block ×3, first 2 shown]
	v_lshlrev_b32_e32 v30, 3, v1
	v_ashrrev_i32_e32 v1, 31, v0
	s_wait_alu 0xf1ff
	v_add_co_ci_u32_e64 v36, null, 0, v9, s3
	s_mov_b32 s23, 0
	s_and_b32 s20, s33, s34
	s_and_b32 s31, vcc_lo, s2
	s_wait_alu 0xfffe
	s_lshl_b64 s[2:3], s[24:25], 6
	s_lshl_b64 s[4:5], s[26:27], 3
	s_branch .LBB346_6
.LBB346_5:                              ;   in Loop: Header=BB346_6 Depth=1
	s_wait_alu 0xfffe
	s_or_b32 exec_lo, exec_lo, s12
	s_add_co_i32 s22, s22, 0x10000
	s_delay_alu instid0(SALU_CYCLE_1)
	s_cmp_lt_u32 s22, s19
	s_cbranch_scc0 .LBB346_33
.LBB346_6:                              ; =>This Loop Header: Depth=1
                                        ;     Child Loop BB346_9 Depth 2
	s_lshl_b64 s[12:13], s[22:23], 3
	v_mov_b32_e32 v20, 0
	s_wait_alu 0xfffe
	s_add_nc_u64 s[24:25], s[16:17], s[12:13]
	v_mov_b32_e32 v12, 0
	global_load_b64 v[10:11], v32, s[24:25]
	v_dual_mov_b32 v21, 0 :: v_dual_mov_b32 v14, 0
	v_dual_mov_b32 v13, 0 :: v_dual_mov_b32 v8, 0
	v_mov_b32_e32 v15, 0
	v_mov_b32_e32 v9, 0
	s_and_not1_b32 vcc_lo, exec_lo, s20
	s_wait_alu 0xfffe
	s_cbranch_vccnz .LBB346_13
; %bb.7:                                ;   in Loop: Header=BB346_6 Depth=1
	s_add_nc_u64 s[24:25], s[10:11], s[12:13]
	s_add_nc_u64 s[12:13], s[14:15], s[12:13]
	s_clause 0x1
	global_load_b64 v[16:17], v32, s[24:25]
	global_load_b64 v[18:19], v32, s[12:13]
	v_mov_b32_e32 v8, 0
	v_dual_mov_b32 v14, 0 :: v_dual_mov_b32 v9, 0
	v_dual_mov_b32 v12, 0 :: v_dual_mov_b32 v15, 0
	;; [unrolled: 1-line block ×3, first 2 shown]
	v_mov_b32_e32 v21, 0
	s_mov_b32 s12, 0
	s_wait_loadcnt 0x1
	v_add_co_u32 v16, vcc_lo, v16, v33
	s_wait_alu 0xfffd
	v_add_co_ci_u32_e64 v17, null, v17, v34, vcc_lo
	s_wait_loadcnt 0x0
	v_add_co_u32 v18, vcc_lo, v18, v35
	s_wait_alu 0xfffd
	v_add_co_ci_u32_e64 v19, null, v19, v36, vcc_lo
	s_branch .LBB346_9
.LBB346_8:                              ;   in Loop: Header=BB346_9 Depth=2
	s_wait_alu 0xfffe
	s_or_b32 exec_lo, exec_lo, s13
	s_wait_loadcnt_dscnt 0x0
	ds_store_b64 v29, v[24:25]
	s_wait_dscnt 0x0
	s_barrier_signal -1
	s_barrier_wait -1
	global_inv scope:SCOPE_SE
	ds_load_b128 v[22:25], v31
	ds_load_2addr_b64 v[37:40], v30 offset1:16
	ds_load_b128 v[41:44], v31 offset:1024
	ds_load_b128 v[45:48], v31 offset:16
	ds_load_b128 v[49:52], v31 offset:1040
	v_add_co_u32 v16, vcc_lo, v16, 64
	s_wait_alu 0xfffd
	v_add_co_ci_u32_e64 v17, null, 0, v17, vcc_lo
	v_add_co_u32 v18, vcc_lo, v18, s2
	s_wait_alu 0xfffd
	v_add_co_ci_u32_e64 v19, null, s3, v19, vcc_lo
	s_add_co_i32 s12, s12, 8
	s_wait_alu 0xfffe
	s_cmp_lt_i32 s12, s21
	s_wait_dscnt 0x3
	v_fma_f64 v[20:21], v[37:38], v[22:23], v[20:21]
	v_fma_f64 v[22:23], v[39:40], v[22:23], v[14:15]
	s_wait_dscnt 0x2
	v_fma_f64 v[37:38], v[37:38], v[41:42], v[12:13]
	v_fma_f64 v[8:9], v[39:40], v[41:42], v[8:9]
	ds_load_2addr_b64 v[12:15], v30 offset0:32 offset1:48
	s_wait_dscnt 0x0
	v_fma_f64 v[20:21], v[12:13], v[24:25], v[20:21]
	v_fma_f64 v[22:23], v[14:15], v[24:25], v[22:23]
	v_fma_f64 v[24:25], v[12:13], v[43:44], v[37:38]
	v_fma_f64 v[8:9], v[14:15], v[43:44], v[8:9]
	ds_load_2addr_b64 v[12:15], v30 offset0:64 offset1:80
	s_wait_dscnt 0x0
	v_fma_f64 v[20:21], v[12:13], v[45:46], v[20:21]
	v_fma_f64 v[22:23], v[14:15], v[45:46], v[22:23]
	;; [unrolled: 6-line block ×3, first 2 shown]
	v_fma_f64 v[24:25], v[12:13], v[51:52], v[24:25]
	v_fma_f64 v[8:9], v[14:15], v[51:52], v[8:9]
	ds_load_b128 v[12:15], v31 offset:32
	ds_load_2addr_b64 v[20:23], v30 offset0:128 offset1:144
	ds_load_b128 v[37:40], v31 offset:1056
	ds_load_b128 v[41:44], v31 offset:48
	;; [unrolled: 1-line block ×3, first 2 shown]
	s_wait_dscnt 0x3
	v_fma_f64 v[49:50], v[20:21], v[12:13], v[49:50]
	v_fma_f64 v[12:13], v[22:23], v[12:13], v[53:54]
	s_wait_dscnt 0x2
	v_fma_f64 v[24:25], v[20:21], v[37:38], v[24:25]
	v_fma_f64 v[8:9], v[22:23], v[37:38], v[8:9]
	ds_load_2addr_b64 v[20:23], v30 offset0:160 offset1:176
	s_wait_dscnt 0x0
	v_fma_f64 v[37:38], v[20:21], v[14:15], v[49:50]
	v_fma_f64 v[49:50], v[22:23], v[14:15], v[12:13]
	;; [unrolled: 1-line block ×4, first 2 shown]
	ds_load_2addr_b64 v[12:15], v30 offset0:192 offset1:208
	ds_load_2addr_b64 v[22:25], v30 offset0:224 offset1:240
	s_wait_loadcnt_dscnt 0x0
	s_barrier_signal -1
	s_barrier_wait -1
	global_inv scope:SCOPE_SE
	v_fma_f64 v[37:38], v[12:13], v[41:42], v[37:38]
	v_fma_f64 v[39:40], v[14:15], v[41:42], v[49:50]
	;; [unrolled: 1-line block ×4, first 2 shown]
	s_delay_alu instid0(VALU_DEP_4) | instskip(NEXT) | instid1(VALU_DEP_4)
	v_fma_f64 v[20:21], v[22:23], v[43:44], v[37:38]
	v_fma_f64 v[14:15], v[24:25], v[43:44], v[39:40]
	s_delay_alu instid0(VALU_DEP_4) | instskip(NEXT) | instid1(VALU_DEP_4)
	v_fma_f64 v[12:13], v[22:23], v[47:48], v[12:13]
	v_fma_f64 v[8:9], v[24:25], v[47:48], v[8:9]
	s_cbranch_scc0 .LBB346_13
.LBB346_9:                              ;   Parent Loop BB346_6 Depth=1
                                        ; =>  This Inner Loop Header: Depth=2
	s_wait_alu 0xfffe
	v_add_nc_u32_e32 v22, s12, v27
	s_delay_alu instid0(VALU_DEP_1)
	v_cmp_gt_i32_e32 vcc_lo, s21, v22
	v_mov_b32_e32 v22, 0
	v_mov_b32_e32 v23, 0
	s_and_b32 s24, s0, vcc_lo
	s_wait_alu 0xfffe
	s_and_saveexec_b32 s13, s24
	s_cbranch_execz .LBB346_11
; %bb.10:                               ;   in Loop: Header=BB346_9 Depth=2
	flat_load_b64 v[22:23], v[16:17]
.LBB346_11:                             ;   in Loop: Header=BB346_9 Depth=2
	s_wait_alu 0xfffe
	s_or_b32 exec_lo, exec_lo, s13
	v_add_nc_u32_e32 v24, s12, v26
	s_wait_loadcnt_dscnt 0x0
	ds_store_b64 v28, v[22:23]
	v_cmp_gt_i32_e32 vcc_lo, s21, v24
	v_mov_b32_e32 v24, 0
	v_mov_b32_e32 v25, 0
	s_and_b32 s24, vcc_lo, s1
	s_wait_alu 0xfffe
	s_and_saveexec_b32 s13, s24
	s_cbranch_execz .LBB346_8
; %bb.12:                               ;   in Loop: Header=BB346_9 Depth=2
	flat_load_b64 v[24:25], v[18:19]
	s_branch .LBB346_8
.LBB346_13:                             ;   in Loop: Header=BB346_6 Depth=1
	s_wait_loadcnt 0x0
	v_add_co_u32 v16, vcc_lo, v10, s4
	s_wait_alu 0xfffd
	v_add_co_ci_u32_e64 v17, null, s5, v11, vcc_lo
	s_delay_alu instid0(VALU_DEP_2) | instskip(SKIP_1) | instid1(VALU_DEP_2)
	v_add_co_u32 v18, vcc_lo, v16, v2
	s_wait_alu 0xfffd
	v_add_co_ci_u32_e64 v19, null, v17, v3, vcc_lo
	s_and_saveexec_b32 s12, s29
	s_cbranch_execz .LBB346_17
; %bb.14:                               ;   in Loop: Header=BB346_6 Depth=1
	v_mul_f64_e32 v[10:11], s[8:9], v[20:21]
	s_and_b32 vcc_lo, exec_lo, s28
	s_wait_alu 0xfffe
	s_cbranch_vccz .LBB346_28
; %bb.15:                               ;   in Loop: Header=BB346_6 Depth=1
	v_add_co_u32 v20, vcc_lo, v18, v6
	s_wait_alu 0xfffd
	v_add_co_ci_u32_e64 v21, null, v19, v7, vcc_lo
	flat_load_b64 v[22:23], v[20:21]
	s_wait_loadcnt_dscnt 0x0
	v_fma_f64 v[22:23], s[6:7], v[22:23], v[10:11]
	flat_store_b64 v[20:21], v[22:23]
	s_cbranch_execnz .LBB346_17
.LBB346_16:                             ;   in Loop: Header=BB346_6 Depth=1
	v_add_co_u32 v20, vcc_lo, v18, v6
	s_wait_alu 0xfffd
	v_add_co_ci_u32_e64 v21, null, v19, v7, vcc_lo
	flat_store_b64 v[20:21], v[10:11]
.LBB346_17:                             ;   in Loop: Header=BB346_6 Depth=1
	s_wait_alu 0xfffe
	s_or_b32 exec_lo, exec_lo, s12
	s_and_saveexec_b32 s12, s30
	s_cbranch_execz .LBB346_21
; %bb.18:                               ;   in Loop: Header=BB346_6 Depth=1
	v_mul_f64_e32 v[10:11], s[8:9], v[14:15]
	s_and_not1_b32 vcc_lo, exec_lo, s28
	s_wait_alu 0xfffe
	s_cbranch_vccnz .LBB346_29
; %bb.19:                               ;   in Loop: Header=BB346_6 Depth=1
	v_lshlrev_b64_e32 v[14:15], 3, v[0:1]
	s_delay_alu instid0(VALU_DEP_1) | instskip(SKIP_1) | instid1(VALU_DEP_2)
	v_add_co_u32 v14, vcc_lo, v18, v14
	s_wait_alu 0xfffd
	v_add_co_ci_u32_e64 v15, null, v19, v15, vcc_lo
	flat_load_b64 v[20:21], v[14:15]
	s_wait_loadcnt_dscnt 0x0
	v_fma_f64 v[20:21], s[6:7], v[20:21], v[10:11]
	flat_store_b64 v[14:15], v[20:21]
	s_cbranch_execnz .LBB346_21
.LBB346_20:                             ;   in Loop: Header=BB346_6 Depth=1
	v_lshlrev_b64_e32 v[14:15], 3, v[0:1]
	s_delay_alu instid0(VALU_DEP_1) | instskip(SKIP_1) | instid1(VALU_DEP_2)
	v_add_co_u32 v14, vcc_lo, v18, v14
	s_wait_alu 0xfffd
	v_add_co_ci_u32_e64 v15, null, v19, v15, vcc_lo
	flat_store_b64 v[14:15], v[10:11]
.LBB346_21:                             ;   in Loop: Header=BB346_6 Depth=1
	s_wait_alu 0xfffe
	s_or_b32 exec_lo, exec_lo, s12
	v_add_co_u32 v14, vcc_lo, v16, v4
	s_wait_alu 0xfffd
	v_add_co_ci_u32_e64 v15, null, v17, v5, vcc_lo
	s_and_saveexec_b32 s12, s18
	s_cbranch_execz .LBB346_25
; %bb.22:                               ;   in Loop: Header=BB346_6 Depth=1
	v_mul_f64_e32 v[10:11], s[8:9], v[12:13]
	s_and_not1_b32 vcc_lo, exec_lo, s28
	s_wait_alu 0xfffe
	s_cbranch_vccnz .LBB346_30
; %bb.23:                               ;   in Loop: Header=BB346_6 Depth=1
	v_add_co_u32 v12, vcc_lo, v14, v6
	s_wait_alu 0xfffd
	v_add_co_ci_u32_e64 v13, null, v15, v7, vcc_lo
	flat_load_b64 v[16:17], v[12:13]
	s_wait_loadcnt_dscnt 0x0
	v_fma_f64 v[16:17], s[6:7], v[16:17], v[10:11]
	flat_store_b64 v[12:13], v[16:17]
	s_cbranch_execnz .LBB346_25
.LBB346_24:                             ;   in Loop: Header=BB346_6 Depth=1
	v_add_co_u32 v12, vcc_lo, v14, v6
	s_wait_alu 0xfffd
	v_add_co_ci_u32_e64 v13, null, v15, v7, vcc_lo
	flat_store_b64 v[12:13], v[10:11]
.LBB346_25:                             ;   in Loop: Header=BB346_6 Depth=1
	s_wait_alu 0xfffe
	s_or_b32 exec_lo, exec_lo, s12
	s_and_saveexec_b32 s12, s31
	s_cbranch_execz .LBB346_5
; %bb.26:                               ;   in Loop: Header=BB346_6 Depth=1
	v_mul_f64_e32 v[8:9], s[8:9], v[8:9]
	v_lshlrev_b64_e32 v[10:11], 3, v[0:1]
	s_and_not1_b32 vcc_lo, exec_lo, s28
	s_wait_alu 0xfffe
	s_cbranch_vccnz .LBB346_31
; %bb.27:                               ;   in Loop: Header=BB346_6 Depth=1
	s_delay_alu instid0(VALU_DEP_1)
	v_add_co_u32 v12, vcc_lo, v14, v10
	s_wait_alu 0xfffd
	v_add_co_ci_u32_e64 v13, null, v15, v11, vcc_lo
	flat_load_b64 v[16:17], v[12:13]
	s_wait_loadcnt_dscnt 0x0
	v_fma_f64 v[16:17], s[6:7], v[16:17], v[8:9]
	flat_store_b64 v[12:13], v[16:17]
	s_cbranch_execnz .LBB346_5
	s_branch .LBB346_32
.LBB346_28:                             ;   in Loop: Header=BB346_6 Depth=1
	s_branch .LBB346_16
.LBB346_29:                             ;   in Loop: Header=BB346_6 Depth=1
	s_branch .LBB346_20
.LBB346_30:                             ;   in Loop: Header=BB346_6 Depth=1
	s_branch .LBB346_24
.LBB346_31:                             ;   in Loop: Header=BB346_6 Depth=1
.LBB346_32:                             ;   in Loop: Header=BB346_6 Depth=1
	s_delay_alu instid0(VALU_DEP_1)
	v_add_co_u32 v10, vcc_lo, v14, v10
	s_wait_alu 0xfffd
	v_add_co_ci_u32_e64 v11, null, v15, v11, vcc_lo
	flat_store_b64 v[10:11], v[8:9]
	s_branch .LBB346_5
.LBB346_33:
	s_endpgm
	.section	.rodata,"a",@progbits
	.p2align	6, 0x0
	.amdhsa_kernel _ZL29rocblas_internal_gemmt_kernelIiLi16ELi32ELi8ELc84ELc84ELc85ELb0ELb0EddPKPKdPKPdEviT_T9_T10_S7_lS9_S7_lS8_T11_S7_li
		.amdhsa_group_segment_fixed_size 4096
		.amdhsa_private_segment_fixed_size 0
		.amdhsa_kernarg_size 100
		.amdhsa_user_sgpr_count 2
		.amdhsa_user_sgpr_dispatch_ptr 0
		.amdhsa_user_sgpr_queue_ptr 0
		.amdhsa_user_sgpr_kernarg_segment_ptr 1
		.amdhsa_user_sgpr_dispatch_id 0
		.amdhsa_user_sgpr_private_segment_size 0
		.amdhsa_wavefront_size32 1
		.amdhsa_uses_dynamic_stack 0
		.amdhsa_enable_private_segment 0
		.amdhsa_system_sgpr_workgroup_id_x 1
		.amdhsa_system_sgpr_workgroup_id_y 1
		.amdhsa_system_sgpr_workgroup_id_z 1
		.amdhsa_system_sgpr_workgroup_info 0
		.amdhsa_system_vgpr_workitem_id 1
		.amdhsa_next_free_vgpr 55
		.amdhsa_next_free_sgpr 35
		.amdhsa_reserve_vcc 1
		.amdhsa_float_round_mode_32 0
		.amdhsa_float_round_mode_16_64 0
		.amdhsa_float_denorm_mode_32 3
		.amdhsa_float_denorm_mode_16_64 3
		.amdhsa_fp16_overflow 0
		.amdhsa_workgroup_processor_mode 1
		.amdhsa_memory_ordered 1
		.amdhsa_forward_progress 1
		.amdhsa_inst_pref_size 17
		.amdhsa_round_robin_scheduling 0
		.amdhsa_exception_fp_ieee_invalid_op 0
		.amdhsa_exception_fp_denorm_src 0
		.amdhsa_exception_fp_ieee_div_zero 0
		.amdhsa_exception_fp_ieee_overflow 0
		.amdhsa_exception_fp_ieee_underflow 0
		.amdhsa_exception_fp_ieee_inexact 0
		.amdhsa_exception_int_div_zero 0
	.end_amdhsa_kernel
	.section	.text._ZL29rocblas_internal_gemmt_kernelIiLi16ELi32ELi8ELc84ELc84ELc85ELb0ELb0EddPKPKdPKPdEviT_T9_T10_S7_lS9_S7_lS8_T11_S7_li,"axG",@progbits,_ZL29rocblas_internal_gemmt_kernelIiLi16ELi32ELi8ELc84ELc84ELc85ELb0ELb0EddPKPKdPKPdEviT_T9_T10_S7_lS9_S7_lS8_T11_S7_li,comdat
.Lfunc_end346:
	.size	_ZL29rocblas_internal_gemmt_kernelIiLi16ELi32ELi8ELc84ELc84ELc85ELb0ELb0EddPKPKdPKPdEviT_T9_T10_S7_lS9_S7_lS8_T11_S7_li, .Lfunc_end346-_ZL29rocblas_internal_gemmt_kernelIiLi16ELi32ELi8ELc84ELc84ELc85ELb0ELb0EddPKPKdPKPdEviT_T9_T10_S7_lS9_S7_lS8_T11_S7_li
                                        ; -- End function
	.set _ZL29rocblas_internal_gemmt_kernelIiLi16ELi32ELi8ELc84ELc84ELc85ELb0ELb0EddPKPKdPKPdEviT_T9_T10_S7_lS9_S7_lS8_T11_S7_li.num_vgpr, 55
	.set _ZL29rocblas_internal_gemmt_kernelIiLi16ELi32ELi8ELc84ELc84ELc85ELb0ELb0EddPKPKdPKPdEviT_T9_T10_S7_lS9_S7_lS8_T11_S7_li.num_agpr, 0
	.set _ZL29rocblas_internal_gemmt_kernelIiLi16ELi32ELi8ELc84ELc84ELc85ELb0ELb0EddPKPKdPKPdEviT_T9_T10_S7_lS9_S7_lS8_T11_S7_li.numbered_sgpr, 35
	.set _ZL29rocblas_internal_gemmt_kernelIiLi16ELi32ELi8ELc84ELc84ELc85ELb0ELb0EddPKPKdPKPdEviT_T9_T10_S7_lS9_S7_lS8_T11_S7_li.num_named_barrier, 0
	.set _ZL29rocblas_internal_gemmt_kernelIiLi16ELi32ELi8ELc84ELc84ELc85ELb0ELb0EddPKPKdPKPdEviT_T9_T10_S7_lS9_S7_lS8_T11_S7_li.private_seg_size, 0
	.set _ZL29rocblas_internal_gemmt_kernelIiLi16ELi32ELi8ELc84ELc84ELc85ELb0ELb0EddPKPKdPKPdEviT_T9_T10_S7_lS9_S7_lS8_T11_S7_li.uses_vcc, 1
	.set _ZL29rocblas_internal_gemmt_kernelIiLi16ELi32ELi8ELc84ELc84ELc85ELb0ELb0EddPKPKdPKPdEviT_T9_T10_S7_lS9_S7_lS8_T11_S7_li.uses_flat_scratch, 0
	.set _ZL29rocblas_internal_gemmt_kernelIiLi16ELi32ELi8ELc84ELc84ELc85ELb0ELb0EddPKPKdPKPdEviT_T9_T10_S7_lS9_S7_lS8_T11_S7_li.has_dyn_sized_stack, 0
	.set _ZL29rocblas_internal_gemmt_kernelIiLi16ELi32ELi8ELc84ELc84ELc85ELb0ELb0EddPKPKdPKPdEviT_T9_T10_S7_lS9_S7_lS8_T11_S7_li.has_recursion, 0
	.set _ZL29rocblas_internal_gemmt_kernelIiLi16ELi32ELi8ELc84ELc84ELc85ELb0ELb0EddPKPKdPKPdEviT_T9_T10_S7_lS9_S7_lS8_T11_S7_li.has_indirect_call, 0
	.section	.AMDGPU.csdata,"",@progbits
; Kernel info:
; codeLenInByte = 2060
; TotalNumSgprs: 37
; NumVgprs: 55
; ScratchSize: 0
; MemoryBound: 0
; FloatMode: 240
; IeeeMode: 1
; LDSByteSize: 4096 bytes/workgroup (compile time only)
; SGPRBlocks: 0
; VGPRBlocks: 6
; NumSGPRsForWavesPerEU: 37
; NumVGPRsForWavesPerEU: 55
; Occupancy: 16
; WaveLimiterHint : 1
; COMPUTE_PGM_RSRC2:SCRATCH_EN: 0
; COMPUTE_PGM_RSRC2:USER_SGPR: 2
; COMPUTE_PGM_RSRC2:TRAP_HANDLER: 0
; COMPUTE_PGM_RSRC2:TGID_X_EN: 1
; COMPUTE_PGM_RSRC2:TGID_Y_EN: 1
; COMPUTE_PGM_RSRC2:TGID_Z_EN: 1
; COMPUTE_PGM_RSRC2:TIDIG_COMP_CNT: 1
	.section	.text._ZL29rocblas_internal_gemmt_kernelIiLi16ELi32ELi8ELc84ELc67ELc85ELb0ELb0EddPKPKdPKPdEviT_T9_T10_S7_lS9_S7_lS8_T11_S7_li,"axG",@progbits,_ZL29rocblas_internal_gemmt_kernelIiLi16ELi32ELi8ELc84ELc67ELc85ELb0ELb0EddPKPKdPKPdEviT_T9_T10_S7_lS9_S7_lS8_T11_S7_li,comdat
	.globl	_ZL29rocblas_internal_gemmt_kernelIiLi16ELi32ELi8ELc84ELc67ELc85ELb0ELb0EddPKPKdPKPdEviT_T9_T10_S7_lS9_S7_lS8_T11_S7_li ; -- Begin function _ZL29rocblas_internal_gemmt_kernelIiLi16ELi32ELi8ELc84ELc67ELc85ELb0ELb0EddPKPKdPKPdEviT_T9_T10_S7_lS9_S7_lS8_T11_S7_li
	.p2align	8
	.type	_ZL29rocblas_internal_gemmt_kernelIiLi16ELi32ELi8ELc84ELc67ELc85ELb0ELb0EddPKPKdPKPdEviT_T9_T10_S7_lS9_S7_lS8_T11_S7_li,@function
_ZL29rocblas_internal_gemmt_kernelIiLi16ELi32ELi8ELc84ELc67ELc85ELb0ELb0EddPKPKdPKPdEviT_T9_T10_S7_lS9_S7_lS8_T11_S7_li: ; @_ZL29rocblas_internal_gemmt_kernelIiLi16ELi32ELi8ELc84ELc67ELc85ELb0ELb0EddPKPKdPKPdEviT_T9_T10_S7_lS9_S7_lS8_T11_S7_li
; %bb.0:
	s_clause 0x2
	s_load_b128 s[4:7], s[0:1], 0x38
	s_load_b64 s[20:21], s[0:1], 0x0
	s_load_b128 s[8:11], s[0:1], 0x8
	s_wait_kmcnt 0x0
	v_cmp_neq_f64_e64 s2, s[6:7], 1.0
	s_and_b32 vcc_lo, exec_lo, s2
	s_cbranch_vccnz .LBB347_2
; %bb.1:
	v_cmp_neq_f64_e64 s2, s[8:9], 0
	s_cmp_lg_u32 s21, 0
	s_cselect_b32 s3, -1, 0
	s_delay_alu instid0(SALU_CYCLE_1)
	s_and_b32 s2, s3, s2
.LBB347_2:
	s_delay_alu instid0(SALU_CYCLE_1)
	s_and_not1_b32 vcc_lo, exec_lo, s2
	s_cbranch_vccnz .LBB347_33
; %bb.3:
	s_load_b32 s19, s[0:1], 0x60
	s_lshr_b32 s22, ttmp7, 16
	s_wait_kmcnt 0x0
	s_cmp_ge_u32 s22, s19
	s_cbranch_scc1 .LBB347_33
; %bb.4:
	v_dual_mov_b32 v32, 0 :: v_dual_and_b32 v1, 0x3ff, v0
	v_bfe_u32 v2, v0, 10, 10
	v_and_b32_e32 v26, 7, v0
	s_clause 0x4
	s_load_b32 s31, s[0:1], 0x18
	s_load_b128 s[12:15], s[0:1], 0x20
	s_load_b96 s[16:18], s[0:1], 0x48
	s_load_b64 s[26:27], s[0:1], 0x58
	s_load_b32 s24, s[0:1], 0x30
	v_lshl_add_u32 v0, v2, 4, v1
	v_lshlrev_b32_e32 v4, 3, v26
	s_lshl_b32 s0, ttmp7, 5
	s_lshl_b32 s1, ttmp9, 5
	v_cmp_neq_f64_e64 s33, s[8:9], 0
	v_and_b32_e32 v3, 31, v0
	v_lshrrev_b32_e32 v27, 5, v0
	v_lshrrev_b32_e32 v0, 3, v0
	s_and_b32 s2, s0, 0x1fffe0
	v_add_nc_u32_e32 v6, s1, v1
	v_cmp_neq_f64_e64 s28, s[6:7], 0
	v_or_b32_e32 v5, s1, v3
	v_add_nc_u32_e32 v12, s2, v0
	v_lshl_or_b32 v0, v0, 6, v4
	v_lshlrev_b32_e32 v3, 3, v3
	v_add_nc_u32_e32 v4, s2, v2
	v_cmp_gt_i32_e64 s0, s20, v5
	v_lshl_add_u32 v31, v2, 6, 0x800
	v_add_nc_u32_e32 v29, 0x800, v0
	v_add_nc_u32_e32 v0, 16, v6
	v_lshl_or_b32 v28, v27, 8, v3
	v_cmp_gt_i32_e32 vcc_lo, s20, v4
	v_cmp_le_i32_e64 s2, v6, v4
	s_wait_kmcnt 0x0
	v_mad_co_i64_i32 v[2:3], null, v4, s18, 0
	v_cmp_le_i32_e64 s3, v0, v4
	v_add_nc_u32_e32 v13, 16, v4
	v_mad_co_i64_i32 v[4:5], null, s31, v5, 0
	v_mad_co_i64_i32 v[8:9], null, s24, v26, 0
	s_ashr_i32 s25, s24, 31
	s_cmp_gt_i32 s21, 0
	v_mad_co_i64_i32 v[10:11], null, v13, s18, 0
	v_lshlrev_b64_e32 v[4:5], 3, v[4:5]
	s_cselect_b32 s34, -1, 0
	s_and_b32 s29, vcc_lo, s2
	s_and_b32 s30, vcc_lo, s3
	v_cmp_gt_i32_e32 vcc_lo, s20, v13
	v_cmp_le_i32_e64 s2, v6, v13
	v_lshlrev_b64_e32 v[8:9], 3, v[8:9]
	s_lshl_b64 s[12:13], s[12:13], 3
	s_lshl_b64 s[4:5], s[4:5], 3
	v_add_co_u32 v4, s3, v4, s12
	s_and_b32 s18, vcc_lo, s2
	v_cmp_le_i32_e64 s2, v0, v13
	v_lshlrev_b32_e32 v13, 3, v27
	v_cmp_gt_i32_e64 s1, s20, v12
	v_add_co_ci_u32_e64 v5, null, s13, v5, s3
	v_add_co_u32 v8, s3, v8, s4
	v_lshlrev_b32_e32 v12, 3, v12
	v_ashrrev_i32_e32 v7, 31, v6
	s_wait_alu 0xf1ff
	v_add_co_ci_u32_e64 v9, null, s5, v9, s3
	v_add_co_u32 v33, s3, v4, v13
	s_wait_alu 0xf1ff
	v_add_co_ci_u32_e64 v34, null, 0, v5, s3
	v_add_co_u32 v35, s3, v8, v12
	v_lshlrev_b64_e32 v[2:3], 3, v[2:3]
	v_lshlrev_b64_e32 v[4:5], 3, v[10:11]
	;; [unrolled: 1-line block ×3, first 2 shown]
	v_lshlrev_b32_e32 v30, 3, v1
	v_ashrrev_i32_e32 v1, 31, v0
	s_wait_alu 0xf1ff
	v_add_co_ci_u32_e64 v36, null, 0, v9, s3
	s_mov_b32 s23, 0
	s_and_b32 s20, s33, s34
	s_and_b32 s31, vcc_lo, s2
	s_wait_alu 0xfffe
	s_lshl_b64 s[2:3], s[24:25], 6
	s_lshl_b64 s[4:5], s[26:27], 3
	s_branch .LBB347_6
.LBB347_5:                              ;   in Loop: Header=BB347_6 Depth=1
	s_wait_alu 0xfffe
	s_or_b32 exec_lo, exec_lo, s12
	s_add_co_i32 s22, s22, 0x10000
	s_delay_alu instid0(SALU_CYCLE_1)
	s_cmp_lt_u32 s22, s19
	s_cbranch_scc0 .LBB347_33
.LBB347_6:                              ; =>This Loop Header: Depth=1
                                        ;     Child Loop BB347_9 Depth 2
	s_lshl_b64 s[12:13], s[22:23], 3
	v_mov_b32_e32 v20, 0
	s_wait_alu 0xfffe
	s_add_nc_u64 s[24:25], s[16:17], s[12:13]
	v_mov_b32_e32 v12, 0
	global_load_b64 v[10:11], v32, s[24:25]
	v_dual_mov_b32 v21, 0 :: v_dual_mov_b32 v14, 0
	v_dual_mov_b32 v13, 0 :: v_dual_mov_b32 v8, 0
	v_mov_b32_e32 v15, 0
	v_mov_b32_e32 v9, 0
	s_and_not1_b32 vcc_lo, exec_lo, s20
	s_wait_alu 0xfffe
	s_cbranch_vccnz .LBB347_13
; %bb.7:                                ;   in Loop: Header=BB347_6 Depth=1
	s_add_nc_u64 s[24:25], s[10:11], s[12:13]
	s_add_nc_u64 s[12:13], s[14:15], s[12:13]
	s_clause 0x1
	global_load_b64 v[16:17], v32, s[24:25]
	global_load_b64 v[18:19], v32, s[12:13]
	v_mov_b32_e32 v8, 0
	v_dual_mov_b32 v14, 0 :: v_dual_mov_b32 v9, 0
	v_dual_mov_b32 v12, 0 :: v_dual_mov_b32 v15, 0
	;; [unrolled: 1-line block ×3, first 2 shown]
	v_mov_b32_e32 v21, 0
	s_mov_b32 s12, 0
	s_wait_loadcnt 0x1
	v_add_co_u32 v16, vcc_lo, v16, v33
	s_wait_alu 0xfffd
	v_add_co_ci_u32_e64 v17, null, v17, v34, vcc_lo
	s_wait_loadcnt 0x0
	v_add_co_u32 v18, vcc_lo, v18, v35
	s_wait_alu 0xfffd
	v_add_co_ci_u32_e64 v19, null, v19, v36, vcc_lo
	s_branch .LBB347_9
.LBB347_8:                              ;   in Loop: Header=BB347_9 Depth=2
	s_wait_alu 0xfffe
	s_or_b32 exec_lo, exec_lo, s13
	s_wait_loadcnt_dscnt 0x0
	ds_store_b64 v29, v[24:25]
	s_wait_dscnt 0x0
	s_barrier_signal -1
	s_barrier_wait -1
	global_inv scope:SCOPE_SE
	ds_load_b128 v[22:25], v31
	ds_load_2addr_b64 v[37:40], v30 offset1:16
	ds_load_b128 v[41:44], v31 offset:1024
	ds_load_b128 v[45:48], v31 offset:16
	;; [unrolled: 1-line block ×3, first 2 shown]
	v_add_co_u32 v16, vcc_lo, v16, 64
	s_wait_alu 0xfffd
	v_add_co_ci_u32_e64 v17, null, 0, v17, vcc_lo
	v_add_co_u32 v18, vcc_lo, v18, s2
	s_wait_alu 0xfffd
	v_add_co_ci_u32_e64 v19, null, s3, v19, vcc_lo
	s_add_co_i32 s12, s12, 8
	s_wait_alu 0xfffe
	s_cmp_lt_i32 s12, s21
	s_wait_dscnt 0x3
	v_fma_f64 v[20:21], v[37:38], v[22:23], v[20:21]
	v_fma_f64 v[22:23], v[39:40], v[22:23], v[14:15]
	s_wait_dscnt 0x2
	v_fma_f64 v[37:38], v[37:38], v[41:42], v[12:13]
	v_fma_f64 v[8:9], v[39:40], v[41:42], v[8:9]
	ds_load_2addr_b64 v[12:15], v30 offset0:32 offset1:48
	s_wait_dscnt 0x0
	v_fma_f64 v[20:21], v[12:13], v[24:25], v[20:21]
	v_fma_f64 v[22:23], v[14:15], v[24:25], v[22:23]
	v_fma_f64 v[24:25], v[12:13], v[43:44], v[37:38]
	v_fma_f64 v[8:9], v[14:15], v[43:44], v[8:9]
	ds_load_2addr_b64 v[12:15], v30 offset0:64 offset1:80
	s_wait_dscnt 0x0
	v_fma_f64 v[20:21], v[12:13], v[45:46], v[20:21]
	v_fma_f64 v[22:23], v[14:15], v[45:46], v[22:23]
	;; [unrolled: 6-line block ×3, first 2 shown]
	v_fma_f64 v[24:25], v[12:13], v[51:52], v[24:25]
	v_fma_f64 v[8:9], v[14:15], v[51:52], v[8:9]
	ds_load_b128 v[12:15], v31 offset:32
	ds_load_2addr_b64 v[20:23], v30 offset0:128 offset1:144
	ds_load_b128 v[37:40], v31 offset:1056
	ds_load_b128 v[41:44], v31 offset:48
	ds_load_b128 v[45:48], v31 offset:1072
	s_wait_dscnt 0x3
	v_fma_f64 v[49:50], v[20:21], v[12:13], v[49:50]
	v_fma_f64 v[12:13], v[22:23], v[12:13], v[53:54]
	s_wait_dscnt 0x2
	v_fma_f64 v[24:25], v[20:21], v[37:38], v[24:25]
	v_fma_f64 v[8:9], v[22:23], v[37:38], v[8:9]
	ds_load_2addr_b64 v[20:23], v30 offset0:160 offset1:176
	s_wait_dscnt 0x0
	v_fma_f64 v[37:38], v[20:21], v[14:15], v[49:50]
	v_fma_f64 v[49:50], v[22:23], v[14:15], v[12:13]
	;; [unrolled: 1-line block ×4, first 2 shown]
	ds_load_2addr_b64 v[12:15], v30 offset0:192 offset1:208
	ds_load_2addr_b64 v[22:25], v30 offset0:224 offset1:240
	s_wait_loadcnt_dscnt 0x0
	s_barrier_signal -1
	s_barrier_wait -1
	global_inv scope:SCOPE_SE
	v_fma_f64 v[37:38], v[12:13], v[41:42], v[37:38]
	v_fma_f64 v[39:40], v[14:15], v[41:42], v[49:50]
	;; [unrolled: 1-line block ×4, first 2 shown]
	s_delay_alu instid0(VALU_DEP_4) | instskip(NEXT) | instid1(VALU_DEP_4)
	v_fma_f64 v[20:21], v[22:23], v[43:44], v[37:38]
	v_fma_f64 v[14:15], v[24:25], v[43:44], v[39:40]
	s_delay_alu instid0(VALU_DEP_4) | instskip(NEXT) | instid1(VALU_DEP_4)
	v_fma_f64 v[12:13], v[22:23], v[47:48], v[12:13]
	v_fma_f64 v[8:9], v[24:25], v[47:48], v[8:9]
	s_cbranch_scc0 .LBB347_13
.LBB347_9:                              ;   Parent Loop BB347_6 Depth=1
                                        ; =>  This Inner Loop Header: Depth=2
	s_wait_alu 0xfffe
	v_add_nc_u32_e32 v22, s12, v27
	s_delay_alu instid0(VALU_DEP_1)
	v_cmp_gt_i32_e32 vcc_lo, s21, v22
	v_mov_b32_e32 v22, 0
	v_mov_b32_e32 v23, 0
	s_and_b32 s24, s0, vcc_lo
	s_wait_alu 0xfffe
	s_and_saveexec_b32 s13, s24
	s_cbranch_execz .LBB347_11
; %bb.10:                               ;   in Loop: Header=BB347_9 Depth=2
	flat_load_b64 v[22:23], v[16:17]
.LBB347_11:                             ;   in Loop: Header=BB347_9 Depth=2
	s_wait_alu 0xfffe
	s_or_b32 exec_lo, exec_lo, s13
	v_add_nc_u32_e32 v24, s12, v26
	s_wait_loadcnt_dscnt 0x0
	ds_store_b64 v28, v[22:23]
	v_cmp_gt_i32_e32 vcc_lo, s21, v24
	v_mov_b32_e32 v24, 0
	v_mov_b32_e32 v25, 0
	s_and_b32 s24, vcc_lo, s1
	s_wait_alu 0xfffe
	s_and_saveexec_b32 s13, s24
	s_cbranch_execz .LBB347_8
; %bb.12:                               ;   in Loop: Header=BB347_9 Depth=2
	flat_load_b64 v[24:25], v[18:19]
	s_branch .LBB347_8
.LBB347_13:                             ;   in Loop: Header=BB347_6 Depth=1
	s_wait_loadcnt 0x0
	v_add_co_u32 v16, vcc_lo, v10, s4
	s_wait_alu 0xfffd
	v_add_co_ci_u32_e64 v17, null, s5, v11, vcc_lo
	s_delay_alu instid0(VALU_DEP_2) | instskip(SKIP_1) | instid1(VALU_DEP_2)
	v_add_co_u32 v18, vcc_lo, v16, v2
	s_wait_alu 0xfffd
	v_add_co_ci_u32_e64 v19, null, v17, v3, vcc_lo
	s_and_saveexec_b32 s12, s29
	s_cbranch_execz .LBB347_17
; %bb.14:                               ;   in Loop: Header=BB347_6 Depth=1
	v_mul_f64_e32 v[10:11], s[8:9], v[20:21]
	s_and_b32 vcc_lo, exec_lo, s28
	s_wait_alu 0xfffe
	s_cbranch_vccz .LBB347_28
; %bb.15:                               ;   in Loop: Header=BB347_6 Depth=1
	v_add_co_u32 v20, vcc_lo, v18, v6
	s_wait_alu 0xfffd
	v_add_co_ci_u32_e64 v21, null, v19, v7, vcc_lo
	flat_load_b64 v[22:23], v[20:21]
	s_wait_loadcnt_dscnt 0x0
	v_fma_f64 v[22:23], s[6:7], v[22:23], v[10:11]
	flat_store_b64 v[20:21], v[22:23]
	s_cbranch_execnz .LBB347_17
.LBB347_16:                             ;   in Loop: Header=BB347_6 Depth=1
	v_add_co_u32 v20, vcc_lo, v18, v6
	s_wait_alu 0xfffd
	v_add_co_ci_u32_e64 v21, null, v19, v7, vcc_lo
	flat_store_b64 v[20:21], v[10:11]
.LBB347_17:                             ;   in Loop: Header=BB347_6 Depth=1
	s_wait_alu 0xfffe
	s_or_b32 exec_lo, exec_lo, s12
	s_and_saveexec_b32 s12, s30
	s_cbranch_execz .LBB347_21
; %bb.18:                               ;   in Loop: Header=BB347_6 Depth=1
	v_mul_f64_e32 v[10:11], s[8:9], v[14:15]
	s_and_not1_b32 vcc_lo, exec_lo, s28
	s_wait_alu 0xfffe
	s_cbranch_vccnz .LBB347_29
; %bb.19:                               ;   in Loop: Header=BB347_6 Depth=1
	v_lshlrev_b64_e32 v[14:15], 3, v[0:1]
	s_delay_alu instid0(VALU_DEP_1) | instskip(SKIP_1) | instid1(VALU_DEP_2)
	v_add_co_u32 v14, vcc_lo, v18, v14
	s_wait_alu 0xfffd
	v_add_co_ci_u32_e64 v15, null, v19, v15, vcc_lo
	flat_load_b64 v[20:21], v[14:15]
	s_wait_loadcnt_dscnt 0x0
	v_fma_f64 v[20:21], s[6:7], v[20:21], v[10:11]
	flat_store_b64 v[14:15], v[20:21]
	s_cbranch_execnz .LBB347_21
.LBB347_20:                             ;   in Loop: Header=BB347_6 Depth=1
	v_lshlrev_b64_e32 v[14:15], 3, v[0:1]
	s_delay_alu instid0(VALU_DEP_1) | instskip(SKIP_1) | instid1(VALU_DEP_2)
	v_add_co_u32 v14, vcc_lo, v18, v14
	s_wait_alu 0xfffd
	v_add_co_ci_u32_e64 v15, null, v19, v15, vcc_lo
	flat_store_b64 v[14:15], v[10:11]
.LBB347_21:                             ;   in Loop: Header=BB347_6 Depth=1
	s_wait_alu 0xfffe
	s_or_b32 exec_lo, exec_lo, s12
	v_add_co_u32 v14, vcc_lo, v16, v4
	s_wait_alu 0xfffd
	v_add_co_ci_u32_e64 v15, null, v17, v5, vcc_lo
	s_and_saveexec_b32 s12, s18
	s_cbranch_execz .LBB347_25
; %bb.22:                               ;   in Loop: Header=BB347_6 Depth=1
	v_mul_f64_e32 v[10:11], s[8:9], v[12:13]
	s_and_not1_b32 vcc_lo, exec_lo, s28
	s_wait_alu 0xfffe
	s_cbranch_vccnz .LBB347_30
; %bb.23:                               ;   in Loop: Header=BB347_6 Depth=1
	v_add_co_u32 v12, vcc_lo, v14, v6
	s_wait_alu 0xfffd
	v_add_co_ci_u32_e64 v13, null, v15, v7, vcc_lo
	flat_load_b64 v[16:17], v[12:13]
	s_wait_loadcnt_dscnt 0x0
	v_fma_f64 v[16:17], s[6:7], v[16:17], v[10:11]
	flat_store_b64 v[12:13], v[16:17]
	s_cbranch_execnz .LBB347_25
.LBB347_24:                             ;   in Loop: Header=BB347_6 Depth=1
	v_add_co_u32 v12, vcc_lo, v14, v6
	s_wait_alu 0xfffd
	v_add_co_ci_u32_e64 v13, null, v15, v7, vcc_lo
	flat_store_b64 v[12:13], v[10:11]
.LBB347_25:                             ;   in Loop: Header=BB347_6 Depth=1
	s_wait_alu 0xfffe
	s_or_b32 exec_lo, exec_lo, s12
	s_and_saveexec_b32 s12, s31
	s_cbranch_execz .LBB347_5
; %bb.26:                               ;   in Loop: Header=BB347_6 Depth=1
	v_mul_f64_e32 v[8:9], s[8:9], v[8:9]
	v_lshlrev_b64_e32 v[10:11], 3, v[0:1]
	s_and_not1_b32 vcc_lo, exec_lo, s28
	s_wait_alu 0xfffe
	s_cbranch_vccnz .LBB347_31
; %bb.27:                               ;   in Loop: Header=BB347_6 Depth=1
	s_delay_alu instid0(VALU_DEP_1)
	v_add_co_u32 v12, vcc_lo, v14, v10
	s_wait_alu 0xfffd
	v_add_co_ci_u32_e64 v13, null, v15, v11, vcc_lo
	flat_load_b64 v[16:17], v[12:13]
	s_wait_loadcnt_dscnt 0x0
	v_fma_f64 v[16:17], s[6:7], v[16:17], v[8:9]
	flat_store_b64 v[12:13], v[16:17]
	s_cbranch_execnz .LBB347_5
	s_branch .LBB347_32
.LBB347_28:                             ;   in Loop: Header=BB347_6 Depth=1
	s_branch .LBB347_16
.LBB347_29:                             ;   in Loop: Header=BB347_6 Depth=1
	s_branch .LBB347_20
.LBB347_30:                             ;   in Loop: Header=BB347_6 Depth=1
	s_branch .LBB347_24
.LBB347_31:                             ;   in Loop: Header=BB347_6 Depth=1
.LBB347_32:                             ;   in Loop: Header=BB347_6 Depth=1
	s_delay_alu instid0(VALU_DEP_1)
	v_add_co_u32 v10, vcc_lo, v14, v10
	s_wait_alu 0xfffd
	v_add_co_ci_u32_e64 v11, null, v15, v11, vcc_lo
	flat_store_b64 v[10:11], v[8:9]
	s_branch .LBB347_5
.LBB347_33:
	s_endpgm
	.section	.rodata,"a",@progbits
	.p2align	6, 0x0
	.amdhsa_kernel _ZL29rocblas_internal_gemmt_kernelIiLi16ELi32ELi8ELc84ELc67ELc85ELb0ELb0EddPKPKdPKPdEviT_T9_T10_S7_lS9_S7_lS8_T11_S7_li
		.amdhsa_group_segment_fixed_size 4096
		.amdhsa_private_segment_fixed_size 0
		.amdhsa_kernarg_size 100
		.amdhsa_user_sgpr_count 2
		.amdhsa_user_sgpr_dispatch_ptr 0
		.amdhsa_user_sgpr_queue_ptr 0
		.amdhsa_user_sgpr_kernarg_segment_ptr 1
		.amdhsa_user_sgpr_dispatch_id 0
		.amdhsa_user_sgpr_private_segment_size 0
		.amdhsa_wavefront_size32 1
		.amdhsa_uses_dynamic_stack 0
		.amdhsa_enable_private_segment 0
		.amdhsa_system_sgpr_workgroup_id_x 1
		.amdhsa_system_sgpr_workgroup_id_y 1
		.amdhsa_system_sgpr_workgroup_id_z 1
		.amdhsa_system_sgpr_workgroup_info 0
		.amdhsa_system_vgpr_workitem_id 1
		.amdhsa_next_free_vgpr 55
		.amdhsa_next_free_sgpr 35
		.amdhsa_reserve_vcc 1
		.amdhsa_float_round_mode_32 0
		.amdhsa_float_round_mode_16_64 0
		.amdhsa_float_denorm_mode_32 3
		.amdhsa_float_denorm_mode_16_64 3
		.amdhsa_fp16_overflow 0
		.amdhsa_workgroup_processor_mode 1
		.amdhsa_memory_ordered 1
		.amdhsa_forward_progress 1
		.amdhsa_inst_pref_size 17
		.amdhsa_round_robin_scheduling 0
		.amdhsa_exception_fp_ieee_invalid_op 0
		.amdhsa_exception_fp_denorm_src 0
		.amdhsa_exception_fp_ieee_div_zero 0
		.amdhsa_exception_fp_ieee_overflow 0
		.amdhsa_exception_fp_ieee_underflow 0
		.amdhsa_exception_fp_ieee_inexact 0
		.amdhsa_exception_int_div_zero 0
	.end_amdhsa_kernel
	.section	.text._ZL29rocblas_internal_gemmt_kernelIiLi16ELi32ELi8ELc84ELc67ELc85ELb0ELb0EddPKPKdPKPdEviT_T9_T10_S7_lS9_S7_lS8_T11_S7_li,"axG",@progbits,_ZL29rocblas_internal_gemmt_kernelIiLi16ELi32ELi8ELc84ELc67ELc85ELb0ELb0EddPKPKdPKPdEviT_T9_T10_S7_lS9_S7_lS8_T11_S7_li,comdat
.Lfunc_end347:
	.size	_ZL29rocblas_internal_gemmt_kernelIiLi16ELi32ELi8ELc84ELc67ELc85ELb0ELb0EddPKPKdPKPdEviT_T9_T10_S7_lS9_S7_lS8_T11_S7_li, .Lfunc_end347-_ZL29rocblas_internal_gemmt_kernelIiLi16ELi32ELi8ELc84ELc67ELc85ELb0ELb0EddPKPKdPKPdEviT_T9_T10_S7_lS9_S7_lS8_T11_S7_li
                                        ; -- End function
	.set _ZL29rocblas_internal_gemmt_kernelIiLi16ELi32ELi8ELc84ELc67ELc85ELb0ELb0EddPKPKdPKPdEviT_T9_T10_S7_lS9_S7_lS8_T11_S7_li.num_vgpr, 55
	.set _ZL29rocblas_internal_gemmt_kernelIiLi16ELi32ELi8ELc84ELc67ELc85ELb0ELb0EddPKPKdPKPdEviT_T9_T10_S7_lS9_S7_lS8_T11_S7_li.num_agpr, 0
	.set _ZL29rocblas_internal_gemmt_kernelIiLi16ELi32ELi8ELc84ELc67ELc85ELb0ELb0EddPKPKdPKPdEviT_T9_T10_S7_lS9_S7_lS8_T11_S7_li.numbered_sgpr, 35
	.set _ZL29rocblas_internal_gemmt_kernelIiLi16ELi32ELi8ELc84ELc67ELc85ELb0ELb0EddPKPKdPKPdEviT_T9_T10_S7_lS9_S7_lS8_T11_S7_li.num_named_barrier, 0
	.set _ZL29rocblas_internal_gemmt_kernelIiLi16ELi32ELi8ELc84ELc67ELc85ELb0ELb0EddPKPKdPKPdEviT_T9_T10_S7_lS9_S7_lS8_T11_S7_li.private_seg_size, 0
	.set _ZL29rocblas_internal_gemmt_kernelIiLi16ELi32ELi8ELc84ELc67ELc85ELb0ELb0EddPKPKdPKPdEviT_T9_T10_S7_lS9_S7_lS8_T11_S7_li.uses_vcc, 1
	.set _ZL29rocblas_internal_gemmt_kernelIiLi16ELi32ELi8ELc84ELc67ELc85ELb0ELb0EddPKPKdPKPdEviT_T9_T10_S7_lS9_S7_lS8_T11_S7_li.uses_flat_scratch, 0
	.set _ZL29rocblas_internal_gemmt_kernelIiLi16ELi32ELi8ELc84ELc67ELc85ELb0ELb0EddPKPKdPKPdEviT_T9_T10_S7_lS9_S7_lS8_T11_S7_li.has_dyn_sized_stack, 0
	.set _ZL29rocblas_internal_gemmt_kernelIiLi16ELi32ELi8ELc84ELc67ELc85ELb0ELb0EddPKPKdPKPdEviT_T9_T10_S7_lS9_S7_lS8_T11_S7_li.has_recursion, 0
	.set _ZL29rocblas_internal_gemmt_kernelIiLi16ELi32ELi8ELc84ELc67ELc85ELb0ELb0EddPKPKdPKPdEviT_T9_T10_S7_lS9_S7_lS8_T11_S7_li.has_indirect_call, 0
	.section	.AMDGPU.csdata,"",@progbits
; Kernel info:
; codeLenInByte = 2060
; TotalNumSgprs: 37
; NumVgprs: 55
; ScratchSize: 0
; MemoryBound: 0
; FloatMode: 240
; IeeeMode: 1
; LDSByteSize: 4096 bytes/workgroup (compile time only)
; SGPRBlocks: 0
; VGPRBlocks: 6
; NumSGPRsForWavesPerEU: 37
; NumVGPRsForWavesPerEU: 55
; Occupancy: 16
; WaveLimiterHint : 1
; COMPUTE_PGM_RSRC2:SCRATCH_EN: 0
; COMPUTE_PGM_RSRC2:USER_SGPR: 2
; COMPUTE_PGM_RSRC2:TRAP_HANDLER: 0
; COMPUTE_PGM_RSRC2:TGID_X_EN: 1
; COMPUTE_PGM_RSRC2:TGID_Y_EN: 1
; COMPUTE_PGM_RSRC2:TGID_Z_EN: 1
; COMPUTE_PGM_RSRC2:TIDIG_COMP_CNT: 1
	.section	.text._ZL29rocblas_internal_gemmt_kernelIiLi16ELi32ELi8ELc67ELc78ELc85ELb0ELb0EddPKPKdPKPdEviT_T9_T10_S7_lS9_S7_lS8_T11_S7_li,"axG",@progbits,_ZL29rocblas_internal_gemmt_kernelIiLi16ELi32ELi8ELc67ELc78ELc85ELb0ELb0EddPKPKdPKPdEviT_T9_T10_S7_lS9_S7_lS8_T11_S7_li,comdat
	.globl	_ZL29rocblas_internal_gemmt_kernelIiLi16ELi32ELi8ELc67ELc78ELc85ELb0ELb0EddPKPKdPKPdEviT_T9_T10_S7_lS9_S7_lS8_T11_S7_li ; -- Begin function _ZL29rocblas_internal_gemmt_kernelIiLi16ELi32ELi8ELc67ELc78ELc85ELb0ELb0EddPKPKdPKPdEviT_T9_T10_S7_lS9_S7_lS8_T11_S7_li
	.p2align	8
	.type	_ZL29rocblas_internal_gemmt_kernelIiLi16ELi32ELi8ELc67ELc78ELc85ELb0ELb0EddPKPKdPKPdEviT_T9_T10_S7_lS9_S7_lS8_T11_S7_li,@function
_ZL29rocblas_internal_gemmt_kernelIiLi16ELi32ELi8ELc67ELc78ELc85ELb0ELb0EddPKPKdPKPdEviT_T9_T10_S7_lS9_S7_lS8_T11_S7_li: ; @_ZL29rocblas_internal_gemmt_kernelIiLi16ELi32ELi8ELc67ELc78ELc85ELb0ELb0EddPKPKdPKPdEviT_T9_T10_S7_lS9_S7_lS8_T11_S7_li
; %bb.0:
	s_clause 0x2
	s_load_b128 s[8:11], s[0:1], 0x38
	s_load_b64 s[20:21], s[0:1], 0x0
	s_load_b128 s[12:15], s[0:1], 0x8
	s_wait_kmcnt 0x0
	v_cmp_neq_f64_e64 s2, s[10:11], 1.0
	s_and_b32 vcc_lo, exec_lo, s2
	s_cbranch_vccnz .LBB348_2
; %bb.1:
	v_cmp_neq_f64_e64 s2, s[12:13], 0
	s_cmp_lg_u32 s21, 0
	s_cselect_b32 s3, -1, 0
	s_delay_alu instid0(SALU_CYCLE_1)
	s_and_b32 s2, s3, s2
.LBB348_2:
	s_delay_alu instid0(SALU_CYCLE_1)
	s_and_not1_b32 vcc_lo, exec_lo, s2
	s_cbranch_vccnz .LBB348_33
; %bb.3:
	s_load_b32 s19, s[0:1], 0x60
	s_lshr_b32 s22, ttmp7, 16
	s_wait_kmcnt 0x0
	s_cmp_ge_u32 s22, s19
	s_cbranch_scc1 .LBB348_33
; %bb.4:
	v_dual_mov_b32 v32, 0 :: v_dual_and_b32 v1, 0x3ff, v0
	v_bfe_u32 v2, v0, 10, 10
	v_and_b32_e32 v26, 7, v0
	s_clause 0x4
	s_load_b32 s3, s[0:1], 0x18
	s_load_b128 s[4:7], s[0:1], 0x20
	s_load_b32 s29, s[0:1], 0x30
	s_load_b96 s[16:18], s[0:1], 0x48
	s_load_b64 s[24:25], s[0:1], 0x58
	s_lshl_b32 s0, ttmp7, 5
	s_lshl_b32 s2, ttmp9, 5
	v_lshl_add_u32 v0, v2, 4, v1
	v_lshlrev_b32_e32 v12, 3, v26
	s_and_b32 s26, s0, 0x1fffe0
	v_cmp_neq_f64_e64 s30, s[12:13], 0
	v_add_nc_u32_e32 v6, s2, v1
	v_and_b32_e32 v3, 31, v0
	v_lshrrev_b32_e32 v4, 3, v0
	v_lshrrev_b32_e32 v27, 5, v0
	s_cmp_gt_i32 s21, 0
	v_lshl_add_u32 v31, v2, 6, 0x800
	v_or_b32_e32 v5, s2, v3
	v_add_nc_u32_e32 v8, s26, v4
	v_lshlrev_b32_e32 v0, 3, v3
	v_lshl_or_b32 v3, v4, 6, v12
	v_add_nc_u32_e32 v4, s26, v2
	v_cmp_neq_f64_e64 s26, s[10:11], 0
	s_cselect_b32 s31, -1, 0
	v_lshl_or_b32 v28, v27, 8, v0
	v_add_nc_u32_e32 v0, 16, v6
	v_cmp_gt_i32_e32 vcc_lo, s20, v4
	v_cmp_le_i32_e64 s2, v6, v4
	v_cmp_gt_i32_e64 s0, s20, v5
	v_add_nc_u32_e32 v29, 0x800, v3
	s_wait_kmcnt 0x0
	v_mad_co_i64_i32 v[2:3], null, v4, s18, 0
	s_and_b32 s27, vcc_lo, s2
	v_cmp_le_i32_e64 s2, v0, v4
	v_add_nc_u32_e32 v13, 16, v4
	v_mad_co_i64_i32 v[4:5], null, s3, v5, 0
	v_cmp_gt_i32_e64 s1, s20, v8
	v_mad_co_i64_i32 v[8:9], null, s29, v8, 0
	s_lshl_b64 s[4:5], s[4:5], 3
	s_and_b32 s28, vcc_lo, s2
	v_cmp_gt_i32_e32 vcc_lo, s20, v13
	v_lshlrev_b64_e32 v[4:5], 3, v[4:5]
	v_mad_co_i64_i32 v[10:11], null, v13, s18, 0
	v_lshlrev_b64_e32 v[8:9], 3, v[8:9]
	v_cmp_le_i32_e64 s2, v6, v13
	v_cmp_le_i32_e64 s3, v0, v13
	v_add_co_u32 v4, s4, v4, s4
	s_wait_alu 0xf1ff
	v_add_co_ci_u32_e64 v5, null, s5, v5, s4
	v_lshlrev_b32_e32 v13, 3, v27
	s_lshl_b64 s[4:5], s[8:9], 3
	v_ashrrev_i32_e32 v7, 31, v6
	s_wait_alu 0xfffe
	v_add_co_u32 v8, s4, v8, s4
	s_wait_alu 0xf1ff
	v_add_co_ci_u32_e64 v9, null, s5, v9, s4
	v_add_co_u32 v33, s4, v4, v13
	s_wait_alu 0xf1ff
	v_add_co_ci_u32_e64 v34, null, 0, v5, s4
	v_add_co_u32 v35, s4, v8, v12
	v_lshlrev_b64_e32 v[2:3], 3, v[2:3]
	v_lshlrev_b64_e32 v[4:5], 3, v[10:11]
	;; [unrolled: 1-line block ×3, first 2 shown]
	v_lshlrev_b32_e32 v30, 3, v1
	v_ashrrev_i32_e32 v1, 31, v0
	s_wait_alu 0xf1ff
	v_add_co_ci_u32_e64 v36, null, 0, v9, s4
	s_mov_b32 s23, 0
	s_and_b32 s8, s30, s31
	s_and_b32 s9, vcc_lo, s2
	s_and_b32 s18, vcc_lo, s3
	s_lshl_b64 s[2:3], s[24:25], 3
	s_branch .LBB348_6
.LBB348_5:                              ;   in Loop: Header=BB348_6 Depth=1
	s_wait_alu 0xfffe
	s_or_b32 exec_lo, exec_lo, s4
	s_add_co_i32 s22, s22, 0x10000
	s_delay_alu instid0(SALU_CYCLE_1)
	s_cmp_lt_u32 s22, s19
	s_cbranch_scc0 .LBB348_33
.LBB348_6:                              ; =>This Loop Header: Depth=1
                                        ;     Child Loop BB348_9 Depth 2
	s_lshl_b64 s[4:5], s[22:23], 3
	v_mov_b32_e32 v20, 0
	s_wait_alu 0xfffe
	s_add_nc_u64 s[24:25], s[16:17], s[4:5]
	v_mov_b32_e32 v12, 0
	global_load_b64 v[10:11], v32, s[24:25]
	v_dual_mov_b32 v21, 0 :: v_dual_mov_b32 v14, 0
	v_dual_mov_b32 v13, 0 :: v_dual_mov_b32 v8, 0
	v_mov_b32_e32 v15, 0
	v_mov_b32_e32 v9, 0
	s_and_not1_b32 vcc_lo, exec_lo, s8
	s_wait_alu 0xfffe
	s_cbranch_vccnz .LBB348_13
; %bb.7:                                ;   in Loop: Header=BB348_6 Depth=1
	s_add_nc_u64 s[24:25], s[14:15], s[4:5]
	s_add_nc_u64 s[4:5], s[6:7], s[4:5]
	s_clause 0x1
	global_load_b64 v[16:17], v32, s[24:25]
	global_load_b64 v[18:19], v32, s[4:5]
	v_mov_b32_e32 v8, 0
	v_dual_mov_b32 v14, 0 :: v_dual_mov_b32 v9, 0
	v_dual_mov_b32 v12, 0 :: v_dual_mov_b32 v15, 0
	;; [unrolled: 1-line block ×3, first 2 shown]
	v_mov_b32_e32 v21, 0
	s_mov_b32 s4, 0
	s_wait_loadcnt 0x1
	v_add_co_u32 v16, vcc_lo, v16, v33
	s_wait_alu 0xfffd
	v_add_co_ci_u32_e64 v17, null, v17, v34, vcc_lo
	s_wait_loadcnt 0x0
	v_add_co_u32 v18, vcc_lo, v18, v35
	s_wait_alu 0xfffd
	v_add_co_ci_u32_e64 v19, null, v19, v36, vcc_lo
	s_branch .LBB348_9
.LBB348_8:                              ;   in Loop: Header=BB348_9 Depth=2
	s_wait_alu 0xfffe
	s_or_b32 exec_lo, exec_lo, s5
	s_wait_loadcnt_dscnt 0x0
	ds_store_b64 v29, v[24:25]
	s_wait_dscnt 0x0
	s_barrier_signal -1
	s_barrier_wait -1
	global_inv scope:SCOPE_SE
	ds_load_b128 v[22:25], v31
	ds_load_2addr_b64 v[37:40], v30 offset1:16
	ds_load_b128 v[41:44], v31 offset:1024
	ds_load_b128 v[45:48], v31 offset:16
	;; [unrolled: 1-line block ×3, first 2 shown]
	v_add_co_u32 v16, vcc_lo, v16, 64
	s_wait_alu 0xfffd
	v_add_co_ci_u32_e64 v17, null, 0, v17, vcc_lo
	v_add_co_u32 v18, vcc_lo, v18, 64
	s_wait_alu 0xfffd
	v_add_co_ci_u32_e64 v19, null, 0, v19, vcc_lo
	s_add_co_i32 s4, s4, 8
	s_wait_alu 0xfffe
	s_cmp_lt_i32 s4, s21
	s_wait_dscnt 0x3
	v_fma_f64 v[20:21], v[37:38], v[22:23], v[20:21]
	v_fma_f64 v[22:23], v[39:40], v[22:23], v[14:15]
	s_wait_dscnt 0x2
	v_fma_f64 v[37:38], v[37:38], v[41:42], v[12:13]
	v_fma_f64 v[8:9], v[39:40], v[41:42], v[8:9]
	ds_load_2addr_b64 v[12:15], v30 offset0:32 offset1:48
	s_wait_dscnt 0x0
	v_fma_f64 v[20:21], v[12:13], v[24:25], v[20:21]
	v_fma_f64 v[22:23], v[14:15], v[24:25], v[22:23]
	v_fma_f64 v[24:25], v[12:13], v[43:44], v[37:38]
	v_fma_f64 v[8:9], v[14:15], v[43:44], v[8:9]
	ds_load_2addr_b64 v[12:15], v30 offset0:64 offset1:80
	s_wait_dscnt 0x0
	v_fma_f64 v[20:21], v[12:13], v[45:46], v[20:21]
	v_fma_f64 v[22:23], v[14:15], v[45:46], v[22:23]
	;; [unrolled: 6-line block ×3, first 2 shown]
	v_fma_f64 v[24:25], v[12:13], v[51:52], v[24:25]
	v_fma_f64 v[8:9], v[14:15], v[51:52], v[8:9]
	ds_load_b128 v[12:15], v31 offset:32
	ds_load_2addr_b64 v[20:23], v30 offset0:128 offset1:144
	ds_load_b128 v[37:40], v31 offset:1056
	ds_load_b128 v[41:44], v31 offset:48
	;; [unrolled: 1-line block ×3, first 2 shown]
	s_wait_dscnt 0x3
	v_fma_f64 v[49:50], v[20:21], v[12:13], v[49:50]
	v_fma_f64 v[12:13], v[22:23], v[12:13], v[53:54]
	s_wait_dscnt 0x2
	v_fma_f64 v[24:25], v[20:21], v[37:38], v[24:25]
	v_fma_f64 v[8:9], v[22:23], v[37:38], v[8:9]
	ds_load_2addr_b64 v[20:23], v30 offset0:160 offset1:176
	s_wait_dscnt 0x0
	v_fma_f64 v[37:38], v[20:21], v[14:15], v[49:50]
	v_fma_f64 v[49:50], v[22:23], v[14:15], v[12:13]
	;; [unrolled: 1-line block ×4, first 2 shown]
	ds_load_2addr_b64 v[12:15], v30 offset0:192 offset1:208
	ds_load_2addr_b64 v[22:25], v30 offset0:224 offset1:240
	s_wait_loadcnt_dscnt 0x0
	s_barrier_signal -1
	s_barrier_wait -1
	global_inv scope:SCOPE_SE
	v_fma_f64 v[37:38], v[12:13], v[41:42], v[37:38]
	v_fma_f64 v[39:40], v[14:15], v[41:42], v[49:50]
	;; [unrolled: 1-line block ×4, first 2 shown]
	s_delay_alu instid0(VALU_DEP_4) | instskip(NEXT) | instid1(VALU_DEP_4)
	v_fma_f64 v[20:21], v[22:23], v[43:44], v[37:38]
	v_fma_f64 v[14:15], v[24:25], v[43:44], v[39:40]
	s_delay_alu instid0(VALU_DEP_4) | instskip(NEXT) | instid1(VALU_DEP_4)
	v_fma_f64 v[12:13], v[22:23], v[47:48], v[12:13]
	v_fma_f64 v[8:9], v[24:25], v[47:48], v[8:9]
	s_cbranch_scc0 .LBB348_13
.LBB348_9:                              ;   Parent Loop BB348_6 Depth=1
                                        ; =>  This Inner Loop Header: Depth=2
	s_wait_alu 0xfffe
	v_add_nc_u32_e32 v22, s4, v27
	s_delay_alu instid0(VALU_DEP_1)
	v_cmp_gt_i32_e32 vcc_lo, s21, v22
	v_mov_b32_e32 v22, 0
	v_mov_b32_e32 v23, 0
	s_and_b32 s20, s0, vcc_lo
	s_wait_alu 0xfffe
	s_and_saveexec_b32 s5, s20
	s_cbranch_execz .LBB348_11
; %bb.10:                               ;   in Loop: Header=BB348_9 Depth=2
	flat_load_b64 v[22:23], v[16:17]
.LBB348_11:                             ;   in Loop: Header=BB348_9 Depth=2
	s_wait_alu 0xfffe
	s_or_b32 exec_lo, exec_lo, s5
	v_add_nc_u32_e32 v24, s4, v26
	s_wait_loadcnt_dscnt 0x0
	ds_store_b64 v28, v[22:23]
	v_cmp_gt_i32_e32 vcc_lo, s21, v24
	v_mov_b32_e32 v24, 0
	v_mov_b32_e32 v25, 0
	s_and_b32 s20, vcc_lo, s1
	s_wait_alu 0xfffe
	s_and_saveexec_b32 s5, s20
	s_cbranch_execz .LBB348_8
; %bb.12:                               ;   in Loop: Header=BB348_9 Depth=2
	flat_load_b64 v[24:25], v[18:19]
	s_branch .LBB348_8
.LBB348_13:                             ;   in Loop: Header=BB348_6 Depth=1
	s_wait_loadcnt 0x0
	v_add_co_u32 v16, vcc_lo, v10, s2
	s_wait_alu 0xfffd
	v_add_co_ci_u32_e64 v17, null, s3, v11, vcc_lo
	s_delay_alu instid0(VALU_DEP_2) | instskip(SKIP_1) | instid1(VALU_DEP_2)
	v_add_co_u32 v18, vcc_lo, v16, v2
	s_wait_alu 0xfffd
	v_add_co_ci_u32_e64 v19, null, v17, v3, vcc_lo
	s_and_saveexec_b32 s4, s27
	s_cbranch_execz .LBB348_17
; %bb.14:                               ;   in Loop: Header=BB348_6 Depth=1
	v_mul_f64_e32 v[10:11], s[12:13], v[20:21]
	s_and_b32 vcc_lo, exec_lo, s26
	s_wait_alu 0xfffe
	s_cbranch_vccz .LBB348_28
; %bb.15:                               ;   in Loop: Header=BB348_6 Depth=1
	v_add_co_u32 v20, vcc_lo, v18, v6
	s_wait_alu 0xfffd
	v_add_co_ci_u32_e64 v21, null, v19, v7, vcc_lo
	flat_load_b64 v[22:23], v[20:21]
	s_wait_loadcnt_dscnt 0x0
	v_fma_f64 v[22:23], s[10:11], v[22:23], v[10:11]
	flat_store_b64 v[20:21], v[22:23]
	s_cbranch_execnz .LBB348_17
.LBB348_16:                             ;   in Loop: Header=BB348_6 Depth=1
	v_add_co_u32 v20, vcc_lo, v18, v6
	s_wait_alu 0xfffd
	v_add_co_ci_u32_e64 v21, null, v19, v7, vcc_lo
	flat_store_b64 v[20:21], v[10:11]
.LBB348_17:                             ;   in Loop: Header=BB348_6 Depth=1
	s_wait_alu 0xfffe
	s_or_b32 exec_lo, exec_lo, s4
	s_and_saveexec_b32 s4, s28
	s_cbranch_execz .LBB348_21
; %bb.18:                               ;   in Loop: Header=BB348_6 Depth=1
	v_mul_f64_e32 v[10:11], s[12:13], v[14:15]
	s_and_not1_b32 vcc_lo, exec_lo, s26
	s_wait_alu 0xfffe
	s_cbranch_vccnz .LBB348_29
; %bb.19:                               ;   in Loop: Header=BB348_6 Depth=1
	v_lshlrev_b64_e32 v[14:15], 3, v[0:1]
	s_delay_alu instid0(VALU_DEP_1) | instskip(SKIP_1) | instid1(VALU_DEP_2)
	v_add_co_u32 v14, vcc_lo, v18, v14
	s_wait_alu 0xfffd
	v_add_co_ci_u32_e64 v15, null, v19, v15, vcc_lo
	flat_load_b64 v[20:21], v[14:15]
	s_wait_loadcnt_dscnt 0x0
	v_fma_f64 v[20:21], s[10:11], v[20:21], v[10:11]
	flat_store_b64 v[14:15], v[20:21]
	s_cbranch_execnz .LBB348_21
.LBB348_20:                             ;   in Loop: Header=BB348_6 Depth=1
	v_lshlrev_b64_e32 v[14:15], 3, v[0:1]
	s_delay_alu instid0(VALU_DEP_1) | instskip(SKIP_1) | instid1(VALU_DEP_2)
	v_add_co_u32 v14, vcc_lo, v18, v14
	s_wait_alu 0xfffd
	v_add_co_ci_u32_e64 v15, null, v19, v15, vcc_lo
	flat_store_b64 v[14:15], v[10:11]
.LBB348_21:                             ;   in Loop: Header=BB348_6 Depth=1
	s_wait_alu 0xfffe
	s_or_b32 exec_lo, exec_lo, s4
	v_add_co_u32 v14, vcc_lo, v16, v4
	s_wait_alu 0xfffd
	v_add_co_ci_u32_e64 v15, null, v17, v5, vcc_lo
	s_and_saveexec_b32 s4, s9
	s_cbranch_execz .LBB348_25
; %bb.22:                               ;   in Loop: Header=BB348_6 Depth=1
	v_mul_f64_e32 v[10:11], s[12:13], v[12:13]
	s_and_not1_b32 vcc_lo, exec_lo, s26
	s_wait_alu 0xfffe
	s_cbranch_vccnz .LBB348_30
; %bb.23:                               ;   in Loop: Header=BB348_6 Depth=1
	v_add_co_u32 v12, vcc_lo, v14, v6
	s_wait_alu 0xfffd
	v_add_co_ci_u32_e64 v13, null, v15, v7, vcc_lo
	flat_load_b64 v[16:17], v[12:13]
	s_wait_loadcnt_dscnt 0x0
	v_fma_f64 v[16:17], s[10:11], v[16:17], v[10:11]
	flat_store_b64 v[12:13], v[16:17]
	s_cbranch_execnz .LBB348_25
.LBB348_24:                             ;   in Loop: Header=BB348_6 Depth=1
	v_add_co_u32 v12, vcc_lo, v14, v6
	s_wait_alu 0xfffd
	v_add_co_ci_u32_e64 v13, null, v15, v7, vcc_lo
	flat_store_b64 v[12:13], v[10:11]
.LBB348_25:                             ;   in Loop: Header=BB348_6 Depth=1
	s_wait_alu 0xfffe
	s_or_b32 exec_lo, exec_lo, s4
	s_and_saveexec_b32 s4, s18
	s_cbranch_execz .LBB348_5
; %bb.26:                               ;   in Loop: Header=BB348_6 Depth=1
	v_mul_f64_e32 v[8:9], s[12:13], v[8:9]
	v_lshlrev_b64_e32 v[10:11], 3, v[0:1]
	s_and_not1_b32 vcc_lo, exec_lo, s26
	s_wait_alu 0xfffe
	s_cbranch_vccnz .LBB348_31
; %bb.27:                               ;   in Loop: Header=BB348_6 Depth=1
	s_delay_alu instid0(VALU_DEP_1)
	v_add_co_u32 v12, vcc_lo, v14, v10
	s_wait_alu 0xfffd
	v_add_co_ci_u32_e64 v13, null, v15, v11, vcc_lo
	flat_load_b64 v[16:17], v[12:13]
	s_wait_loadcnt_dscnt 0x0
	v_fma_f64 v[16:17], s[10:11], v[16:17], v[8:9]
	flat_store_b64 v[12:13], v[16:17]
	s_cbranch_execnz .LBB348_5
	s_branch .LBB348_32
.LBB348_28:                             ;   in Loop: Header=BB348_6 Depth=1
	s_branch .LBB348_16
.LBB348_29:                             ;   in Loop: Header=BB348_6 Depth=1
	s_branch .LBB348_20
.LBB348_30:                             ;   in Loop: Header=BB348_6 Depth=1
	s_branch .LBB348_24
.LBB348_31:                             ;   in Loop: Header=BB348_6 Depth=1
.LBB348_32:                             ;   in Loop: Header=BB348_6 Depth=1
	s_delay_alu instid0(VALU_DEP_1)
	v_add_co_u32 v10, vcc_lo, v14, v10
	s_wait_alu 0xfffd
	v_add_co_ci_u32_e64 v11, null, v15, v11, vcc_lo
	flat_store_b64 v[10:11], v[8:9]
	s_branch .LBB348_5
.LBB348_33:
	s_endpgm
	.section	.rodata,"a",@progbits
	.p2align	6, 0x0
	.amdhsa_kernel _ZL29rocblas_internal_gemmt_kernelIiLi16ELi32ELi8ELc67ELc78ELc85ELb0ELb0EddPKPKdPKPdEviT_T9_T10_S7_lS9_S7_lS8_T11_S7_li
		.amdhsa_group_segment_fixed_size 4096
		.amdhsa_private_segment_fixed_size 0
		.amdhsa_kernarg_size 100
		.amdhsa_user_sgpr_count 2
		.amdhsa_user_sgpr_dispatch_ptr 0
		.amdhsa_user_sgpr_queue_ptr 0
		.amdhsa_user_sgpr_kernarg_segment_ptr 1
		.amdhsa_user_sgpr_dispatch_id 0
		.amdhsa_user_sgpr_private_segment_size 0
		.amdhsa_wavefront_size32 1
		.amdhsa_uses_dynamic_stack 0
		.amdhsa_enable_private_segment 0
		.amdhsa_system_sgpr_workgroup_id_x 1
		.amdhsa_system_sgpr_workgroup_id_y 1
		.amdhsa_system_sgpr_workgroup_id_z 1
		.amdhsa_system_sgpr_workgroup_info 0
		.amdhsa_system_vgpr_workitem_id 1
		.amdhsa_next_free_vgpr 55
		.amdhsa_next_free_sgpr 32
		.amdhsa_reserve_vcc 1
		.amdhsa_float_round_mode_32 0
		.amdhsa_float_round_mode_16_64 0
		.amdhsa_float_denorm_mode_32 3
		.amdhsa_float_denorm_mode_16_64 3
		.amdhsa_fp16_overflow 0
		.amdhsa_workgroup_processor_mode 1
		.amdhsa_memory_ordered 1
		.amdhsa_forward_progress 1
		.amdhsa_inst_pref_size 17
		.amdhsa_round_robin_scheduling 0
		.amdhsa_exception_fp_ieee_invalid_op 0
		.amdhsa_exception_fp_denorm_src 0
		.amdhsa_exception_fp_ieee_div_zero 0
		.amdhsa_exception_fp_ieee_overflow 0
		.amdhsa_exception_fp_ieee_underflow 0
		.amdhsa_exception_fp_ieee_inexact 0
		.amdhsa_exception_int_div_zero 0
	.end_amdhsa_kernel
	.section	.text._ZL29rocblas_internal_gemmt_kernelIiLi16ELi32ELi8ELc67ELc78ELc85ELb0ELb0EddPKPKdPKPdEviT_T9_T10_S7_lS9_S7_lS8_T11_S7_li,"axG",@progbits,_ZL29rocblas_internal_gemmt_kernelIiLi16ELi32ELi8ELc67ELc78ELc85ELb0ELb0EddPKPKdPKPdEviT_T9_T10_S7_lS9_S7_lS8_T11_S7_li,comdat
.Lfunc_end348:
	.size	_ZL29rocblas_internal_gemmt_kernelIiLi16ELi32ELi8ELc67ELc78ELc85ELb0ELb0EddPKPKdPKPdEviT_T9_T10_S7_lS9_S7_lS8_T11_S7_li, .Lfunc_end348-_ZL29rocblas_internal_gemmt_kernelIiLi16ELi32ELi8ELc67ELc78ELc85ELb0ELb0EddPKPKdPKPdEviT_T9_T10_S7_lS9_S7_lS8_T11_S7_li
                                        ; -- End function
	.set _ZL29rocblas_internal_gemmt_kernelIiLi16ELi32ELi8ELc67ELc78ELc85ELb0ELb0EddPKPKdPKPdEviT_T9_T10_S7_lS9_S7_lS8_T11_S7_li.num_vgpr, 55
	.set _ZL29rocblas_internal_gemmt_kernelIiLi16ELi32ELi8ELc67ELc78ELc85ELb0ELb0EddPKPKdPKPdEviT_T9_T10_S7_lS9_S7_lS8_T11_S7_li.num_agpr, 0
	.set _ZL29rocblas_internal_gemmt_kernelIiLi16ELi32ELi8ELc67ELc78ELc85ELb0ELb0EddPKPKdPKPdEviT_T9_T10_S7_lS9_S7_lS8_T11_S7_li.numbered_sgpr, 32
	.set _ZL29rocblas_internal_gemmt_kernelIiLi16ELi32ELi8ELc67ELc78ELc85ELb0ELb0EddPKPKdPKPdEviT_T9_T10_S7_lS9_S7_lS8_T11_S7_li.num_named_barrier, 0
	.set _ZL29rocblas_internal_gemmt_kernelIiLi16ELi32ELi8ELc67ELc78ELc85ELb0ELb0EddPKPKdPKPdEviT_T9_T10_S7_lS9_S7_lS8_T11_S7_li.private_seg_size, 0
	.set _ZL29rocblas_internal_gemmt_kernelIiLi16ELi32ELi8ELc67ELc78ELc85ELb0ELb0EddPKPKdPKPdEviT_T9_T10_S7_lS9_S7_lS8_T11_S7_li.uses_vcc, 1
	.set _ZL29rocblas_internal_gemmt_kernelIiLi16ELi32ELi8ELc67ELc78ELc85ELb0ELb0EddPKPKdPKPdEviT_T9_T10_S7_lS9_S7_lS8_T11_S7_li.uses_flat_scratch, 0
	.set _ZL29rocblas_internal_gemmt_kernelIiLi16ELi32ELi8ELc67ELc78ELc85ELb0ELb0EddPKPKdPKPdEviT_T9_T10_S7_lS9_S7_lS8_T11_S7_li.has_dyn_sized_stack, 0
	.set _ZL29rocblas_internal_gemmt_kernelIiLi16ELi32ELi8ELc67ELc78ELc85ELb0ELb0EddPKPKdPKPdEviT_T9_T10_S7_lS9_S7_lS8_T11_S7_li.has_recursion, 0
	.set _ZL29rocblas_internal_gemmt_kernelIiLi16ELi32ELi8ELc67ELc78ELc85ELb0ELb0EddPKPKdPKPdEviT_T9_T10_S7_lS9_S7_lS8_T11_S7_li.has_indirect_call, 0
	.section	.AMDGPU.csdata,"",@progbits
; Kernel info:
; codeLenInByte = 2052
; TotalNumSgprs: 34
; NumVgprs: 55
; ScratchSize: 0
; MemoryBound: 0
; FloatMode: 240
; IeeeMode: 1
; LDSByteSize: 4096 bytes/workgroup (compile time only)
; SGPRBlocks: 0
; VGPRBlocks: 6
; NumSGPRsForWavesPerEU: 34
; NumVGPRsForWavesPerEU: 55
; Occupancy: 16
; WaveLimiterHint : 1
; COMPUTE_PGM_RSRC2:SCRATCH_EN: 0
; COMPUTE_PGM_RSRC2:USER_SGPR: 2
; COMPUTE_PGM_RSRC2:TRAP_HANDLER: 0
; COMPUTE_PGM_RSRC2:TGID_X_EN: 1
; COMPUTE_PGM_RSRC2:TGID_Y_EN: 1
; COMPUTE_PGM_RSRC2:TGID_Z_EN: 1
; COMPUTE_PGM_RSRC2:TIDIG_COMP_CNT: 1
	.section	.text._ZL29rocblas_internal_gemmt_kernelIiLi16ELi32ELi8ELc67ELc84ELc85ELb0ELb0EddPKPKdPKPdEviT_T9_T10_S7_lS9_S7_lS8_T11_S7_li,"axG",@progbits,_ZL29rocblas_internal_gemmt_kernelIiLi16ELi32ELi8ELc67ELc84ELc85ELb0ELb0EddPKPKdPKPdEviT_T9_T10_S7_lS9_S7_lS8_T11_S7_li,comdat
	.globl	_ZL29rocblas_internal_gemmt_kernelIiLi16ELi32ELi8ELc67ELc84ELc85ELb0ELb0EddPKPKdPKPdEviT_T9_T10_S7_lS9_S7_lS8_T11_S7_li ; -- Begin function _ZL29rocblas_internal_gemmt_kernelIiLi16ELi32ELi8ELc67ELc84ELc85ELb0ELb0EddPKPKdPKPdEviT_T9_T10_S7_lS9_S7_lS8_T11_S7_li
	.p2align	8
	.type	_ZL29rocblas_internal_gemmt_kernelIiLi16ELi32ELi8ELc67ELc84ELc85ELb0ELb0EddPKPKdPKPdEviT_T9_T10_S7_lS9_S7_lS8_T11_S7_li,@function
_ZL29rocblas_internal_gemmt_kernelIiLi16ELi32ELi8ELc67ELc84ELc85ELb0ELb0EddPKPKdPKPdEviT_T9_T10_S7_lS9_S7_lS8_T11_S7_li: ; @_ZL29rocblas_internal_gemmt_kernelIiLi16ELi32ELi8ELc67ELc84ELc85ELb0ELb0EddPKPKdPKPdEviT_T9_T10_S7_lS9_S7_lS8_T11_S7_li
; %bb.0:
	s_clause 0x2
	s_load_b128 s[4:7], s[0:1], 0x38
	s_load_b64 s[20:21], s[0:1], 0x0
	s_load_b128 s[8:11], s[0:1], 0x8
	s_wait_kmcnt 0x0
	v_cmp_neq_f64_e64 s2, s[6:7], 1.0
	s_and_b32 vcc_lo, exec_lo, s2
	s_cbranch_vccnz .LBB349_2
; %bb.1:
	v_cmp_neq_f64_e64 s2, s[8:9], 0
	s_cmp_lg_u32 s21, 0
	s_cselect_b32 s3, -1, 0
	s_delay_alu instid0(SALU_CYCLE_1)
	s_and_b32 s2, s3, s2
.LBB349_2:
	s_delay_alu instid0(SALU_CYCLE_1)
	s_and_not1_b32 vcc_lo, exec_lo, s2
	s_cbranch_vccnz .LBB349_33
; %bb.3:
	s_load_b32 s19, s[0:1], 0x60
	s_lshr_b32 s22, ttmp7, 16
	s_wait_kmcnt 0x0
	s_cmp_ge_u32 s22, s19
	s_cbranch_scc1 .LBB349_33
; %bb.4:
	v_dual_mov_b32 v32, 0 :: v_dual_and_b32 v1, 0x3ff, v0
	v_bfe_u32 v2, v0, 10, 10
	v_and_b32_e32 v26, 7, v0
	s_clause 0x4
	s_load_b32 s31, s[0:1], 0x18
	s_load_b128 s[12:15], s[0:1], 0x20
	s_load_b96 s[16:18], s[0:1], 0x48
	s_load_b64 s[26:27], s[0:1], 0x58
	s_load_b32 s24, s[0:1], 0x30
	v_lshl_add_u32 v0, v2, 4, v1
	v_lshlrev_b32_e32 v4, 3, v26
	s_lshl_b32 s0, ttmp7, 5
	s_lshl_b32 s1, ttmp9, 5
	v_cmp_neq_f64_e64 s33, s[8:9], 0
	v_and_b32_e32 v3, 31, v0
	v_lshrrev_b32_e32 v27, 5, v0
	v_lshrrev_b32_e32 v0, 3, v0
	s_and_b32 s2, s0, 0x1fffe0
	v_add_nc_u32_e32 v6, s1, v1
	v_cmp_neq_f64_e64 s28, s[6:7], 0
	v_or_b32_e32 v5, s1, v3
	v_add_nc_u32_e32 v12, s2, v0
	v_lshl_or_b32 v0, v0, 6, v4
	v_lshlrev_b32_e32 v3, 3, v3
	v_add_nc_u32_e32 v4, s2, v2
	v_cmp_gt_i32_e64 s0, s20, v5
	v_lshl_add_u32 v31, v2, 6, 0x800
	v_add_nc_u32_e32 v29, 0x800, v0
	v_add_nc_u32_e32 v0, 16, v6
	v_lshl_or_b32 v28, v27, 8, v3
	v_cmp_gt_i32_e32 vcc_lo, s20, v4
	v_cmp_le_i32_e64 s2, v6, v4
	s_wait_kmcnt 0x0
	v_mad_co_i64_i32 v[2:3], null, v4, s18, 0
	v_cmp_le_i32_e64 s3, v0, v4
	v_add_nc_u32_e32 v13, 16, v4
	v_mad_co_i64_i32 v[4:5], null, s31, v5, 0
	v_mad_co_i64_i32 v[8:9], null, s24, v26, 0
	s_ashr_i32 s25, s24, 31
	s_cmp_gt_i32 s21, 0
	v_mad_co_i64_i32 v[10:11], null, v13, s18, 0
	v_lshlrev_b64_e32 v[4:5], 3, v[4:5]
	s_cselect_b32 s34, -1, 0
	s_and_b32 s29, vcc_lo, s2
	s_and_b32 s30, vcc_lo, s3
	v_cmp_gt_i32_e32 vcc_lo, s20, v13
	v_cmp_le_i32_e64 s2, v6, v13
	v_lshlrev_b64_e32 v[8:9], 3, v[8:9]
	s_lshl_b64 s[12:13], s[12:13], 3
	s_lshl_b64 s[4:5], s[4:5], 3
	v_add_co_u32 v4, s3, v4, s12
	s_and_b32 s18, vcc_lo, s2
	v_cmp_le_i32_e64 s2, v0, v13
	v_lshlrev_b32_e32 v13, 3, v27
	v_cmp_gt_i32_e64 s1, s20, v12
	v_add_co_ci_u32_e64 v5, null, s13, v5, s3
	v_add_co_u32 v8, s3, v8, s4
	v_lshlrev_b32_e32 v12, 3, v12
	v_ashrrev_i32_e32 v7, 31, v6
	s_wait_alu 0xf1ff
	v_add_co_ci_u32_e64 v9, null, s5, v9, s3
	v_add_co_u32 v33, s3, v4, v13
	s_wait_alu 0xf1ff
	v_add_co_ci_u32_e64 v34, null, 0, v5, s3
	v_add_co_u32 v35, s3, v8, v12
	v_lshlrev_b64_e32 v[2:3], 3, v[2:3]
	v_lshlrev_b64_e32 v[4:5], 3, v[10:11]
	;; [unrolled: 1-line block ×3, first 2 shown]
	v_lshlrev_b32_e32 v30, 3, v1
	v_ashrrev_i32_e32 v1, 31, v0
	s_wait_alu 0xf1ff
	v_add_co_ci_u32_e64 v36, null, 0, v9, s3
	s_mov_b32 s23, 0
	s_and_b32 s20, s33, s34
	s_and_b32 s31, vcc_lo, s2
	s_wait_alu 0xfffe
	s_lshl_b64 s[2:3], s[24:25], 6
	s_lshl_b64 s[4:5], s[26:27], 3
	s_branch .LBB349_6
.LBB349_5:                              ;   in Loop: Header=BB349_6 Depth=1
	s_wait_alu 0xfffe
	s_or_b32 exec_lo, exec_lo, s12
	s_add_co_i32 s22, s22, 0x10000
	s_delay_alu instid0(SALU_CYCLE_1)
	s_cmp_lt_u32 s22, s19
	s_cbranch_scc0 .LBB349_33
.LBB349_6:                              ; =>This Loop Header: Depth=1
                                        ;     Child Loop BB349_9 Depth 2
	s_lshl_b64 s[12:13], s[22:23], 3
	v_mov_b32_e32 v20, 0
	s_wait_alu 0xfffe
	s_add_nc_u64 s[24:25], s[16:17], s[12:13]
	v_mov_b32_e32 v12, 0
	global_load_b64 v[10:11], v32, s[24:25]
	v_dual_mov_b32 v21, 0 :: v_dual_mov_b32 v14, 0
	v_dual_mov_b32 v13, 0 :: v_dual_mov_b32 v8, 0
	v_mov_b32_e32 v15, 0
	v_mov_b32_e32 v9, 0
	s_and_not1_b32 vcc_lo, exec_lo, s20
	s_wait_alu 0xfffe
	s_cbranch_vccnz .LBB349_13
; %bb.7:                                ;   in Loop: Header=BB349_6 Depth=1
	s_add_nc_u64 s[24:25], s[10:11], s[12:13]
	s_add_nc_u64 s[12:13], s[14:15], s[12:13]
	s_clause 0x1
	global_load_b64 v[16:17], v32, s[24:25]
	global_load_b64 v[18:19], v32, s[12:13]
	v_mov_b32_e32 v8, 0
	v_dual_mov_b32 v14, 0 :: v_dual_mov_b32 v9, 0
	v_dual_mov_b32 v12, 0 :: v_dual_mov_b32 v15, 0
	;; [unrolled: 1-line block ×3, first 2 shown]
	v_mov_b32_e32 v21, 0
	s_mov_b32 s12, 0
	s_wait_loadcnt 0x1
	v_add_co_u32 v16, vcc_lo, v16, v33
	s_wait_alu 0xfffd
	v_add_co_ci_u32_e64 v17, null, v17, v34, vcc_lo
	s_wait_loadcnt 0x0
	v_add_co_u32 v18, vcc_lo, v18, v35
	s_wait_alu 0xfffd
	v_add_co_ci_u32_e64 v19, null, v19, v36, vcc_lo
	s_branch .LBB349_9
.LBB349_8:                              ;   in Loop: Header=BB349_9 Depth=2
	s_wait_alu 0xfffe
	s_or_b32 exec_lo, exec_lo, s13
	s_wait_loadcnt_dscnt 0x0
	ds_store_b64 v29, v[24:25]
	s_wait_dscnt 0x0
	s_barrier_signal -1
	s_barrier_wait -1
	global_inv scope:SCOPE_SE
	ds_load_b128 v[22:25], v31
	ds_load_2addr_b64 v[37:40], v30 offset1:16
	ds_load_b128 v[41:44], v31 offset:1024
	ds_load_b128 v[45:48], v31 offset:16
	;; [unrolled: 1-line block ×3, first 2 shown]
	v_add_co_u32 v16, vcc_lo, v16, 64
	s_wait_alu 0xfffd
	v_add_co_ci_u32_e64 v17, null, 0, v17, vcc_lo
	v_add_co_u32 v18, vcc_lo, v18, s2
	s_wait_alu 0xfffd
	v_add_co_ci_u32_e64 v19, null, s3, v19, vcc_lo
	s_add_co_i32 s12, s12, 8
	s_wait_alu 0xfffe
	s_cmp_lt_i32 s12, s21
	s_wait_dscnt 0x3
	v_fma_f64 v[20:21], v[37:38], v[22:23], v[20:21]
	v_fma_f64 v[22:23], v[39:40], v[22:23], v[14:15]
	s_wait_dscnt 0x2
	v_fma_f64 v[37:38], v[37:38], v[41:42], v[12:13]
	v_fma_f64 v[8:9], v[39:40], v[41:42], v[8:9]
	ds_load_2addr_b64 v[12:15], v30 offset0:32 offset1:48
	s_wait_dscnt 0x0
	v_fma_f64 v[20:21], v[12:13], v[24:25], v[20:21]
	v_fma_f64 v[22:23], v[14:15], v[24:25], v[22:23]
	v_fma_f64 v[24:25], v[12:13], v[43:44], v[37:38]
	v_fma_f64 v[8:9], v[14:15], v[43:44], v[8:9]
	ds_load_2addr_b64 v[12:15], v30 offset0:64 offset1:80
	s_wait_dscnt 0x0
	v_fma_f64 v[20:21], v[12:13], v[45:46], v[20:21]
	v_fma_f64 v[22:23], v[14:15], v[45:46], v[22:23]
	;; [unrolled: 6-line block ×3, first 2 shown]
	v_fma_f64 v[24:25], v[12:13], v[51:52], v[24:25]
	v_fma_f64 v[8:9], v[14:15], v[51:52], v[8:9]
	ds_load_b128 v[12:15], v31 offset:32
	ds_load_2addr_b64 v[20:23], v30 offset0:128 offset1:144
	ds_load_b128 v[37:40], v31 offset:1056
	ds_load_b128 v[41:44], v31 offset:48
	;; [unrolled: 1-line block ×3, first 2 shown]
	s_wait_dscnt 0x3
	v_fma_f64 v[49:50], v[20:21], v[12:13], v[49:50]
	v_fma_f64 v[12:13], v[22:23], v[12:13], v[53:54]
	s_wait_dscnt 0x2
	v_fma_f64 v[24:25], v[20:21], v[37:38], v[24:25]
	v_fma_f64 v[8:9], v[22:23], v[37:38], v[8:9]
	ds_load_2addr_b64 v[20:23], v30 offset0:160 offset1:176
	s_wait_dscnt 0x0
	v_fma_f64 v[37:38], v[20:21], v[14:15], v[49:50]
	v_fma_f64 v[49:50], v[22:23], v[14:15], v[12:13]
	;; [unrolled: 1-line block ×4, first 2 shown]
	ds_load_2addr_b64 v[12:15], v30 offset0:192 offset1:208
	ds_load_2addr_b64 v[22:25], v30 offset0:224 offset1:240
	s_wait_loadcnt_dscnt 0x0
	s_barrier_signal -1
	s_barrier_wait -1
	global_inv scope:SCOPE_SE
	v_fma_f64 v[37:38], v[12:13], v[41:42], v[37:38]
	v_fma_f64 v[39:40], v[14:15], v[41:42], v[49:50]
	;; [unrolled: 1-line block ×4, first 2 shown]
	s_delay_alu instid0(VALU_DEP_4) | instskip(NEXT) | instid1(VALU_DEP_4)
	v_fma_f64 v[20:21], v[22:23], v[43:44], v[37:38]
	v_fma_f64 v[14:15], v[24:25], v[43:44], v[39:40]
	s_delay_alu instid0(VALU_DEP_4) | instskip(NEXT) | instid1(VALU_DEP_4)
	v_fma_f64 v[12:13], v[22:23], v[47:48], v[12:13]
	v_fma_f64 v[8:9], v[24:25], v[47:48], v[8:9]
	s_cbranch_scc0 .LBB349_13
.LBB349_9:                              ;   Parent Loop BB349_6 Depth=1
                                        ; =>  This Inner Loop Header: Depth=2
	s_wait_alu 0xfffe
	v_add_nc_u32_e32 v22, s12, v27
	s_delay_alu instid0(VALU_DEP_1)
	v_cmp_gt_i32_e32 vcc_lo, s21, v22
	v_mov_b32_e32 v22, 0
	v_mov_b32_e32 v23, 0
	s_and_b32 s24, s0, vcc_lo
	s_wait_alu 0xfffe
	s_and_saveexec_b32 s13, s24
	s_cbranch_execz .LBB349_11
; %bb.10:                               ;   in Loop: Header=BB349_9 Depth=2
	flat_load_b64 v[22:23], v[16:17]
.LBB349_11:                             ;   in Loop: Header=BB349_9 Depth=2
	s_wait_alu 0xfffe
	s_or_b32 exec_lo, exec_lo, s13
	v_add_nc_u32_e32 v24, s12, v26
	s_wait_loadcnt_dscnt 0x0
	ds_store_b64 v28, v[22:23]
	v_cmp_gt_i32_e32 vcc_lo, s21, v24
	v_mov_b32_e32 v24, 0
	v_mov_b32_e32 v25, 0
	s_and_b32 s24, vcc_lo, s1
	s_wait_alu 0xfffe
	s_and_saveexec_b32 s13, s24
	s_cbranch_execz .LBB349_8
; %bb.12:                               ;   in Loop: Header=BB349_9 Depth=2
	flat_load_b64 v[24:25], v[18:19]
	s_branch .LBB349_8
.LBB349_13:                             ;   in Loop: Header=BB349_6 Depth=1
	s_wait_loadcnt 0x0
	v_add_co_u32 v16, vcc_lo, v10, s4
	s_wait_alu 0xfffd
	v_add_co_ci_u32_e64 v17, null, s5, v11, vcc_lo
	s_delay_alu instid0(VALU_DEP_2) | instskip(SKIP_1) | instid1(VALU_DEP_2)
	v_add_co_u32 v18, vcc_lo, v16, v2
	s_wait_alu 0xfffd
	v_add_co_ci_u32_e64 v19, null, v17, v3, vcc_lo
	s_and_saveexec_b32 s12, s29
	s_cbranch_execz .LBB349_17
; %bb.14:                               ;   in Loop: Header=BB349_6 Depth=1
	v_mul_f64_e32 v[10:11], s[8:9], v[20:21]
	s_and_b32 vcc_lo, exec_lo, s28
	s_wait_alu 0xfffe
	s_cbranch_vccz .LBB349_28
; %bb.15:                               ;   in Loop: Header=BB349_6 Depth=1
	v_add_co_u32 v20, vcc_lo, v18, v6
	s_wait_alu 0xfffd
	v_add_co_ci_u32_e64 v21, null, v19, v7, vcc_lo
	flat_load_b64 v[22:23], v[20:21]
	s_wait_loadcnt_dscnt 0x0
	v_fma_f64 v[22:23], s[6:7], v[22:23], v[10:11]
	flat_store_b64 v[20:21], v[22:23]
	s_cbranch_execnz .LBB349_17
.LBB349_16:                             ;   in Loop: Header=BB349_6 Depth=1
	v_add_co_u32 v20, vcc_lo, v18, v6
	s_wait_alu 0xfffd
	v_add_co_ci_u32_e64 v21, null, v19, v7, vcc_lo
	flat_store_b64 v[20:21], v[10:11]
.LBB349_17:                             ;   in Loop: Header=BB349_6 Depth=1
	s_wait_alu 0xfffe
	s_or_b32 exec_lo, exec_lo, s12
	s_and_saveexec_b32 s12, s30
	s_cbranch_execz .LBB349_21
; %bb.18:                               ;   in Loop: Header=BB349_6 Depth=1
	v_mul_f64_e32 v[10:11], s[8:9], v[14:15]
	s_and_not1_b32 vcc_lo, exec_lo, s28
	s_wait_alu 0xfffe
	s_cbranch_vccnz .LBB349_29
; %bb.19:                               ;   in Loop: Header=BB349_6 Depth=1
	v_lshlrev_b64_e32 v[14:15], 3, v[0:1]
	s_delay_alu instid0(VALU_DEP_1) | instskip(SKIP_1) | instid1(VALU_DEP_2)
	v_add_co_u32 v14, vcc_lo, v18, v14
	s_wait_alu 0xfffd
	v_add_co_ci_u32_e64 v15, null, v19, v15, vcc_lo
	flat_load_b64 v[20:21], v[14:15]
	s_wait_loadcnt_dscnt 0x0
	v_fma_f64 v[20:21], s[6:7], v[20:21], v[10:11]
	flat_store_b64 v[14:15], v[20:21]
	s_cbranch_execnz .LBB349_21
.LBB349_20:                             ;   in Loop: Header=BB349_6 Depth=1
	v_lshlrev_b64_e32 v[14:15], 3, v[0:1]
	s_delay_alu instid0(VALU_DEP_1) | instskip(SKIP_1) | instid1(VALU_DEP_2)
	v_add_co_u32 v14, vcc_lo, v18, v14
	s_wait_alu 0xfffd
	v_add_co_ci_u32_e64 v15, null, v19, v15, vcc_lo
	flat_store_b64 v[14:15], v[10:11]
.LBB349_21:                             ;   in Loop: Header=BB349_6 Depth=1
	s_wait_alu 0xfffe
	s_or_b32 exec_lo, exec_lo, s12
	v_add_co_u32 v14, vcc_lo, v16, v4
	s_wait_alu 0xfffd
	v_add_co_ci_u32_e64 v15, null, v17, v5, vcc_lo
	s_and_saveexec_b32 s12, s18
	s_cbranch_execz .LBB349_25
; %bb.22:                               ;   in Loop: Header=BB349_6 Depth=1
	v_mul_f64_e32 v[10:11], s[8:9], v[12:13]
	s_and_not1_b32 vcc_lo, exec_lo, s28
	s_wait_alu 0xfffe
	s_cbranch_vccnz .LBB349_30
; %bb.23:                               ;   in Loop: Header=BB349_6 Depth=1
	v_add_co_u32 v12, vcc_lo, v14, v6
	s_wait_alu 0xfffd
	v_add_co_ci_u32_e64 v13, null, v15, v7, vcc_lo
	flat_load_b64 v[16:17], v[12:13]
	s_wait_loadcnt_dscnt 0x0
	v_fma_f64 v[16:17], s[6:7], v[16:17], v[10:11]
	flat_store_b64 v[12:13], v[16:17]
	s_cbranch_execnz .LBB349_25
.LBB349_24:                             ;   in Loop: Header=BB349_6 Depth=1
	v_add_co_u32 v12, vcc_lo, v14, v6
	s_wait_alu 0xfffd
	v_add_co_ci_u32_e64 v13, null, v15, v7, vcc_lo
	flat_store_b64 v[12:13], v[10:11]
.LBB349_25:                             ;   in Loop: Header=BB349_6 Depth=1
	s_wait_alu 0xfffe
	s_or_b32 exec_lo, exec_lo, s12
	s_and_saveexec_b32 s12, s31
	s_cbranch_execz .LBB349_5
; %bb.26:                               ;   in Loop: Header=BB349_6 Depth=1
	v_mul_f64_e32 v[8:9], s[8:9], v[8:9]
	v_lshlrev_b64_e32 v[10:11], 3, v[0:1]
	s_and_not1_b32 vcc_lo, exec_lo, s28
	s_wait_alu 0xfffe
	s_cbranch_vccnz .LBB349_31
; %bb.27:                               ;   in Loop: Header=BB349_6 Depth=1
	s_delay_alu instid0(VALU_DEP_1)
	v_add_co_u32 v12, vcc_lo, v14, v10
	s_wait_alu 0xfffd
	v_add_co_ci_u32_e64 v13, null, v15, v11, vcc_lo
	flat_load_b64 v[16:17], v[12:13]
	s_wait_loadcnt_dscnt 0x0
	v_fma_f64 v[16:17], s[6:7], v[16:17], v[8:9]
	flat_store_b64 v[12:13], v[16:17]
	s_cbranch_execnz .LBB349_5
	s_branch .LBB349_32
.LBB349_28:                             ;   in Loop: Header=BB349_6 Depth=1
	s_branch .LBB349_16
.LBB349_29:                             ;   in Loop: Header=BB349_6 Depth=1
	s_branch .LBB349_20
.LBB349_30:                             ;   in Loop: Header=BB349_6 Depth=1
	s_branch .LBB349_24
.LBB349_31:                             ;   in Loop: Header=BB349_6 Depth=1
.LBB349_32:                             ;   in Loop: Header=BB349_6 Depth=1
	s_delay_alu instid0(VALU_DEP_1)
	v_add_co_u32 v10, vcc_lo, v14, v10
	s_wait_alu 0xfffd
	v_add_co_ci_u32_e64 v11, null, v15, v11, vcc_lo
	flat_store_b64 v[10:11], v[8:9]
	s_branch .LBB349_5
.LBB349_33:
	s_endpgm
	.section	.rodata,"a",@progbits
	.p2align	6, 0x0
	.amdhsa_kernel _ZL29rocblas_internal_gemmt_kernelIiLi16ELi32ELi8ELc67ELc84ELc85ELb0ELb0EddPKPKdPKPdEviT_T9_T10_S7_lS9_S7_lS8_T11_S7_li
		.amdhsa_group_segment_fixed_size 4096
		.amdhsa_private_segment_fixed_size 0
		.amdhsa_kernarg_size 100
		.amdhsa_user_sgpr_count 2
		.amdhsa_user_sgpr_dispatch_ptr 0
		.amdhsa_user_sgpr_queue_ptr 0
		.amdhsa_user_sgpr_kernarg_segment_ptr 1
		.amdhsa_user_sgpr_dispatch_id 0
		.amdhsa_user_sgpr_private_segment_size 0
		.amdhsa_wavefront_size32 1
		.amdhsa_uses_dynamic_stack 0
		.amdhsa_enable_private_segment 0
		.amdhsa_system_sgpr_workgroup_id_x 1
		.amdhsa_system_sgpr_workgroup_id_y 1
		.amdhsa_system_sgpr_workgroup_id_z 1
		.amdhsa_system_sgpr_workgroup_info 0
		.amdhsa_system_vgpr_workitem_id 1
		.amdhsa_next_free_vgpr 55
		.amdhsa_next_free_sgpr 35
		.amdhsa_reserve_vcc 1
		.amdhsa_float_round_mode_32 0
		.amdhsa_float_round_mode_16_64 0
		.amdhsa_float_denorm_mode_32 3
		.amdhsa_float_denorm_mode_16_64 3
		.amdhsa_fp16_overflow 0
		.amdhsa_workgroup_processor_mode 1
		.amdhsa_memory_ordered 1
		.amdhsa_forward_progress 1
		.amdhsa_inst_pref_size 17
		.amdhsa_round_robin_scheduling 0
		.amdhsa_exception_fp_ieee_invalid_op 0
		.amdhsa_exception_fp_denorm_src 0
		.amdhsa_exception_fp_ieee_div_zero 0
		.amdhsa_exception_fp_ieee_overflow 0
		.amdhsa_exception_fp_ieee_underflow 0
		.amdhsa_exception_fp_ieee_inexact 0
		.amdhsa_exception_int_div_zero 0
	.end_amdhsa_kernel
	.section	.text._ZL29rocblas_internal_gemmt_kernelIiLi16ELi32ELi8ELc67ELc84ELc85ELb0ELb0EddPKPKdPKPdEviT_T9_T10_S7_lS9_S7_lS8_T11_S7_li,"axG",@progbits,_ZL29rocblas_internal_gemmt_kernelIiLi16ELi32ELi8ELc67ELc84ELc85ELb0ELb0EddPKPKdPKPdEviT_T9_T10_S7_lS9_S7_lS8_T11_S7_li,comdat
.Lfunc_end349:
	.size	_ZL29rocblas_internal_gemmt_kernelIiLi16ELi32ELi8ELc67ELc84ELc85ELb0ELb0EddPKPKdPKPdEviT_T9_T10_S7_lS9_S7_lS8_T11_S7_li, .Lfunc_end349-_ZL29rocblas_internal_gemmt_kernelIiLi16ELi32ELi8ELc67ELc84ELc85ELb0ELb0EddPKPKdPKPdEviT_T9_T10_S7_lS9_S7_lS8_T11_S7_li
                                        ; -- End function
	.set _ZL29rocblas_internal_gemmt_kernelIiLi16ELi32ELi8ELc67ELc84ELc85ELb0ELb0EddPKPKdPKPdEviT_T9_T10_S7_lS9_S7_lS8_T11_S7_li.num_vgpr, 55
	.set _ZL29rocblas_internal_gemmt_kernelIiLi16ELi32ELi8ELc67ELc84ELc85ELb0ELb0EddPKPKdPKPdEviT_T9_T10_S7_lS9_S7_lS8_T11_S7_li.num_agpr, 0
	.set _ZL29rocblas_internal_gemmt_kernelIiLi16ELi32ELi8ELc67ELc84ELc85ELb0ELb0EddPKPKdPKPdEviT_T9_T10_S7_lS9_S7_lS8_T11_S7_li.numbered_sgpr, 35
	.set _ZL29rocblas_internal_gemmt_kernelIiLi16ELi32ELi8ELc67ELc84ELc85ELb0ELb0EddPKPKdPKPdEviT_T9_T10_S7_lS9_S7_lS8_T11_S7_li.num_named_barrier, 0
	.set _ZL29rocblas_internal_gemmt_kernelIiLi16ELi32ELi8ELc67ELc84ELc85ELb0ELb0EddPKPKdPKPdEviT_T9_T10_S7_lS9_S7_lS8_T11_S7_li.private_seg_size, 0
	.set _ZL29rocblas_internal_gemmt_kernelIiLi16ELi32ELi8ELc67ELc84ELc85ELb0ELb0EddPKPKdPKPdEviT_T9_T10_S7_lS9_S7_lS8_T11_S7_li.uses_vcc, 1
	.set _ZL29rocblas_internal_gemmt_kernelIiLi16ELi32ELi8ELc67ELc84ELc85ELb0ELb0EddPKPKdPKPdEviT_T9_T10_S7_lS9_S7_lS8_T11_S7_li.uses_flat_scratch, 0
	.set _ZL29rocblas_internal_gemmt_kernelIiLi16ELi32ELi8ELc67ELc84ELc85ELb0ELb0EddPKPKdPKPdEviT_T9_T10_S7_lS9_S7_lS8_T11_S7_li.has_dyn_sized_stack, 0
	.set _ZL29rocblas_internal_gemmt_kernelIiLi16ELi32ELi8ELc67ELc84ELc85ELb0ELb0EddPKPKdPKPdEviT_T9_T10_S7_lS9_S7_lS8_T11_S7_li.has_recursion, 0
	.set _ZL29rocblas_internal_gemmt_kernelIiLi16ELi32ELi8ELc67ELc84ELc85ELb0ELb0EddPKPKdPKPdEviT_T9_T10_S7_lS9_S7_lS8_T11_S7_li.has_indirect_call, 0
	.section	.AMDGPU.csdata,"",@progbits
; Kernel info:
; codeLenInByte = 2060
; TotalNumSgprs: 37
; NumVgprs: 55
; ScratchSize: 0
; MemoryBound: 0
; FloatMode: 240
; IeeeMode: 1
; LDSByteSize: 4096 bytes/workgroup (compile time only)
; SGPRBlocks: 0
; VGPRBlocks: 6
; NumSGPRsForWavesPerEU: 37
; NumVGPRsForWavesPerEU: 55
; Occupancy: 16
; WaveLimiterHint : 1
; COMPUTE_PGM_RSRC2:SCRATCH_EN: 0
; COMPUTE_PGM_RSRC2:USER_SGPR: 2
; COMPUTE_PGM_RSRC2:TRAP_HANDLER: 0
; COMPUTE_PGM_RSRC2:TGID_X_EN: 1
; COMPUTE_PGM_RSRC2:TGID_Y_EN: 1
; COMPUTE_PGM_RSRC2:TGID_Z_EN: 1
; COMPUTE_PGM_RSRC2:TIDIG_COMP_CNT: 1
	.section	.text._ZL29rocblas_internal_gemmt_kernelIiLi16ELi32ELi8ELc67ELc67ELc85ELb0ELb0EddPKPKdPKPdEviT_T9_T10_S7_lS9_S7_lS8_T11_S7_li,"axG",@progbits,_ZL29rocblas_internal_gemmt_kernelIiLi16ELi32ELi8ELc67ELc67ELc85ELb0ELb0EddPKPKdPKPdEviT_T9_T10_S7_lS9_S7_lS8_T11_S7_li,comdat
	.globl	_ZL29rocblas_internal_gemmt_kernelIiLi16ELi32ELi8ELc67ELc67ELc85ELb0ELb0EddPKPKdPKPdEviT_T9_T10_S7_lS9_S7_lS8_T11_S7_li ; -- Begin function _ZL29rocblas_internal_gemmt_kernelIiLi16ELi32ELi8ELc67ELc67ELc85ELb0ELb0EddPKPKdPKPdEviT_T9_T10_S7_lS9_S7_lS8_T11_S7_li
	.p2align	8
	.type	_ZL29rocblas_internal_gemmt_kernelIiLi16ELi32ELi8ELc67ELc67ELc85ELb0ELb0EddPKPKdPKPdEviT_T9_T10_S7_lS9_S7_lS8_T11_S7_li,@function
_ZL29rocblas_internal_gemmt_kernelIiLi16ELi32ELi8ELc67ELc67ELc85ELb0ELb0EddPKPKdPKPdEviT_T9_T10_S7_lS9_S7_lS8_T11_S7_li: ; @_ZL29rocblas_internal_gemmt_kernelIiLi16ELi32ELi8ELc67ELc67ELc85ELb0ELb0EddPKPKdPKPdEviT_T9_T10_S7_lS9_S7_lS8_T11_S7_li
; %bb.0:
	s_clause 0x2
	s_load_b128 s[4:7], s[0:1], 0x38
	s_load_b64 s[20:21], s[0:1], 0x0
	s_load_b128 s[8:11], s[0:1], 0x8
	s_wait_kmcnt 0x0
	v_cmp_neq_f64_e64 s2, s[6:7], 1.0
	s_and_b32 vcc_lo, exec_lo, s2
	s_cbranch_vccnz .LBB350_2
; %bb.1:
	v_cmp_neq_f64_e64 s2, s[8:9], 0
	s_cmp_lg_u32 s21, 0
	s_cselect_b32 s3, -1, 0
	s_delay_alu instid0(SALU_CYCLE_1)
	s_and_b32 s2, s3, s2
.LBB350_2:
	s_delay_alu instid0(SALU_CYCLE_1)
	s_and_not1_b32 vcc_lo, exec_lo, s2
	s_cbranch_vccnz .LBB350_33
; %bb.3:
	s_load_b32 s19, s[0:1], 0x60
	s_lshr_b32 s22, ttmp7, 16
	s_wait_kmcnt 0x0
	s_cmp_ge_u32 s22, s19
	s_cbranch_scc1 .LBB350_33
; %bb.4:
	v_dual_mov_b32 v32, 0 :: v_dual_and_b32 v1, 0x3ff, v0
	v_bfe_u32 v2, v0, 10, 10
	v_and_b32_e32 v26, 7, v0
	s_clause 0x4
	s_load_b32 s31, s[0:1], 0x18
	s_load_b128 s[12:15], s[0:1], 0x20
	s_load_b96 s[16:18], s[0:1], 0x48
	s_load_b64 s[26:27], s[0:1], 0x58
	s_load_b32 s24, s[0:1], 0x30
	v_lshl_add_u32 v0, v2, 4, v1
	v_lshlrev_b32_e32 v4, 3, v26
	s_lshl_b32 s0, ttmp7, 5
	s_lshl_b32 s1, ttmp9, 5
	v_cmp_neq_f64_e64 s33, s[8:9], 0
	v_and_b32_e32 v3, 31, v0
	v_lshrrev_b32_e32 v27, 5, v0
	v_lshrrev_b32_e32 v0, 3, v0
	s_and_b32 s2, s0, 0x1fffe0
	v_add_nc_u32_e32 v6, s1, v1
	v_cmp_neq_f64_e64 s28, s[6:7], 0
	v_or_b32_e32 v5, s1, v3
	v_add_nc_u32_e32 v12, s2, v0
	v_lshl_or_b32 v0, v0, 6, v4
	v_lshlrev_b32_e32 v3, 3, v3
	v_add_nc_u32_e32 v4, s2, v2
	v_cmp_gt_i32_e64 s0, s20, v5
	v_lshl_add_u32 v31, v2, 6, 0x800
	v_add_nc_u32_e32 v29, 0x800, v0
	v_add_nc_u32_e32 v0, 16, v6
	v_lshl_or_b32 v28, v27, 8, v3
	v_cmp_gt_i32_e32 vcc_lo, s20, v4
	v_cmp_le_i32_e64 s2, v6, v4
	s_wait_kmcnt 0x0
	v_mad_co_i64_i32 v[2:3], null, v4, s18, 0
	v_cmp_le_i32_e64 s3, v0, v4
	v_add_nc_u32_e32 v13, 16, v4
	v_mad_co_i64_i32 v[4:5], null, s31, v5, 0
	v_mad_co_i64_i32 v[8:9], null, s24, v26, 0
	s_ashr_i32 s25, s24, 31
	s_cmp_gt_i32 s21, 0
	v_mad_co_i64_i32 v[10:11], null, v13, s18, 0
	v_lshlrev_b64_e32 v[4:5], 3, v[4:5]
	s_cselect_b32 s34, -1, 0
	s_and_b32 s29, vcc_lo, s2
	s_and_b32 s30, vcc_lo, s3
	v_cmp_gt_i32_e32 vcc_lo, s20, v13
	v_cmp_le_i32_e64 s2, v6, v13
	v_lshlrev_b64_e32 v[8:9], 3, v[8:9]
	s_lshl_b64 s[12:13], s[12:13], 3
	s_lshl_b64 s[4:5], s[4:5], 3
	v_add_co_u32 v4, s3, v4, s12
	s_and_b32 s18, vcc_lo, s2
	v_cmp_le_i32_e64 s2, v0, v13
	v_lshlrev_b32_e32 v13, 3, v27
	v_cmp_gt_i32_e64 s1, s20, v12
	v_add_co_ci_u32_e64 v5, null, s13, v5, s3
	v_add_co_u32 v8, s3, v8, s4
	v_lshlrev_b32_e32 v12, 3, v12
	v_ashrrev_i32_e32 v7, 31, v6
	s_wait_alu 0xf1ff
	v_add_co_ci_u32_e64 v9, null, s5, v9, s3
	v_add_co_u32 v33, s3, v4, v13
	s_wait_alu 0xf1ff
	v_add_co_ci_u32_e64 v34, null, 0, v5, s3
	v_add_co_u32 v35, s3, v8, v12
	v_lshlrev_b64_e32 v[2:3], 3, v[2:3]
	v_lshlrev_b64_e32 v[4:5], 3, v[10:11]
	;; [unrolled: 1-line block ×3, first 2 shown]
	v_lshlrev_b32_e32 v30, 3, v1
	v_ashrrev_i32_e32 v1, 31, v0
	s_wait_alu 0xf1ff
	v_add_co_ci_u32_e64 v36, null, 0, v9, s3
	s_mov_b32 s23, 0
	s_and_b32 s20, s33, s34
	s_and_b32 s31, vcc_lo, s2
	s_wait_alu 0xfffe
	s_lshl_b64 s[2:3], s[24:25], 6
	s_lshl_b64 s[4:5], s[26:27], 3
	s_branch .LBB350_6
.LBB350_5:                              ;   in Loop: Header=BB350_6 Depth=1
	s_wait_alu 0xfffe
	s_or_b32 exec_lo, exec_lo, s12
	s_add_co_i32 s22, s22, 0x10000
	s_delay_alu instid0(SALU_CYCLE_1)
	s_cmp_lt_u32 s22, s19
	s_cbranch_scc0 .LBB350_33
.LBB350_6:                              ; =>This Loop Header: Depth=1
                                        ;     Child Loop BB350_9 Depth 2
	s_lshl_b64 s[12:13], s[22:23], 3
	v_mov_b32_e32 v20, 0
	s_wait_alu 0xfffe
	s_add_nc_u64 s[24:25], s[16:17], s[12:13]
	v_mov_b32_e32 v12, 0
	global_load_b64 v[10:11], v32, s[24:25]
	v_dual_mov_b32 v21, 0 :: v_dual_mov_b32 v14, 0
	v_dual_mov_b32 v13, 0 :: v_dual_mov_b32 v8, 0
	v_mov_b32_e32 v15, 0
	v_mov_b32_e32 v9, 0
	s_and_not1_b32 vcc_lo, exec_lo, s20
	s_wait_alu 0xfffe
	s_cbranch_vccnz .LBB350_13
; %bb.7:                                ;   in Loop: Header=BB350_6 Depth=1
	s_add_nc_u64 s[24:25], s[10:11], s[12:13]
	s_add_nc_u64 s[12:13], s[14:15], s[12:13]
	s_clause 0x1
	global_load_b64 v[16:17], v32, s[24:25]
	global_load_b64 v[18:19], v32, s[12:13]
	v_mov_b32_e32 v8, 0
	v_dual_mov_b32 v14, 0 :: v_dual_mov_b32 v9, 0
	v_dual_mov_b32 v12, 0 :: v_dual_mov_b32 v15, 0
	;; [unrolled: 1-line block ×3, first 2 shown]
	v_mov_b32_e32 v21, 0
	s_mov_b32 s12, 0
	s_wait_loadcnt 0x1
	v_add_co_u32 v16, vcc_lo, v16, v33
	s_wait_alu 0xfffd
	v_add_co_ci_u32_e64 v17, null, v17, v34, vcc_lo
	s_wait_loadcnt 0x0
	v_add_co_u32 v18, vcc_lo, v18, v35
	s_wait_alu 0xfffd
	v_add_co_ci_u32_e64 v19, null, v19, v36, vcc_lo
	s_branch .LBB350_9
.LBB350_8:                              ;   in Loop: Header=BB350_9 Depth=2
	s_wait_alu 0xfffe
	s_or_b32 exec_lo, exec_lo, s13
	s_wait_loadcnt_dscnt 0x0
	ds_store_b64 v29, v[24:25]
	s_wait_dscnt 0x0
	s_barrier_signal -1
	s_barrier_wait -1
	global_inv scope:SCOPE_SE
	ds_load_b128 v[22:25], v31
	ds_load_2addr_b64 v[37:40], v30 offset1:16
	ds_load_b128 v[41:44], v31 offset:1024
	ds_load_b128 v[45:48], v31 offset:16
	;; [unrolled: 1-line block ×3, first 2 shown]
	v_add_co_u32 v16, vcc_lo, v16, 64
	s_wait_alu 0xfffd
	v_add_co_ci_u32_e64 v17, null, 0, v17, vcc_lo
	v_add_co_u32 v18, vcc_lo, v18, s2
	s_wait_alu 0xfffd
	v_add_co_ci_u32_e64 v19, null, s3, v19, vcc_lo
	s_add_co_i32 s12, s12, 8
	s_wait_alu 0xfffe
	s_cmp_lt_i32 s12, s21
	s_wait_dscnt 0x3
	v_fma_f64 v[20:21], v[37:38], v[22:23], v[20:21]
	v_fma_f64 v[22:23], v[39:40], v[22:23], v[14:15]
	s_wait_dscnt 0x2
	v_fma_f64 v[37:38], v[37:38], v[41:42], v[12:13]
	v_fma_f64 v[8:9], v[39:40], v[41:42], v[8:9]
	ds_load_2addr_b64 v[12:15], v30 offset0:32 offset1:48
	s_wait_dscnt 0x0
	v_fma_f64 v[20:21], v[12:13], v[24:25], v[20:21]
	v_fma_f64 v[22:23], v[14:15], v[24:25], v[22:23]
	v_fma_f64 v[24:25], v[12:13], v[43:44], v[37:38]
	v_fma_f64 v[8:9], v[14:15], v[43:44], v[8:9]
	ds_load_2addr_b64 v[12:15], v30 offset0:64 offset1:80
	s_wait_dscnt 0x0
	v_fma_f64 v[20:21], v[12:13], v[45:46], v[20:21]
	v_fma_f64 v[22:23], v[14:15], v[45:46], v[22:23]
	;; [unrolled: 6-line block ×3, first 2 shown]
	v_fma_f64 v[24:25], v[12:13], v[51:52], v[24:25]
	v_fma_f64 v[8:9], v[14:15], v[51:52], v[8:9]
	ds_load_b128 v[12:15], v31 offset:32
	ds_load_2addr_b64 v[20:23], v30 offset0:128 offset1:144
	ds_load_b128 v[37:40], v31 offset:1056
	ds_load_b128 v[41:44], v31 offset:48
	;; [unrolled: 1-line block ×3, first 2 shown]
	s_wait_dscnt 0x3
	v_fma_f64 v[49:50], v[20:21], v[12:13], v[49:50]
	v_fma_f64 v[12:13], v[22:23], v[12:13], v[53:54]
	s_wait_dscnt 0x2
	v_fma_f64 v[24:25], v[20:21], v[37:38], v[24:25]
	v_fma_f64 v[8:9], v[22:23], v[37:38], v[8:9]
	ds_load_2addr_b64 v[20:23], v30 offset0:160 offset1:176
	s_wait_dscnt 0x0
	v_fma_f64 v[37:38], v[20:21], v[14:15], v[49:50]
	v_fma_f64 v[49:50], v[22:23], v[14:15], v[12:13]
	;; [unrolled: 1-line block ×4, first 2 shown]
	ds_load_2addr_b64 v[12:15], v30 offset0:192 offset1:208
	ds_load_2addr_b64 v[22:25], v30 offset0:224 offset1:240
	s_wait_loadcnt_dscnt 0x0
	s_barrier_signal -1
	s_barrier_wait -1
	global_inv scope:SCOPE_SE
	v_fma_f64 v[37:38], v[12:13], v[41:42], v[37:38]
	v_fma_f64 v[39:40], v[14:15], v[41:42], v[49:50]
	;; [unrolled: 1-line block ×4, first 2 shown]
	s_delay_alu instid0(VALU_DEP_4) | instskip(NEXT) | instid1(VALU_DEP_4)
	v_fma_f64 v[20:21], v[22:23], v[43:44], v[37:38]
	v_fma_f64 v[14:15], v[24:25], v[43:44], v[39:40]
	s_delay_alu instid0(VALU_DEP_4) | instskip(NEXT) | instid1(VALU_DEP_4)
	v_fma_f64 v[12:13], v[22:23], v[47:48], v[12:13]
	v_fma_f64 v[8:9], v[24:25], v[47:48], v[8:9]
	s_cbranch_scc0 .LBB350_13
.LBB350_9:                              ;   Parent Loop BB350_6 Depth=1
                                        ; =>  This Inner Loop Header: Depth=2
	s_wait_alu 0xfffe
	v_add_nc_u32_e32 v22, s12, v27
	s_delay_alu instid0(VALU_DEP_1)
	v_cmp_gt_i32_e32 vcc_lo, s21, v22
	v_mov_b32_e32 v22, 0
	v_mov_b32_e32 v23, 0
	s_and_b32 s24, s0, vcc_lo
	s_wait_alu 0xfffe
	s_and_saveexec_b32 s13, s24
	s_cbranch_execz .LBB350_11
; %bb.10:                               ;   in Loop: Header=BB350_9 Depth=2
	flat_load_b64 v[22:23], v[16:17]
.LBB350_11:                             ;   in Loop: Header=BB350_9 Depth=2
	s_wait_alu 0xfffe
	s_or_b32 exec_lo, exec_lo, s13
	v_add_nc_u32_e32 v24, s12, v26
	s_wait_loadcnt_dscnt 0x0
	ds_store_b64 v28, v[22:23]
	v_cmp_gt_i32_e32 vcc_lo, s21, v24
	v_mov_b32_e32 v24, 0
	v_mov_b32_e32 v25, 0
	s_and_b32 s24, vcc_lo, s1
	s_wait_alu 0xfffe
	s_and_saveexec_b32 s13, s24
	s_cbranch_execz .LBB350_8
; %bb.12:                               ;   in Loop: Header=BB350_9 Depth=2
	flat_load_b64 v[24:25], v[18:19]
	s_branch .LBB350_8
.LBB350_13:                             ;   in Loop: Header=BB350_6 Depth=1
	s_wait_loadcnt 0x0
	v_add_co_u32 v16, vcc_lo, v10, s4
	s_wait_alu 0xfffd
	v_add_co_ci_u32_e64 v17, null, s5, v11, vcc_lo
	s_delay_alu instid0(VALU_DEP_2) | instskip(SKIP_1) | instid1(VALU_DEP_2)
	v_add_co_u32 v18, vcc_lo, v16, v2
	s_wait_alu 0xfffd
	v_add_co_ci_u32_e64 v19, null, v17, v3, vcc_lo
	s_and_saveexec_b32 s12, s29
	s_cbranch_execz .LBB350_17
; %bb.14:                               ;   in Loop: Header=BB350_6 Depth=1
	v_mul_f64_e32 v[10:11], s[8:9], v[20:21]
	s_and_b32 vcc_lo, exec_lo, s28
	s_wait_alu 0xfffe
	s_cbranch_vccz .LBB350_28
; %bb.15:                               ;   in Loop: Header=BB350_6 Depth=1
	v_add_co_u32 v20, vcc_lo, v18, v6
	s_wait_alu 0xfffd
	v_add_co_ci_u32_e64 v21, null, v19, v7, vcc_lo
	flat_load_b64 v[22:23], v[20:21]
	s_wait_loadcnt_dscnt 0x0
	v_fma_f64 v[22:23], s[6:7], v[22:23], v[10:11]
	flat_store_b64 v[20:21], v[22:23]
	s_cbranch_execnz .LBB350_17
.LBB350_16:                             ;   in Loop: Header=BB350_6 Depth=1
	v_add_co_u32 v20, vcc_lo, v18, v6
	s_wait_alu 0xfffd
	v_add_co_ci_u32_e64 v21, null, v19, v7, vcc_lo
	flat_store_b64 v[20:21], v[10:11]
.LBB350_17:                             ;   in Loop: Header=BB350_6 Depth=1
	s_wait_alu 0xfffe
	s_or_b32 exec_lo, exec_lo, s12
	s_and_saveexec_b32 s12, s30
	s_cbranch_execz .LBB350_21
; %bb.18:                               ;   in Loop: Header=BB350_6 Depth=1
	v_mul_f64_e32 v[10:11], s[8:9], v[14:15]
	s_and_not1_b32 vcc_lo, exec_lo, s28
	s_wait_alu 0xfffe
	s_cbranch_vccnz .LBB350_29
; %bb.19:                               ;   in Loop: Header=BB350_6 Depth=1
	v_lshlrev_b64_e32 v[14:15], 3, v[0:1]
	s_delay_alu instid0(VALU_DEP_1) | instskip(SKIP_1) | instid1(VALU_DEP_2)
	v_add_co_u32 v14, vcc_lo, v18, v14
	s_wait_alu 0xfffd
	v_add_co_ci_u32_e64 v15, null, v19, v15, vcc_lo
	flat_load_b64 v[20:21], v[14:15]
	s_wait_loadcnt_dscnt 0x0
	v_fma_f64 v[20:21], s[6:7], v[20:21], v[10:11]
	flat_store_b64 v[14:15], v[20:21]
	s_cbranch_execnz .LBB350_21
.LBB350_20:                             ;   in Loop: Header=BB350_6 Depth=1
	v_lshlrev_b64_e32 v[14:15], 3, v[0:1]
	s_delay_alu instid0(VALU_DEP_1) | instskip(SKIP_1) | instid1(VALU_DEP_2)
	v_add_co_u32 v14, vcc_lo, v18, v14
	s_wait_alu 0xfffd
	v_add_co_ci_u32_e64 v15, null, v19, v15, vcc_lo
	flat_store_b64 v[14:15], v[10:11]
.LBB350_21:                             ;   in Loop: Header=BB350_6 Depth=1
	s_wait_alu 0xfffe
	s_or_b32 exec_lo, exec_lo, s12
	v_add_co_u32 v14, vcc_lo, v16, v4
	s_wait_alu 0xfffd
	v_add_co_ci_u32_e64 v15, null, v17, v5, vcc_lo
	s_and_saveexec_b32 s12, s18
	s_cbranch_execz .LBB350_25
; %bb.22:                               ;   in Loop: Header=BB350_6 Depth=1
	v_mul_f64_e32 v[10:11], s[8:9], v[12:13]
	s_and_not1_b32 vcc_lo, exec_lo, s28
	s_wait_alu 0xfffe
	s_cbranch_vccnz .LBB350_30
; %bb.23:                               ;   in Loop: Header=BB350_6 Depth=1
	v_add_co_u32 v12, vcc_lo, v14, v6
	s_wait_alu 0xfffd
	v_add_co_ci_u32_e64 v13, null, v15, v7, vcc_lo
	flat_load_b64 v[16:17], v[12:13]
	s_wait_loadcnt_dscnt 0x0
	v_fma_f64 v[16:17], s[6:7], v[16:17], v[10:11]
	flat_store_b64 v[12:13], v[16:17]
	s_cbranch_execnz .LBB350_25
.LBB350_24:                             ;   in Loop: Header=BB350_6 Depth=1
	v_add_co_u32 v12, vcc_lo, v14, v6
	s_wait_alu 0xfffd
	v_add_co_ci_u32_e64 v13, null, v15, v7, vcc_lo
	flat_store_b64 v[12:13], v[10:11]
.LBB350_25:                             ;   in Loop: Header=BB350_6 Depth=1
	s_wait_alu 0xfffe
	s_or_b32 exec_lo, exec_lo, s12
	s_and_saveexec_b32 s12, s31
	s_cbranch_execz .LBB350_5
; %bb.26:                               ;   in Loop: Header=BB350_6 Depth=1
	v_mul_f64_e32 v[8:9], s[8:9], v[8:9]
	v_lshlrev_b64_e32 v[10:11], 3, v[0:1]
	s_and_not1_b32 vcc_lo, exec_lo, s28
	s_wait_alu 0xfffe
	s_cbranch_vccnz .LBB350_31
; %bb.27:                               ;   in Loop: Header=BB350_6 Depth=1
	s_delay_alu instid0(VALU_DEP_1)
	v_add_co_u32 v12, vcc_lo, v14, v10
	s_wait_alu 0xfffd
	v_add_co_ci_u32_e64 v13, null, v15, v11, vcc_lo
	flat_load_b64 v[16:17], v[12:13]
	s_wait_loadcnt_dscnt 0x0
	v_fma_f64 v[16:17], s[6:7], v[16:17], v[8:9]
	flat_store_b64 v[12:13], v[16:17]
	s_cbranch_execnz .LBB350_5
	s_branch .LBB350_32
.LBB350_28:                             ;   in Loop: Header=BB350_6 Depth=1
	s_branch .LBB350_16
.LBB350_29:                             ;   in Loop: Header=BB350_6 Depth=1
	s_branch .LBB350_20
.LBB350_30:                             ;   in Loop: Header=BB350_6 Depth=1
	s_branch .LBB350_24
.LBB350_31:                             ;   in Loop: Header=BB350_6 Depth=1
.LBB350_32:                             ;   in Loop: Header=BB350_6 Depth=1
	s_delay_alu instid0(VALU_DEP_1)
	v_add_co_u32 v10, vcc_lo, v14, v10
	s_wait_alu 0xfffd
	v_add_co_ci_u32_e64 v11, null, v15, v11, vcc_lo
	flat_store_b64 v[10:11], v[8:9]
	s_branch .LBB350_5
.LBB350_33:
	s_endpgm
	.section	.rodata,"a",@progbits
	.p2align	6, 0x0
	.amdhsa_kernel _ZL29rocblas_internal_gemmt_kernelIiLi16ELi32ELi8ELc67ELc67ELc85ELb0ELb0EddPKPKdPKPdEviT_T9_T10_S7_lS9_S7_lS8_T11_S7_li
		.amdhsa_group_segment_fixed_size 4096
		.amdhsa_private_segment_fixed_size 0
		.amdhsa_kernarg_size 100
		.amdhsa_user_sgpr_count 2
		.amdhsa_user_sgpr_dispatch_ptr 0
		.amdhsa_user_sgpr_queue_ptr 0
		.amdhsa_user_sgpr_kernarg_segment_ptr 1
		.amdhsa_user_sgpr_dispatch_id 0
		.amdhsa_user_sgpr_private_segment_size 0
		.amdhsa_wavefront_size32 1
		.amdhsa_uses_dynamic_stack 0
		.amdhsa_enable_private_segment 0
		.amdhsa_system_sgpr_workgroup_id_x 1
		.amdhsa_system_sgpr_workgroup_id_y 1
		.amdhsa_system_sgpr_workgroup_id_z 1
		.amdhsa_system_sgpr_workgroup_info 0
		.amdhsa_system_vgpr_workitem_id 1
		.amdhsa_next_free_vgpr 55
		.amdhsa_next_free_sgpr 35
		.amdhsa_reserve_vcc 1
		.amdhsa_float_round_mode_32 0
		.amdhsa_float_round_mode_16_64 0
		.amdhsa_float_denorm_mode_32 3
		.amdhsa_float_denorm_mode_16_64 3
		.amdhsa_fp16_overflow 0
		.amdhsa_workgroup_processor_mode 1
		.amdhsa_memory_ordered 1
		.amdhsa_forward_progress 1
		.amdhsa_inst_pref_size 17
		.amdhsa_round_robin_scheduling 0
		.amdhsa_exception_fp_ieee_invalid_op 0
		.amdhsa_exception_fp_denorm_src 0
		.amdhsa_exception_fp_ieee_div_zero 0
		.amdhsa_exception_fp_ieee_overflow 0
		.amdhsa_exception_fp_ieee_underflow 0
		.amdhsa_exception_fp_ieee_inexact 0
		.amdhsa_exception_int_div_zero 0
	.end_amdhsa_kernel
	.section	.text._ZL29rocblas_internal_gemmt_kernelIiLi16ELi32ELi8ELc67ELc67ELc85ELb0ELb0EddPKPKdPKPdEviT_T9_T10_S7_lS9_S7_lS8_T11_S7_li,"axG",@progbits,_ZL29rocblas_internal_gemmt_kernelIiLi16ELi32ELi8ELc67ELc67ELc85ELb0ELb0EddPKPKdPKPdEviT_T9_T10_S7_lS9_S7_lS8_T11_S7_li,comdat
.Lfunc_end350:
	.size	_ZL29rocblas_internal_gemmt_kernelIiLi16ELi32ELi8ELc67ELc67ELc85ELb0ELb0EddPKPKdPKPdEviT_T9_T10_S7_lS9_S7_lS8_T11_S7_li, .Lfunc_end350-_ZL29rocblas_internal_gemmt_kernelIiLi16ELi32ELi8ELc67ELc67ELc85ELb0ELb0EddPKPKdPKPdEviT_T9_T10_S7_lS9_S7_lS8_T11_S7_li
                                        ; -- End function
	.set _ZL29rocblas_internal_gemmt_kernelIiLi16ELi32ELi8ELc67ELc67ELc85ELb0ELb0EddPKPKdPKPdEviT_T9_T10_S7_lS9_S7_lS8_T11_S7_li.num_vgpr, 55
	.set _ZL29rocblas_internal_gemmt_kernelIiLi16ELi32ELi8ELc67ELc67ELc85ELb0ELb0EddPKPKdPKPdEviT_T9_T10_S7_lS9_S7_lS8_T11_S7_li.num_agpr, 0
	.set _ZL29rocblas_internal_gemmt_kernelIiLi16ELi32ELi8ELc67ELc67ELc85ELb0ELb0EddPKPKdPKPdEviT_T9_T10_S7_lS9_S7_lS8_T11_S7_li.numbered_sgpr, 35
	.set _ZL29rocblas_internal_gemmt_kernelIiLi16ELi32ELi8ELc67ELc67ELc85ELb0ELb0EddPKPKdPKPdEviT_T9_T10_S7_lS9_S7_lS8_T11_S7_li.num_named_barrier, 0
	.set _ZL29rocblas_internal_gemmt_kernelIiLi16ELi32ELi8ELc67ELc67ELc85ELb0ELb0EddPKPKdPKPdEviT_T9_T10_S7_lS9_S7_lS8_T11_S7_li.private_seg_size, 0
	.set _ZL29rocblas_internal_gemmt_kernelIiLi16ELi32ELi8ELc67ELc67ELc85ELb0ELb0EddPKPKdPKPdEviT_T9_T10_S7_lS9_S7_lS8_T11_S7_li.uses_vcc, 1
	.set _ZL29rocblas_internal_gemmt_kernelIiLi16ELi32ELi8ELc67ELc67ELc85ELb0ELb0EddPKPKdPKPdEviT_T9_T10_S7_lS9_S7_lS8_T11_S7_li.uses_flat_scratch, 0
	.set _ZL29rocblas_internal_gemmt_kernelIiLi16ELi32ELi8ELc67ELc67ELc85ELb0ELb0EddPKPKdPKPdEviT_T9_T10_S7_lS9_S7_lS8_T11_S7_li.has_dyn_sized_stack, 0
	.set _ZL29rocblas_internal_gemmt_kernelIiLi16ELi32ELi8ELc67ELc67ELc85ELb0ELb0EddPKPKdPKPdEviT_T9_T10_S7_lS9_S7_lS8_T11_S7_li.has_recursion, 0
	.set _ZL29rocblas_internal_gemmt_kernelIiLi16ELi32ELi8ELc67ELc67ELc85ELb0ELb0EddPKPKdPKPdEviT_T9_T10_S7_lS9_S7_lS8_T11_S7_li.has_indirect_call, 0
	.section	.AMDGPU.csdata,"",@progbits
; Kernel info:
; codeLenInByte = 2060
; TotalNumSgprs: 37
; NumVgprs: 55
; ScratchSize: 0
; MemoryBound: 0
; FloatMode: 240
; IeeeMode: 1
; LDSByteSize: 4096 bytes/workgroup (compile time only)
; SGPRBlocks: 0
; VGPRBlocks: 6
; NumSGPRsForWavesPerEU: 37
; NumVGPRsForWavesPerEU: 55
; Occupancy: 16
; WaveLimiterHint : 1
; COMPUTE_PGM_RSRC2:SCRATCH_EN: 0
; COMPUTE_PGM_RSRC2:USER_SGPR: 2
; COMPUTE_PGM_RSRC2:TRAP_HANDLER: 0
; COMPUTE_PGM_RSRC2:TGID_X_EN: 1
; COMPUTE_PGM_RSRC2:TGID_Y_EN: 1
; COMPUTE_PGM_RSRC2:TGID_Z_EN: 1
; COMPUTE_PGM_RSRC2:TIDIG_COMP_CNT: 1
	.section	.text._ZL29rocblas_internal_gemmt_kernelIiLi16ELi32ELi8ELc78ELc78ELc76ELb0ELb0EddPKPKdPKPdEviT_T9_T10_S7_lS9_S7_lS8_T11_S7_li,"axG",@progbits,_ZL29rocblas_internal_gemmt_kernelIiLi16ELi32ELi8ELc78ELc78ELc76ELb0ELb0EddPKPKdPKPdEviT_T9_T10_S7_lS9_S7_lS8_T11_S7_li,comdat
	.globl	_ZL29rocblas_internal_gemmt_kernelIiLi16ELi32ELi8ELc78ELc78ELc76ELb0ELb0EddPKPKdPKPdEviT_T9_T10_S7_lS9_S7_lS8_T11_S7_li ; -- Begin function _ZL29rocblas_internal_gemmt_kernelIiLi16ELi32ELi8ELc78ELc78ELc76ELb0ELb0EddPKPKdPKPdEviT_T9_T10_S7_lS9_S7_lS8_T11_S7_li
	.p2align	8
	.type	_ZL29rocblas_internal_gemmt_kernelIiLi16ELi32ELi8ELc78ELc78ELc76ELb0ELb0EddPKPKdPKPdEviT_T9_T10_S7_lS9_S7_lS8_T11_S7_li,@function
_ZL29rocblas_internal_gemmt_kernelIiLi16ELi32ELi8ELc78ELc78ELc76ELb0ELb0EddPKPKdPKPdEviT_T9_T10_S7_lS9_S7_lS8_T11_S7_li: ; @_ZL29rocblas_internal_gemmt_kernelIiLi16ELi32ELi8ELc78ELc78ELc76ELb0ELb0EddPKPKdPKPdEviT_T9_T10_S7_lS9_S7_lS8_T11_S7_li
; %bb.0:
	s_clause 0x2
	s_load_b128 s[8:11], s[0:1], 0x38
	s_load_b64 s[4:5], s[0:1], 0x0
	s_load_b128 s[12:15], s[0:1], 0x8
	s_wait_kmcnt 0x0
	v_cmp_neq_f64_e64 s2, s[10:11], 1.0
	s_and_b32 vcc_lo, exec_lo, s2
	s_cbranch_vccnz .LBB351_2
; %bb.1:
	v_cmp_neq_f64_e64 s2, s[12:13], 0
	s_cmp_lg_u32 s5, 0
	s_cselect_b32 s3, -1, 0
	s_delay_alu instid0(SALU_CYCLE_1)
	s_and_b32 s2, s3, s2
.LBB351_2:
	s_delay_alu instid0(SALU_CYCLE_1)
	s_and_not1_b32 vcc_lo, exec_lo, s2
	s_cbranch_vccnz .LBB351_33
; %bb.3:
	s_load_b32 s23, s[0:1], 0x60
	s_lshr_b32 s6, ttmp7, 16
	s_wait_kmcnt 0x0
	s_cmp_ge_u32 s6, s23
	s_cbranch_scc1 .LBB351_33
; %bb.4:
	v_dual_mov_b32 v34, 0 :: v_dual_and_b32 v1, 0x3ff, v0
	v_bfe_u32 v2, v0, 10, 10
	s_load_b32 s24, s[0:1], 0x18
	v_and_b32_e32 v26, 7, v0
	s_clause 0x3
	s_load_b128 s[16:19], s[0:1], 0x20
	s_load_b32 s31, s[0:1], 0x30
	s_load_b96 s[20:22], s[0:1], 0x48
	s_load_b64 s[26:27], s[0:1], 0x58
	s_lshl_b32 s1, ttmp9, 5
	v_lshl_add_u32 v0, v2, 4, v1
	s_lshl_b32 s0, ttmp7, 5
	v_lshlrev_b32_e32 v14, 3, v26
	v_cmp_neq_f64_e64 s33, s[12:13], 0
	s_and_b32 s2, s0, 0x1fffe0
	v_and_b32_e32 v3, 31, v0
	v_lshrrev_b32_e32 v27, 5, v0
	v_lshrrev_b32_e32 v0, 3, v0
	v_cmp_neq_f64_e64 s28, s[10:11], 0
	v_lshl_add_u32 v31, v2, 6, 0x800
	v_or_b32_e32 v4, s1, v3
	v_lshlrev_b32_e32 v3, 3, v3
	v_add_nc_u32_e32 v12, s2, v0
	v_lshl_or_b32 v5, v0, 6, v14
	v_add_nc_u32_e32 v0, s1, v1
	v_cmp_gt_i32_e64 s0, s4, v4
	v_lshl_or_b32 v28, v27, 8, v3
	v_add_nc_u32_e32 v3, s2, v2
	s_wait_kmcnt 0x0
	v_mad_co_i64_i32 v[8:9], null, v27, s24, 0
	v_cmp_gt_i32_e64 s2, s4, v0
	v_add_nc_u32_e32 v2, 16, v0
	v_cmp_le_i32_e32 vcc_lo, v3, v0
	v_add_nc_u32_e32 v15, 16, v3
	s_ashr_i32 s25, s24, 31
	s_cmp_gt_i32 s5, 0
	v_cmp_gt_i32_e64 s1, s4, v12
	v_lshlrev_b64_e32 v[8:9], 3, v[8:9]
	v_mad_co_i64_i32 v[12:13], null, s31, v12, 0
	s_cselect_b32 s34, -1, 0
	v_add_nc_u32_e32 v29, 0x800, v5
	s_and_b32 s29, vcc_lo, s2
	v_cmp_le_i32_e32 vcc_lo, v3, v2
	v_cmp_gt_i32_e64 s3, s4, v2
	v_cmp_le_i32_e64 s4, v15, v0
	v_ashrrev_i32_e32 v5, 31, v4
	s_lshl_b64 s[16:17], s[16:17], 3
	v_mad_co_i64_i32 v[10:11], null, v15, s22, 0
	s_and_b32 s30, vcc_lo, s3
	s_and_b32 s4, s4, s2
	v_cmp_le_i32_e32 vcc_lo, v15, v2
	v_lshlrev_b64_e32 v[4:5], 3, v[4:5]
	v_add_co_u32 v15, s2, v8, s16
	s_wait_alu 0xf1ff
	v_add_co_ci_u32_e64 v16, null, s17, v9, s2
	v_lshlrev_b64_e32 v[8:9], 3, v[12:13]
	s_delay_alu instid0(VALU_DEP_3)
	v_add_co_u32 v32, s2, v15, v4
	s_lshl_b64 s[8:9], s[8:9], 3
	v_mad_co_i64_i32 v[6:7], null, v3, s22, 0
	s_wait_alu 0xf1ff
	v_add_co_ci_u32_e64 v33, null, v16, v5, s2
	v_add_co_u32 v4, s2, v8, s8
	s_wait_alu 0xf1ff
	v_add_co_ci_u32_e64 v5, null, s9, v9, s2
	v_lshlrev_b32_e32 v30, 3, v1
	s_delay_alu instid0(VALU_DEP_3) | instskip(SKIP_1) | instid1(VALU_DEP_3)
	v_add_co_u32 v35, s2, v4, v14
	s_wait_alu 0xf1ff
	v_add_co_ci_u32_e64 v36, null, 0, v5, s2
	v_lshlrev_b64_e32 v[4:5], 3, v[6:7]
	v_lshlrev_b64_e32 v[6:7], 3, v[10:11]
	v_ashrrev_i32_e32 v1, 31, v0
	v_ashrrev_i32_e32 v3, 31, v2
	s_mov_b32 s7, 0
	s_and_b32 s22, s33, s34
	s_and_b32 s31, vcc_lo, s3
	s_wait_alu 0xfffe
	s_lshl_b64 s[2:3], s[24:25], 6
	s_lshl_b64 s[8:9], s[26:27], 3
	s_branch .LBB351_6
.LBB351_5:                              ;   in Loop: Header=BB351_6 Depth=1
	s_wait_alu 0xfffe
	s_or_b32 exec_lo, exec_lo, s16
	s_add_co_i32 s6, s6, 0x10000
	s_delay_alu instid0(SALU_CYCLE_1)
	s_cmp_lt_u32 s6, s23
	s_cbranch_scc0 .LBB351_33
.LBB351_6:                              ; =>This Loop Header: Depth=1
                                        ;     Child Loop BB351_9 Depth 2
	s_lshl_b64 s[16:17], s[6:7], 3
	v_mov_b32_e32 v20, 0
	s_wait_alu 0xfffe
	s_add_nc_u64 s[24:25], s[20:21], s[16:17]
	v_mov_b32_e32 v10, 0
	global_load_b64 v[12:13], v34, s[24:25]
	v_dual_mov_b32 v21, 0 :: v_dual_mov_b32 v14, 0
	v_dual_mov_b32 v11, 0 :: v_dual_mov_b32 v8, 0
	v_mov_b32_e32 v15, 0
	v_mov_b32_e32 v9, 0
	s_and_not1_b32 vcc_lo, exec_lo, s22
	s_wait_alu 0xfffe
	s_cbranch_vccnz .LBB351_13
; %bb.7:                                ;   in Loop: Header=BB351_6 Depth=1
	s_add_nc_u64 s[24:25], s[14:15], s[16:17]
	s_add_nc_u64 s[16:17], s[18:19], s[16:17]
	s_clause 0x1
	global_load_b64 v[16:17], v34, s[24:25]
	global_load_b64 v[18:19], v34, s[16:17]
	v_mov_b32_e32 v8, 0
	v_dual_mov_b32 v14, 0 :: v_dual_mov_b32 v9, 0
	v_dual_mov_b32 v10, 0 :: v_dual_mov_b32 v15, 0
	;; [unrolled: 1-line block ×3, first 2 shown]
	v_mov_b32_e32 v21, 0
	s_mov_b32 s16, 0
	s_wait_loadcnt 0x1
	v_add_co_u32 v16, vcc_lo, v16, v32
	s_wait_alu 0xfffd
	v_add_co_ci_u32_e64 v17, null, v17, v33, vcc_lo
	s_wait_loadcnt 0x0
	v_add_co_u32 v18, vcc_lo, v18, v35
	s_wait_alu 0xfffd
	v_add_co_ci_u32_e64 v19, null, v19, v36, vcc_lo
	s_branch .LBB351_9
.LBB351_8:                              ;   in Loop: Header=BB351_9 Depth=2
	s_wait_alu 0xfffe
	s_or_b32 exec_lo, exec_lo, s17
	s_wait_loadcnt_dscnt 0x0
	ds_store_b64 v29, v[24:25]
	s_wait_dscnt 0x0
	s_barrier_signal -1
	s_barrier_wait -1
	global_inv scope:SCOPE_SE
	ds_load_b128 v[22:25], v31
	ds_load_2addr_b64 v[37:40], v30 offset1:16
	ds_load_b128 v[41:44], v31 offset:1024
	ds_load_b128 v[45:48], v31 offset:16
	;; [unrolled: 1-line block ×3, first 2 shown]
	v_add_co_u32 v16, vcc_lo, v16, s2
	s_wait_alu 0xfffd
	v_add_co_ci_u32_e64 v17, null, s3, v17, vcc_lo
	v_add_co_u32 v18, vcc_lo, v18, 64
	s_wait_alu 0xfffd
	v_add_co_ci_u32_e64 v19, null, 0, v19, vcc_lo
	s_add_co_i32 s16, s16, 8
	s_wait_alu 0xfffe
	s_cmp_lt_i32 s16, s5
	s_wait_dscnt 0x3
	v_fma_f64 v[20:21], v[37:38], v[22:23], v[20:21]
	v_fma_f64 v[14:15], v[39:40], v[22:23], v[14:15]
	s_wait_dscnt 0x2
	v_fma_f64 v[22:23], v[37:38], v[41:42], v[10:11]
	v_fma_f64 v[37:38], v[39:40], v[41:42], v[8:9]
	ds_load_2addr_b64 v[8:11], v30 offset0:32 offset1:48
	s_wait_dscnt 0x0
	v_fma_f64 v[20:21], v[8:9], v[24:25], v[20:21]
	v_fma_f64 v[14:15], v[10:11], v[24:25], v[14:15]
	v_fma_f64 v[22:23], v[8:9], v[43:44], v[22:23]
	v_fma_f64 v[24:25], v[10:11], v[43:44], v[37:38]
	ds_load_2addr_b64 v[8:11], v30 offset0:64 offset1:80
	s_wait_dscnt 0x0
	v_fma_f64 v[20:21], v[8:9], v[45:46], v[20:21]
	v_fma_f64 v[14:15], v[10:11], v[45:46], v[14:15]
	;; [unrolled: 6-line block ×3, first 2 shown]
	v_fma_f64 v[53:54], v[8:9], v[51:52], v[22:23]
	v_fma_f64 v[24:25], v[10:11], v[51:52], v[24:25]
	ds_load_b128 v[8:11], v31 offset:32
	ds_load_2addr_b64 v[20:23], v30 offset0:128 offset1:144
	ds_load_b128 v[37:40], v31 offset:1056
	ds_load_b128 v[41:44], v31 offset:48
	;; [unrolled: 1-line block ×3, first 2 shown]
	s_wait_dscnt 0x3
	v_fma_f64 v[49:50], v[20:21], v[8:9], v[49:50]
	v_fma_f64 v[8:9], v[22:23], v[8:9], v[14:15]
	s_wait_dscnt 0x2
	v_fma_f64 v[14:15], v[20:21], v[37:38], v[53:54]
	v_fma_f64 v[24:25], v[22:23], v[37:38], v[24:25]
	ds_load_2addr_b64 v[20:23], v30 offset0:160 offset1:176
	s_wait_dscnt 0x0
	v_fma_f64 v[37:38], v[20:21], v[10:11], v[49:50]
	v_fma_f64 v[49:50], v[22:23], v[10:11], v[8:9]
	;; [unrolled: 1-line block ×4, first 2 shown]
	ds_load_2addr_b64 v[8:11], v30 offset0:192 offset1:208
	ds_load_2addr_b64 v[22:25], v30 offset0:224 offset1:240
	s_wait_loadcnt_dscnt 0x0
	s_barrier_signal -1
	s_barrier_wait -1
	global_inv scope:SCOPE_SE
	v_fma_f64 v[37:38], v[8:9], v[41:42], v[37:38]
	v_fma_f64 v[39:40], v[10:11], v[41:42], v[49:50]
	;; [unrolled: 1-line block ×4, first 2 shown]
	s_delay_alu instid0(VALU_DEP_4) | instskip(NEXT) | instid1(VALU_DEP_4)
	v_fma_f64 v[20:21], v[22:23], v[43:44], v[37:38]
	v_fma_f64 v[14:15], v[24:25], v[43:44], v[39:40]
	s_delay_alu instid0(VALU_DEP_4) | instskip(NEXT) | instid1(VALU_DEP_4)
	v_fma_f64 v[10:11], v[22:23], v[47:48], v[8:9]
	v_fma_f64 v[8:9], v[24:25], v[47:48], v[41:42]
	s_cbranch_scc0 .LBB351_13
.LBB351_9:                              ;   Parent Loop BB351_6 Depth=1
                                        ; =>  This Inner Loop Header: Depth=2
	s_wait_alu 0xfffe
	v_add_nc_u32_e32 v22, s16, v27
	s_delay_alu instid0(VALU_DEP_1)
	v_cmp_gt_i32_e32 vcc_lo, s5, v22
	v_mov_b32_e32 v22, 0
	v_mov_b32_e32 v23, 0
	s_and_b32 s24, s0, vcc_lo
	s_wait_alu 0xfffe
	s_and_saveexec_b32 s17, s24
	s_cbranch_execz .LBB351_11
; %bb.10:                               ;   in Loop: Header=BB351_9 Depth=2
	flat_load_b64 v[22:23], v[16:17]
.LBB351_11:                             ;   in Loop: Header=BB351_9 Depth=2
	s_wait_alu 0xfffe
	s_or_b32 exec_lo, exec_lo, s17
	v_add_nc_u32_e32 v24, s16, v26
	s_wait_loadcnt_dscnt 0x0
	ds_store_b64 v28, v[22:23]
	v_cmp_gt_i32_e32 vcc_lo, s5, v24
	v_mov_b32_e32 v24, 0
	v_mov_b32_e32 v25, 0
	s_and_b32 s24, vcc_lo, s1
	s_wait_alu 0xfffe
	s_and_saveexec_b32 s17, s24
	s_cbranch_execz .LBB351_8
; %bb.12:                               ;   in Loop: Header=BB351_9 Depth=2
	flat_load_b64 v[24:25], v[18:19]
	s_branch .LBB351_8
.LBB351_13:                             ;   in Loop: Header=BB351_6 Depth=1
	s_wait_loadcnt 0x0
	v_add_co_u32 v16, vcc_lo, v12, s8
	s_wait_alu 0xfffd
	v_add_co_ci_u32_e64 v17, null, s9, v13, vcc_lo
	s_delay_alu instid0(VALU_DEP_2) | instskip(SKIP_1) | instid1(VALU_DEP_2)
	v_add_co_u32 v18, vcc_lo, v16, v4
	s_wait_alu 0xfffd
	v_add_co_ci_u32_e64 v19, null, v17, v5, vcc_lo
	s_and_saveexec_b32 s16, s29
	s_cbranch_execz .LBB351_17
; %bb.14:                               ;   in Loop: Header=BB351_6 Depth=1
	v_mul_f64_e32 v[12:13], s[12:13], v[20:21]
	s_and_b32 vcc_lo, exec_lo, s28
	s_wait_alu 0xfffe
	s_cbranch_vccz .LBB351_28
; %bb.15:                               ;   in Loop: Header=BB351_6 Depth=1
	v_lshlrev_b64_e32 v[20:21], 3, v[0:1]
	s_delay_alu instid0(VALU_DEP_1) | instskip(SKIP_1) | instid1(VALU_DEP_2)
	v_add_co_u32 v20, vcc_lo, v18, v20
	s_wait_alu 0xfffd
	v_add_co_ci_u32_e64 v21, null, v19, v21, vcc_lo
	flat_load_b64 v[22:23], v[20:21]
	s_wait_loadcnt_dscnt 0x0
	v_fma_f64 v[22:23], s[10:11], v[22:23], v[12:13]
	flat_store_b64 v[20:21], v[22:23]
	s_cbranch_execnz .LBB351_17
.LBB351_16:                             ;   in Loop: Header=BB351_6 Depth=1
	v_lshlrev_b64_e32 v[20:21], 3, v[0:1]
	s_delay_alu instid0(VALU_DEP_1) | instskip(SKIP_1) | instid1(VALU_DEP_2)
	v_add_co_u32 v20, vcc_lo, v18, v20
	s_wait_alu 0xfffd
	v_add_co_ci_u32_e64 v21, null, v19, v21, vcc_lo
	flat_store_b64 v[20:21], v[12:13]
.LBB351_17:                             ;   in Loop: Header=BB351_6 Depth=1
	s_wait_alu 0xfffe
	s_or_b32 exec_lo, exec_lo, s16
	s_and_saveexec_b32 s16, s30
	s_cbranch_execz .LBB351_21
; %bb.18:                               ;   in Loop: Header=BB351_6 Depth=1
	v_mul_f64_e32 v[12:13], s[12:13], v[14:15]
	s_and_not1_b32 vcc_lo, exec_lo, s28
	s_wait_alu 0xfffe
	s_cbranch_vccnz .LBB351_29
; %bb.19:                               ;   in Loop: Header=BB351_6 Depth=1
	v_lshlrev_b64_e32 v[14:15], 3, v[2:3]
	s_delay_alu instid0(VALU_DEP_1) | instskip(SKIP_1) | instid1(VALU_DEP_2)
	v_add_co_u32 v14, vcc_lo, v18, v14
	s_wait_alu 0xfffd
	v_add_co_ci_u32_e64 v15, null, v19, v15, vcc_lo
	flat_load_b64 v[20:21], v[14:15]
	s_wait_loadcnt_dscnt 0x0
	v_fma_f64 v[20:21], s[10:11], v[20:21], v[12:13]
	flat_store_b64 v[14:15], v[20:21]
	s_cbranch_execnz .LBB351_21
.LBB351_20:                             ;   in Loop: Header=BB351_6 Depth=1
	v_lshlrev_b64_e32 v[14:15], 3, v[2:3]
	s_delay_alu instid0(VALU_DEP_1) | instskip(SKIP_1) | instid1(VALU_DEP_2)
	v_add_co_u32 v14, vcc_lo, v18, v14
	s_wait_alu 0xfffd
	v_add_co_ci_u32_e64 v15, null, v19, v15, vcc_lo
	flat_store_b64 v[14:15], v[12:13]
.LBB351_21:                             ;   in Loop: Header=BB351_6 Depth=1
	s_wait_alu 0xfffe
	s_or_b32 exec_lo, exec_lo, s16
	v_add_co_u32 v14, vcc_lo, v16, v6
	s_wait_alu 0xfffd
	v_add_co_ci_u32_e64 v15, null, v17, v7, vcc_lo
	s_and_saveexec_b32 s16, s4
	s_cbranch_execz .LBB351_25
; %bb.22:                               ;   in Loop: Header=BB351_6 Depth=1
	v_mul_f64_e32 v[10:11], s[12:13], v[10:11]
	v_lshlrev_b64_e32 v[12:13], 3, v[0:1]
	s_and_not1_b32 vcc_lo, exec_lo, s28
	s_wait_alu 0xfffe
	s_cbranch_vccnz .LBB351_30
; %bb.23:                               ;   in Loop: Header=BB351_6 Depth=1
	s_delay_alu instid0(VALU_DEP_1)
	v_add_co_u32 v16, vcc_lo, v14, v12
	s_wait_alu 0xfffd
	v_add_co_ci_u32_e64 v17, null, v15, v13, vcc_lo
	flat_load_b64 v[18:19], v[16:17]
	s_wait_loadcnt_dscnt 0x0
	v_fma_f64 v[18:19], s[10:11], v[18:19], v[10:11]
	flat_store_b64 v[16:17], v[18:19]
	s_cbranch_execnz .LBB351_25
.LBB351_24:                             ;   in Loop: Header=BB351_6 Depth=1
	s_delay_alu instid0(VALU_DEP_1)
	v_add_co_u32 v12, vcc_lo, v14, v12
	s_wait_alu 0xfffd
	v_add_co_ci_u32_e64 v13, null, v15, v13, vcc_lo
	flat_store_b64 v[12:13], v[10:11]
.LBB351_25:                             ;   in Loop: Header=BB351_6 Depth=1
	s_wait_alu 0xfffe
	s_or_b32 exec_lo, exec_lo, s16
	s_and_saveexec_b32 s16, s31
	s_cbranch_execz .LBB351_5
; %bb.26:                               ;   in Loop: Header=BB351_6 Depth=1
	v_mul_f64_e32 v[8:9], s[12:13], v[8:9]
	v_lshlrev_b64_e32 v[10:11], 3, v[2:3]
	s_and_not1_b32 vcc_lo, exec_lo, s28
	s_wait_alu 0xfffe
	s_cbranch_vccnz .LBB351_31
; %bb.27:                               ;   in Loop: Header=BB351_6 Depth=1
	s_delay_alu instid0(VALU_DEP_1)
	v_add_co_u32 v12, vcc_lo, v14, v10
	s_wait_alu 0xfffd
	v_add_co_ci_u32_e64 v13, null, v15, v11, vcc_lo
	flat_load_b64 v[16:17], v[12:13]
	s_wait_loadcnt_dscnt 0x0
	v_fma_f64 v[16:17], s[10:11], v[16:17], v[8:9]
	flat_store_b64 v[12:13], v[16:17]
	s_cbranch_execnz .LBB351_5
	s_branch .LBB351_32
.LBB351_28:                             ;   in Loop: Header=BB351_6 Depth=1
	s_branch .LBB351_16
.LBB351_29:                             ;   in Loop: Header=BB351_6 Depth=1
	s_branch .LBB351_20
.LBB351_30:                             ;   in Loop: Header=BB351_6 Depth=1
	s_branch .LBB351_24
.LBB351_31:                             ;   in Loop: Header=BB351_6 Depth=1
.LBB351_32:                             ;   in Loop: Header=BB351_6 Depth=1
	s_delay_alu instid0(VALU_DEP_1)
	v_add_co_u32 v10, vcc_lo, v14, v10
	s_wait_alu 0xfffd
	v_add_co_ci_u32_e64 v11, null, v15, v11, vcc_lo
	flat_store_b64 v[10:11], v[8:9]
	s_branch .LBB351_5
.LBB351_33:
	s_endpgm
	.section	.rodata,"a",@progbits
	.p2align	6, 0x0
	.amdhsa_kernel _ZL29rocblas_internal_gemmt_kernelIiLi16ELi32ELi8ELc78ELc78ELc76ELb0ELb0EddPKPKdPKPdEviT_T9_T10_S7_lS9_S7_lS8_T11_S7_li
		.amdhsa_group_segment_fixed_size 4096
		.amdhsa_private_segment_fixed_size 0
		.amdhsa_kernarg_size 100
		.amdhsa_user_sgpr_count 2
		.amdhsa_user_sgpr_dispatch_ptr 0
		.amdhsa_user_sgpr_queue_ptr 0
		.amdhsa_user_sgpr_kernarg_segment_ptr 1
		.amdhsa_user_sgpr_dispatch_id 0
		.amdhsa_user_sgpr_private_segment_size 0
		.amdhsa_wavefront_size32 1
		.amdhsa_uses_dynamic_stack 0
		.amdhsa_enable_private_segment 0
		.amdhsa_system_sgpr_workgroup_id_x 1
		.amdhsa_system_sgpr_workgroup_id_y 1
		.amdhsa_system_sgpr_workgroup_id_z 1
		.amdhsa_system_sgpr_workgroup_info 0
		.amdhsa_system_vgpr_workitem_id 1
		.amdhsa_next_free_vgpr 55
		.amdhsa_next_free_sgpr 35
		.amdhsa_reserve_vcc 1
		.amdhsa_float_round_mode_32 0
		.amdhsa_float_round_mode_16_64 0
		.amdhsa_float_denorm_mode_32 3
		.amdhsa_float_denorm_mode_16_64 3
		.amdhsa_fp16_overflow 0
		.amdhsa_workgroup_processor_mode 1
		.amdhsa_memory_ordered 1
		.amdhsa_forward_progress 1
		.amdhsa_inst_pref_size 17
		.amdhsa_round_robin_scheduling 0
		.amdhsa_exception_fp_ieee_invalid_op 0
		.amdhsa_exception_fp_denorm_src 0
		.amdhsa_exception_fp_ieee_div_zero 0
		.amdhsa_exception_fp_ieee_overflow 0
		.amdhsa_exception_fp_ieee_underflow 0
		.amdhsa_exception_fp_ieee_inexact 0
		.amdhsa_exception_int_div_zero 0
	.end_amdhsa_kernel
	.section	.text._ZL29rocblas_internal_gemmt_kernelIiLi16ELi32ELi8ELc78ELc78ELc76ELb0ELb0EddPKPKdPKPdEviT_T9_T10_S7_lS9_S7_lS8_T11_S7_li,"axG",@progbits,_ZL29rocblas_internal_gemmt_kernelIiLi16ELi32ELi8ELc78ELc78ELc76ELb0ELb0EddPKPKdPKPdEviT_T9_T10_S7_lS9_S7_lS8_T11_S7_li,comdat
.Lfunc_end351:
	.size	_ZL29rocblas_internal_gemmt_kernelIiLi16ELi32ELi8ELc78ELc78ELc76ELb0ELb0EddPKPKdPKPdEviT_T9_T10_S7_lS9_S7_lS8_T11_S7_li, .Lfunc_end351-_ZL29rocblas_internal_gemmt_kernelIiLi16ELi32ELi8ELc78ELc78ELc76ELb0ELb0EddPKPKdPKPdEviT_T9_T10_S7_lS9_S7_lS8_T11_S7_li
                                        ; -- End function
	.set _ZL29rocblas_internal_gemmt_kernelIiLi16ELi32ELi8ELc78ELc78ELc76ELb0ELb0EddPKPKdPKPdEviT_T9_T10_S7_lS9_S7_lS8_T11_S7_li.num_vgpr, 55
	.set _ZL29rocblas_internal_gemmt_kernelIiLi16ELi32ELi8ELc78ELc78ELc76ELb0ELb0EddPKPKdPKPdEviT_T9_T10_S7_lS9_S7_lS8_T11_S7_li.num_agpr, 0
	.set _ZL29rocblas_internal_gemmt_kernelIiLi16ELi32ELi8ELc78ELc78ELc76ELb0ELb0EddPKPKdPKPdEviT_T9_T10_S7_lS9_S7_lS8_T11_S7_li.numbered_sgpr, 35
	.set _ZL29rocblas_internal_gemmt_kernelIiLi16ELi32ELi8ELc78ELc78ELc76ELb0ELb0EddPKPKdPKPdEviT_T9_T10_S7_lS9_S7_lS8_T11_S7_li.num_named_barrier, 0
	.set _ZL29rocblas_internal_gemmt_kernelIiLi16ELi32ELi8ELc78ELc78ELc76ELb0ELb0EddPKPKdPKPdEviT_T9_T10_S7_lS9_S7_lS8_T11_S7_li.private_seg_size, 0
	.set _ZL29rocblas_internal_gemmt_kernelIiLi16ELi32ELi8ELc78ELc78ELc76ELb0ELb0EddPKPKdPKPdEviT_T9_T10_S7_lS9_S7_lS8_T11_S7_li.uses_vcc, 1
	.set _ZL29rocblas_internal_gemmt_kernelIiLi16ELi32ELi8ELc78ELc78ELc76ELb0ELb0EddPKPKdPKPdEviT_T9_T10_S7_lS9_S7_lS8_T11_S7_li.uses_flat_scratch, 0
	.set _ZL29rocblas_internal_gemmt_kernelIiLi16ELi32ELi8ELc78ELc78ELc76ELb0ELb0EddPKPKdPKPdEviT_T9_T10_S7_lS9_S7_lS8_T11_S7_li.has_dyn_sized_stack, 0
	.set _ZL29rocblas_internal_gemmt_kernelIiLi16ELi32ELi8ELc78ELc78ELc76ELb0ELb0EddPKPKdPKPdEviT_T9_T10_S7_lS9_S7_lS8_T11_S7_li.has_recursion, 0
	.set _ZL29rocblas_internal_gemmt_kernelIiLi16ELi32ELi8ELc78ELc78ELc76ELb0ELb0EddPKPKdPKPdEviT_T9_T10_S7_lS9_S7_lS8_T11_S7_li.has_indirect_call, 0
	.section	.AMDGPU.csdata,"",@progbits
; Kernel info:
; codeLenInByte = 2092
; TotalNumSgprs: 37
; NumVgprs: 55
; ScratchSize: 0
; MemoryBound: 0
; FloatMode: 240
; IeeeMode: 1
; LDSByteSize: 4096 bytes/workgroup (compile time only)
; SGPRBlocks: 0
; VGPRBlocks: 6
; NumSGPRsForWavesPerEU: 37
; NumVGPRsForWavesPerEU: 55
; Occupancy: 16
; WaveLimiterHint : 1
; COMPUTE_PGM_RSRC2:SCRATCH_EN: 0
; COMPUTE_PGM_RSRC2:USER_SGPR: 2
; COMPUTE_PGM_RSRC2:TRAP_HANDLER: 0
; COMPUTE_PGM_RSRC2:TGID_X_EN: 1
; COMPUTE_PGM_RSRC2:TGID_Y_EN: 1
; COMPUTE_PGM_RSRC2:TGID_Z_EN: 1
; COMPUTE_PGM_RSRC2:TIDIG_COMP_CNT: 1
	.section	.text._ZL29rocblas_internal_gemmt_kernelIiLi16ELi32ELi8ELc78ELc84ELc76ELb0ELb0EddPKPKdPKPdEviT_T9_T10_S7_lS9_S7_lS8_T11_S7_li,"axG",@progbits,_ZL29rocblas_internal_gemmt_kernelIiLi16ELi32ELi8ELc78ELc84ELc76ELb0ELb0EddPKPKdPKPdEviT_T9_T10_S7_lS9_S7_lS8_T11_S7_li,comdat
	.globl	_ZL29rocblas_internal_gemmt_kernelIiLi16ELi32ELi8ELc78ELc84ELc76ELb0ELb0EddPKPKdPKPdEviT_T9_T10_S7_lS9_S7_lS8_T11_S7_li ; -- Begin function _ZL29rocblas_internal_gemmt_kernelIiLi16ELi32ELi8ELc78ELc84ELc76ELb0ELb0EddPKPKdPKPdEviT_T9_T10_S7_lS9_S7_lS8_T11_S7_li
	.p2align	8
	.type	_ZL29rocblas_internal_gemmt_kernelIiLi16ELi32ELi8ELc78ELc84ELc76ELb0ELb0EddPKPKdPKPdEviT_T9_T10_S7_lS9_S7_lS8_T11_S7_li,@function
_ZL29rocblas_internal_gemmt_kernelIiLi16ELi32ELi8ELc78ELc84ELc76ELb0ELb0EddPKPKdPKPdEviT_T9_T10_S7_lS9_S7_lS8_T11_S7_li: ; @_ZL29rocblas_internal_gemmt_kernelIiLi16ELi32ELi8ELc78ELc84ELc76ELb0ELb0EddPKPKdPKPdEviT_T9_T10_S7_lS9_S7_lS8_T11_S7_li
; %bb.0:
	s_clause 0x2
	s_load_b128 s[8:11], s[0:1], 0x38
	s_load_b64 s[4:5], s[0:1], 0x0
	s_load_b128 s[12:15], s[0:1], 0x8
	s_wait_kmcnt 0x0
	v_cmp_neq_f64_e64 s2, s[10:11], 1.0
	s_and_b32 vcc_lo, exec_lo, s2
	s_cbranch_vccnz .LBB352_2
; %bb.1:
	v_cmp_neq_f64_e64 s2, s[12:13], 0
	s_cmp_lg_u32 s5, 0
	s_cselect_b32 s3, -1, 0
	s_delay_alu instid0(SALU_CYCLE_1)
	s_and_b32 s2, s3, s2
.LBB352_2:
	s_delay_alu instid0(SALU_CYCLE_1)
	s_and_not1_b32 vcc_lo, exec_lo, s2
	s_cbranch_vccnz .LBB352_33
; %bb.3:
	s_load_b32 s30, s[0:1], 0x60
	s_lshr_b32 s6, ttmp7, 16
	s_wait_kmcnt 0x0
	s_cmp_ge_u32 s6, s30
	s_cbranch_scc1 .LBB352_33
; %bb.4:
	v_dual_mov_b32 v34, 0 :: v_dual_and_b32 v1, 0x3ff, v0
	v_bfe_u32 v2, v0, 10, 10
	v_and_b32_e32 v26, 7, v0
	s_clause 0x4
	s_load_b32 s24, s[0:1], 0x18
	s_load_b32 s26, s[0:1], 0x30
	s_load_b96 s[20:22], s[0:1], 0x48
	s_load_b64 s[28:29], s[0:1], 0x58
	s_load_b128 s[16:19], s[0:1], 0x20
	v_lshl_add_u32 v0, v2, 4, v1
	v_lshlrev_b32_e32 v6, 3, v26
	s_lshl_b32 s0, ttmp7, 5
	s_lshl_b32 s1, ttmp9, 5
	s_and_b32 s2, s0, 0x1fffe0
	v_and_b32_e32 v3, 31, v0
	v_lshrrev_b32_e32 v5, 3, v0
	v_lshrrev_b32_e32 v27, 5, v0
	v_cmp_neq_f64_e64 s23, s[12:13], 0
	v_cmp_neq_f64_e64 s31, s[10:11], 0
	v_lshlrev_b32_e32 v0, 3, v3
	v_or_b32_e32 v4, s1, v3
	v_add_nc_u32_e32 v14, s2, v5
	v_lshl_or_b32 v3, v5, 6, v6
	v_add_nc_u32_e32 v5, s2, v2
	v_lshl_or_b32 v28, v27, 8, v0
	v_add_nc_u32_e32 v0, s1, v1
	v_lshl_add_u32 v31, v2, 6, 0x800
	s_wait_kmcnt 0x0
	s_ashr_i32 s25, s24, 31
	s_ashr_i32 s27, s26, 31
	s_cmp_gt_i32 s5, 0
	v_cmp_le_i32_e32 vcc_lo, v5, v0
	v_cmp_gt_i32_e64 s2, s4, v0
	v_add_nc_u32_e32 v2, 16, v0
	v_mad_co_i64_i32 v[8:9], null, v27, s24, 0
	s_cselect_b32 s36, -1, 0
	v_mad_co_i64_i32 v[6:7], null, v5, s22, 0
	s_and_b32 s33, vcc_lo, s2
	v_cmp_le_i32_e32 vcc_lo, v5, v2
	v_add_nc_u32_e32 v5, 16, v5
	v_cmp_gt_i32_e64 s3, s4, v2
	v_cmp_gt_i32_e64 s0, s4, v4
	v_cmp_gt_i32_e64 s1, s4, v14
	v_lshlrev_b64_e32 v[8:9], 3, v[8:9]
	v_cmp_le_i32_e64 s4, v5, v0
	s_and_b32 s34, vcc_lo, s3
	v_cmp_le_i32_e32 vcc_lo, v5, v2
	v_mad_co_i64_i32 v[12:13], null, s26, v26, 0
	v_mad_co_i64_i32 v[10:11], null, v5, s22, 0
	v_ashrrev_i32_e32 v5, 31, v4
	s_and_b32 s4, s4, s2
	s_and_b32 s35, vcc_lo, s3
	s_lshl_b64 s[2:3], s[16:17], 3
	v_add_nc_u32_e32 v29, 0x800, v3
	v_lshlrev_b64_e32 v[4:5], 3, v[4:5]
	s_wait_alu 0xfffe
	v_add_co_u32 v15, vcc_lo, v8, s2
	s_delay_alu instid0(VALU_DEP_1) | instskip(SKIP_1) | instid1(VALU_DEP_3)
	v_add_co_ci_u32_e64 v16, null, s3, v9, vcc_lo
	v_lshlrev_b64_e32 v[8:9], 3, v[12:13]
	v_add_co_u32 v32, vcc_lo, v15, v4
	s_lshl_b64 s[2:3], s[8:9], 3
	s_wait_alu 0xfffd
	v_add_co_ci_u32_e64 v33, null, v16, v5, vcc_lo
	v_lshlrev_b32_e32 v4, 3, v14
	s_wait_alu 0xfffe
	v_add_co_u32 v5, vcc_lo, v8, s2
	s_wait_alu 0xfffd
	v_add_co_ci_u32_e64 v8, null, s3, v9, vcc_lo
	v_lshlrev_b32_e32 v30, 3, v1
	s_delay_alu instid0(VALU_DEP_3)
	v_add_co_u32 v35, vcc_lo, v5, v4
	v_lshlrev_b64_e32 v[4:5], 3, v[6:7]
	v_lshlrev_b64_e32 v[6:7], 3, v[10:11]
	v_ashrrev_i32_e32 v1, 31, v0
	v_ashrrev_i32_e32 v3, 31, v2
	s_wait_alu 0xfffd
	v_add_co_ci_u32_e64 v36, null, 0, v8, vcc_lo
	s_mov_b32 s7, 0
	s_and_b32 s36, s23, s36
	s_lshl_b64 s[2:3], s[24:25], 6
	s_lshl_b64 s[8:9], s[26:27], 6
	;; [unrolled: 1-line block ×3, first 2 shown]
	s_branch .LBB352_6
.LBB352_5:                              ;   in Loop: Header=BB352_6 Depth=1
	s_wait_alu 0xfffe
	s_or_b32 exec_lo, exec_lo, s22
	s_add_co_i32 s6, s6, 0x10000
	s_delay_alu instid0(SALU_CYCLE_1)
	s_cmp_lt_u32 s6, s30
	s_cbranch_scc0 .LBB352_33
.LBB352_6:                              ; =>This Loop Header: Depth=1
                                        ;     Child Loop BB352_9 Depth 2
	s_lshl_b64 s[22:23], s[6:7], 3
	v_mov_b32_e32 v20, 0
	s_wait_alu 0xfffe
	s_add_nc_u64 s[24:25], s[20:21], s[22:23]
	v_mov_b32_e32 v10, 0
	global_load_b64 v[12:13], v34, s[24:25]
	v_dual_mov_b32 v21, 0 :: v_dual_mov_b32 v14, 0
	v_dual_mov_b32 v11, 0 :: v_dual_mov_b32 v8, 0
	v_mov_b32_e32 v15, 0
	v_mov_b32_e32 v9, 0
	s_and_not1_b32 vcc_lo, exec_lo, s36
	s_wait_alu 0xfffe
	s_cbranch_vccnz .LBB352_13
; %bb.7:                                ;   in Loop: Header=BB352_6 Depth=1
	s_add_nc_u64 s[24:25], s[14:15], s[22:23]
	s_add_nc_u64 s[22:23], s[18:19], s[22:23]
	s_clause 0x1
	global_load_b64 v[16:17], v34, s[24:25]
	global_load_b64 v[18:19], v34, s[22:23]
	v_mov_b32_e32 v8, 0
	v_dual_mov_b32 v14, 0 :: v_dual_mov_b32 v9, 0
	v_dual_mov_b32 v10, 0 :: v_dual_mov_b32 v15, 0
	;; [unrolled: 1-line block ×3, first 2 shown]
	v_mov_b32_e32 v21, 0
	s_mov_b32 s22, 0
	s_wait_loadcnt 0x1
	v_add_co_u32 v16, vcc_lo, v16, v32
	s_wait_alu 0xfffd
	v_add_co_ci_u32_e64 v17, null, v17, v33, vcc_lo
	s_wait_loadcnt 0x0
	v_add_co_u32 v18, vcc_lo, v18, v35
	s_wait_alu 0xfffd
	v_add_co_ci_u32_e64 v19, null, v19, v36, vcc_lo
	s_branch .LBB352_9
.LBB352_8:                              ;   in Loop: Header=BB352_9 Depth=2
	s_wait_alu 0xfffe
	s_or_b32 exec_lo, exec_lo, s23
	s_wait_loadcnt_dscnt 0x0
	ds_store_b64 v29, v[24:25]
	s_wait_dscnt 0x0
	s_barrier_signal -1
	s_barrier_wait -1
	global_inv scope:SCOPE_SE
	ds_load_b128 v[22:25], v31
	ds_load_2addr_b64 v[37:40], v30 offset1:16
	ds_load_b128 v[41:44], v31 offset:1024
	ds_load_b128 v[45:48], v31 offset:16
	;; [unrolled: 1-line block ×3, first 2 shown]
	v_add_co_u32 v16, vcc_lo, v16, s2
	s_wait_alu 0xfffd
	v_add_co_ci_u32_e64 v17, null, s3, v17, vcc_lo
	v_add_co_u32 v18, vcc_lo, v18, s8
	s_wait_alu 0xfffd
	v_add_co_ci_u32_e64 v19, null, s9, v19, vcc_lo
	s_add_co_i32 s22, s22, 8
	s_wait_alu 0xfffe
	s_cmp_lt_i32 s22, s5
	s_wait_dscnt 0x3
	v_fma_f64 v[20:21], v[37:38], v[22:23], v[20:21]
	v_fma_f64 v[14:15], v[39:40], v[22:23], v[14:15]
	s_wait_dscnt 0x2
	v_fma_f64 v[22:23], v[37:38], v[41:42], v[10:11]
	v_fma_f64 v[37:38], v[39:40], v[41:42], v[8:9]
	ds_load_2addr_b64 v[8:11], v30 offset0:32 offset1:48
	s_wait_dscnt 0x0
	v_fma_f64 v[20:21], v[8:9], v[24:25], v[20:21]
	v_fma_f64 v[14:15], v[10:11], v[24:25], v[14:15]
	v_fma_f64 v[22:23], v[8:9], v[43:44], v[22:23]
	v_fma_f64 v[24:25], v[10:11], v[43:44], v[37:38]
	ds_load_2addr_b64 v[8:11], v30 offset0:64 offset1:80
	s_wait_dscnt 0x0
	v_fma_f64 v[20:21], v[8:9], v[45:46], v[20:21]
	v_fma_f64 v[14:15], v[10:11], v[45:46], v[14:15]
	;; [unrolled: 6-line block ×3, first 2 shown]
	v_fma_f64 v[53:54], v[8:9], v[51:52], v[22:23]
	v_fma_f64 v[24:25], v[10:11], v[51:52], v[24:25]
	ds_load_b128 v[8:11], v31 offset:32
	ds_load_2addr_b64 v[20:23], v30 offset0:128 offset1:144
	ds_load_b128 v[37:40], v31 offset:1056
	ds_load_b128 v[41:44], v31 offset:48
	;; [unrolled: 1-line block ×3, first 2 shown]
	s_wait_dscnt 0x3
	v_fma_f64 v[49:50], v[20:21], v[8:9], v[49:50]
	v_fma_f64 v[8:9], v[22:23], v[8:9], v[14:15]
	s_wait_dscnt 0x2
	v_fma_f64 v[14:15], v[20:21], v[37:38], v[53:54]
	v_fma_f64 v[24:25], v[22:23], v[37:38], v[24:25]
	ds_load_2addr_b64 v[20:23], v30 offset0:160 offset1:176
	s_wait_dscnt 0x0
	v_fma_f64 v[37:38], v[20:21], v[10:11], v[49:50]
	v_fma_f64 v[49:50], v[22:23], v[10:11], v[8:9]
	;; [unrolled: 1-line block ×4, first 2 shown]
	ds_load_2addr_b64 v[8:11], v30 offset0:192 offset1:208
	ds_load_2addr_b64 v[22:25], v30 offset0:224 offset1:240
	s_wait_loadcnt_dscnt 0x0
	s_barrier_signal -1
	s_barrier_wait -1
	global_inv scope:SCOPE_SE
	v_fma_f64 v[37:38], v[8:9], v[41:42], v[37:38]
	v_fma_f64 v[39:40], v[10:11], v[41:42], v[49:50]
	v_fma_f64 v[8:9], v[8:9], v[45:46], v[14:15]
	v_fma_f64 v[41:42], v[10:11], v[45:46], v[20:21]
	s_delay_alu instid0(VALU_DEP_4) | instskip(NEXT) | instid1(VALU_DEP_4)
	v_fma_f64 v[20:21], v[22:23], v[43:44], v[37:38]
	v_fma_f64 v[14:15], v[24:25], v[43:44], v[39:40]
	s_delay_alu instid0(VALU_DEP_4) | instskip(NEXT) | instid1(VALU_DEP_4)
	v_fma_f64 v[10:11], v[22:23], v[47:48], v[8:9]
	v_fma_f64 v[8:9], v[24:25], v[47:48], v[41:42]
	s_cbranch_scc0 .LBB352_13
.LBB352_9:                              ;   Parent Loop BB352_6 Depth=1
                                        ; =>  This Inner Loop Header: Depth=2
	s_wait_alu 0xfffe
	v_add_nc_u32_e32 v22, s22, v27
	s_delay_alu instid0(VALU_DEP_1)
	v_cmp_gt_i32_e32 vcc_lo, s5, v22
	v_mov_b32_e32 v22, 0
	v_mov_b32_e32 v23, 0
	s_and_b32 s24, s0, vcc_lo
	s_wait_alu 0xfffe
	s_and_saveexec_b32 s23, s24
	s_cbranch_execz .LBB352_11
; %bb.10:                               ;   in Loop: Header=BB352_9 Depth=2
	flat_load_b64 v[22:23], v[16:17]
.LBB352_11:                             ;   in Loop: Header=BB352_9 Depth=2
	s_wait_alu 0xfffe
	s_or_b32 exec_lo, exec_lo, s23
	v_add_nc_u32_e32 v24, s22, v26
	s_wait_loadcnt_dscnt 0x0
	ds_store_b64 v28, v[22:23]
	v_cmp_gt_i32_e32 vcc_lo, s5, v24
	v_mov_b32_e32 v24, 0
	v_mov_b32_e32 v25, 0
	s_and_b32 s24, vcc_lo, s1
	s_wait_alu 0xfffe
	s_and_saveexec_b32 s23, s24
	s_cbranch_execz .LBB352_8
; %bb.12:                               ;   in Loop: Header=BB352_9 Depth=2
	flat_load_b64 v[24:25], v[18:19]
	s_branch .LBB352_8
.LBB352_13:                             ;   in Loop: Header=BB352_6 Depth=1
	s_wait_loadcnt 0x0
	v_add_co_u32 v16, vcc_lo, v12, s16
	s_wait_alu 0xfffd
	v_add_co_ci_u32_e64 v17, null, s17, v13, vcc_lo
	s_delay_alu instid0(VALU_DEP_2) | instskip(SKIP_1) | instid1(VALU_DEP_2)
	v_add_co_u32 v18, vcc_lo, v16, v4
	s_wait_alu 0xfffd
	v_add_co_ci_u32_e64 v19, null, v17, v5, vcc_lo
	s_and_saveexec_b32 s22, s33
	s_cbranch_execz .LBB352_17
; %bb.14:                               ;   in Loop: Header=BB352_6 Depth=1
	v_mul_f64_e32 v[12:13], s[12:13], v[20:21]
	s_and_b32 vcc_lo, exec_lo, s31
	s_wait_alu 0xfffe
	s_cbranch_vccz .LBB352_28
; %bb.15:                               ;   in Loop: Header=BB352_6 Depth=1
	v_lshlrev_b64_e32 v[20:21], 3, v[0:1]
	s_delay_alu instid0(VALU_DEP_1) | instskip(SKIP_1) | instid1(VALU_DEP_2)
	v_add_co_u32 v20, vcc_lo, v18, v20
	s_wait_alu 0xfffd
	v_add_co_ci_u32_e64 v21, null, v19, v21, vcc_lo
	flat_load_b64 v[22:23], v[20:21]
	s_wait_loadcnt_dscnt 0x0
	v_fma_f64 v[22:23], s[10:11], v[22:23], v[12:13]
	flat_store_b64 v[20:21], v[22:23]
	s_cbranch_execnz .LBB352_17
.LBB352_16:                             ;   in Loop: Header=BB352_6 Depth=1
	v_lshlrev_b64_e32 v[20:21], 3, v[0:1]
	s_delay_alu instid0(VALU_DEP_1) | instskip(SKIP_1) | instid1(VALU_DEP_2)
	v_add_co_u32 v20, vcc_lo, v18, v20
	s_wait_alu 0xfffd
	v_add_co_ci_u32_e64 v21, null, v19, v21, vcc_lo
	flat_store_b64 v[20:21], v[12:13]
.LBB352_17:                             ;   in Loop: Header=BB352_6 Depth=1
	s_wait_alu 0xfffe
	s_or_b32 exec_lo, exec_lo, s22
	s_and_saveexec_b32 s22, s34
	s_cbranch_execz .LBB352_21
; %bb.18:                               ;   in Loop: Header=BB352_6 Depth=1
	v_mul_f64_e32 v[12:13], s[12:13], v[14:15]
	s_and_not1_b32 vcc_lo, exec_lo, s31
	s_wait_alu 0xfffe
	s_cbranch_vccnz .LBB352_29
; %bb.19:                               ;   in Loop: Header=BB352_6 Depth=1
	v_lshlrev_b64_e32 v[14:15], 3, v[2:3]
	s_delay_alu instid0(VALU_DEP_1) | instskip(SKIP_1) | instid1(VALU_DEP_2)
	v_add_co_u32 v14, vcc_lo, v18, v14
	s_wait_alu 0xfffd
	v_add_co_ci_u32_e64 v15, null, v19, v15, vcc_lo
	flat_load_b64 v[20:21], v[14:15]
	s_wait_loadcnt_dscnt 0x0
	v_fma_f64 v[20:21], s[10:11], v[20:21], v[12:13]
	flat_store_b64 v[14:15], v[20:21]
	s_cbranch_execnz .LBB352_21
.LBB352_20:                             ;   in Loop: Header=BB352_6 Depth=1
	v_lshlrev_b64_e32 v[14:15], 3, v[2:3]
	s_delay_alu instid0(VALU_DEP_1) | instskip(SKIP_1) | instid1(VALU_DEP_2)
	v_add_co_u32 v14, vcc_lo, v18, v14
	s_wait_alu 0xfffd
	v_add_co_ci_u32_e64 v15, null, v19, v15, vcc_lo
	flat_store_b64 v[14:15], v[12:13]
.LBB352_21:                             ;   in Loop: Header=BB352_6 Depth=1
	s_wait_alu 0xfffe
	s_or_b32 exec_lo, exec_lo, s22
	v_add_co_u32 v14, vcc_lo, v16, v6
	s_wait_alu 0xfffd
	v_add_co_ci_u32_e64 v15, null, v17, v7, vcc_lo
	s_and_saveexec_b32 s22, s4
	s_cbranch_execz .LBB352_25
; %bb.22:                               ;   in Loop: Header=BB352_6 Depth=1
	v_mul_f64_e32 v[10:11], s[12:13], v[10:11]
	v_lshlrev_b64_e32 v[12:13], 3, v[0:1]
	s_and_not1_b32 vcc_lo, exec_lo, s31
	s_wait_alu 0xfffe
	s_cbranch_vccnz .LBB352_30
; %bb.23:                               ;   in Loop: Header=BB352_6 Depth=1
	s_delay_alu instid0(VALU_DEP_1)
	v_add_co_u32 v16, vcc_lo, v14, v12
	s_wait_alu 0xfffd
	v_add_co_ci_u32_e64 v17, null, v15, v13, vcc_lo
	flat_load_b64 v[18:19], v[16:17]
	s_wait_loadcnt_dscnt 0x0
	v_fma_f64 v[18:19], s[10:11], v[18:19], v[10:11]
	flat_store_b64 v[16:17], v[18:19]
	s_cbranch_execnz .LBB352_25
.LBB352_24:                             ;   in Loop: Header=BB352_6 Depth=1
	s_delay_alu instid0(VALU_DEP_1)
	v_add_co_u32 v12, vcc_lo, v14, v12
	s_wait_alu 0xfffd
	v_add_co_ci_u32_e64 v13, null, v15, v13, vcc_lo
	flat_store_b64 v[12:13], v[10:11]
.LBB352_25:                             ;   in Loop: Header=BB352_6 Depth=1
	s_wait_alu 0xfffe
	s_or_b32 exec_lo, exec_lo, s22
	s_and_saveexec_b32 s22, s35
	s_cbranch_execz .LBB352_5
; %bb.26:                               ;   in Loop: Header=BB352_6 Depth=1
	v_mul_f64_e32 v[8:9], s[12:13], v[8:9]
	v_lshlrev_b64_e32 v[10:11], 3, v[2:3]
	s_and_not1_b32 vcc_lo, exec_lo, s31
	s_wait_alu 0xfffe
	s_cbranch_vccnz .LBB352_31
; %bb.27:                               ;   in Loop: Header=BB352_6 Depth=1
	s_delay_alu instid0(VALU_DEP_1)
	v_add_co_u32 v12, vcc_lo, v14, v10
	s_wait_alu 0xfffd
	v_add_co_ci_u32_e64 v13, null, v15, v11, vcc_lo
	flat_load_b64 v[16:17], v[12:13]
	s_wait_loadcnt_dscnt 0x0
	v_fma_f64 v[16:17], s[10:11], v[16:17], v[8:9]
	flat_store_b64 v[12:13], v[16:17]
	s_cbranch_execnz .LBB352_5
	s_branch .LBB352_32
.LBB352_28:                             ;   in Loop: Header=BB352_6 Depth=1
	s_branch .LBB352_16
.LBB352_29:                             ;   in Loop: Header=BB352_6 Depth=1
	s_branch .LBB352_20
.LBB352_30:                             ;   in Loop: Header=BB352_6 Depth=1
	s_branch .LBB352_24
.LBB352_31:                             ;   in Loop: Header=BB352_6 Depth=1
.LBB352_32:                             ;   in Loop: Header=BB352_6 Depth=1
	s_delay_alu instid0(VALU_DEP_1)
	v_add_co_u32 v10, vcc_lo, v14, v10
	s_wait_alu 0xfffd
	v_add_co_ci_u32_e64 v11, null, v15, v11, vcc_lo
	flat_store_b64 v[10:11], v[8:9]
	s_branch .LBB352_5
.LBB352_33:
	s_endpgm
	.section	.rodata,"a",@progbits
	.p2align	6, 0x0
	.amdhsa_kernel _ZL29rocblas_internal_gemmt_kernelIiLi16ELi32ELi8ELc78ELc84ELc76ELb0ELb0EddPKPKdPKPdEviT_T9_T10_S7_lS9_S7_lS8_T11_S7_li
		.amdhsa_group_segment_fixed_size 4096
		.amdhsa_private_segment_fixed_size 0
		.amdhsa_kernarg_size 100
		.amdhsa_user_sgpr_count 2
		.amdhsa_user_sgpr_dispatch_ptr 0
		.amdhsa_user_sgpr_queue_ptr 0
		.amdhsa_user_sgpr_kernarg_segment_ptr 1
		.amdhsa_user_sgpr_dispatch_id 0
		.amdhsa_user_sgpr_private_segment_size 0
		.amdhsa_wavefront_size32 1
		.amdhsa_uses_dynamic_stack 0
		.amdhsa_enable_private_segment 0
		.amdhsa_system_sgpr_workgroup_id_x 1
		.amdhsa_system_sgpr_workgroup_id_y 1
		.amdhsa_system_sgpr_workgroup_id_z 1
		.amdhsa_system_sgpr_workgroup_info 0
		.amdhsa_system_vgpr_workitem_id 1
		.amdhsa_next_free_vgpr 55
		.amdhsa_next_free_sgpr 37
		.amdhsa_reserve_vcc 1
		.amdhsa_float_round_mode_32 0
		.amdhsa_float_round_mode_16_64 0
		.amdhsa_float_denorm_mode_32 3
		.amdhsa_float_denorm_mode_16_64 3
		.amdhsa_fp16_overflow 0
		.amdhsa_workgroup_processor_mode 1
		.amdhsa_memory_ordered 1
		.amdhsa_forward_progress 1
		.amdhsa_inst_pref_size 17
		.amdhsa_round_robin_scheduling 0
		.amdhsa_exception_fp_ieee_invalid_op 0
		.amdhsa_exception_fp_denorm_src 0
		.amdhsa_exception_fp_ieee_div_zero 0
		.amdhsa_exception_fp_ieee_overflow 0
		.amdhsa_exception_fp_ieee_underflow 0
		.amdhsa_exception_fp_ieee_inexact 0
		.amdhsa_exception_int_div_zero 0
	.end_amdhsa_kernel
	.section	.text._ZL29rocblas_internal_gemmt_kernelIiLi16ELi32ELi8ELc78ELc84ELc76ELb0ELb0EddPKPKdPKPdEviT_T9_T10_S7_lS9_S7_lS8_T11_S7_li,"axG",@progbits,_ZL29rocblas_internal_gemmt_kernelIiLi16ELi32ELi8ELc78ELc84ELc76ELb0ELb0EddPKPKdPKPdEviT_T9_T10_S7_lS9_S7_lS8_T11_S7_li,comdat
.Lfunc_end352:
	.size	_ZL29rocblas_internal_gemmt_kernelIiLi16ELi32ELi8ELc78ELc84ELc76ELb0ELb0EddPKPKdPKPdEviT_T9_T10_S7_lS9_S7_lS8_T11_S7_li, .Lfunc_end352-_ZL29rocblas_internal_gemmt_kernelIiLi16ELi32ELi8ELc78ELc84ELc76ELb0ELb0EddPKPKdPKPdEviT_T9_T10_S7_lS9_S7_lS8_T11_S7_li
                                        ; -- End function
	.set _ZL29rocblas_internal_gemmt_kernelIiLi16ELi32ELi8ELc78ELc84ELc76ELb0ELb0EddPKPKdPKPdEviT_T9_T10_S7_lS9_S7_lS8_T11_S7_li.num_vgpr, 55
	.set _ZL29rocblas_internal_gemmt_kernelIiLi16ELi32ELi8ELc78ELc84ELc76ELb0ELb0EddPKPKdPKPdEviT_T9_T10_S7_lS9_S7_lS8_T11_S7_li.num_agpr, 0
	.set _ZL29rocblas_internal_gemmt_kernelIiLi16ELi32ELi8ELc78ELc84ELc76ELb0ELb0EddPKPKdPKPdEviT_T9_T10_S7_lS9_S7_lS8_T11_S7_li.numbered_sgpr, 37
	.set _ZL29rocblas_internal_gemmt_kernelIiLi16ELi32ELi8ELc78ELc84ELc76ELb0ELb0EddPKPKdPKPdEviT_T9_T10_S7_lS9_S7_lS8_T11_S7_li.num_named_barrier, 0
	.set _ZL29rocblas_internal_gemmt_kernelIiLi16ELi32ELi8ELc78ELc84ELc76ELb0ELb0EddPKPKdPKPdEviT_T9_T10_S7_lS9_S7_lS8_T11_S7_li.private_seg_size, 0
	.set _ZL29rocblas_internal_gemmt_kernelIiLi16ELi32ELi8ELc78ELc84ELc76ELb0ELb0EddPKPKdPKPdEviT_T9_T10_S7_lS9_S7_lS8_T11_S7_li.uses_vcc, 1
	.set _ZL29rocblas_internal_gemmt_kernelIiLi16ELi32ELi8ELc78ELc84ELc76ELb0ELb0EddPKPKdPKPdEviT_T9_T10_S7_lS9_S7_lS8_T11_S7_li.uses_flat_scratch, 0
	.set _ZL29rocblas_internal_gemmt_kernelIiLi16ELi32ELi8ELc78ELc84ELc76ELb0ELb0EddPKPKdPKPdEviT_T9_T10_S7_lS9_S7_lS8_T11_S7_li.has_dyn_sized_stack, 0
	.set _ZL29rocblas_internal_gemmt_kernelIiLi16ELi32ELi8ELc78ELc84ELc76ELb0ELb0EddPKPKdPKPdEviT_T9_T10_S7_lS9_S7_lS8_T11_S7_li.has_recursion, 0
	.set _ZL29rocblas_internal_gemmt_kernelIiLi16ELi32ELi8ELc78ELc84ELc76ELb0ELb0EddPKPKdPKPdEviT_T9_T10_S7_lS9_S7_lS8_T11_S7_li.has_indirect_call, 0
	.section	.AMDGPU.csdata,"",@progbits
; Kernel info:
; codeLenInByte = 2104
; TotalNumSgprs: 39
; NumVgprs: 55
; ScratchSize: 0
; MemoryBound: 0
; FloatMode: 240
; IeeeMode: 1
; LDSByteSize: 4096 bytes/workgroup (compile time only)
; SGPRBlocks: 0
; VGPRBlocks: 6
; NumSGPRsForWavesPerEU: 39
; NumVGPRsForWavesPerEU: 55
; Occupancy: 16
; WaveLimiterHint : 1
; COMPUTE_PGM_RSRC2:SCRATCH_EN: 0
; COMPUTE_PGM_RSRC2:USER_SGPR: 2
; COMPUTE_PGM_RSRC2:TRAP_HANDLER: 0
; COMPUTE_PGM_RSRC2:TGID_X_EN: 1
; COMPUTE_PGM_RSRC2:TGID_Y_EN: 1
; COMPUTE_PGM_RSRC2:TGID_Z_EN: 1
; COMPUTE_PGM_RSRC2:TIDIG_COMP_CNT: 1
	.section	.text._ZL29rocblas_internal_gemmt_kernelIiLi16ELi32ELi8ELc78ELc67ELc76ELb0ELb0EddPKPKdPKPdEviT_T9_T10_S7_lS9_S7_lS8_T11_S7_li,"axG",@progbits,_ZL29rocblas_internal_gemmt_kernelIiLi16ELi32ELi8ELc78ELc67ELc76ELb0ELb0EddPKPKdPKPdEviT_T9_T10_S7_lS9_S7_lS8_T11_S7_li,comdat
	.globl	_ZL29rocblas_internal_gemmt_kernelIiLi16ELi32ELi8ELc78ELc67ELc76ELb0ELb0EddPKPKdPKPdEviT_T9_T10_S7_lS9_S7_lS8_T11_S7_li ; -- Begin function _ZL29rocblas_internal_gemmt_kernelIiLi16ELi32ELi8ELc78ELc67ELc76ELb0ELb0EddPKPKdPKPdEviT_T9_T10_S7_lS9_S7_lS8_T11_S7_li
	.p2align	8
	.type	_ZL29rocblas_internal_gemmt_kernelIiLi16ELi32ELi8ELc78ELc67ELc76ELb0ELb0EddPKPKdPKPdEviT_T9_T10_S7_lS9_S7_lS8_T11_S7_li,@function
_ZL29rocblas_internal_gemmt_kernelIiLi16ELi32ELi8ELc78ELc67ELc76ELb0ELb0EddPKPKdPKPdEviT_T9_T10_S7_lS9_S7_lS8_T11_S7_li: ; @_ZL29rocblas_internal_gemmt_kernelIiLi16ELi32ELi8ELc78ELc67ELc76ELb0ELb0EddPKPKdPKPdEviT_T9_T10_S7_lS9_S7_lS8_T11_S7_li
; %bb.0:
	s_clause 0x2
	s_load_b128 s[8:11], s[0:1], 0x38
	s_load_b64 s[4:5], s[0:1], 0x0
	s_load_b128 s[12:15], s[0:1], 0x8
	s_wait_kmcnt 0x0
	v_cmp_neq_f64_e64 s2, s[10:11], 1.0
	s_and_b32 vcc_lo, exec_lo, s2
	s_cbranch_vccnz .LBB353_2
; %bb.1:
	v_cmp_neq_f64_e64 s2, s[12:13], 0
	s_cmp_lg_u32 s5, 0
	s_cselect_b32 s3, -1, 0
	s_delay_alu instid0(SALU_CYCLE_1)
	s_and_b32 s2, s3, s2
.LBB353_2:
	s_delay_alu instid0(SALU_CYCLE_1)
	s_and_not1_b32 vcc_lo, exec_lo, s2
	s_cbranch_vccnz .LBB353_33
; %bb.3:
	s_load_b32 s30, s[0:1], 0x60
	s_lshr_b32 s6, ttmp7, 16
	s_wait_kmcnt 0x0
	s_cmp_ge_u32 s6, s30
	s_cbranch_scc1 .LBB353_33
; %bb.4:
	v_dual_mov_b32 v34, 0 :: v_dual_and_b32 v1, 0x3ff, v0
	v_bfe_u32 v2, v0, 10, 10
	v_and_b32_e32 v26, 7, v0
	s_clause 0x4
	s_load_b32 s24, s[0:1], 0x18
	s_load_b32 s26, s[0:1], 0x30
	s_load_b96 s[20:22], s[0:1], 0x48
	s_load_b64 s[28:29], s[0:1], 0x58
	s_load_b128 s[16:19], s[0:1], 0x20
	v_lshl_add_u32 v0, v2, 4, v1
	v_lshlrev_b32_e32 v6, 3, v26
	s_lshl_b32 s0, ttmp7, 5
	s_lshl_b32 s1, ttmp9, 5
	s_and_b32 s2, s0, 0x1fffe0
	v_and_b32_e32 v3, 31, v0
	v_lshrrev_b32_e32 v5, 3, v0
	v_lshrrev_b32_e32 v27, 5, v0
	v_cmp_neq_f64_e64 s23, s[12:13], 0
	v_cmp_neq_f64_e64 s31, s[10:11], 0
	v_lshlrev_b32_e32 v0, 3, v3
	v_or_b32_e32 v4, s1, v3
	v_add_nc_u32_e32 v14, s2, v5
	v_lshl_or_b32 v3, v5, 6, v6
	v_add_nc_u32_e32 v5, s2, v2
	v_lshl_or_b32 v28, v27, 8, v0
	v_add_nc_u32_e32 v0, s1, v1
	v_lshl_add_u32 v31, v2, 6, 0x800
	s_wait_kmcnt 0x0
	s_ashr_i32 s25, s24, 31
	s_ashr_i32 s27, s26, 31
	s_cmp_gt_i32 s5, 0
	v_cmp_le_i32_e32 vcc_lo, v5, v0
	v_cmp_gt_i32_e64 s2, s4, v0
	v_add_nc_u32_e32 v2, 16, v0
	v_mad_co_i64_i32 v[8:9], null, v27, s24, 0
	s_cselect_b32 s36, -1, 0
	v_mad_co_i64_i32 v[6:7], null, v5, s22, 0
	s_and_b32 s33, vcc_lo, s2
	v_cmp_le_i32_e32 vcc_lo, v5, v2
	v_add_nc_u32_e32 v5, 16, v5
	v_cmp_gt_i32_e64 s3, s4, v2
	v_cmp_gt_i32_e64 s0, s4, v4
	;; [unrolled: 1-line block ×3, first 2 shown]
	v_lshlrev_b64_e32 v[8:9], 3, v[8:9]
	v_cmp_le_i32_e64 s4, v5, v0
	s_and_b32 s34, vcc_lo, s3
	v_cmp_le_i32_e32 vcc_lo, v5, v2
	v_mad_co_i64_i32 v[12:13], null, s26, v26, 0
	v_mad_co_i64_i32 v[10:11], null, v5, s22, 0
	v_ashrrev_i32_e32 v5, 31, v4
	s_and_b32 s4, s4, s2
	s_and_b32 s35, vcc_lo, s3
	s_lshl_b64 s[2:3], s[16:17], 3
	v_add_nc_u32_e32 v29, 0x800, v3
	v_lshlrev_b64_e32 v[4:5], 3, v[4:5]
	s_wait_alu 0xfffe
	v_add_co_u32 v15, vcc_lo, v8, s2
	s_delay_alu instid0(VALU_DEP_1) | instskip(SKIP_1) | instid1(VALU_DEP_3)
	v_add_co_ci_u32_e64 v16, null, s3, v9, vcc_lo
	v_lshlrev_b64_e32 v[8:9], 3, v[12:13]
	v_add_co_u32 v32, vcc_lo, v15, v4
	s_lshl_b64 s[2:3], s[8:9], 3
	s_wait_alu 0xfffd
	v_add_co_ci_u32_e64 v33, null, v16, v5, vcc_lo
	v_lshlrev_b32_e32 v4, 3, v14
	s_wait_alu 0xfffe
	v_add_co_u32 v5, vcc_lo, v8, s2
	s_wait_alu 0xfffd
	v_add_co_ci_u32_e64 v8, null, s3, v9, vcc_lo
	v_lshlrev_b32_e32 v30, 3, v1
	s_delay_alu instid0(VALU_DEP_3)
	v_add_co_u32 v35, vcc_lo, v5, v4
	v_lshlrev_b64_e32 v[4:5], 3, v[6:7]
	v_lshlrev_b64_e32 v[6:7], 3, v[10:11]
	v_ashrrev_i32_e32 v1, 31, v0
	v_ashrrev_i32_e32 v3, 31, v2
	s_wait_alu 0xfffd
	v_add_co_ci_u32_e64 v36, null, 0, v8, vcc_lo
	s_mov_b32 s7, 0
	s_and_b32 s36, s23, s36
	s_lshl_b64 s[2:3], s[24:25], 6
	s_lshl_b64 s[8:9], s[26:27], 6
	;; [unrolled: 1-line block ×3, first 2 shown]
	s_branch .LBB353_6
.LBB353_5:                              ;   in Loop: Header=BB353_6 Depth=1
	s_wait_alu 0xfffe
	s_or_b32 exec_lo, exec_lo, s22
	s_add_co_i32 s6, s6, 0x10000
	s_delay_alu instid0(SALU_CYCLE_1)
	s_cmp_lt_u32 s6, s30
	s_cbranch_scc0 .LBB353_33
.LBB353_6:                              ; =>This Loop Header: Depth=1
                                        ;     Child Loop BB353_9 Depth 2
	s_lshl_b64 s[22:23], s[6:7], 3
	v_mov_b32_e32 v20, 0
	s_wait_alu 0xfffe
	s_add_nc_u64 s[24:25], s[20:21], s[22:23]
	v_mov_b32_e32 v10, 0
	global_load_b64 v[12:13], v34, s[24:25]
	v_dual_mov_b32 v21, 0 :: v_dual_mov_b32 v14, 0
	v_dual_mov_b32 v11, 0 :: v_dual_mov_b32 v8, 0
	v_mov_b32_e32 v15, 0
	v_mov_b32_e32 v9, 0
	s_and_not1_b32 vcc_lo, exec_lo, s36
	s_wait_alu 0xfffe
	s_cbranch_vccnz .LBB353_13
; %bb.7:                                ;   in Loop: Header=BB353_6 Depth=1
	s_add_nc_u64 s[24:25], s[14:15], s[22:23]
	s_add_nc_u64 s[22:23], s[18:19], s[22:23]
	s_clause 0x1
	global_load_b64 v[16:17], v34, s[24:25]
	global_load_b64 v[18:19], v34, s[22:23]
	v_mov_b32_e32 v8, 0
	v_dual_mov_b32 v14, 0 :: v_dual_mov_b32 v9, 0
	v_dual_mov_b32 v10, 0 :: v_dual_mov_b32 v15, 0
	;; [unrolled: 1-line block ×3, first 2 shown]
	v_mov_b32_e32 v21, 0
	s_mov_b32 s22, 0
	s_wait_loadcnt 0x1
	v_add_co_u32 v16, vcc_lo, v16, v32
	s_wait_alu 0xfffd
	v_add_co_ci_u32_e64 v17, null, v17, v33, vcc_lo
	s_wait_loadcnt 0x0
	v_add_co_u32 v18, vcc_lo, v18, v35
	s_wait_alu 0xfffd
	v_add_co_ci_u32_e64 v19, null, v19, v36, vcc_lo
	s_branch .LBB353_9
.LBB353_8:                              ;   in Loop: Header=BB353_9 Depth=2
	s_wait_alu 0xfffe
	s_or_b32 exec_lo, exec_lo, s23
	s_wait_loadcnt_dscnt 0x0
	ds_store_b64 v29, v[24:25]
	s_wait_dscnt 0x0
	s_barrier_signal -1
	s_barrier_wait -1
	global_inv scope:SCOPE_SE
	ds_load_b128 v[22:25], v31
	ds_load_2addr_b64 v[37:40], v30 offset1:16
	ds_load_b128 v[41:44], v31 offset:1024
	ds_load_b128 v[45:48], v31 offset:16
	ds_load_b128 v[49:52], v31 offset:1040
	v_add_co_u32 v16, vcc_lo, v16, s2
	s_wait_alu 0xfffd
	v_add_co_ci_u32_e64 v17, null, s3, v17, vcc_lo
	v_add_co_u32 v18, vcc_lo, v18, s8
	s_wait_alu 0xfffd
	v_add_co_ci_u32_e64 v19, null, s9, v19, vcc_lo
	s_add_co_i32 s22, s22, 8
	s_wait_alu 0xfffe
	s_cmp_lt_i32 s22, s5
	s_wait_dscnt 0x3
	v_fma_f64 v[20:21], v[37:38], v[22:23], v[20:21]
	v_fma_f64 v[14:15], v[39:40], v[22:23], v[14:15]
	s_wait_dscnt 0x2
	v_fma_f64 v[22:23], v[37:38], v[41:42], v[10:11]
	v_fma_f64 v[37:38], v[39:40], v[41:42], v[8:9]
	ds_load_2addr_b64 v[8:11], v30 offset0:32 offset1:48
	s_wait_dscnt 0x0
	v_fma_f64 v[20:21], v[8:9], v[24:25], v[20:21]
	v_fma_f64 v[14:15], v[10:11], v[24:25], v[14:15]
	v_fma_f64 v[22:23], v[8:9], v[43:44], v[22:23]
	v_fma_f64 v[24:25], v[10:11], v[43:44], v[37:38]
	ds_load_2addr_b64 v[8:11], v30 offset0:64 offset1:80
	s_wait_dscnt 0x0
	v_fma_f64 v[20:21], v[8:9], v[45:46], v[20:21]
	v_fma_f64 v[14:15], v[10:11], v[45:46], v[14:15]
	;; [unrolled: 6-line block ×3, first 2 shown]
	v_fma_f64 v[53:54], v[8:9], v[51:52], v[22:23]
	v_fma_f64 v[24:25], v[10:11], v[51:52], v[24:25]
	ds_load_b128 v[8:11], v31 offset:32
	ds_load_2addr_b64 v[20:23], v30 offset0:128 offset1:144
	ds_load_b128 v[37:40], v31 offset:1056
	ds_load_b128 v[41:44], v31 offset:48
	;; [unrolled: 1-line block ×3, first 2 shown]
	s_wait_dscnt 0x3
	v_fma_f64 v[49:50], v[20:21], v[8:9], v[49:50]
	v_fma_f64 v[8:9], v[22:23], v[8:9], v[14:15]
	s_wait_dscnt 0x2
	v_fma_f64 v[14:15], v[20:21], v[37:38], v[53:54]
	v_fma_f64 v[24:25], v[22:23], v[37:38], v[24:25]
	ds_load_2addr_b64 v[20:23], v30 offset0:160 offset1:176
	s_wait_dscnt 0x0
	v_fma_f64 v[37:38], v[20:21], v[10:11], v[49:50]
	v_fma_f64 v[49:50], v[22:23], v[10:11], v[8:9]
	;; [unrolled: 1-line block ×4, first 2 shown]
	ds_load_2addr_b64 v[8:11], v30 offset0:192 offset1:208
	ds_load_2addr_b64 v[22:25], v30 offset0:224 offset1:240
	s_wait_loadcnt_dscnt 0x0
	s_barrier_signal -1
	s_barrier_wait -1
	global_inv scope:SCOPE_SE
	v_fma_f64 v[37:38], v[8:9], v[41:42], v[37:38]
	v_fma_f64 v[39:40], v[10:11], v[41:42], v[49:50]
	;; [unrolled: 1-line block ×4, first 2 shown]
	s_delay_alu instid0(VALU_DEP_4) | instskip(NEXT) | instid1(VALU_DEP_4)
	v_fma_f64 v[20:21], v[22:23], v[43:44], v[37:38]
	v_fma_f64 v[14:15], v[24:25], v[43:44], v[39:40]
	s_delay_alu instid0(VALU_DEP_4) | instskip(NEXT) | instid1(VALU_DEP_4)
	v_fma_f64 v[10:11], v[22:23], v[47:48], v[8:9]
	v_fma_f64 v[8:9], v[24:25], v[47:48], v[41:42]
	s_cbranch_scc0 .LBB353_13
.LBB353_9:                              ;   Parent Loop BB353_6 Depth=1
                                        ; =>  This Inner Loop Header: Depth=2
	s_wait_alu 0xfffe
	v_add_nc_u32_e32 v22, s22, v27
	s_delay_alu instid0(VALU_DEP_1)
	v_cmp_gt_i32_e32 vcc_lo, s5, v22
	v_mov_b32_e32 v22, 0
	v_mov_b32_e32 v23, 0
	s_and_b32 s24, s0, vcc_lo
	s_wait_alu 0xfffe
	s_and_saveexec_b32 s23, s24
	s_cbranch_execz .LBB353_11
; %bb.10:                               ;   in Loop: Header=BB353_9 Depth=2
	flat_load_b64 v[22:23], v[16:17]
.LBB353_11:                             ;   in Loop: Header=BB353_9 Depth=2
	s_wait_alu 0xfffe
	s_or_b32 exec_lo, exec_lo, s23
	v_add_nc_u32_e32 v24, s22, v26
	s_wait_loadcnt_dscnt 0x0
	ds_store_b64 v28, v[22:23]
	v_cmp_gt_i32_e32 vcc_lo, s5, v24
	v_mov_b32_e32 v24, 0
	v_mov_b32_e32 v25, 0
	s_and_b32 s24, vcc_lo, s1
	s_wait_alu 0xfffe
	s_and_saveexec_b32 s23, s24
	s_cbranch_execz .LBB353_8
; %bb.12:                               ;   in Loop: Header=BB353_9 Depth=2
	flat_load_b64 v[24:25], v[18:19]
	s_branch .LBB353_8
.LBB353_13:                             ;   in Loop: Header=BB353_6 Depth=1
	s_wait_loadcnt 0x0
	v_add_co_u32 v16, vcc_lo, v12, s16
	s_wait_alu 0xfffd
	v_add_co_ci_u32_e64 v17, null, s17, v13, vcc_lo
	s_delay_alu instid0(VALU_DEP_2) | instskip(SKIP_1) | instid1(VALU_DEP_2)
	v_add_co_u32 v18, vcc_lo, v16, v4
	s_wait_alu 0xfffd
	v_add_co_ci_u32_e64 v19, null, v17, v5, vcc_lo
	s_and_saveexec_b32 s22, s33
	s_cbranch_execz .LBB353_17
; %bb.14:                               ;   in Loop: Header=BB353_6 Depth=1
	v_mul_f64_e32 v[12:13], s[12:13], v[20:21]
	s_and_b32 vcc_lo, exec_lo, s31
	s_wait_alu 0xfffe
	s_cbranch_vccz .LBB353_28
; %bb.15:                               ;   in Loop: Header=BB353_6 Depth=1
	v_lshlrev_b64_e32 v[20:21], 3, v[0:1]
	s_delay_alu instid0(VALU_DEP_1) | instskip(SKIP_1) | instid1(VALU_DEP_2)
	v_add_co_u32 v20, vcc_lo, v18, v20
	s_wait_alu 0xfffd
	v_add_co_ci_u32_e64 v21, null, v19, v21, vcc_lo
	flat_load_b64 v[22:23], v[20:21]
	s_wait_loadcnt_dscnt 0x0
	v_fma_f64 v[22:23], s[10:11], v[22:23], v[12:13]
	flat_store_b64 v[20:21], v[22:23]
	s_cbranch_execnz .LBB353_17
.LBB353_16:                             ;   in Loop: Header=BB353_6 Depth=1
	v_lshlrev_b64_e32 v[20:21], 3, v[0:1]
	s_delay_alu instid0(VALU_DEP_1) | instskip(SKIP_1) | instid1(VALU_DEP_2)
	v_add_co_u32 v20, vcc_lo, v18, v20
	s_wait_alu 0xfffd
	v_add_co_ci_u32_e64 v21, null, v19, v21, vcc_lo
	flat_store_b64 v[20:21], v[12:13]
.LBB353_17:                             ;   in Loop: Header=BB353_6 Depth=1
	s_wait_alu 0xfffe
	s_or_b32 exec_lo, exec_lo, s22
	s_and_saveexec_b32 s22, s34
	s_cbranch_execz .LBB353_21
; %bb.18:                               ;   in Loop: Header=BB353_6 Depth=1
	v_mul_f64_e32 v[12:13], s[12:13], v[14:15]
	s_and_not1_b32 vcc_lo, exec_lo, s31
	s_wait_alu 0xfffe
	s_cbranch_vccnz .LBB353_29
; %bb.19:                               ;   in Loop: Header=BB353_6 Depth=1
	v_lshlrev_b64_e32 v[14:15], 3, v[2:3]
	s_delay_alu instid0(VALU_DEP_1) | instskip(SKIP_1) | instid1(VALU_DEP_2)
	v_add_co_u32 v14, vcc_lo, v18, v14
	s_wait_alu 0xfffd
	v_add_co_ci_u32_e64 v15, null, v19, v15, vcc_lo
	flat_load_b64 v[20:21], v[14:15]
	s_wait_loadcnt_dscnt 0x0
	v_fma_f64 v[20:21], s[10:11], v[20:21], v[12:13]
	flat_store_b64 v[14:15], v[20:21]
	s_cbranch_execnz .LBB353_21
.LBB353_20:                             ;   in Loop: Header=BB353_6 Depth=1
	v_lshlrev_b64_e32 v[14:15], 3, v[2:3]
	s_delay_alu instid0(VALU_DEP_1) | instskip(SKIP_1) | instid1(VALU_DEP_2)
	v_add_co_u32 v14, vcc_lo, v18, v14
	s_wait_alu 0xfffd
	v_add_co_ci_u32_e64 v15, null, v19, v15, vcc_lo
	flat_store_b64 v[14:15], v[12:13]
.LBB353_21:                             ;   in Loop: Header=BB353_6 Depth=1
	s_wait_alu 0xfffe
	s_or_b32 exec_lo, exec_lo, s22
	v_add_co_u32 v14, vcc_lo, v16, v6
	s_wait_alu 0xfffd
	v_add_co_ci_u32_e64 v15, null, v17, v7, vcc_lo
	s_and_saveexec_b32 s22, s4
	s_cbranch_execz .LBB353_25
; %bb.22:                               ;   in Loop: Header=BB353_6 Depth=1
	v_mul_f64_e32 v[10:11], s[12:13], v[10:11]
	v_lshlrev_b64_e32 v[12:13], 3, v[0:1]
	s_and_not1_b32 vcc_lo, exec_lo, s31
	s_wait_alu 0xfffe
	s_cbranch_vccnz .LBB353_30
; %bb.23:                               ;   in Loop: Header=BB353_6 Depth=1
	s_delay_alu instid0(VALU_DEP_1)
	v_add_co_u32 v16, vcc_lo, v14, v12
	s_wait_alu 0xfffd
	v_add_co_ci_u32_e64 v17, null, v15, v13, vcc_lo
	flat_load_b64 v[18:19], v[16:17]
	s_wait_loadcnt_dscnt 0x0
	v_fma_f64 v[18:19], s[10:11], v[18:19], v[10:11]
	flat_store_b64 v[16:17], v[18:19]
	s_cbranch_execnz .LBB353_25
.LBB353_24:                             ;   in Loop: Header=BB353_6 Depth=1
	s_delay_alu instid0(VALU_DEP_1)
	v_add_co_u32 v12, vcc_lo, v14, v12
	s_wait_alu 0xfffd
	v_add_co_ci_u32_e64 v13, null, v15, v13, vcc_lo
	flat_store_b64 v[12:13], v[10:11]
.LBB353_25:                             ;   in Loop: Header=BB353_6 Depth=1
	s_wait_alu 0xfffe
	s_or_b32 exec_lo, exec_lo, s22
	s_and_saveexec_b32 s22, s35
	s_cbranch_execz .LBB353_5
; %bb.26:                               ;   in Loop: Header=BB353_6 Depth=1
	v_mul_f64_e32 v[8:9], s[12:13], v[8:9]
	v_lshlrev_b64_e32 v[10:11], 3, v[2:3]
	s_and_not1_b32 vcc_lo, exec_lo, s31
	s_wait_alu 0xfffe
	s_cbranch_vccnz .LBB353_31
; %bb.27:                               ;   in Loop: Header=BB353_6 Depth=1
	s_delay_alu instid0(VALU_DEP_1)
	v_add_co_u32 v12, vcc_lo, v14, v10
	s_wait_alu 0xfffd
	v_add_co_ci_u32_e64 v13, null, v15, v11, vcc_lo
	flat_load_b64 v[16:17], v[12:13]
	s_wait_loadcnt_dscnt 0x0
	v_fma_f64 v[16:17], s[10:11], v[16:17], v[8:9]
	flat_store_b64 v[12:13], v[16:17]
	s_cbranch_execnz .LBB353_5
	s_branch .LBB353_32
.LBB353_28:                             ;   in Loop: Header=BB353_6 Depth=1
	s_branch .LBB353_16
.LBB353_29:                             ;   in Loop: Header=BB353_6 Depth=1
	s_branch .LBB353_20
.LBB353_30:                             ;   in Loop: Header=BB353_6 Depth=1
	s_branch .LBB353_24
.LBB353_31:                             ;   in Loop: Header=BB353_6 Depth=1
.LBB353_32:                             ;   in Loop: Header=BB353_6 Depth=1
	s_delay_alu instid0(VALU_DEP_1)
	v_add_co_u32 v10, vcc_lo, v14, v10
	s_wait_alu 0xfffd
	v_add_co_ci_u32_e64 v11, null, v15, v11, vcc_lo
	flat_store_b64 v[10:11], v[8:9]
	s_branch .LBB353_5
.LBB353_33:
	s_endpgm
	.section	.rodata,"a",@progbits
	.p2align	6, 0x0
	.amdhsa_kernel _ZL29rocblas_internal_gemmt_kernelIiLi16ELi32ELi8ELc78ELc67ELc76ELb0ELb0EddPKPKdPKPdEviT_T9_T10_S7_lS9_S7_lS8_T11_S7_li
		.amdhsa_group_segment_fixed_size 4096
		.amdhsa_private_segment_fixed_size 0
		.amdhsa_kernarg_size 100
		.amdhsa_user_sgpr_count 2
		.amdhsa_user_sgpr_dispatch_ptr 0
		.amdhsa_user_sgpr_queue_ptr 0
		.amdhsa_user_sgpr_kernarg_segment_ptr 1
		.amdhsa_user_sgpr_dispatch_id 0
		.amdhsa_user_sgpr_private_segment_size 0
		.amdhsa_wavefront_size32 1
		.amdhsa_uses_dynamic_stack 0
		.amdhsa_enable_private_segment 0
		.amdhsa_system_sgpr_workgroup_id_x 1
		.amdhsa_system_sgpr_workgroup_id_y 1
		.amdhsa_system_sgpr_workgroup_id_z 1
		.amdhsa_system_sgpr_workgroup_info 0
		.amdhsa_system_vgpr_workitem_id 1
		.amdhsa_next_free_vgpr 55
		.amdhsa_next_free_sgpr 37
		.amdhsa_reserve_vcc 1
		.amdhsa_float_round_mode_32 0
		.amdhsa_float_round_mode_16_64 0
		.amdhsa_float_denorm_mode_32 3
		.amdhsa_float_denorm_mode_16_64 3
		.amdhsa_fp16_overflow 0
		.amdhsa_workgroup_processor_mode 1
		.amdhsa_memory_ordered 1
		.amdhsa_forward_progress 1
		.amdhsa_inst_pref_size 17
		.amdhsa_round_robin_scheduling 0
		.amdhsa_exception_fp_ieee_invalid_op 0
		.amdhsa_exception_fp_denorm_src 0
		.amdhsa_exception_fp_ieee_div_zero 0
		.amdhsa_exception_fp_ieee_overflow 0
		.amdhsa_exception_fp_ieee_underflow 0
		.amdhsa_exception_fp_ieee_inexact 0
		.amdhsa_exception_int_div_zero 0
	.end_amdhsa_kernel
	.section	.text._ZL29rocblas_internal_gemmt_kernelIiLi16ELi32ELi8ELc78ELc67ELc76ELb0ELb0EddPKPKdPKPdEviT_T9_T10_S7_lS9_S7_lS8_T11_S7_li,"axG",@progbits,_ZL29rocblas_internal_gemmt_kernelIiLi16ELi32ELi8ELc78ELc67ELc76ELb0ELb0EddPKPKdPKPdEviT_T9_T10_S7_lS9_S7_lS8_T11_S7_li,comdat
.Lfunc_end353:
	.size	_ZL29rocblas_internal_gemmt_kernelIiLi16ELi32ELi8ELc78ELc67ELc76ELb0ELb0EddPKPKdPKPdEviT_T9_T10_S7_lS9_S7_lS8_T11_S7_li, .Lfunc_end353-_ZL29rocblas_internal_gemmt_kernelIiLi16ELi32ELi8ELc78ELc67ELc76ELb0ELb0EddPKPKdPKPdEviT_T9_T10_S7_lS9_S7_lS8_T11_S7_li
                                        ; -- End function
	.set _ZL29rocblas_internal_gemmt_kernelIiLi16ELi32ELi8ELc78ELc67ELc76ELb0ELb0EddPKPKdPKPdEviT_T9_T10_S7_lS9_S7_lS8_T11_S7_li.num_vgpr, 55
	.set _ZL29rocblas_internal_gemmt_kernelIiLi16ELi32ELi8ELc78ELc67ELc76ELb0ELb0EddPKPKdPKPdEviT_T9_T10_S7_lS9_S7_lS8_T11_S7_li.num_agpr, 0
	.set _ZL29rocblas_internal_gemmt_kernelIiLi16ELi32ELi8ELc78ELc67ELc76ELb0ELb0EddPKPKdPKPdEviT_T9_T10_S7_lS9_S7_lS8_T11_S7_li.numbered_sgpr, 37
	.set _ZL29rocblas_internal_gemmt_kernelIiLi16ELi32ELi8ELc78ELc67ELc76ELb0ELb0EddPKPKdPKPdEviT_T9_T10_S7_lS9_S7_lS8_T11_S7_li.num_named_barrier, 0
	.set _ZL29rocblas_internal_gemmt_kernelIiLi16ELi32ELi8ELc78ELc67ELc76ELb0ELb0EddPKPKdPKPdEviT_T9_T10_S7_lS9_S7_lS8_T11_S7_li.private_seg_size, 0
	.set _ZL29rocblas_internal_gemmt_kernelIiLi16ELi32ELi8ELc78ELc67ELc76ELb0ELb0EddPKPKdPKPdEviT_T9_T10_S7_lS9_S7_lS8_T11_S7_li.uses_vcc, 1
	.set _ZL29rocblas_internal_gemmt_kernelIiLi16ELi32ELi8ELc78ELc67ELc76ELb0ELb0EddPKPKdPKPdEviT_T9_T10_S7_lS9_S7_lS8_T11_S7_li.uses_flat_scratch, 0
	.set _ZL29rocblas_internal_gemmt_kernelIiLi16ELi32ELi8ELc78ELc67ELc76ELb0ELb0EddPKPKdPKPdEviT_T9_T10_S7_lS9_S7_lS8_T11_S7_li.has_dyn_sized_stack, 0
	.set _ZL29rocblas_internal_gemmt_kernelIiLi16ELi32ELi8ELc78ELc67ELc76ELb0ELb0EddPKPKdPKPdEviT_T9_T10_S7_lS9_S7_lS8_T11_S7_li.has_recursion, 0
	.set _ZL29rocblas_internal_gemmt_kernelIiLi16ELi32ELi8ELc78ELc67ELc76ELb0ELb0EddPKPKdPKPdEviT_T9_T10_S7_lS9_S7_lS8_T11_S7_li.has_indirect_call, 0
	.section	.AMDGPU.csdata,"",@progbits
; Kernel info:
; codeLenInByte = 2104
; TotalNumSgprs: 39
; NumVgprs: 55
; ScratchSize: 0
; MemoryBound: 0
; FloatMode: 240
; IeeeMode: 1
; LDSByteSize: 4096 bytes/workgroup (compile time only)
; SGPRBlocks: 0
; VGPRBlocks: 6
; NumSGPRsForWavesPerEU: 39
; NumVGPRsForWavesPerEU: 55
; Occupancy: 16
; WaveLimiterHint : 1
; COMPUTE_PGM_RSRC2:SCRATCH_EN: 0
; COMPUTE_PGM_RSRC2:USER_SGPR: 2
; COMPUTE_PGM_RSRC2:TRAP_HANDLER: 0
; COMPUTE_PGM_RSRC2:TGID_X_EN: 1
; COMPUTE_PGM_RSRC2:TGID_Y_EN: 1
; COMPUTE_PGM_RSRC2:TGID_Z_EN: 1
; COMPUTE_PGM_RSRC2:TIDIG_COMP_CNT: 1
	.section	.text._ZL29rocblas_internal_gemmt_kernelIiLi16ELi32ELi8ELc84ELc78ELc76ELb0ELb0EddPKPKdPKPdEviT_T9_T10_S7_lS9_S7_lS8_T11_S7_li,"axG",@progbits,_ZL29rocblas_internal_gemmt_kernelIiLi16ELi32ELi8ELc84ELc78ELc76ELb0ELb0EddPKPKdPKPdEviT_T9_T10_S7_lS9_S7_lS8_T11_S7_li,comdat
	.globl	_ZL29rocblas_internal_gemmt_kernelIiLi16ELi32ELi8ELc84ELc78ELc76ELb0ELb0EddPKPKdPKPdEviT_T9_T10_S7_lS9_S7_lS8_T11_S7_li ; -- Begin function _ZL29rocblas_internal_gemmt_kernelIiLi16ELi32ELi8ELc84ELc78ELc76ELb0ELb0EddPKPKdPKPdEviT_T9_T10_S7_lS9_S7_lS8_T11_S7_li
	.p2align	8
	.type	_ZL29rocblas_internal_gemmt_kernelIiLi16ELi32ELi8ELc84ELc78ELc76ELb0ELb0EddPKPKdPKPdEviT_T9_T10_S7_lS9_S7_lS8_T11_S7_li,@function
_ZL29rocblas_internal_gemmt_kernelIiLi16ELi32ELi8ELc84ELc78ELc76ELb0ELb0EddPKPKdPKPdEviT_T9_T10_S7_lS9_S7_lS8_T11_S7_li: ; @_ZL29rocblas_internal_gemmt_kernelIiLi16ELi32ELi8ELc84ELc78ELc76ELb0ELb0EddPKPKdPKPdEviT_T9_T10_S7_lS9_S7_lS8_T11_S7_li
; %bb.0:
	s_clause 0x2
	s_load_b128 s[8:11], s[0:1], 0x38
	s_load_b64 s[6:7], s[0:1], 0x0
	s_load_b128 s[12:15], s[0:1], 0x8
	s_wait_kmcnt 0x0
	v_cmp_neq_f64_e64 s2, s[10:11], 1.0
	s_and_b32 vcc_lo, exec_lo, s2
	s_cbranch_vccnz .LBB354_2
; %bb.1:
	v_cmp_neq_f64_e64 s2, s[12:13], 0
	s_cmp_lg_u32 s7, 0
	s_cselect_b32 s3, -1, 0
	s_delay_alu instid0(SALU_CYCLE_1)
	s_and_b32 s2, s3, s2
.LBB354_2:
	s_delay_alu instid0(SALU_CYCLE_1)
	s_and_not1_b32 vcc_lo, exec_lo, s2
	s_cbranch_vccnz .LBB354_33
; %bb.3:
	s_load_b32 s23, s[0:1], 0x60
	s_lshr_b32 s24, ttmp7, 16
	s_wait_kmcnt 0x0
	s_cmp_ge_u32 s24, s23
	s_cbranch_scc1 .LBB354_33
; %bb.4:
	v_dual_mov_b32 v32, 0 :: v_dual_and_b32 v1, 0x3ff, v0
	v_bfe_u32 v2, v0, 10, 10
	v_and_b32_e32 v26, 7, v0
	s_clause 0x4
	s_load_b32 s5, s[0:1], 0x18
	s_load_b128 s[16:19], s[0:1], 0x20
	s_load_b32 s30, s[0:1], 0x30
	s_load_b96 s[20:22], s[0:1], 0x48
	s_load_b64 s[26:27], s[0:1], 0x58
	v_cmp_neq_f64_e64 s31, s[12:13], 0
	s_lshl_b32 s2, ttmp9, 5
	v_lshl_add_u32 v0, v2, 4, v1
	v_cmp_neq_f64_e64 s28, s[10:11], 0
	v_lshlrev_b32_e32 v12, 3, v26
	v_add_nc_u32_e32 v6, s2, v1
	s_lshl_b32 s0, ttmp7, 5
	v_and_b32_e32 v3, 31, v0
	v_lshrrev_b32_e32 v4, 3, v0
	v_lshrrev_b32_e32 v27, 5, v0
	s_and_b32 s3, s0, 0x1fffe0
	v_lshl_add_u32 v31, v2, 6, 0x800
	v_lshlrev_b32_e32 v0, 3, v3
	v_or_b32_e32 v5, s2, v3
	s_wait_alu 0xfffe
	v_add_nc_u32_e32 v8, s3, v4
	v_lshl_or_b32 v3, v4, 6, v12
	v_add_nc_u32_e32 v9, s3, v2
	v_lshl_or_b32 v28, v27, 8, v0
	v_add_nc_u32_e32 v0, 16, v6
	v_cmp_gt_i32_e64 s0, s6, v5
	s_wait_kmcnt 0x0
	v_mad_co_i64_i32 v[4:5], null, s5, v5, 0
	v_cmp_gt_i32_e64 s1, s6, v8
	v_add_nc_u32_e32 v29, 0x800, v3
	v_cmp_le_i32_e32 vcc_lo, v9, v6
	v_mad_co_i64_i32 v[2:3], null, v9, s22, 0
	v_cmp_le_i32_e64 s3, v9, v0
	v_add_nc_u32_e32 v13, 16, v9
	v_mad_co_i64_i32 v[8:9], null, s30, v8, 0
	v_lshlrev_b64_e32 v[4:5], 3, v[4:5]
	v_cmp_gt_i32_e64 s2, s6, v6
	v_cmp_gt_i32_e64 s4, s6, v0
	s_cmp_gt_i32 s7, 0
	v_mad_co_i64_i32 v[10:11], null, v13, s22, 0
	v_lshlrev_b64_e32 v[8:9], 3, v[8:9]
	s_cselect_b32 s33, -1, 0
	s_lshl_b64 s[16:17], s[16:17], 3
	s_and_b32 s6, vcc_lo, s2
	s_and_b32 s29, s3, s4
	v_cmp_le_i32_e32 vcc_lo, v13, v6
	v_cmp_le_i32_e64 s3, v13, v0
	v_add_co_u32 v4, s5, v4, s16
	v_lshlrev_b32_e32 v13, 3, v27
	s_lshl_b64 s[8:9], s[8:9], 3
	s_wait_alu 0xf1ff
	v_add_co_ci_u32_e64 v5, null, s17, v5, s5
	v_add_co_u32 v8, s5, v8, s8
	v_ashrrev_i32_e32 v7, 31, v6
	s_wait_alu 0xf1ff
	v_add_co_ci_u32_e64 v9, null, s9, v9, s5
	v_add_co_u32 v33, s5, v4, v13
	s_wait_alu 0xf1ff
	v_add_co_ci_u32_e64 v34, null, 0, v5, s5
	v_add_co_u32 v35, s5, v8, v12
	v_lshlrev_b64_e32 v[2:3], 3, v[2:3]
	v_lshlrev_b64_e32 v[4:5], 3, v[10:11]
	;; [unrolled: 1-line block ×3, first 2 shown]
	v_lshlrev_b32_e32 v30, 3, v1
	v_ashrrev_i32_e32 v1, 31, v0
	s_wait_alu 0xf1ff
	v_add_co_ci_u32_e64 v36, null, 0, v9, s5
	s_mov_b32 s25, 0
	s_and_b32 s8, s31, s33
	s_and_b32 s9, vcc_lo, s2
	s_and_b32 s16, s3, s4
	s_lshl_b64 s[2:3], s[26:27], 3
	s_branch .LBB354_6
.LBB354_5:                              ;   in Loop: Header=BB354_6 Depth=1
	s_wait_alu 0xfffe
	s_or_b32 exec_lo, exec_lo, s4
	s_add_co_i32 s24, s24, 0x10000
	s_delay_alu instid0(SALU_CYCLE_1)
	s_cmp_lt_u32 s24, s23
	s_cbranch_scc0 .LBB354_33
.LBB354_6:                              ; =>This Loop Header: Depth=1
                                        ;     Child Loop BB354_9 Depth 2
	s_lshl_b64 s[4:5], s[24:25], 3
	v_mov_b32_e32 v20, 0
	s_wait_alu 0xfffe
	s_add_nc_u64 s[26:27], s[20:21], s[4:5]
	v_mov_b32_e32 v12, 0
	global_load_b64 v[10:11], v32, s[26:27]
	v_dual_mov_b32 v21, 0 :: v_dual_mov_b32 v14, 0
	v_dual_mov_b32 v13, 0 :: v_dual_mov_b32 v8, 0
	v_mov_b32_e32 v15, 0
	v_mov_b32_e32 v9, 0
	s_and_not1_b32 vcc_lo, exec_lo, s8
	s_wait_alu 0xfffe
	s_cbranch_vccnz .LBB354_13
; %bb.7:                                ;   in Loop: Header=BB354_6 Depth=1
	s_add_nc_u64 s[26:27], s[14:15], s[4:5]
	s_add_nc_u64 s[4:5], s[18:19], s[4:5]
	s_clause 0x1
	global_load_b64 v[16:17], v32, s[26:27]
	global_load_b64 v[18:19], v32, s[4:5]
	v_mov_b32_e32 v8, 0
	v_dual_mov_b32 v14, 0 :: v_dual_mov_b32 v9, 0
	v_dual_mov_b32 v12, 0 :: v_dual_mov_b32 v15, 0
	v_dual_mov_b32 v20, 0 :: v_dual_mov_b32 v13, 0
	v_mov_b32_e32 v21, 0
	s_mov_b32 s4, 0
	s_wait_loadcnt 0x1
	v_add_co_u32 v16, vcc_lo, v16, v33
	s_wait_alu 0xfffd
	v_add_co_ci_u32_e64 v17, null, v17, v34, vcc_lo
	s_wait_loadcnt 0x0
	v_add_co_u32 v18, vcc_lo, v18, v35
	s_wait_alu 0xfffd
	v_add_co_ci_u32_e64 v19, null, v19, v36, vcc_lo
	s_branch .LBB354_9
.LBB354_8:                              ;   in Loop: Header=BB354_9 Depth=2
	s_wait_alu 0xfffe
	s_or_b32 exec_lo, exec_lo, s5
	s_wait_loadcnt_dscnt 0x0
	ds_store_b64 v29, v[24:25]
	s_wait_dscnt 0x0
	s_barrier_signal -1
	s_barrier_wait -1
	global_inv scope:SCOPE_SE
	ds_load_b128 v[22:25], v31
	ds_load_2addr_b64 v[37:40], v30 offset1:16
	ds_load_b128 v[41:44], v31 offset:1024
	ds_load_b128 v[45:48], v31 offset:16
	;; [unrolled: 1-line block ×3, first 2 shown]
	v_add_co_u32 v16, vcc_lo, v16, 64
	s_wait_alu 0xfffd
	v_add_co_ci_u32_e64 v17, null, 0, v17, vcc_lo
	v_add_co_u32 v18, vcc_lo, v18, 64
	s_wait_alu 0xfffd
	v_add_co_ci_u32_e64 v19, null, 0, v19, vcc_lo
	s_add_co_i32 s4, s4, 8
	s_wait_alu 0xfffe
	s_cmp_lt_i32 s4, s7
	s_wait_dscnt 0x3
	v_fma_f64 v[20:21], v[37:38], v[22:23], v[20:21]
	v_fma_f64 v[22:23], v[39:40], v[22:23], v[14:15]
	s_wait_dscnt 0x2
	v_fma_f64 v[37:38], v[37:38], v[41:42], v[12:13]
	v_fma_f64 v[8:9], v[39:40], v[41:42], v[8:9]
	ds_load_2addr_b64 v[12:15], v30 offset0:32 offset1:48
	s_wait_dscnt 0x0
	v_fma_f64 v[20:21], v[12:13], v[24:25], v[20:21]
	v_fma_f64 v[22:23], v[14:15], v[24:25], v[22:23]
	v_fma_f64 v[24:25], v[12:13], v[43:44], v[37:38]
	v_fma_f64 v[8:9], v[14:15], v[43:44], v[8:9]
	ds_load_2addr_b64 v[12:15], v30 offset0:64 offset1:80
	s_wait_dscnt 0x0
	v_fma_f64 v[20:21], v[12:13], v[45:46], v[20:21]
	v_fma_f64 v[22:23], v[14:15], v[45:46], v[22:23]
	;; [unrolled: 6-line block ×3, first 2 shown]
	v_fma_f64 v[24:25], v[12:13], v[51:52], v[24:25]
	v_fma_f64 v[8:9], v[14:15], v[51:52], v[8:9]
	ds_load_b128 v[12:15], v31 offset:32
	ds_load_2addr_b64 v[20:23], v30 offset0:128 offset1:144
	ds_load_b128 v[37:40], v31 offset:1056
	ds_load_b128 v[41:44], v31 offset:48
	;; [unrolled: 1-line block ×3, first 2 shown]
	s_wait_dscnt 0x3
	v_fma_f64 v[49:50], v[20:21], v[12:13], v[49:50]
	v_fma_f64 v[12:13], v[22:23], v[12:13], v[53:54]
	s_wait_dscnt 0x2
	v_fma_f64 v[24:25], v[20:21], v[37:38], v[24:25]
	v_fma_f64 v[8:9], v[22:23], v[37:38], v[8:9]
	ds_load_2addr_b64 v[20:23], v30 offset0:160 offset1:176
	s_wait_dscnt 0x0
	v_fma_f64 v[37:38], v[20:21], v[14:15], v[49:50]
	v_fma_f64 v[49:50], v[22:23], v[14:15], v[12:13]
	;; [unrolled: 1-line block ×4, first 2 shown]
	ds_load_2addr_b64 v[12:15], v30 offset0:192 offset1:208
	ds_load_2addr_b64 v[22:25], v30 offset0:224 offset1:240
	s_wait_loadcnt_dscnt 0x0
	s_barrier_signal -1
	s_barrier_wait -1
	global_inv scope:SCOPE_SE
	v_fma_f64 v[37:38], v[12:13], v[41:42], v[37:38]
	v_fma_f64 v[39:40], v[14:15], v[41:42], v[49:50]
	v_fma_f64 v[12:13], v[12:13], v[45:46], v[20:21]
	v_fma_f64 v[8:9], v[14:15], v[45:46], v[8:9]
	s_delay_alu instid0(VALU_DEP_4) | instskip(NEXT) | instid1(VALU_DEP_4)
	v_fma_f64 v[20:21], v[22:23], v[43:44], v[37:38]
	v_fma_f64 v[14:15], v[24:25], v[43:44], v[39:40]
	s_delay_alu instid0(VALU_DEP_4) | instskip(NEXT) | instid1(VALU_DEP_4)
	v_fma_f64 v[12:13], v[22:23], v[47:48], v[12:13]
	v_fma_f64 v[8:9], v[24:25], v[47:48], v[8:9]
	s_cbranch_scc0 .LBB354_13
.LBB354_9:                              ;   Parent Loop BB354_6 Depth=1
                                        ; =>  This Inner Loop Header: Depth=2
	s_wait_alu 0xfffe
	v_add_nc_u32_e32 v22, s4, v27
	s_delay_alu instid0(VALU_DEP_1)
	v_cmp_gt_i32_e32 vcc_lo, s7, v22
	v_mov_b32_e32 v22, 0
	v_mov_b32_e32 v23, 0
	s_and_b32 s17, s0, vcc_lo
	s_wait_alu 0xfffe
	s_and_saveexec_b32 s5, s17
	s_cbranch_execz .LBB354_11
; %bb.10:                               ;   in Loop: Header=BB354_9 Depth=2
	flat_load_b64 v[22:23], v[16:17]
.LBB354_11:                             ;   in Loop: Header=BB354_9 Depth=2
	s_wait_alu 0xfffe
	s_or_b32 exec_lo, exec_lo, s5
	v_add_nc_u32_e32 v24, s4, v26
	s_wait_loadcnt_dscnt 0x0
	ds_store_b64 v28, v[22:23]
	v_cmp_gt_i32_e32 vcc_lo, s7, v24
	v_mov_b32_e32 v24, 0
	v_mov_b32_e32 v25, 0
	s_and_b32 s17, vcc_lo, s1
	s_wait_alu 0xfffe
	s_and_saveexec_b32 s5, s17
	s_cbranch_execz .LBB354_8
; %bb.12:                               ;   in Loop: Header=BB354_9 Depth=2
	flat_load_b64 v[24:25], v[18:19]
	s_branch .LBB354_8
.LBB354_13:                             ;   in Loop: Header=BB354_6 Depth=1
	s_wait_loadcnt 0x0
	v_add_co_u32 v16, vcc_lo, v10, s2
	s_wait_alu 0xfffd
	v_add_co_ci_u32_e64 v17, null, s3, v11, vcc_lo
	s_delay_alu instid0(VALU_DEP_2) | instskip(SKIP_1) | instid1(VALU_DEP_2)
	v_add_co_u32 v18, vcc_lo, v16, v2
	s_wait_alu 0xfffd
	v_add_co_ci_u32_e64 v19, null, v17, v3, vcc_lo
	s_and_saveexec_b32 s4, s6
	s_cbranch_execz .LBB354_17
; %bb.14:                               ;   in Loop: Header=BB354_6 Depth=1
	v_mul_f64_e32 v[10:11], s[12:13], v[20:21]
	s_and_b32 vcc_lo, exec_lo, s28
	s_wait_alu 0xfffe
	s_cbranch_vccz .LBB354_28
; %bb.15:                               ;   in Loop: Header=BB354_6 Depth=1
	v_add_co_u32 v20, vcc_lo, v18, v6
	s_wait_alu 0xfffd
	v_add_co_ci_u32_e64 v21, null, v19, v7, vcc_lo
	flat_load_b64 v[22:23], v[20:21]
	s_wait_loadcnt_dscnt 0x0
	v_fma_f64 v[22:23], s[10:11], v[22:23], v[10:11]
	flat_store_b64 v[20:21], v[22:23]
	s_cbranch_execnz .LBB354_17
.LBB354_16:                             ;   in Loop: Header=BB354_6 Depth=1
	v_add_co_u32 v20, vcc_lo, v18, v6
	s_wait_alu 0xfffd
	v_add_co_ci_u32_e64 v21, null, v19, v7, vcc_lo
	flat_store_b64 v[20:21], v[10:11]
.LBB354_17:                             ;   in Loop: Header=BB354_6 Depth=1
	s_wait_alu 0xfffe
	s_or_b32 exec_lo, exec_lo, s4
	s_and_saveexec_b32 s4, s29
	s_cbranch_execz .LBB354_21
; %bb.18:                               ;   in Loop: Header=BB354_6 Depth=1
	v_mul_f64_e32 v[10:11], s[12:13], v[14:15]
	s_and_not1_b32 vcc_lo, exec_lo, s28
	s_wait_alu 0xfffe
	s_cbranch_vccnz .LBB354_29
; %bb.19:                               ;   in Loop: Header=BB354_6 Depth=1
	v_lshlrev_b64_e32 v[14:15], 3, v[0:1]
	s_delay_alu instid0(VALU_DEP_1) | instskip(SKIP_1) | instid1(VALU_DEP_2)
	v_add_co_u32 v14, vcc_lo, v18, v14
	s_wait_alu 0xfffd
	v_add_co_ci_u32_e64 v15, null, v19, v15, vcc_lo
	flat_load_b64 v[20:21], v[14:15]
	s_wait_loadcnt_dscnt 0x0
	v_fma_f64 v[20:21], s[10:11], v[20:21], v[10:11]
	flat_store_b64 v[14:15], v[20:21]
	s_cbranch_execnz .LBB354_21
.LBB354_20:                             ;   in Loop: Header=BB354_6 Depth=1
	v_lshlrev_b64_e32 v[14:15], 3, v[0:1]
	s_delay_alu instid0(VALU_DEP_1) | instskip(SKIP_1) | instid1(VALU_DEP_2)
	v_add_co_u32 v14, vcc_lo, v18, v14
	s_wait_alu 0xfffd
	v_add_co_ci_u32_e64 v15, null, v19, v15, vcc_lo
	flat_store_b64 v[14:15], v[10:11]
.LBB354_21:                             ;   in Loop: Header=BB354_6 Depth=1
	s_wait_alu 0xfffe
	s_or_b32 exec_lo, exec_lo, s4
	v_add_co_u32 v14, vcc_lo, v16, v4
	s_wait_alu 0xfffd
	v_add_co_ci_u32_e64 v15, null, v17, v5, vcc_lo
	s_and_saveexec_b32 s4, s9
	s_cbranch_execz .LBB354_25
; %bb.22:                               ;   in Loop: Header=BB354_6 Depth=1
	v_mul_f64_e32 v[10:11], s[12:13], v[12:13]
	s_and_not1_b32 vcc_lo, exec_lo, s28
	s_wait_alu 0xfffe
	s_cbranch_vccnz .LBB354_30
; %bb.23:                               ;   in Loop: Header=BB354_6 Depth=1
	v_add_co_u32 v12, vcc_lo, v14, v6
	s_wait_alu 0xfffd
	v_add_co_ci_u32_e64 v13, null, v15, v7, vcc_lo
	flat_load_b64 v[16:17], v[12:13]
	s_wait_loadcnt_dscnt 0x0
	v_fma_f64 v[16:17], s[10:11], v[16:17], v[10:11]
	flat_store_b64 v[12:13], v[16:17]
	s_cbranch_execnz .LBB354_25
.LBB354_24:                             ;   in Loop: Header=BB354_6 Depth=1
	v_add_co_u32 v12, vcc_lo, v14, v6
	s_wait_alu 0xfffd
	v_add_co_ci_u32_e64 v13, null, v15, v7, vcc_lo
	flat_store_b64 v[12:13], v[10:11]
.LBB354_25:                             ;   in Loop: Header=BB354_6 Depth=1
	s_wait_alu 0xfffe
	s_or_b32 exec_lo, exec_lo, s4
	s_and_saveexec_b32 s4, s16
	s_cbranch_execz .LBB354_5
; %bb.26:                               ;   in Loop: Header=BB354_6 Depth=1
	v_mul_f64_e32 v[8:9], s[12:13], v[8:9]
	v_lshlrev_b64_e32 v[10:11], 3, v[0:1]
	s_and_not1_b32 vcc_lo, exec_lo, s28
	s_wait_alu 0xfffe
	s_cbranch_vccnz .LBB354_31
; %bb.27:                               ;   in Loop: Header=BB354_6 Depth=1
	s_delay_alu instid0(VALU_DEP_1)
	v_add_co_u32 v12, vcc_lo, v14, v10
	s_wait_alu 0xfffd
	v_add_co_ci_u32_e64 v13, null, v15, v11, vcc_lo
	flat_load_b64 v[16:17], v[12:13]
	s_wait_loadcnt_dscnt 0x0
	v_fma_f64 v[16:17], s[10:11], v[16:17], v[8:9]
	flat_store_b64 v[12:13], v[16:17]
	s_cbranch_execnz .LBB354_5
	s_branch .LBB354_32
.LBB354_28:                             ;   in Loop: Header=BB354_6 Depth=1
	s_branch .LBB354_16
.LBB354_29:                             ;   in Loop: Header=BB354_6 Depth=1
	s_branch .LBB354_20
.LBB354_30:                             ;   in Loop: Header=BB354_6 Depth=1
	s_branch .LBB354_24
.LBB354_31:                             ;   in Loop: Header=BB354_6 Depth=1
.LBB354_32:                             ;   in Loop: Header=BB354_6 Depth=1
	s_delay_alu instid0(VALU_DEP_1)
	v_add_co_u32 v10, vcc_lo, v14, v10
	s_wait_alu 0xfffd
	v_add_co_ci_u32_e64 v11, null, v15, v11, vcc_lo
	flat_store_b64 v[10:11], v[8:9]
	s_branch .LBB354_5
.LBB354_33:
	s_endpgm
	.section	.rodata,"a",@progbits
	.p2align	6, 0x0
	.amdhsa_kernel _ZL29rocblas_internal_gemmt_kernelIiLi16ELi32ELi8ELc84ELc78ELc76ELb0ELb0EddPKPKdPKPdEviT_T9_T10_S7_lS9_S7_lS8_T11_S7_li
		.amdhsa_group_segment_fixed_size 4096
		.amdhsa_private_segment_fixed_size 0
		.amdhsa_kernarg_size 100
		.amdhsa_user_sgpr_count 2
		.amdhsa_user_sgpr_dispatch_ptr 0
		.amdhsa_user_sgpr_queue_ptr 0
		.amdhsa_user_sgpr_kernarg_segment_ptr 1
		.amdhsa_user_sgpr_dispatch_id 0
		.amdhsa_user_sgpr_private_segment_size 0
		.amdhsa_wavefront_size32 1
		.amdhsa_uses_dynamic_stack 0
		.amdhsa_enable_private_segment 0
		.amdhsa_system_sgpr_workgroup_id_x 1
		.amdhsa_system_sgpr_workgroup_id_y 1
		.amdhsa_system_sgpr_workgroup_id_z 1
		.amdhsa_system_sgpr_workgroup_info 0
		.amdhsa_system_vgpr_workitem_id 1
		.amdhsa_next_free_vgpr 55
		.amdhsa_next_free_sgpr 34
		.amdhsa_reserve_vcc 1
		.amdhsa_float_round_mode_32 0
		.amdhsa_float_round_mode_16_64 0
		.amdhsa_float_denorm_mode_32 3
		.amdhsa_float_denorm_mode_16_64 3
		.amdhsa_fp16_overflow 0
		.amdhsa_workgroup_processor_mode 1
		.amdhsa_memory_ordered 1
		.amdhsa_forward_progress 1
		.amdhsa_inst_pref_size 17
		.amdhsa_round_robin_scheduling 0
		.amdhsa_exception_fp_ieee_invalid_op 0
		.amdhsa_exception_fp_denorm_src 0
		.amdhsa_exception_fp_ieee_div_zero 0
		.amdhsa_exception_fp_ieee_overflow 0
		.amdhsa_exception_fp_ieee_underflow 0
		.amdhsa_exception_fp_ieee_inexact 0
		.amdhsa_exception_int_div_zero 0
	.end_amdhsa_kernel
	.section	.text._ZL29rocblas_internal_gemmt_kernelIiLi16ELi32ELi8ELc84ELc78ELc76ELb0ELb0EddPKPKdPKPdEviT_T9_T10_S7_lS9_S7_lS8_T11_S7_li,"axG",@progbits,_ZL29rocblas_internal_gemmt_kernelIiLi16ELi32ELi8ELc84ELc78ELc76ELb0ELb0EddPKPKdPKPdEviT_T9_T10_S7_lS9_S7_lS8_T11_S7_li,comdat
.Lfunc_end354:
	.size	_ZL29rocblas_internal_gemmt_kernelIiLi16ELi32ELi8ELc84ELc78ELc76ELb0ELb0EddPKPKdPKPdEviT_T9_T10_S7_lS9_S7_lS8_T11_S7_li, .Lfunc_end354-_ZL29rocblas_internal_gemmt_kernelIiLi16ELi32ELi8ELc84ELc78ELc76ELb0ELb0EddPKPKdPKPdEviT_T9_T10_S7_lS9_S7_lS8_T11_S7_li
                                        ; -- End function
	.set _ZL29rocblas_internal_gemmt_kernelIiLi16ELi32ELi8ELc84ELc78ELc76ELb0ELb0EddPKPKdPKPdEviT_T9_T10_S7_lS9_S7_lS8_T11_S7_li.num_vgpr, 55
	.set _ZL29rocblas_internal_gemmt_kernelIiLi16ELi32ELi8ELc84ELc78ELc76ELb0ELb0EddPKPKdPKPdEviT_T9_T10_S7_lS9_S7_lS8_T11_S7_li.num_agpr, 0
	.set _ZL29rocblas_internal_gemmt_kernelIiLi16ELi32ELi8ELc84ELc78ELc76ELb0ELb0EddPKPKdPKPdEviT_T9_T10_S7_lS9_S7_lS8_T11_S7_li.numbered_sgpr, 34
	.set _ZL29rocblas_internal_gemmt_kernelIiLi16ELi32ELi8ELc84ELc78ELc76ELb0ELb0EddPKPKdPKPdEviT_T9_T10_S7_lS9_S7_lS8_T11_S7_li.num_named_barrier, 0
	.set _ZL29rocblas_internal_gemmt_kernelIiLi16ELi32ELi8ELc84ELc78ELc76ELb0ELb0EddPKPKdPKPdEviT_T9_T10_S7_lS9_S7_lS8_T11_S7_li.private_seg_size, 0
	.set _ZL29rocblas_internal_gemmt_kernelIiLi16ELi32ELi8ELc84ELc78ELc76ELb0ELb0EddPKPKdPKPdEviT_T9_T10_S7_lS9_S7_lS8_T11_S7_li.uses_vcc, 1
	.set _ZL29rocblas_internal_gemmt_kernelIiLi16ELi32ELi8ELc84ELc78ELc76ELb0ELb0EddPKPKdPKPdEviT_T9_T10_S7_lS9_S7_lS8_T11_S7_li.uses_flat_scratch, 0
	.set _ZL29rocblas_internal_gemmt_kernelIiLi16ELi32ELi8ELc84ELc78ELc76ELb0ELb0EddPKPKdPKPdEviT_T9_T10_S7_lS9_S7_lS8_T11_S7_li.has_dyn_sized_stack, 0
	.set _ZL29rocblas_internal_gemmt_kernelIiLi16ELi32ELi8ELc84ELc78ELc76ELb0ELb0EddPKPKdPKPdEviT_T9_T10_S7_lS9_S7_lS8_T11_S7_li.has_recursion, 0
	.set _ZL29rocblas_internal_gemmt_kernelIiLi16ELi32ELi8ELc84ELc78ELc76ELb0ELb0EddPKPKdPKPdEviT_T9_T10_S7_lS9_S7_lS8_T11_S7_li.has_indirect_call, 0
	.section	.AMDGPU.csdata,"",@progbits
; Kernel info:
; codeLenInByte = 2052
; TotalNumSgprs: 36
; NumVgprs: 55
; ScratchSize: 0
; MemoryBound: 0
; FloatMode: 240
; IeeeMode: 1
; LDSByteSize: 4096 bytes/workgroup (compile time only)
; SGPRBlocks: 0
; VGPRBlocks: 6
; NumSGPRsForWavesPerEU: 36
; NumVGPRsForWavesPerEU: 55
; Occupancy: 16
; WaveLimiterHint : 1
; COMPUTE_PGM_RSRC2:SCRATCH_EN: 0
; COMPUTE_PGM_RSRC2:USER_SGPR: 2
; COMPUTE_PGM_RSRC2:TRAP_HANDLER: 0
; COMPUTE_PGM_RSRC2:TGID_X_EN: 1
; COMPUTE_PGM_RSRC2:TGID_Y_EN: 1
; COMPUTE_PGM_RSRC2:TGID_Z_EN: 1
; COMPUTE_PGM_RSRC2:TIDIG_COMP_CNT: 1
	.section	.text._ZL29rocblas_internal_gemmt_kernelIiLi16ELi32ELi8ELc84ELc84ELc76ELb0ELb0EddPKPKdPKPdEviT_T9_T10_S7_lS9_S7_lS8_T11_S7_li,"axG",@progbits,_ZL29rocblas_internal_gemmt_kernelIiLi16ELi32ELi8ELc84ELc84ELc76ELb0ELb0EddPKPKdPKPdEviT_T9_T10_S7_lS9_S7_lS8_T11_S7_li,comdat
	.globl	_ZL29rocblas_internal_gemmt_kernelIiLi16ELi32ELi8ELc84ELc84ELc76ELb0ELb0EddPKPKdPKPdEviT_T9_T10_S7_lS9_S7_lS8_T11_S7_li ; -- Begin function _ZL29rocblas_internal_gemmt_kernelIiLi16ELi32ELi8ELc84ELc84ELc76ELb0ELb0EddPKPKdPKPdEviT_T9_T10_S7_lS9_S7_lS8_T11_S7_li
	.p2align	8
	.type	_ZL29rocblas_internal_gemmt_kernelIiLi16ELi32ELi8ELc84ELc84ELc76ELb0ELb0EddPKPKdPKPdEviT_T9_T10_S7_lS9_S7_lS8_T11_S7_li,@function
_ZL29rocblas_internal_gemmt_kernelIiLi16ELi32ELi8ELc84ELc84ELc76ELb0ELb0EddPKPKdPKPdEviT_T9_T10_S7_lS9_S7_lS8_T11_S7_li: ; @_ZL29rocblas_internal_gemmt_kernelIiLi16ELi32ELi8ELc84ELc84ELc76ELb0ELb0EddPKPKdPKPdEviT_T9_T10_S7_lS9_S7_lS8_T11_S7_li
; %bb.0:
	s_clause 0x2
	s_load_b128 s[4:7], s[0:1], 0x38
	s_load_b64 s[20:21], s[0:1], 0x0
	s_load_b128 s[8:11], s[0:1], 0x8
	s_wait_kmcnt 0x0
	v_cmp_neq_f64_e64 s2, s[6:7], 1.0
	s_and_b32 vcc_lo, exec_lo, s2
	s_cbranch_vccnz .LBB355_2
; %bb.1:
	v_cmp_neq_f64_e64 s2, s[8:9], 0
	s_cmp_lg_u32 s21, 0
	s_cselect_b32 s3, -1, 0
	s_delay_alu instid0(SALU_CYCLE_1)
	s_and_b32 s2, s3, s2
.LBB355_2:
	s_delay_alu instid0(SALU_CYCLE_1)
	s_and_not1_b32 vcc_lo, exec_lo, s2
	s_cbranch_vccnz .LBB355_33
; %bb.3:
	s_load_b32 s19, s[0:1], 0x60
	s_lshr_b32 s22, ttmp7, 16
	s_wait_kmcnt 0x0
	s_cmp_ge_u32 s22, s19
	s_cbranch_scc1 .LBB355_33
; %bb.4:
	v_dual_mov_b32 v32, 0 :: v_dual_and_b32 v1, 0x3ff, v0
	v_bfe_u32 v2, v0, 10, 10
	s_load_b32 s24, s[0:1], 0x30
	v_and_b32_e32 v26, 7, v0
	s_clause 0x3
	s_load_b32 s30, s[0:1], 0x18
	s_load_b128 s[12:15], s[0:1], 0x20
	s_load_b96 s[16:18], s[0:1], 0x48
	s_load_b64 s[26:27], s[0:1], 0x58
	v_lshl_add_u32 v0, v2, 4, v1
	s_lshl_b32 s0, ttmp7, 5
	v_lshlrev_b32_e32 v4, 3, v26
	s_lshl_b32 s1, ttmp9, 5
	v_cmp_neq_f64_e64 s31, s[8:9], 0
	v_and_b32_e32 v3, 31, v0
	v_lshrrev_b32_e32 v27, 5, v0
	v_lshrrev_b32_e32 v0, 3, v0
	s_and_b32 s2, s0, 0x1fffe0
	v_add_nc_u32_e32 v6, s1, v1
	v_cmp_neq_f64_e64 s28, s[6:7], 0
	v_or_b32_e32 v5, s1, v3
	v_add_nc_u32_e32 v12, s2, v0
	v_lshl_or_b32 v0, v0, 6, v4
	v_add_nc_u32_e32 v4, s2, v2
	v_lshlrev_b32_e32 v3, 3, v3
	v_cmp_gt_i32_e64 s2, s20, v6
	s_wait_kmcnt 0x0
	s_ashr_i32 s25, s24, 31
	v_add_nc_u32_e32 v29, 0x800, v0
	v_cmp_le_i32_e32 vcc_lo, v4, v6
	v_add_nc_u32_e32 v0, 16, v6
	s_cmp_gt_i32 s21, 0
	v_cmp_gt_i32_e64 s0, s20, v5
	s_cselect_b32 s33, -1, 0
	v_lshl_or_b32 v28, v27, 8, v3
	v_lshl_add_u32 v31, v2, 6, 0x800
	v_mad_co_i64_i32 v[2:3], null, v4, s18, 0
	s_and_b32 s29, vcc_lo, s2
	v_cmp_le_i32_e32 vcc_lo, v4, v0
	v_add_nc_u32_e32 v13, 16, v4
	v_mad_co_i64_i32 v[4:5], null, s30, v5, 0
	v_mad_co_i64_i32 v[8:9], null, s24, v26, 0
	v_cmp_gt_i32_e64 s3, s20, v0
	v_cmp_gt_i32_e64 s1, s20, v12
	s_lshl_b64 s[12:13], s[12:13], 3
	v_mad_co_i64_i32 v[10:11], null, v13, s18, 0
	v_lshlrev_b64_e32 v[4:5], 3, v[4:5]
	s_and_b32 s20, vcc_lo, s3
	v_cmp_le_i32_e32 vcc_lo, v13, v6
	v_lshlrev_b64_e32 v[8:9], 3, v[8:9]
	s_lshl_b64 s[4:5], s[4:5], 3
	v_lshlrev_b32_e32 v12, 3, v12
	v_ashrrev_i32_e32 v7, 31, v6
	s_and_b32 s18, vcc_lo, s2
	v_cmp_le_i32_e32 vcc_lo, v13, v0
	v_add_co_u32 v4, s2, v4, s12
	v_lshlrev_b32_e32 v13, 3, v27
	s_wait_alu 0xf1ff
	v_add_co_ci_u32_e64 v5, null, s13, v5, s2
	v_add_co_u32 v8, s2, v8, s4
	s_wait_alu 0xf1ff
	v_add_co_ci_u32_e64 v9, null, s5, v9, s2
	v_add_co_u32 v33, s2, v4, v13
	;; [unrolled: 3-line block ×3, first 2 shown]
	v_lshlrev_b64_e32 v[2:3], 3, v[2:3]
	v_lshlrev_b64_e32 v[4:5], 3, v[10:11]
	;; [unrolled: 1-line block ×3, first 2 shown]
	v_lshlrev_b32_e32 v30, 3, v1
	v_ashrrev_i32_e32 v1, 31, v0
	s_wait_alu 0xf1ff
	v_add_co_ci_u32_e64 v36, null, 0, v9, s2
	s_mov_b32 s23, 0
	s_and_b32 s30, s31, s33
	s_and_b32 s31, vcc_lo, s3
	s_lshl_b64 s[2:3], s[24:25], 6
	s_lshl_b64 s[4:5], s[26:27], 3
	s_branch .LBB355_6
.LBB355_5:                              ;   in Loop: Header=BB355_6 Depth=1
	s_wait_alu 0xfffe
	s_or_b32 exec_lo, exec_lo, s12
	s_add_co_i32 s22, s22, 0x10000
	s_delay_alu instid0(SALU_CYCLE_1)
	s_cmp_lt_u32 s22, s19
	s_cbranch_scc0 .LBB355_33
.LBB355_6:                              ; =>This Loop Header: Depth=1
                                        ;     Child Loop BB355_9 Depth 2
	s_lshl_b64 s[12:13], s[22:23], 3
	v_mov_b32_e32 v20, 0
	s_wait_alu 0xfffe
	s_add_nc_u64 s[24:25], s[16:17], s[12:13]
	v_mov_b32_e32 v12, 0
	global_load_b64 v[10:11], v32, s[24:25]
	v_dual_mov_b32 v21, 0 :: v_dual_mov_b32 v14, 0
	v_dual_mov_b32 v13, 0 :: v_dual_mov_b32 v8, 0
	v_mov_b32_e32 v15, 0
	v_mov_b32_e32 v9, 0
	s_and_not1_b32 vcc_lo, exec_lo, s30
	s_wait_alu 0xfffe
	s_cbranch_vccnz .LBB355_13
; %bb.7:                                ;   in Loop: Header=BB355_6 Depth=1
	s_add_nc_u64 s[24:25], s[10:11], s[12:13]
	s_add_nc_u64 s[12:13], s[14:15], s[12:13]
	s_clause 0x1
	global_load_b64 v[16:17], v32, s[24:25]
	global_load_b64 v[18:19], v32, s[12:13]
	v_mov_b32_e32 v8, 0
	v_dual_mov_b32 v14, 0 :: v_dual_mov_b32 v9, 0
	v_dual_mov_b32 v12, 0 :: v_dual_mov_b32 v15, 0
	;; [unrolled: 1-line block ×3, first 2 shown]
	v_mov_b32_e32 v21, 0
	s_mov_b32 s12, 0
	s_wait_loadcnt 0x1
	v_add_co_u32 v16, vcc_lo, v16, v33
	s_wait_alu 0xfffd
	v_add_co_ci_u32_e64 v17, null, v17, v34, vcc_lo
	s_wait_loadcnt 0x0
	v_add_co_u32 v18, vcc_lo, v18, v35
	s_wait_alu 0xfffd
	v_add_co_ci_u32_e64 v19, null, v19, v36, vcc_lo
	s_branch .LBB355_9
.LBB355_8:                              ;   in Loop: Header=BB355_9 Depth=2
	s_wait_alu 0xfffe
	s_or_b32 exec_lo, exec_lo, s13
	s_wait_loadcnt_dscnt 0x0
	ds_store_b64 v29, v[24:25]
	s_wait_dscnt 0x0
	s_barrier_signal -1
	s_barrier_wait -1
	global_inv scope:SCOPE_SE
	ds_load_b128 v[22:25], v31
	ds_load_2addr_b64 v[37:40], v30 offset1:16
	ds_load_b128 v[41:44], v31 offset:1024
	ds_load_b128 v[45:48], v31 offset:16
	;; [unrolled: 1-line block ×3, first 2 shown]
	v_add_co_u32 v16, vcc_lo, v16, 64
	s_wait_alu 0xfffd
	v_add_co_ci_u32_e64 v17, null, 0, v17, vcc_lo
	v_add_co_u32 v18, vcc_lo, v18, s2
	s_wait_alu 0xfffd
	v_add_co_ci_u32_e64 v19, null, s3, v19, vcc_lo
	s_add_co_i32 s12, s12, 8
	s_wait_alu 0xfffe
	s_cmp_lt_i32 s12, s21
	s_wait_dscnt 0x3
	v_fma_f64 v[20:21], v[37:38], v[22:23], v[20:21]
	v_fma_f64 v[22:23], v[39:40], v[22:23], v[14:15]
	s_wait_dscnt 0x2
	v_fma_f64 v[37:38], v[37:38], v[41:42], v[12:13]
	v_fma_f64 v[8:9], v[39:40], v[41:42], v[8:9]
	ds_load_2addr_b64 v[12:15], v30 offset0:32 offset1:48
	s_wait_dscnt 0x0
	v_fma_f64 v[20:21], v[12:13], v[24:25], v[20:21]
	v_fma_f64 v[22:23], v[14:15], v[24:25], v[22:23]
	v_fma_f64 v[24:25], v[12:13], v[43:44], v[37:38]
	v_fma_f64 v[8:9], v[14:15], v[43:44], v[8:9]
	ds_load_2addr_b64 v[12:15], v30 offset0:64 offset1:80
	s_wait_dscnt 0x0
	v_fma_f64 v[20:21], v[12:13], v[45:46], v[20:21]
	v_fma_f64 v[22:23], v[14:15], v[45:46], v[22:23]
	;; [unrolled: 6-line block ×3, first 2 shown]
	v_fma_f64 v[24:25], v[12:13], v[51:52], v[24:25]
	v_fma_f64 v[8:9], v[14:15], v[51:52], v[8:9]
	ds_load_b128 v[12:15], v31 offset:32
	ds_load_2addr_b64 v[20:23], v30 offset0:128 offset1:144
	ds_load_b128 v[37:40], v31 offset:1056
	ds_load_b128 v[41:44], v31 offset:48
	;; [unrolled: 1-line block ×3, first 2 shown]
	s_wait_dscnt 0x3
	v_fma_f64 v[49:50], v[20:21], v[12:13], v[49:50]
	v_fma_f64 v[12:13], v[22:23], v[12:13], v[53:54]
	s_wait_dscnt 0x2
	v_fma_f64 v[24:25], v[20:21], v[37:38], v[24:25]
	v_fma_f64 v[8:9], v[22:23], v[37:38], v[8:9]
	ds_load_2addr_b64 v[20:23], v30 offset0:160 offset1:176
	s_wait_dscnt 0x0
	v_fma_f64 v[37:38], v[20:21], v[14:15], v[49:50]
	v_fma_f64 v[49:50], v[22:23], v[14:15], v[12:13]
	;; [unrolled: 1-line block ×4, first 2 shown]
	ds_load_2addr_b64 v[12:15], v30 offset0:192 offset1:208
	ds_load_2addr_b64 v[22:25], v30 offset0:224 offset1:240
	s_wait_loadcnt_dscnt 0x0
	s_barrier_signal -1
	s_barrier_wait -1
	global_inv scope:SCOPE_SE
	v_fma_f64 v[37:38], v[12:13], v[41:42], v[37:38]
	v_fma_f64 v[39:40], v[14:15], v[41:42], v[49:50]
	;; [unrolled: 1-line block ×4, first 2 shown]
	s_delay_alu instid0(VALU_DEP_4) | instskip(NEXT) | instid1(VALU_DEP_4)
	v_fma_f64 v[20:21], v[22:23], v[43:44], v[37:38]
	v_fma_f64 v[14:15], v[24:25], v[43:44], v[39:40]
	s_delay_alu instid0(VALU_DEP_4) | instskip(NEXT) | instid1(VALU_DEP_4)
	v_fma_f64 v[12:13], v[22:23], v[47:48], v[12:13]
	v_fma_f64 v[8:9], v[24:25], v[47:48], v[8:9]
	s_cbranch_scc0 .LBB355_13
.LBB355_9:                              ;   Parent Loop BB355_6 Depth=1
                                        ; =>  This Inner Loop Header: Depth=2
	s_wait_alu 0xfffe
	v_add_nc_u32_e32 v22, s12, v27
	s_delay_alu instid0(VALU_DEP_1)
	v_cmp_gt_i32_e32 vcc_lo, s21, v22
	v_mov_b32_e32 v22, 0
	v_mov_b32_e32 v23, 0
	s_and_b32 s24, s0, vcc_lo
	s_wait_alu 0xfffe
	s_and_saveexec_b32 s13, s24
	s_cbranch_execz .LBB355_11
; %bb.10:                               ;   in Loop: Header=BB355_9 Depth=2
	flat_load_b64 v[22:23], v[16:17]
.LBB355_11:                             ;   in Loop: Header=BB355_9 Depth=2
	s_wait_alu 0xfffe
	s_or_b32 exec_lo, exec_lo, s13
	v_add_nc_u32_e32 v24, s12, v26
	s_wait_loadcnt_dscnt 0x0
	ds_store_b64 v28, v[22:23]
	v_cmp_gt_i32_e32 vcc_lo, s21, v24
	v_mov_b32_e32 v24, 0
	v_mov_b32_e32 v25, 0
	s_and_b32 s24, vcc_lo, s1
	s_wait_alu 0xfffe
	s_and_saveexec_b32 s13, s24
	s_cbranch_execz .LBB355_8
; %bb.12:                               ;   in Loop: Header=BB355_9 Depth=2
	flat_load_b64 v[24:25], v[18:19]
	s_branch .LBB355_8
.LBB355_13:                             ;   in Loop: Header=BB355_6 Depth=1
	s_wait_loadcnt 0x0
	v_add_co_u32 v16, vcc_lo, v10, s4
	s_wait_alu 0xfffd
	v_add_co_ci_u32_e64 v17, null, s5, v11, vcc_lo
	s_delay_alu instid0(VALU_DEP_2) | instskip(SKIP_1) | instid1(VALU_DEP_2)
	v_add_co_u32 v18, vcc_lo, v16, v2
	s_wait_alu 0xfffd
	v_add_co_ci_u32_e64 v19, null, v17, v3, vcc_lo
	s_and_saveexec_b32 s12, s29
	s_cbranch_execz .LBB355_17
; %bb.14:                               ;   in Loop: Header=BB355_6 Depth=1
	v_mul_f64_e32 v[10:11], s[8:9], v[20:21]
	s_and_b32 vcc_lo, exec_lo, s28
	s_wait_alu 0xfffe
	s_cbranch_vccz .LBB355_28
; %bb.15:                               ;   in Loop: Header=BB355_6 Depth=1
	v_add_co_u32 v20, vcc_lo, v18, v6
	s_wait_alu 0xfffd
	v_add_co_ci_u32_e64 v21, null, v19, v7, vcc_lo
	flat_load_b64 v[22:23], v[20:21]
	s_wait_loadcnt_dscnt 0x0
	v_fma_f64 v[22:23], s[6:7], v[22:23], v[10:11]
	flat_store_b64 v[20:21], v[22:23]
	s_cbranch_execnz .LBB355_17
.LBB355_16:                             ;   in Loop: Header=BB355_6 Depth=1
	v_add_co_u32 v20, vcc_lo, v18, v6
	s_wait_alu 0xfffd
	v_add_co_ci_u32_e64 v21, null, v19, v7, vcc_lo
	flat_store_b64 v[20:21], v[10:11]
.LBB355_17:                             ;   in Loop: Header=BB355_6 Depth=1
	s_wait_alu 0xfffe
	s_or_b32 exec_lo, exec_lo, s12
	s_and_saveexec_b32 s12, s20
	s_cbranch_execz .LBB355_21
; %bb.18:                               ;   in Loop: Header=BB355_6 Depth=1
	v_mul_f64_e32 v[10:11], s[8:9], v[14:15]
	s_and_not1_b32 vcc_lo, exec_lo, s28
	s_wait_alu 0xfffe
	s_cbranch_vccnz .LBB355_29
; %bb.19:                               ;   in Loop: Header=BB355_6 Depth=1
	v_lshlrev_b64_e32 v[14:15], 3, v[0:1]
	s_delay_alu instid0(VALU_DEP_1) | instskip(SKIP_1) | instid1(VALU_DEP_2)
	v_add_co_u32 v14, vcc_lo, v18, v14
	s_wait_alu 0xfffd
	v_add_co_ci_u32_e64 v15, null, v19, v15, vcc_lo
	flat_load_b64 v[20:21], v[14:15]
	s_wait_loadcnt_dscnt 0x0
	v_fma_f64 v[20:21], s[6:7], v[20:21], v[10:11]
	flat_store_b64 v[14:15], v[20:21]
	s_cbranch_execnz .LBB355_21
.LBB355_20:                             ;   in Loop: Header=BB355_6 Depth=1
	v_lshlrev_b64_e32 v[14:15], 3, v[0:1]
	s_delay_alu instid0(VALU_DEP_1) | instskip(SKIP_1) | instid1(VALU_DEP_2)
	v_add_co_u32 v14, vcc_lo, v18, v14
	s_wait_alu 0xfffd
	v_add_co_ci_u32_e64 v15, null, v19, v15, vcc_lo
	flat_store_b64 v[14:15], v[10:11]
.LBB355_21:                             ;   in Loop: Header=BB355_6 Depth=1
	s_wait_alu 0xfffe
	s_or_b32 exec_lo, exec_lo, s12
	v_add_co_u32 v14, vcc_lo, v16, v4
	s_wait_alu 0xfffd
	v_add_co_ci_u32_e64 v15, null, v17, v5, vcc_lo
	s_and_saveexec_b32 s12, s18
	s_cbranch_execz .LBB355_25
; %bb.22:                               ;   in Loop: Header=BB355_6 Depth=1
	v_mul_f64_e32 v[10:11], s[8:9], v[12:13]
	s_and_not1_b32 vcc_lo, exec_lo, s28
	s_wait_alu 0xfffe
	s_cbranch_vccnz .LBB355_30
; %bb.23:                               ;   in Loop: Header=BB355_6 Depth=1
	v_add_co_u32 v12, vcc_lo, v14, v6
	s_wait_alu 0xfffd
	v_add_co_ci_u32_e64 v13, null, v15, v7, vcc_lo
	flat_load_b64 v[16:17], v[12:13]
	s_wait_loadcnt_dscnt 0x0
	v_fma_f64 v[16:17], s[6:7], v[16:17], v[10:11]
	flat_store_b64 v[12:13], v[16:17]
	s_cbranch_execnz .LBB355_25
.LBB355_24:                             ;   in Loop: Header=BB355_6 Depth=1
	v_add_co_u32 v12, vcc_lo, v14, v6
	s_wait_alu 0xfffd
	v_add_co_ci_u32_e64 v13, null, v15, v7, vcc_lo
	flat_store_b64 v[12:13], v[10:11]
.LBB355_25:                             ;   in Loop: Header=BB355_6 Depth=1
	s_wait_alu 0xfffe
	s_or_b32 exec_lo, exec_lo, s12
	s_and_saveexec_b32 s12, s31
	s_cbranch_execz .LBB355_5
; %bb.26:                               ;   in Loop: Header=BB355_6 Depth=1
	v_mul_f64_e32 v[8:9], s[8:9], v[8:9]
	v_lshlrev_b64_e32 v[10:11], 3, v[0:1]
	s_and_not1_b32 vcc_lo, exec_lo, s28
	s_wait_alu 0xfffe
	s_cbranch_vccnz .LBB355_31
; %bb.27:                               ;   in Loop: Header=BB355_6 Depth=1
	s_delay_alu instid0(VALU_DEP_1)
	v_add_co_u32 v12, vcc_lo, v14, v10
	s_wait_alu 0xfffd
	v_add_co_ci_u32_e64 v13, null, v15, v11, vcc_lo
	flat_load_b64 v[16:17], v[12:13]
	s_wait_loadcnt_dscnt 0x0
	v_fma_f64 v[16:17], s[6:7], v[16:17], v[8:9]
	flat_store_b64 v[12:13], v[16:17]
	s_cbranch_execnz .LBB355_5
	s_branch .LBB355_32
.LBB355_28:                             ;   in Loop: Header=BB355_6 Depth=1
	s_branch .LBB355_16
.LBB355_29:                             ;   in Loop: Header=BB355_6 Depth=1
	s_branch .LBB355_20
.LBB355_30:                             ;   in Loop: Header=BB355_6 Depth=1
	s_branch .LBB355_24
.LBB355_31:                             ;   in Loop: Header=BB355_6 Depth=1
.LBB355_32:                             ;   in Loop: Header=BB355_6 Depth=1
	s_delay_alu instid0(VALU_DEP_1)
	v_add_co_u32 v10, vcc_lo, v14, v10
	s_wait_alu 0xfffd
	v_add_co_ci_u32_e64 v11, null, v15, v11, vcc_lo
	flat_store_b64 v[10:11], v[8:9]
	s_branch .LBB355_5
.LBB355_33:
	s_endpgm
	.section	.rodata,"a",@progbits
	.p2align	6, 0x0
	.amdhsa_kernel _ZL29rocblas_internal_gemmt_kernelIiLi16ELi32ELi8ELc84ELc84ELc76ELb0ELb0EddPKPKdPKPdEviT_T9_T10_S7_lS9_S7_lS8_T11_S7_li
		.amdhsa_group_segment_fixed_size 4096
		.amdhsa_private_segment_fixed_size 0
		.amdhsa_kernarg_size 100
		.amdhsa_user_sgpr_count 2
		.amdhsa_user_sgpr_dispatch_ptr 0
		.amdhsa_user_sgpr_queue_ptr 0
		.amdhsa_user_sgpr_kernarg_segment_ptr 1
		.amdhsa_user_sgpr_dispatch_id 0
		.amdhsa_user_sgpr_private_segment_size 0
		.amdhsa_wavefront_size32 1
		.amdhsa_uses_dynamic_stack 0
		.amdhsa_enable_private_segment 0
		.amdhsa_system_sgpr_workgroup_id_x 1
		.amdhsa_system_sgpr_workgroup_id_y 1
		.amdhsa_system_sgpr_workgroup_id_z 1
		.amdhsa_system_sgpr_workgroup_info 0
		.amdhsa_system_vgpr_workitem_id 1
		.amdhsa_next_free_vgpr 55
		.amdhsa_next_free_sgpr 34
		.amdhsa_reserve_vcc 1
		.amdhsa_float_round_mode_32 0
		.amdhsa_float_round_mode_16_64 0
		.amdhsa_float_denorm_mode_32 3
		.amdhsa_float_denorm_mode_16_64 3
		.amdhsa_fp16_overflow 0
		.amdhsa_workgroup_processor_mode 1
		.amdhsa_memory_ordered 1
		.amdhsa_forward_progress 1
		.amdhsa_inst_pref_size 17
		.amdhsa_round_robin_scheduling 0
		.amdhsa_exception_fp_ieee_invalid_op 0
		.amdhsa_exception_fp_denorm_src 0
		.amdhsa_exception_fp_ieee_div_zero 0
		.amdhsa_exception_fp_ieee_overflow 0
		.amdhsa_exception_fp_ieee_underflow 0
		.amdhsa_exception_fp_ieee_inexact 0
		.amdhsa_exception_int_div_zero 0
	.end_amdhsa_kernel
	.section	.text._ZL29rocblas_internal_gemmt_kernelIiLi16ELi32ELi8ELc84ELc84ELc76ELb0ELb0EddPKPKdPKPdEviT_T9_T10_S7_lS9_S7_lS8_T11_S7_li,"axG",@progbits,_ZL29rocblas_internal_gemmt_kernelIiLi16ELi32ELi8ELc84ELc84ELc76ELb0ELb0EddPKPKdPKPdEviT_T9_T10_S7_lS9_S7_lS8_T11_S7_li,comdat
.Lfunc_end355:
	.size	_ZL29rocblas_internal_gemmt_kernelIiLi16ELi32ELi8ELc84ELc84ELc76ELb0ELb0EddPKPKdPKPdEviT_T9_T10_S7_lS9_S7_lS8_T11_S7_li, .Lfunc_end355-_ZL29rocblas_internal_gemmt_kernelIiLi16ELi32ELi8ELc84ELc84ELc76ELb0ELb0EddPKPKdPKPdEviT_T9_T10_S7_lS9_S7_lS8_T11_S7_li
                                        ; -- End function
	.set _ZL29rocblas_internal_gemmt_kernelIiLi16ELi32ELi8ELc84ELc84ELc76ELb0ELb0EddPKPKdPKPdEviT_T9_T10_S7_lS9_S7_lS8_T11_S7_li.num_vgpr, 55
	.set _ZL29rocblas_internal_gemmt_kernelIiLi16ELi32ELi8ELc84ELc84ELc76ELb0ELb0EddPKPKdPKPdEviT_T9_T10_S7_lS9_S7_lS8_T11_S7_li.num_agpr, 0
	.set _ZL29rocblas_internal_gemmt_kernelIiLi16ELi32ELi8ELc84ELc84ELc76ELb0ELb0EddPKPKdPKPdEviT_T9_T10_S7_lS9_S7_lS8_T11_S7_li.numbered_sgpr, 34
	.set _ZL29rocblas_internal_gemmt_kernelIiLi16ELi32ELi8ELc84ELc84ELc76ELb0ELb0EddPKPKdPKPdEviT_T9_T10_S7_lS9_S7_lS8_T11_S7_li.num_named_barrier, 0
	.set _ZL29rocblas_internal_gemmt_kernelIiLi16ELi32ELi8ELc84ELc84ELc76ELb0ELb0EddPKPKdPKPdEviT_T9_T10_S7_lS9_S7_lS8_T11_S7_li.private_seg_size, 0
	.set _ZL29rocblas_internal_gemmt_kernelIiLi16ELi32ELi8ELc84ELc84ELc76ELb0ELb0EddPKPKdPKPdEviT_T9_T10_S7_lS9_S7_lS8_T11_S7_li.uses_vcc, 1
	.set _ZL29rocblas_internal_gemmt_kernelIiLi16ELi32ELi8ELc84ELc84ELc76ELb0ELb0EddPKPKdPKPdEviT_T9_T10_S7_lS9_S7_lS8_T11_S7_li.uses_flat_scratch, 0
	.set _ZL29rocblas_internal_gemmt_kernelIiLi16ELi32ELi8ELc84ELc84ELc76ELb0ELb0EddPKPKdPKPdEviT_T9_T10_S7_lS9_S7_lS8_T11_S7_li.has_dyn_sized_stack, 0
	.set _ZL29rocblas_internal_gemmt_kernelIiLi16ELi32ELi8ELc84ELc84ELc76ELb0ELb0EddPKPKdPKPdEviT_T9_T10_S7_lS9_S7_lS8_T11_S7_li.has_recursion, 0
	.set _ZL29rocblas_internal_gemmt_kernelIiLi16ELi32ELi8ELc84ELc84ELc76ELb0ELb0EddPKPKdPKPdEviT_T9_T10_S7_lS9_S7_lS8_T11_S7_li.has_indirect_call, 0
	.section	.AMDGPU.csdata,"",@progbits
; Kernel info:
; codeLenInByte = 2052
; TotalNumSgprs: 36
; NumVgprs: 55
; ScratchSize: 0
; MemoryBound: 0
; FloatMode: 240
; IeeeMode: 1
; LDSByteSize: 4096 bytes/workgroup (compile time only)
; SGPRBlocks: 0
; VGPRBlocks: 6
; NumSGPRsForWavesPerEU: 36
; NumVGPRsForWavesPerEU: 55
; Occupancy: 16
; WaveLimiterHint : 1
; COMPUTE_PGM_RSRC2:SCRATCH_EN: 0
; COMPUTE_PGM_RSRC2:USER_SGPR: 2
; COMPUTE_PGM_RSRC2:TRAP_HANDLER: 0
; COMPUTE_PGM_RSRC2:TGID_X_EN: 1
; COMPUTE_PGM_RSRC2:TGID_Y_EN: 1
; COMPUTE_PGM_RSRC2:TGID_Z_EN: 1
; COMPUTE_PGM_RSRC2:TIDIG_COMP_CNT: 1
	.section	.text._ZL29rocblas_internal_gemmt_kernelIiLi16ELi32ELi8ELc84ELc67ELc76ELb0ELb0EddPKPKdPKPdEviT_T9_T10_S7_lS9_S7_lS8_T11_S7_li,"axG",@progbits,_ZL29rocblas_internal_gemmt_kernelIiLi16ELi32ELi8ELc84ELc67ELc76ELb0ELb0EddPKPKdPKPdEviT_T9_T10_S7_lS9_S7_lS8_T11_S7_li,comdat
	.globl	_ZL29rocblas_internal_gemmt_kernelIiLi16ELi32ELi8ELc84ELc67ELc76ELb0ELb0EddPKPKdPKPdEviT_T9_T10_S7_lS9_S7_lS8_T11_S7_li ; -- Begin function _ZL29rocblas_internal_gemmt_kernelIiLi16ELi32ELi8ELc84ELc67ELc76ELb0ELb0EddPKPKdPKPdEviT_T9_T10_S7_lS9_S7_lS8_T11_S7_li
	.p2align	8
	.type	_ZL29rocblas_internal_gemmt_kernelIiLi16ELi32ELi8ELc84ELc67ELc76ELb0ELb0EddPKPKdPKPdEviT_T9_T10_S7_lS9_S7_lS8_T11_S7_li,@function
_ZL29rocblas_internal_gemmt_kernelIiLi16ELi32ELi8ELc84ELc67ELc76ELb0ELb0EddPKPKdPKPdEviT_T9_T10_S7_lS9_S7_lS8_T11_S7_li: ; @_ZL29rocblas_internal_gemmt_kernelIiLi16ELi32ELi8ELc84ELc67ELc76ELb0ELb0EddPKPKdPKPdEviT_T9_T10_S7_lS9_S7_lS8_T11_S7_li
; %bb.0:
	s_clause 0x2
	s_load_b128 s[4:7], s[0:1], 0x38
	s_load_b64 s[20:21], s[0:1], 0x0
	s_load_b128 s[8:11], s[0:1], 0x8
	s_wait_kmcnt 0x0
	v_cmp_neq_f64_e64 s2, s[6:7], 1.0
	s_and_b32 vcc_lo, exec_lo, s2
	s_cbranch_vccnz .LBB356_2
; %bb.1:
	v_cmp_neq_f64_e64 s2, s[8:9], 0
	s_cmp_lg_u32 s21, 0
	s_cselect_b32 s3, -1, 0
	s_delay_alu instid0(SALU_CYCLE_1)
	s_and_b32 s2, s3, s2
.LBB356_2:
	s_delay_alu instid0(SALU_CYCLE_1)
	s_and_not1_b32 vcc_lo, exec_lo, s2
	s_cbranch_vccnz .LBB356_33
; %bb.3:
	s_load_b32 s19, s[0:1], 0x60
	s_lshr_b32 s22, ttmp7, 16
	s_wait_kmcnt 0x0
	s_cmp_ge_u32 s22, s19
	s_cbranch_scc1 .LBB356_33
; %bb.4:
	v_dual_mov_b32 v32, 0 :: v_dual_and_b32 v1, 0x3ff, v0
	v_bfe_u32 v2, v0, 10, 10
	s_load_b32 s24, s[0:1], 0x30
	v_and_b32_e32 v26, 7, v0
	s_clause 0x3
	s_load_b32 s30, s[0:1], 0x18
	s_load_b128 s[12:15], s[0:1], 0x20
	s_load_b96 s[16:18], s[0:1], 0x48
	s_load_b64 s[26:27], s[0:1], 0x58
	v_lshl_add_u32 v0, v2, 4, v1
	s_lshl_b32 s0, ttmp7, 5
	v_lshlrev_b32_e32 v4, 3, v26
	s_lshl_b32 s1, ttmp9, 5
	v_cmp_neq_f64_e64 s31, s[8:9], 0
	v_and_b32_e32 v3, 31, v0
	v_lshrrev_b32_e32 v27, 5, v0
	v_lshrrev_b32_e32 v0, 3, v0
	s_and_b32 s2, s0, 0x1fffe0
	v_add_nc_u32_e32 v6, s1, v1
	v_cmp_neq_f64_e64 s28, s[6:7], 0
	v_or_b32_e32 v5, s1, v3
	v_add_nc_u32_e32 v12, s2, v0
	v_lshl_or_b32 v0, v0, 6, v4
	v_add_nc_u32_e32 v4, s2, v2
	v_lshlrev_b32_e32 v3, 3, v3
	v_cmp_gt_i32_e64 s2, s20, v6
	s_wait_kmcnt 0x0
	s_ashr_i32 s25, s24, 31
	v_add_nc_u32_e32 v29, 0x800, v0
	v_cmp_le_i32_e32 vcc_lo, v4, v6
	v_add_nc_u32_e32 v0, 16, v6
	s_cmp_gt_i32 s21, 0
	v_cmp_gt_i32_e64 s0, s20, v5
	s_cselect_b32 s33, -1, 0
	v_lshl_or_b32 v28, v27, 8, v3
	v_lshl_add_u32 v31, v2, 6, 0x800
	v_mad_co_i64_i32 v[2:3], null, v4, s18, 0
	s_and_b32 s29, vcc_lo, s2
	v_cmp_le_i32_e32 vcc_lo, v4, v0
	v_add_nc_u32_e32 v13, 16, v4
	v_mad_co_i64_i32 v[4:5], null, s30, v5, 0
	v_mad_co_i64_i32 v[8:9], null, s24, v26, 0
	v_cmp_gt_i32_e64 s3, s20, v0
	v_cmp_gt_i32_e64 s1, s20, v12
	s_lshl_b64 s[12:13], s[12:13], 3
	v_mad_co_i64_i32 v[10:11], null, v13, s18, 0
	v_lshlrev_b64_e32 v[4:5], 3, v[4:5]
	s_and_b32 s20, vcc_lo, s3
	v_cmp_le_i32_e32 vcc_lo, v13, v6
	v_lshlrev_b64_e32 v[8:9], 3, v[8:9]
	s_lshl_b64 s[4:5], s[4:5], 3
	v_lshlrev_b32_e32 v12, 3, v12
	v_ashrrev_i32_e32 v7, 31, v6
	s_and_b32 s18, vcc_lo, s2
	v_cmp_le_i32_e32 vcc_lo, v13, v0
	v_add_co_u32 v4, s2, v4, s12
	v_lshlrev_b32_e32 v13, 3, v27
	s_wait_alu 0xf1ff
	v_add_co_ci_u32_e64 v5, null, s13, v5, s2
	v_add_co_u32 v8, s2, v8, s4
	s_wait_alu 0xf1ff
	v_add_co_ci_u32_e64 v9, null, s5, v9, s2
	v_add_co_u32 v33, s2, v4, v13
	s_wait_alu 0xf1ff
	v_add_co_ci_u32_e64 v34, null, 0, v5, s2
	v_add_co_u32 v35, s2, v8, v12
	v_lshlrev_b64_e32 v[2:3], 3, v[2:3]
	v_lshlrev_b64_e32 v[4:5], 3, v[10:11]
	;; [unrolled: 1-line block ×3, first 2 shown]
	v_lshlrev_b32_e32 v30, 3, v1
	v_ashrrev_i32_e32 v1, 31, v0
	s_wait_alu 0xf1ff
	v_add_co_ci_u32_e64 v36, null, 0, v9, s2
	s_mov_b32 s23, 0
	s_and_b32 s30, s31, s33
	s_and_b32 s31, vcc_lo, s3
	s_lshl_b64 s[2:3], s[24:25], 6
	s_lshl_b64 s[4:5], s[26:27], 3
	s_branch .LBB356_6
.LBB356_5:                              ;   in Loop: Header=BB356_6 Depth=1
	s_wait_alu 0xfffe
	s_or_b32 exec_lo, exec_lo, s12
	s_add_co_i32 s22, s22, 0x10000
	s_delay_alu instid0(SALU_CYCLE_1)
	s_cmp_lt_u32 s22, s19
	s_cbranch_scc0 .LBB356_33
.LBB356_6:                              ; =>This Loop Header: Depth=1
                                        ;     Child Loop BB356_9 Depth 2
	s_lshl_b64 s[12:13], s[22:23], 3
	v_mov_b32_e32 v20, 0
	s_wait_alu 0xfffe
	s_add_nc_u64 s[24:25], s[16:17], s[12:13]
	v_mov_b32_e32 v12, 0
	global_load_b64 v[10:11], v32, s[24:25]
	v_dual_mov_b32 v21, 0 :: v_dual_mov_b32 v14, 0
	v_dual_mov_b32 v13, 0 :: v_dual_mov_b32 v8, 0
	v_mov_b32_e32 v15, 0
	v_mov_b32_e32 v9, 0
	s_and_not1_b32 vcc_lo, exec_lo, s30
	s_wait_alu 0xfffe
	s_cbranch_vccnz .LBB356_13
; %bb.7:                                ;   in Loop: Header=BB356_6 Depth=1
	s_add_nc_u64 s[24:25], s[10:11], s[12:13]
	s_add_nc_u64 s[12:13], s[14:15], s[12:13]
	s_clause 0x1
	global_load_b64 v[16:17], v32, s[24:25]
	global_load_b64 v[18:19], v32, s[12:13]
	v_mov_b32_e32 v8, 0
	v_dual_mov_b32 v14, 0 :: v_dual_mov_b32 v9, 0
	v_dual_mov_b32 v12, 0 :: v_dual_mov_b32 v15, 0
	;; [unrolled: 1-line block ×3, first 2 shown]
	v_mov_b32_e32 v21, 0
	s_mov_b32 s12, 0
	s_wait_loadcnt 0x1
	v_add_co_u32 v16, vcc_lo, v16, v33
	s_wait_alu 0xfffd
	v_add_co_ci_u32_e64 v17, null, v17, v34, vcc_lo
	s_wait_loadcnt 0x0
	v_add_co_u32 v18, vcc_lo, v18, v35
	s_wait_alu 0xfffd
	v_add_co_ci_u32_e64 v19, null, v19, v36, vcc_lo
	s_branch .LBB356_9
.LBB356_8:                              ;   in Loop: Header=BB356_9 Depth=2
	s_wait_alu 0xfffe
	s_or_b32 exec_lo, exec_lo, s13
	s_wait_loadcnt_dscnt 0x0
	ds_store_b64 v29, v[24:25]
	s_wait_dscnt 0x0
	s_barrier_signal -1
	s_barrier_wait -1
	global_inv scope:SCOPE_SE
	ds_load_b128 v[22:25], v31
	ds_load_2addr_b64 v[37:40], v30 offset1:16
	ds_load_b128 v[41:44], v31 offset:1024
	ds_load_b128 v[45:48], v31 offset:16
	;; [unrolled: 1-line block ×3, first 2 shown]
	v_add_co_u32 v16, vcc_lo, v16, 64
	s_wait_alu 0xfffd
	v_add_co_ci_u32_e64 v17, null, 0, v17, vcc_lo
	v_add_co_u32 v18, vcc_lo, v18, s2
	s_wait_alu 0xfffd
	v_add_co_ci_u32_e64 v19, null, s3, v19, vcc_lo
	s_add_co_i32 s12, s12, 8
	s_wait_alu 0xfffe
	s_cmp_lt_i32 s12, s21
	s_wait_dscnt 0x3
	v_fma_f64 v[20:21], v[37:38], v[22:23], v[20:21]
	v_fma_f64 v[22:23], v[39:40], v[22:23], v[14:15]
	s_wait_dscnt 0x2
	v_fma_f64 v[37:38], v[37:38], v[41:42], v[12:13]
	v_fma_f64 v[8:9], v[39:40], v[41:42], v[8:9]
	ds_load_2addr_b64 v[12:15], v30 offset0:32 offset1:48
	s_wait_dscnt 0x0
	v_fma_f64 v[20:21], v[12:13], v[24:25], v[20:21]
	v_fma_f64 v[22:23], v[14:15], v[24:25], v[22:23]
	v_fma_f64 v[24:25], v[12:13], v[43:44], v[37:38]
	v_fma_f64 v[8:9], v[14:15], v[43:44], v[8:9]
	ds_load_2addr_b64 v[12:15], v30 offset0:64 offset1:80
	s_wait_dscnt 0x0
	v_fma_f64 v[20:21], v[12:13], v[45:46], v[20:21]
	v_fma_f64 v[22:23], v[14:15], v[45:46], v[22:23]
	;; [unrolled: 6-line block ×3, first 2 shown]
	v_fma_f64 v[24:25], v[12:13], v[51:52], v[24:25]
	v_fma_f64 v[8:9], v[14:15], v[51:52], v[8:9]
	ds_load_b128 v[12:15], v31 offset:32
	ds_load_2addr_b64 v[20:23], v30 offset0:128 offset1:144
	ds_load_b128 v[37:40], v31 offset:1056
	ds_load_b128 v[41:44], v31 offset:48
	;; [unrolled: 1-line block ×3, first 2 shown]
	s_wait_dscnt 0x3
	v_fma_f64 v[49:50], v[20:21], v[12:13], v[49:50]
	v_fma_f64 v[12:13], v[22:23], v[12:13], v[53:54]
	s_wait_dscnt 0x2
	v_fma_f64 v[24:25], v[20:21], v[37:38], v[24:25]
	v_fma_f64 v[8:9], v[22:23], v[37:38], v[8:9]
	ds_load_2addr_b64 v[20:23], v30 offset0:160 offset1:176
	s_wait_dscnt 0x0
	v_fma_f64 v[37:38], v[20:21], v[14:15], v[49:50]
	v_fma_f64 v[49:50], v[22:23], v[14:15], v[12:13]
	;; [unrolled: 1-line block ×4, first 2 shown]
	ds_load_2addr_b64 v[12:15], v30 offset0:192 offset1:208
	ds_load_2addr_b64 v[22:25], v30 offset0:224 offset1:240
	s_wait_loadcnt_dscnt 0x0
	s_barrier_signal -1
	s_barrier_wait -1
	global_inv scope:SCOPE_SE
	v_fma_f64 v[37:38], v[12:13], v[41:42], v[37:38]
	v_fma_f64 v[39:40], v[14:15], v[41:42], v[49:50]
	;; [unrolled: 1-line block ×4, first 2 shown]
	s_delay_alu instid0(VALU_DEP_4) | instskip(NEXT) | instid1(VALU_DEP_4)
	v_fma_f64 v[20:21], v[22:23], v[43:44], v[37:38]
	v_fma_f64 v[14:15], v[24:25], v[43:44], v[39:40]
	s_delay_alu instid0(VALU_DEP_4) | instskip(NEXT) | instid1(VALU_DEP_4)
	v_fma_f64 v[12:13], v[22:23], v[47:48], v[12:13]
	v_fma_f64 v[8:9], v[24:25], v[47:48], v[8:9]
	s_cbranch_scc0 .LBB356_13
.LBB356_9:                              ;   Parent Loop BB356_6 Depth=1
                                        ; =>  This Inner Loop Header: Depth=2
	s_wait_alu 0xfffe
	v_add_nc_u32_e32 v22, s12, v27
	s_delay_alu instid0(VALU_DEP_1)
	v_cmp_gt_i32_e32 vcc_lo, s21, v22
	v_mov_b32_e32 v22, 0
	v_mov_b32_e32 v23, 0
	s_and_b32 s24, s0, vcc_lo
	s_wait_alu 0xfffe
	s_and_saveexec_b32 s13, s24
	s_cbranch_execz .LBB356_11
; %bb.10:                               ;   in Loop: Header=BB356_9 Depth=2
	flat_load_b64 v[22:23], v[16:17]
.LBB356_11:                             ;   in Loop: Header=BB356_9 Depth=2
	s_wait_alu 0xfffe
	s_or_b32 exec_lo, exec_lo, s13
	v_add_nc_u32_e32 v24, s12, v26
	s_wait_loadcnt_dscnt 0x0
	ds_store_b64 v28, v[22:23]
	v_cmp_gt_i32_e32 vcc_lo, s21, v24
	v_mov_b32_e32 v24, 0
	v_mov_b32_e32 v25, 0
	s_and_b32 s24, vcc_lo, s1
	s_wait_alu 0xfffe
	s_and_saveexec_b32 s13, s24
	s_cbranch_execz .LBB356_8
; %bb.12:                               ;   in Loop: Header=BB356_9 Depth=2
	flat_load_b64 v[24:25], v[18:19]
	s_branch .LBB356_8
.LBB356_13:                             ;   in Loop: Header=BB356_6 Depth=1
	s_wait_loadcnt 0x0
	v_add_co_u32 v16, vcc_lo, v10, s4
	s_wait_alu 0xfffd
	v_add_co_ci_u32_e64 v17, null, s5, v11, vcc_lo
	s_delay_alu instid0(VALU_DEP_2) | instskip(SKIP_1) | instid1(VALU_DEP_2)
	v_add_co_u32 v18, vcc_lo, v16, v2
	s_wait_alu 0xfffd
	v_add_co_ci_u32_e64 v19, null, v17, v3, vcc_lo
	s_and_saveexec_b32 s12, s29
	s_cbranch_execz .LBB356_17
; %bb.14:                               ;   in Loop: Header=BB356_6 Depth=1
	v_mul_f64_e32 v[10:11], s[8:9], v[20:21]
	s_and_b32 vcc_lo, exec_lo, s28
	s_wait_alu 0xfffe
	s_cbranch_vccz .LBB356_28
; %bb.15:                               ;   in Loop: Header=BB356_6 Depth=1
	v_add_co_u32 v20, vcc_lo, v18, v6
	s_wait_alu 0xfffd
	v_add_co_ci_u32_e64 v21, null, v19, v7, vcc_lo
	flat_load_b64 v[22:23], v[20:21]
	s_wait_loadcnt_dscnt 0x0
	v_fma_f64 v[22:23], s[6:7], v[22:23], v[10:11]
	flat_store_b64 v[20:21], v[22:23]
	s_cbranch_execnz .LBB356_17
.LBB356_16:                             ;   in Loop: Header=BB356_6 Depth=1
	v_add_co_u32 v20, vcc_lo, v18, v6
	s_wait_alu 0xfffd
	v_add_co_ci_u32_e64 v21, null, v19, v7, vcc_lo
	flat_store_b64 v[20:21], v[10:11]
.LBB356_17:                             ;   in Loop: Header=BB356_6 Depth=1
	s_wait_alu 0xfffe
	s_or_b32 exec_lo, exec_lo, s12
	s_and_saveexec_b32 s12, s20
	s_cbranch_execz .LBB356_21
; %bb.18:                               ;   in Loop: Header=BB356_6 Depth=1
	v_mul_f64_e32 v[10:11], s[8:9], v[14:15]
	s_and_not1_b32 vcc_lo, exec_lo, s28
	s_wait_alu 0xfffe
	s_cbranch_vccnz .LBB356_29
; %bb.19:                               ;   in Loop: Header=BB356_6 Depth=1
	v_lshlrev_b64_e32 v[14:15], 3, v[0:1]
	s_delay_alu instid0(VALU_DEP_1) | instskip(SKIP_1) | instid1(VALU_DEP_2)
	v_add_co_u32 v14, vcc_lo, v18, v14
	s_wait_alu 0xfffd
	v_add_co_ci_u32_e64 v15, null, v19, v15, vcc_lo
	flat_load_b64 v[20:21], v[14:15]
	s_wait_loadcnt_dscnt 0x0
	v_fma_f64 v[20:21], s[6:7], v[20:21], v[10:11]
	flat_store_b64 v[14:15], v[20:21]
	s_cbranch_execnz .LBB356_21
.LBB356_20:                             ;   in Loop: Header=BB356_6 Depth=1
	v_lshlrev_b64_e32 v[14:15], 3, v[0:1]
	s_delay_alu instid0(VALU_DEP_1) | instskip(SKIP_1) | instid1(VALU_DEP_2)
	v_add_co_u32 v14, vcc_lo, v18, v14
	s_wait_alu 0xfffd
	v_add_co_ci_u32_e64 v15, null, v19, v15, vcc_lo
	flat_store_b64 v[14:15], v[10:11]
.LBB356_21:                             ;   in Loop: Header=BB356_6 Depth=1
	s_wait_alu 0xfffe
	s_or_b32 exec_lo, exec_lo, s12
	v_add_co_u32 v14, vcc_lo, v16, v4
	s_wait_alu 0xfffd
	v_add_co_ci_u32_e64 v15, null, v17, v5, vcc_lo
	s_and_saveexec_b32 s12, s18
	s_cbranch_execz .LBB356_25
; %bb.22:                               ;   in Loop: Header=BB356_6 Depth=1
	v_mul_f64_e32 v[10:11], s[8:9], v[12:13]
	s_and_not1_b32 vcc_lo, exec_lo, s28
	s_wait_alu 0xfffe
	s_cbranch_vccnz .LBB356_30
; %bb.23:                               ;   in Loop: Header=BB356_6 Depth=1
	v_add_co_u32 v12, vcc_lo, v14, v6
	s_wait_alu 0xfffd
	v_add_co_ci_u32_e64 v13, null, v15, v7, vcc_lo
	flat_load_b64 v[16:17], v[12:13]
	s_wait_loadcnt_dscnt 0x0
	v_fma_f64 v[16:17], s[6:7], v[16:17], v[10:11]
	flat_store_b64 v[12:13], v[16:17]
	s_cbranch_execnz .LBB356_25
.LBB356_24:                             ;   in Loop: Header=BB356_6 Depth=1
	v_add_co_u32 v12, vcc_lo, v14, v6
	s_wait_alu 0xfffd
	v_add_co_ci_u32_e64 v13, null, v15, v7, vcc_lo
	flat_store_b64 v[12:13], v[10:11]
.LBB356_25:                             ;   in Loop: Header=BB356_6 Depth=1
	s_wait_alu 0xfffe
	s_or_b32 exec_lo, exec_lo, s12
	s_and_saveexec_b32 s12, s31
	s_cbranch_execz .LBB356_5
; %bb.26:                               ;   in Loop: Header=BB356_6 Depth=1
	v_mul_f64_e32 v[8:9], s[8:9], v[8:9]
	v_lshlrev_b64_e32 v[10:11], 3, v[0:1]
	s_and_not1_b32 vcc_lo, exec_lo, s28
	s_wait_alu 0xfffe
	s_cbranch_vccnz .LBB356_31
; %bb.27:                               ;   in Loop: Header=BB356_6 Depth=1
	s_delay_alu instid0(VALU_DEP_1)
	v_add_co_u32 v12, vcc_lo, v14, v10
	s_wait_alu 0xfffd
	v_add_co_ci_u32_e64 v13, null, v15, v11, vcc_lo
	flat_load_b64 v[16:17], v[12:13]
	s_wait_loadcnt_dscnt 0x0
	v_fma_f64 v[16:17], s[6:7], v[16:17], v[8:9]
	flat_store_b64 v[12:13], v[16:17]
	s_cbranch_execnz .LBB356_5
	s_branch .LBB356_32
.LBB356_28:                             ;   in Loop: Header=BB356_6 Depth=1
	s_branch .LBB356_16
.LBB356_29:                             ;   in Loop: Header=BB356_6 Depth=1
	s_branch .LBB356_20
.LBB356_30:                             ;   in Loop: Header=BB356_6 Depth=1
	s_branch .LBB356_24
.LBB356_31:                             ;   in Loop: Header=BB356_6 Depth=1
.LBB356_32:                             ;   in Loop: Header=BB356_6 Depth=1
	s_delay_alu instid0(VALU_DEP_1)
	v_add_co_u32 v10, vcc_lo, v14, v10
	s_wait_alu 0xfffd
	v_add_co_ci_u32_e64 v11, null, v15, v11, vcc_lo
	flat_store_b64 v[10:11], v[8:9]
	s_branch .LBB356_5
.LBB356_33:
	s_endpgm
	.section	.rodata,"a",@progbits
	.p2align	6, 0x0
	.amdhsa_kernel _ZL29rocblas_internal_gemmt_kernelIiLi16ELi32ELi8ELc84ELc67ELc76ELb0ELb0EddPKPKdPKPdEviT_T9_T10_S7_lS9_S7_lS8_T11_S7_li
		.amdhsa_group_segment_fixed_size 4096
		.amdhsa_private_segment_fixed_size 0
		.amdhsa_kernarg_size 100
		.amdhsa_user_sgpr_count 2
		.amdhsa_user_sgpr_dispatch_ptr 0
		.amdhsa_user_sgpr_queue_ptr 0
		.amdhsa_user_sgpr_kernarg_segment_ptr 1
		.amdhsa_user_sgpr_dispatch_id 0
		.amdhsa_user_sgpr_private_segment_size 0
		.amdhsa_wavefront_size32 1
		.amdhsa_uses_dynamic_stack 0
		.amdhsa_enable_private_segment 0
		.amdhsa_system_sgpr_workgroup_id_x 1
		.amdhsa_system_sgpr_workgroup_id_y 1
		.amdhsa_system_sgpr_workgroup_id_z 1
		.amdhsa_system_sgpr_workgroup_info 0
		.amdhsa_system_vgpr_workitem_id 1
		.amdhsa_next_free_vgpr 55
		.amdhsa_next_free_sgpr 34
		.amdhsa_reserve_vcc 1
		.amdhsa_float_round_mode_32 0
		.amdhsa_float_round_mode_16_64 0
		.amdhsa_float_denorm_mode_32 3
		.amdhsa_float_denorm_mode_16_64 3
		.amdhsa_fp16_overflow 0
		.amdhsa_workgroup_processor_mode 1
		.amdhsa_memory_ordered 1
		.amdhsa_forward_progress 1
		.amdhsa_inst_pref_size 17
		.amdhsa_round_robin_scheduling 0
		.amdhsa_exception_fp_ieee_invalid_op 0
		.amdhsa_exception_fp_denorm_src 0
		.amdhsa_exception_fp_ieee_div_zero 0
		.amdhsa_exception_fp_ieee_overflow 0
		.amdhsa_exception_fp_ieee_underflow 0
		.amdhsa_exception_fp_ieee_inexact 0
		.amdhsa_exception_int_div_zero 0
	.end_amdhsa_kernel
	.section	.text._ZL29rocblas_internal_gemmt_kernelIiLi16ELi32ELi8ELc84ELc67ELc76ELb0ELb0EddPKPKdPKPdEviT_T9_T10_S7_lS9_S7_lS8_T11_S7_li,"axG",@progbits,_ZL29rocblas_internal_gemmt_kernelIiLi16ELi32ELi8ELc84ELc67ELc76ELb0ELb0EddPKPKdPKPdEviT_T9_T10_S7_lS9_S7_lS8_T11_S7_li,comdat
.Lfunc_end356:
	.size	_ZL29rocblas_internal_gemmt_kernelIiLi16ELi32ELi8ELc84ELc67ELc76ELb0ELb0EddPKPKdPKPdEviT_T9_T10_S7_lS9_S7_lS8_T11_S7_li, .Lfunc_end356-_ZL29rocblas_internal_gemmt_kernelIiLi16ELi32ELi8ELc84ELc67ELc76ELb0ELb0EddPKPKdPKPdEviT_T9_T10_S7_lS9_S7_lS8_T11_S7_li
                                        ; -- End function
	.set _ZL29rocblas_internal_gemmt_kernelIiLi16ELi32ELi8ELc84ELc67ELc76ELb0ELb0EddPKPKdPKPdEviT_T9_T10_S7_lS9_S7_lS8_T11_S7_li.num_vgpr, 55
	.set _ZL29rocblas_internal_gemmt_kernelIiLi16ELi32ELi8ELc84ELc67ELc76ELb0ELb0EddPKPKdPKPdEviT_T9_T10_S7_lS9_S7_lS8_T11_S7_li.num_agpr, 0
	.set _ZL29rocblas_internal_gemmt_kernelIiLi16ELi32ELi8ELc84ELc67ELc76ELb0ELb0EddPKPKdPKPdEviT_T9_T10_S7_lS9_S7_lS8_T11_S7_li.numbered_sgpr, 34
	.set _ZL29rocblas_internal_gemmt_kernelIiLi16ELi32ELi8ELc84ELc67ELc76ELb0ELb0EddPKPKdPKPdEviT_T9_T10_S7_lS9_S7_lS8_T11_S7_li.num_named_barrier, 0
	.set _ZL29rocblas_internal_gemmt_kernelIiLi16ELi32ELi8ELc84ELc67ELc76ELb0ELb0EddPKPKdPKPdEviT_T9_T10_S7_lS9_S7_lS8_T11_S7_li.private_seg_size, 0
	.set _ZL29rocblas_internal_gemmt_kernelIiLi16ELi32ELi8ELc84ELc67ELc76ELb0ELb0EddPKPKdPKPdEviT_T9_T10_S7_lS9_S7_lS8_T11_S7_li.uses_vcc, 1
	.set _ZL29rocblas_internal_gemmt_kernelIiLi16ELi32ELi8ELc84ELc67ELc76ELb0ELb0EddPKPKdPKPdEviT_T9_T10_S7_lS9_S7_lS8_T11_S7_li.uses_flat_scratch, 0
	.set _ZL29rocblas_internal_gemmt_kernelIiLi16ELi32ELi8ELc84ELc67ELc76ELb0ELb0EddPKPKdPKPdEviT_T9_T10_S7_lS9_S7_lS8_T11_S7_li.has_dyn_sized_stack, 0
	.set _ZL29rocblas_internal_gemmt_kernelIiLi16ELi32ELi8ELc84ELc67ELc76ELb0ELb0EddPKPKdPKPdEviT_T9_T10_S7_lS9_S7_lS8_T11_S7_li.has_recursion, 0
	.set _ZL29rocblas_internal_gemmt_kernelIiLi16ELi32ELi8ELc84ELc67ELc76ELb0ELb0EddPKPKdPKPdEviT_T9_T10_S7_lS9_S7_lS8_T11_S7_li.has_indirect_call, 0
	.section	.AMDGPU.csdata,"",@progbits
; Kernel info:
; codeLenInByte = 2052
; TotalNumSgprs: 36
; NumVgprs: 55
; ScratchSize: 0
; MemoryBound: 0
; FloatMode: 240
; IeeeMode: 1
; LDSByteSize: 4096 bytes/workgroup (compile time only)
; SGPRBlocks: 0
; VGPRBlocks: 6
; NumSGPRsForWavesPerEU: 36
; NumVGPRsForWavesPerEU: 55
; Occupancy: 16
; WaveLimiterHint : 1
; COMPUTE_PGM_RSRC2:SCRATCH_EN: 0
; COMPUTE_PGM_RSRC2:USER_SGPR: 2
; COMPUTE_PGM_RSRC2:TRAP_HANDLER: 0
; COMPUTE_PGM_RSRC2:TGID_X_EN: 1
; COMPUTE_PGM_RSRC2:TGID_Y_EN: 1
; COMPUTE_PGM_RSRC2:TGID_Z_EN: 1
; COMPUTE_PGM_RSRC2:TIDIG_COMP_CNT: 1
	.section	.text._ZL29rocblas_internal_gemmt_kernelIiLi16ELi32ELi8ELc67ELc78ELc76ELb0ELb0EddPKPKdPKPdEviT_T9_T10_S7_lS9_S7_lS8_T11_S7_li,"axG",@progbits,_ZL29rocblas_internal_gemmt_kernelIiLi16ELi32ELi8ELc67ELc78ELc76ELb0ELb0EddPKPKdPKPdEviT_T9_T10_S7_lS9_S7_lS8_T11_S7_li,comdat
	.globl	_ZL29rocblas_internal_gemmt_kernelIiLi16ELi32ELi8ELc67ELc78ELc76ELb0ELb0EddPKPKdPKPdEviT_T9_T10_S7_lS9_S7_lS8_T11_S7_li ; -- Begin function _ZL29rocblas_internal_gemmt_kernelIiLi16ELi32ELi8ELc67ELc78ELc76ELb0ELb0EddPKPKdPKPdEviT_T9_T10_S7_lS9_S7_lS8_T11_S7_li
	.p2align	8
	.type	_ZL29rocblas_internal_gemmt_kernelIiLi16ELi32ELi8ELc67ELc78ELc76ELb0ELb0EddPKPKdPKPdEviT_T9_T10_S7_lS9_S7_lS8_T11_S7_li,@function
_ZL29rocblas_internal_gemmt_kernelIiLi16ELi32ELi8ELc67ELc78ELc76ELb0ELb0EddPKPKdPKPdEviT_T9_T10_S7_lS9_S7_lS8_T11_S7_li: ; @_ZL29rocblas_internal_gemmt_kernelIiLi16ELi32ELi8ELc67ELc78ELc76ELb0ELb0EddPKPKdPKPdEviT_T9_T10_S7_lS9_S7_lS8_T11_S7_li
; %bb.0:
	s_clause 0x2
	s_load_b128 s[8:11], s[0:1], 0x38
	s_load_b64 s[6:7], s[0:1], 0x0
	s_load_b128 s[12:15], s[0:1], 0x8
	s_wait_kmcnt 0x0
	v_cmp_neq_f64_e64 s2, s[10:11], 1.0
	s_and_b32 vcc_lo, exec_lo, s2
	s_cbranch_vccnz .LBB357_2
; %bb.1:
	v_cmp_neq_f64_e64 s2, s[12:13], 0
	s_cmp_lg_u32 s7, 0
	s_cselect_b32 s3, -1, 0
	s_delay_alu instid0(SALU_CYCLE_1)
	s_and_b32 s2, s3, s2
.LBB357_2:
	s_delay_alu instid0(SALU_CYCLE_1)
	s_and_not1_b32 vcc_lo, exec_lo, s2
	s_cbranch_vccnz .LBB357_33
; %bb.3:
	s_load_b32 s23, s[0:1], 0x60
	s_lshr_b32 s24, ttmp7, 16
	s_wait_kmcnt 0x0
	s_cmp_ge_u32 s24, s23
	s_cbranch_scc1 .LBB357_33
; %bb.4:
	v_dual_mov_b32 v32, 0 :: v_dual_and_b32 v1, 0x3ff, v0
	v_bfe_u32 v2, v0, 10, 10
	v_and_b32_e32 v26, 7, v0
	s_clause 0x4
	s_load_b32 s5, s[0:1], 0x18
	s_load_b128 s[16:19], s[0:1], 0x20
	s_load_b32 s30, s[0:1], 0x30
	s_load_b96 s[20:22], s[0:1], 0x48
	s_load_b64 s[26:27], s[0:1], 0x58
	v_cmp_neq_f64_e64 s31, s[12:13], 0
	s_lshl_b32 s2, ttmp9, 5
	v_lshl_add_u32 v0, v2, 4, v1
	v_cmp_neq_f64_e64 s28, s[10:11], 0
	v_lshlrev_b32_e32 v12, 3, v26
	v_add_nc_u32_e32 v6, s2, v1
	s_lshl_b32 s0, ttmp7, 5
	v_and_b32_e32 v3, 31, v0
	v_lshrrev_b32_e32 v4, 3, v0
	v_lshrrev_b32_e32 v27, 5, v0
	s_and_b32 s3, s0, 0x1fffe0
	v_lshl_add_u32 v31, v2, 6, 0x800
	v_lshlrev_b32_e32 v0, 3, v3
	v_or_b32_e32 v5, s2, v3
	s_wait_alu 0xfffe
	v_add_nc_u32_e32 v8, s3, v4
	v_lshl_or_b32 v3, v4, 6, v12
	v_add_nc_u32_e32 v9, s3, v2
	v_lshl_or_b32 v28, v27, 8, v0
	v_add_nc_u32_e32 v0, 16, v6
	v_cmp_gt_i32_e64 s0, s6, v5
	s_wait_kmcnt 0x0
	v_mad_co_i64_i32 v[4:5], null, s5, v5, 0
	v_cmp_gt_i32_e64 s1, s6, v8
	v_add_nc_u32_e32 v29, 0x800, v3
	v_cmp_le_i32_e32 vcc_lo, v9, v6
	v_mad_co_i64_i32 v[2:3], null, v9, s22, 0
	v_cmp_le_i32_e64 s3, v9, v0
	v_add_nc_u32_e32 v13, 16, v9
	v_mad_co_i64_i32 v[8:9], null, s30, v8, 0
	v_lshlrev_b64_e32 v[4:5], 3, v[4:5]
	v_cmp_gt_i32_e64 s2, s6, v6
	v_cmp_gt_i32_e64 s4, s6, v0
	s_cmp_gt_i32 s7, 0
	v_mad_co_i64_i32 v[10:11], null, v13, s22, 0
	v_lshlrev_b64_e32 v[8:9], 3, v[8:9]
	s_cselect_b32 s33, -1, 0
	s_lshl_b64 s[16:17], s[16:17], 3
	s_and_b32 s6, vcc_lo, s2
	s_and_b32 s29, s3, s4
	v_cmp_le_i32_e32 vcc_lo, v13, v6
	v_cmp_le_i32_e64 s3, v13, v0
	v_add_co_u32 v4, s5, v4, s16
	v_lshlrev_b32_e32 v13, 3, v27
	s_lshl_b64 s[8:9], s[8:9], 3
	s_wait_alu 0xf1ff
	v_add_co_ci_u32_e64 v5, null, s17, v5, s5
	v_add_co_u32 v8, s5, v8, s8
	v_ashrrev_i32_e32 v7, 31, v6
	s_wait_alu 0xf1ff
	v_add_co_ci_u32_e64 v9, null, s9, v9, s5
	v_add_co_u32 v33, s5, v4, v13
	s_wait_alu 0xf1ff
	v_add_co_ci_u32_e64 v34, null, 0, v5, s5
	v_add_co_u32 v35, s5, v8, v12
	v_lshlrev_b64_e32 v[2:3], 3, v[2:3]
	v_lshlrev_b64_e32 v[4:5], 3, v[10:11]
	;; [unrolled: 1-line block ×3, first 2 shown]
	v_lshlrev_b32_e32 v30, 3, v1
	v_ashrrev_i32_e32 v1, 31, v0
	s_wait_alu 0xf1ff
	v_add_co_ci_u32_e64 v36, null, 0, v9, s5
	s_mov_b32 s25, 0
	s_and_b32 s8, s31, s33
	s_and_b32 s9, vcc_lo, s2
	s_and_b32 s16, s3, s4
	s_lshl_b64 s[2:3], s[26:27], 3
	s_branch .LBB357_6
.LBB357_5:                              ;   in Loop: Header=BB357_6 Depth=1
	s_wait_alu 0xfffe
	s_or_b32 exec_lo, exec_lo, s4
	s_add_co_i32 s24, s24, 0x10000
	s_delay_alu instid0(SALU_CYCLE_1)
	s_cmp_lt_u32 s24, s23
	s_cbranch_scc0 .LBB357_33
.LBB357_6:                              ; =>This Loop Header: Depth=1
                                        ;     Child Loop BB357_9 Depth 2
	s_lshl_b64 s[4:5], s[24:25], 3
	v_mov_b32_e32 v20, 0
	s_wait_alu 0xfffe
	s_add_nc_u64 s[26:27], s[20:21], s[4:5]
	v_mov_b32_e32 v12, 0
	global_load_b64 v[10:11], v32, s[26:27]
	v_dual_mov_b32 v21, 0 :: v_dual_mov_b32 v14, 0
	v_dual_mov_b32 v13, 0 :: v_dual_mov_b32 v8, 0
	v_mov_b32_e32 v15, 0
	v_mov_b32_e32 v9, 0
	s_and_not1_b32 vcc_lo, exec_lo, s8
	s_wait_alu 0xfffe
	s_cbranch_vccnz .LBB357_13
; %bb.7:                                ;   in Loop: Header=BB357_6 Depth=1
	s_add_nc_u64 s[26:27], s[14:15], s[4:5]
	s_add_nc_u64 s[4:5], s[18:19], s[4:5]
	s_clause 0x1
	global_load_b64 v[16:17], v32, s[26:27]
	global_load_b64 v[18:19], v32, s[4:5]
	v_mov_b32_e32 v8, 0
	v_dual_mov_b32 v14, 0 :: v_dual_mov_b32 v9, 0
	v_dual_mov_b32 v12, 0 :: v_dual_mov_b32 v15, 0
	;; [unrolled: 1-line block ×3, first 2 shown]
	v_mov_b32_e32 v21, 0
	s_mov_b32 s4, 0
	s_wait_loadcnt 0x1
	v_add_co_u32 v16, vcc_lo, v16, v33
	s_wait_alu 0xfffd
	v_add_co_ci_u32_e64 v17, null, v17, v34, vcc_lo
	s_wait_loadcnt 0x0
	v_add_co_u32 v18, vcc_lo, v18, v35
	s_wait_alu 0xfffd
	v_add_co_ci_u32_e64 v19, null, v19, v36, vcc_lo
	s_branch .LBB357_9
.LBB357_8:                              ;   in Loop: Header=BB357_9 Depth=2
	s_wait_alu 0xfffe
	s_or_b32 exec_lo, exec_lo, s5
	s_wait_loadcnt_dscnt 0x0
	ds_store_b64 v29, v[24:25]
	s_wait_dscnt 0x0
	s_barrier_signal -1
	s_barrier_wait -1
	global_inv scope:SCOPE_SE
	ds_load_b128 v[22:25], v31
	ds_load_2addr_b64 v[37:40], v30 offset1:16
	ds_load_b128 v[41:44], v31 offset:1024
	ds_load_b128 v[45:48], v31 offset:16
	;; [unrolled: 1-line block ×3, first 2 shown]
	v_add_co_u32 v16, vcc_lo, v16, 64
	s_wait_alu 0xfffd
	v_add_co_ci_u32_e64 v17, null, 0, v17, vcc_lo
	v_add_co_u32 v18, vcc_lo, v18, 64
	s_wait_alu 0xfffd
	v_add_co_ci_u32_e64 v19, null, 0, v19, vcc_lo
	s_add_co_i32 s4, s4, 8
	s_wait_alu 0xfffe
	s_cmp_lt_i32 s4, s7
	s_wait_dscnt 0x3
	v_fma_f64 v[20:21], v[37:38], v[22:23], v[20:21]
	v_fma_f64 v[22:23], v[39:40], v[22:23], v[14:15]
	s_wait_dscnt 0x2
	v_fma_f64 v[37:38], v[37:38], v[41:42], v[12:13]
	v_fma_f64 v[8:9], v[39:40], v[41:42], v[8:9]
	ds_load_2addr_b64 v[12:15], v30 offset0:32 offset1:48
	s_wait_dscnt 0x0
	v_fma_f64 v[20:21], v[12:13], v[24:25], v[20:21]
	v_fma_f64 v[22:23], v[14:15], v[24:25], v[22:23]
	v_fma_f64 v[24:25], v[12:13], v[43:44], v[37:38]
	v_fma_f64 v[8:9], v[14:15], v[43:44], v[8:9]
	ds_load_2addr_b64 v[12:15], v30 offset0:64 offset1:80
	s_wait_dscnt 0x0
	v_fma_f64 v[20:21], v[12:13], v[45:46], v[20:21]
	v_fma_f64 v[22:23], v[14:15], v[45:46], v[22:23]
	;; [unrolled: 6-line block ×3, first 2 shown]
	v_fma_f64 v[24:25], v[12:13], v[51:52], v[24:25]
	v_fma_f64 v[8:9], v[14:15], v[51:52], v[8:9]
	ds_load_b128 v[12:15], v31 offset:32
	ds_load_2addr_b64 v[20:23], v30 offset0:128 offset1:144
	ds_load_b128 v[37:40], v31 offset:1056
	ds_load_b128 v[41:44], v31 offset:48
	;; [unrolled: 1-line block ×3, first 2 shown]
	s_wait_dscnt 0x3
	v_fma_f64 v[49:50], v[20:21], v[12:13], v[49:50]
	v_fma_f64 v[12:13], v[22:23], v[12:13], v[53:54]
	s_wait_dscnt 0x2
	v_fma_f64 v[24:25], v[20:21], v[37:38], v[24:25]
	v_fma_f64 v[8:9], v[22:23], v[37:38], v[8:9]
	ds_load_2addr_b64 v[20:23], v30 offset0:160 offset1:176
	s_wait_dscnt 0x0
	v_fma_f64 v[37:38], v[20:21], v[14:15], v[49:50]
	v_fma_f64 v[49:50], v[22:23], v[14:15], v[12:13]
	;; [unrolled: 1-line block ×4, first 2 shown]
	ds_load_2addr_b64 v[12:15], v30 offset0:192 offset1:208
	ds_load_2addr_b64 v[22:25], v30 offset0:224 offset1:240
	s_wait_loadcnt_dscnt 0x0
	s_barrier_signal -1
	s_barrier_wait -1
	global_inv scope:SCOPE_SE
	v_fma_f64 v[37:38], v[12:13], v[41:42], v[37:38]
	v_fma_f64 v[39:40], v[14:15], v[41:42], v[49:50]
	;; [unrolled: 1-line block ×4, first 2 shown]
	s_delay_alu instid0(VALU_DEP_4) | instskip(NEXT) | instid1(VALU_DEP_4)
	v_fma_f64 v[20:21], v[22:23], v[43:44], v[37:38]
	v_fma_f64 v[14:15], v[24:25], v[43:44], v[39:40]
	s_delay_alu instid0(VALU_DEP_4) | instskip(NEXT) | instid1(VALU_DEP_4)
	v_fma_f64 v[12:13], v[22:23], v[47:48], v[12:13]
	v_fma_f64 v[8:9], v[24:25], v[47:48], v[8:9]
	s_cbranch_scc0 .LBB357_13
.LBB357_9:                              ;   Parent Loop BB357_6 Depth=1
                                        ; =>  This Inner Loop Header: Depth=2
	s_wait_alu 0xfffe
	v_add_nc_u32_e32 v22, s4, v27
	s_delay_alu instid0(VALU_DEP_1)
	v_cmp_gt_i32_e32 vcc_lo, s7, v22
	v_mov_b32_e32 v22, 0
	v_mov_b32_e32 v23, 0
	s_and_b32 s17, s0, vcc_lo
	s_wait_alu 0xfffe
	s_and_saveexec_b32 s5, s17
	s_cbranch_execz .LBB357_11
; %bb.10:                               ;   in Loop: Header=BB357_9 Depth=2
	flat_load_b64 v[22:23], v[16:17]
.LBB357_11:                             ;   in Loop: Header=BB357_9 Depth=2
	s_wait_alu 0xfffe
	s_or_b32 exec_lo, exec_lo, s5
	v_add_nc_u32_e32 v24, s4, v26
	s_wait_loadcnt_dscnt 0x0
	ds_store_b64 v28, v[22:23]
	v_cmp_gt_i32_e32 vcc_lo, s7, v24
	v_mov_b32_e32 v24, 0
	v_mov_b32_e32 v25, 0
	s_and_b32 s17, vcc_lo, s1
	s_wait_alu 0xfffe
	s_and_saveexec_b32 s5, s17
	s_cbranch_execz .LBB357_8
; %bb.12:                               ;   in Loop: Header=BB357_9 Depth=2
	flat_load_b64 v[24:25], v[18:19]
	s_branch .LBB357_8
.LBB357_13:                             ;   in Loop: Header=BB357_6 Depth=1
	s_wait_loadcnt 0x0
	v_add_co_u32 v16, vcc_lo, v10, s2
	s_wait_alu 0xfffd
	v_add_co_ci_u32_e64 v17, null, s3, v11, vcc_lo
	s_delay_alu instid0(VALU_DEP_2) | instskip(SKIP_1) | instid1(VALU_DEP_2)
	v_add_co_u32 v18, vcc_lo, v16, v2
	s_wait_alu 0xfffd
	v_add_co_ci_u32_e64 v19, null, v17, v3, vcc_lo
	s_and_saveexec_b32 s4, s6
	s_cbranch_execz .LBB357_17
; %bb.14:                               ;   in Loop: Header=BB357_6 Depth=1
	v_mul_f64_e32 v[10:11], s[12:13], v[20:21]
	s_and_b32 vcc_lo, exec_lo, s28
	s_wait_alu 0xfffe
	s_cbranch_vccz .LBB357_28
; %bb.15:                               ;   in Loop: Header=BB357_6 Depth=1
	v_add_co_u32 v20, vcc_lo, v18, v6
	s_wait_alu 0xfffd
	v_add_co_ci_u32_e64 v21, null, v19, v7, vcc_lo
	flat_load_b64 v[22:23], v[20:21]
	s_wait_loadcnt_dscnt 0x0
	v_fma_f64 v[22:23], s[10:11], v[22:23], v[10:11]
	flat_store_b64 v[20:21], v[22:23]
	s_cbranch_execnz .LBB357_17
.LBB357_16:                             ;   in Loop: Header=BB357_6 Depth=1
	v_add_co_u32 v20, vcc_lo, v18, v6
	s_wait_alu 0xfffd
	v_add_co_ci_u32_e64 v21, null, v19, v7, vcc_lo
	flat_store_b64 v[20:21], v[10:11]
.LBB357_17:                             ;   in Loop: Header=BB357_6 Depth=1
	s_wait_alu 0xfffe
	s_or_b32 exec_lo, exec_lo, s4
	s_and_saveexec_b32 s4, s29
	s_cbranch_execz .LBB357_21
; %bb.18:                               ;   in Loop: Header=BB357_6 Depth=1
	v_mul_f64_e32 v[10:11], s[12:13], v[14:15]
	s_and_not1_b32 vcc_lo, exec_lo, s28
	s_wait_alu 0xfffe
	s_cbranch_vccnz .LBB357_29
; %bb.19:                               ;   in Loop: Header=BB357_6 Depth=1
	v_lshlrev_b64_e32 v[14:15], 3, v[0:1]
	s_delay_alu instid0(VALU_DEP_1) | instskip(SKIP_1) | instid1(VALU_DEP_2)
	v_add_co_u32 v14, vcc_lo, v18, v14
	s_wait_alu 0xfffd
	v_add_co_ci_u32_e64 v15, null, v19, v15, vcc_lo
	flat_load_b64 v[20:21], v[14:15]
	s_wait_loadcnt_dscnt 0x0
	v_fma_f64 v[20:21], s[10:11], v[20:21], v[10:11]
	flat_store_b64 v[14:15], v[20:21]
	s_cbranch_execnz .LBB357_21
.LBB357_20:                             ;   in Loop: Header=BB357_6 Depth=1
	v_lshlrev_b64_e32 v[14:15], 3, v[0:1]
	s_delay_alu instid0(VALU_DEP_1) | instskip(SKIP_1) | instid1(VALU_DEP_2)
	v_add_co_u32 v14, vcc_lo, v18, v14
	s_wait_alu 0xfffd
	v_add_co_ci_u32_e64 v15, null, v19, v15, vcc_lo
	flat_store_b64 v[14:15], v[10:11]
.LBB357_21:                             ;   in Loop: Header=BB357_6 Depth=1
	s_wait_alu 0xfffe
	s_or_b32 exec_lo, exec_lo, s4
	v_add_co_u32 v14, vcc_lo, v16, v4
	s_wait_alu 0xfffd
	v_add_co_ci_u32_e64 v15, null, v17, v5, vcc_lo
	s_and_saveexec_b32 s4, s9
	s_cbranch_execz .LBB357_25
; %bb.22:                               ;   in Loop: Header=BB357_6 Depth=1
	v_mul_f64_e32 v[10:11], s[12:13], v[12:13]
	s_and_not1_b32 vcc_lo, exec_lo, s28
	s_wait_alu 0xfffe
	s_cbranch_vccnz .LBB357_30
; %bb.23:                               ;   in Loop: Header=BB357_6 Depth=1
	v_add_co_u32 v12, vcc_lo, v14, v6
	s_wait_alu 0xfffd
	v_add_co_ci_u32_e64 v13, null, v15, v7, vcc_lo
	flat_load_b64 v[16:17], v[12:13]
	s_wait_loadcnt_dscnt 0x0
	v_fma_f64 v[16:17], s[10:11], v[16:17], v[10:11]
	flat_store_b64 v[12:13], v[16:17]
	s_cbranch_execnz .LBB357_25
.LBB357_24:                             ;   in Loop: Header=BB357_6 Depth=1
	v_add_co_u32 v12, vcc_lo, v14, v6
	s_wait_alu 0xfffd
	v_add_co_ci_u32_e64 v13, null, v15, v7, vcc_lo
	flat_store_b64 v[12:13], v[10:11]
.LBB357_25:                             ;   in Loop: Header=BB357_6 Depth=1
	s_wait_alu 0xfffe
	s_or_b32 exec_lo, exec_lo, s4
	s_and_saveexec_b32 s4, s16
	s_cbranch_execz .LBB357_5
; %bb.26:                               ;   in Loop: Header=BB357_6 Depth=1
	v_mul_f64_e32 v[8:9], s[12:13], v[8:9]
	v_lshlrev_b64_e32 v[10:11], 3, v[0:1]
	s_and_not1_b32 vcc_lo, exec_lo, s28
	s_wait_alu 0xfffe
	s_cbranch_vccnz .LBB357_31
; %bb.27:                               ;   in Loop: Header=BB357_6 Depth=1
	s_delay_alu instid0(VALU_DEP_1)
	v_add_co_u32 v12, vcc_lo, v14, v10
	s_wait_alu 0xfffd
	v_add_co_ci_u32_e64 v13, null, v15, v11, vcc_lo
	flat_load_b64 v[16:17], v[12:13]
	s_wait_loadcnt_dscnt 0x0
	v_fma_f64 v[16:17], s[10:11], v[16:17], v[8:9]
	flat_store_b64 v[12:13], v[16:17]
	s_cbranch_execnz .LBB357_5
	s_branch .LBB357_32
.LBB357_28:                             ;   in Loop: Header=BB357_6 Depth=1
	s_branch .LBB357_16
.LBB357_29:                             ;   in Loop: Header=BB357_6 Depth=1
	s_branch .LBB357_20
.LBB357_30:                             ;   in Loop: Header=BB357_6 Depth=1
	s_branch .LBB357_24
.LBB357_31:                             ;   in Loop: Header=BB357_6 Depth=1
.LBB357_32:                             ;   in Loop: Header=BB357_6 Depth=1
	s_delay_alu instid0(VALU_DEP_1)
	v_add_co_u32 v10, vcc_lo, v14, v10
	s_wait_alu 0xfffd
	v_add_co_ci_u32_e64 v11, null, v15, v11, vcc_lo
	flat_store_b64 v[10:11], v[8:9]
	s_branch .LBB357_5
.LBB357_33:
	s_endpgm
	.section	.rodata,"a",@progbits
	.p2align	6, 0x0
	.amdhsa_kernel _ZL29rocblas_internal_gemmt_kernelIiLi16ELi32ELi8ELc67ELc78ELc76ELb0ELb0EddPKPKdPKPdEviT_T9_T10_S7_lS9_S7_lS8_T11_S7_li
		.amdhsa_group_segment_fixed_size 4096
		.amdhsa_private_segment_fixed_size 0
		.amdhsa_kernarg_size 100
		.amdhsa_user_sgpr_count 2
		.amdhsa_user_sgpr_dispatch_ptr 0
		.amdhsa_user_sgpr_queue_ptr 0
		.amdhsa_user_sgpr_kernarg_segment_ptr 1
		.amdhsa_user_sgpr_dispatch_id 0
		.amdhsa_user_sgpr_private_segment_size 0
		.amdhsa_wavefront_size32 1
		.amdhsa_uses_dynamic_stack 0
		.amdhsa_enable_private_segment 0
		.amdhsa_system_sgpr_workgroup_id_x 1
		.amdhsa_system_sgpr_workgroup_id_y 1
		.amdhsa_system_sgpr_workgroup_id_z 1
		.amdhsa_system_sgpr_workgroup_info 0
		.amdhsa_system_vgpr_workitem_id 1
		.amdhsa_next_free_vgpr 55
		.amdhsa_next_free_sgpr 34
		.amdhsa_reserve_vcc 1
		.amdhsa_float_round_mode_32 0
		.amdhsa_float_round_mode_16_64 0
		.amdhsa_float_denorm_mode_32 3
		.amdhsa_float_denorm_mode_16_64 3
		.amdhsa_fp16_overflow 0
		.amdhsa_workgroup_processor_mode 1
		.amdhsa_memory_ordered 1
		.amdhsa_forward_progress 1
		.amdhsa_inst_pref_size 17
		.amdhsa_round_robin_scheduling 0
		.amdhsa_exception_fp_ieee_invalid_op 0
		.amdhsa_exception_fp_denorm_src 0
		.amdhsa_exception_fp_ieee_div_zero 0
		.amdhsa_exception_fp_ieee_overflow 0
		.amdhsa_exception_fp_ieee_underflow 0
		.amdhsa_exception_fp_ieee_inexact 0
		.amdhsa_exception_int_div_zero 0
	.end_amdhsa_kernel
	.section	.text._ZL29rocblas_internal_gemmt_kernelIiLi16ELi32ELi8ELc67ELc78ELc76ELb0ELb0EddPKPKdPKPdEviT_T9_T10_S7_lS9_S7_lS8_T11_S7_li,"axG",@progbits,_ZL29rocblas_internal_gemmt_kernelIiLi16ELi32ELi8ELc67ELc78ELc76ELb0ELb0EddPKPKdPKPdEviT_T9_T10_S7_lS9_S7_lS8_T11_S7_li,comdat
.Lfunc_end357:
	.size	_ZL29rocblas_internal_gemmt_kernelIiLi16ELi32ELi8ELc67ELc78ELc76ELb0ELb0EddPKPKdPKPdEviT_T9_T10_S7_lS9_S7_lS8_T11_S7_li, .Lfunc_end357-_ZL29rocblas_internal_gemmt_kernelIiLi16ELi32ELi8ELc67ELc78ELc76ELb0ELb0EddPKPKdPKPdEviT_T9_T10_S7_lS9_S7_lS8_T11_S7_li
                                        ; -- End function
	.set _ZL29rocblas_internal_gemmt_kernelIiLi16ELi32ELi8ELc67ELc78ELc76ELb0ELb0EddPKPKdPKPdEviT_T9_T10_S7_lS9_S7_lS8_T11_S7_li.num_vgpr, 55
	.set _ZL29rocblas_internal_gemmt_kernelIiLi16ELi32ELi8ELc67ELc78ELc76ELb0ELb0EddPKPKdPKPdEviT_T9_T10_S7_lS9_S7_lS8_T11_S7_li.num_agpr, 0
	.set _ZL29rocblas_internal_gemmt_kernelIiLi16ELi32ELi8ELc67ELc78ELc76ELb0ELb0EddPKPKdPKPdEviT_T9_T10_S7_lS9_S7_lS8_T11_S7_li.numbered_sgpr, 34
	.set _ZL29rocblas_internal_gemmt_kernelIiLi16ELi32ELi8ELc67ELc78ELc76ELb0ELb0EddPKPKdPKPdEviT_T9_T10_S7_lS9_S7_lS8_T11_S7_li.num_named_barrier, 0
	.set _ZL29rocblas_internal_gemmt_kernelIiLi16ELi32ELi8ELc67ELc78ELc76ELb0ELb0EddPKPKdPKPdEviT_T9_T10_S7_lS9_S7_lS8_T11_S7_li.private_seg_size, 0
	.set _ZL29rocblas_internal_gemmt_kernelIiLi16ELi32ELi8ELc67ELc78ELc76ELb0ELb0EddPKPKdPKPdEviT_T9_T10_S7_lS9_S7_lS8_T11_S7_li.uses_vcc, 1
	.set _ZL29rocblas_internal_gemmt_kernelIiLi16ELi32ELi8ELc67ELc78ELc76ELb0ELb0EddPKPKdPKPdEviT_T9_T10_S7_lS9_S7_lS8_T11_S7_li.uses_flat_scratch, 0
	.set _ZL29rocblas_internal_gemmt_kernelIiLi16ELi32ELi8ELc67ELc78ELc76ELb0ELb0EddPKPKdPKPdEviT_T9_T10_S7_lS9_S7_lS8_T11_S7_li.has_dyn_sized_stack, 0
	.set _ZL29rocblas_internal_gemmt_kernelIiLi16ELi32ELi8ELc67ELc78ELc76ELb0ELb0EddPKPKdPKPdEviT_T9_T10_S7_lS9_S7_lS8_T11_S7_li.has_recursion, 0
	.set _ZL29rocblas_internal_gemmt_kernelIiLi16ELi32ELi8ELc67ELc78ELc76ELb0ELb0EddPKPKdPKPdEviT_T9_T10_S7_lS9_S7_lS8_T11_S7_li.has_indirect_call, 0
	.section	.AMDGPU.csdata,"",@progbits
; Kernel info:
; codeLenInByte = 2052
; TotalNumSgprs: 36
; NumVgprs: 55
; ScratchSize: 0
; MemoryBound: 0
; FloatMode: 240
; IeeeMode: 1
; LDSByteSize: 4096 bytes/workgroup (compile time only)
; SGPRBlocks: 0
; VGPRBlocks: 6
; NumSGPRsForWavesPerEU: 36
; NumVGPRsForWavesPerEU: 55
; Occupancy: 16
; WaveLimiterHint : 1
; COMPUTE_PGM_RSRC2:SCRATCH_EN: 0
; COMPUTE_PGM_RSRC2:USER_SGPR: 2
; COMPUTE_PGM_RSRC2:TRAP_HANDLER: 0
; COMPUTE_PGM_RSRC2:TGID_X_EN: 1
; COMPUTE_PGM_RSRC2:TGID_Y_EN: 1
; COMPUTE_PGM_RSRC2:TGID_Z_EN: 1
; COMPUTE_PGM_RSRC2:TIDIG_COMP_CNT: 1
	.section	.text._ZL29rocblas_internal_gemmt_kernelIiLi16ELi32ELi8ELc67ELc84ELc76ELb0ELb0EddPKPKdPKPdEviT_T9_T10_S7_lS9_S7_lS8_T11_S7_li,"axG",@progbits,_ZL29rocblas_internal_gemmt_kernelIiLi16ELi32ELi8ELc67ELc84ELc76ELb0ELb0EddPKPKdPKPdEviT_T9_T10_S7_lS9_S7_lS8_T11_S7_li,comdat
	.globl	_ZL29rocblas_internal_gemmt_kernelIiLi16ELi32ELi8ELc67ELc84ELc76ELb0ELb0EddPKPKdPKPdEviT_T9_T10_S7_lS9_S7_lS8_T11_S7_li ; -- Begin function _ZL29rocblas_internal_gemmt_kernelIiLi16ELi32ELi8ELc67ELc84ELc76ELb0ELb0EddPKPKdPKPdEviT_T9_T10_S7_lS9_S7_lS8_T11_S7_li
	.p2align	8
	.type	_ZL29rocblas_internal_gemmt_kernelIiLi16ELi32ELi8ELc67ELc84ELc76ELb0ELb0EddPKPKdPKPdEviT_T9_T10_S7_lS9_S7_lS8_T11_S7_li,@function
_ZL29rocblas_internal_gemmt_kernelIiLi16ELi32ELi8ELc67ELc84ELc76ELb0ELb0EddPKPKdPKPdEviT_T9_T10_S7_lS9_S7_lS8_T11_S7_li: ; @_ZL29rocblas_internal_gemmt_kernelIiLi16ELi32ELi8ELc67ELc84ELc76ELb0ELb0EddPKPKdPKPdEviT_T9_T10_S7_lS9_S7_lS8_T11_S7_li
; %bb.0:
	s_clause 0x2
	s_load_b128 s[4:7], s[0:1], 0x38
	s_load_b64 s[20:21], s[0:1], 0x0
	s_load_b128 s[8:11], s[0:1], 0x8
	s_wait_kmcnt 0x0
	v_cmp_neq_f64_e64 s2, s[6:7], 1.0
	s_and_b32 vcc_lo, exec_lo, s2
	s_cbranch_vccnz .LBB358_2
; %bb.1:
	v_cmp_neq_f64_e64 s2, s[8:9], 0
	s_cmp_lg_u32 s21, 0
	s_cselect_b32 s3, -1, 0
	s_delay_alu instid0(SALU_CYCLE_1)
	s_and_b32 s2, s3, s2
.LBB358_2:
	s_delay_alu instid0(SALU_CYCLE_1)
	s_and_not1_b32 vcc_lo, exec_lo, s2
	s_cbranch_vccnz .LBB358_33
; %bb.3:
	s_load_b32 s19, s[0:1], 0x60
	s_lshr_b32 s22, ttmp7, 16
	s_wait_kmcnt 0x0
	s_cmp_ge_u32 s22, s19
	s_cbranch_scc1 .LBB358_33
; %bb.4:
	v_dual_mov_b32 v32, 0 :: v_dual_and_b32 v1, 0x3ff, v0
	v_bfe_u32 v2, v0, 10, 10
	s_load_b32 s24, s[0:1], 0x30
	v_and_b32_e32 v26, 7, v0
	s_clause 0x3
	s_load_b32 s30, s[0:1], 0x18
	s_load_b128 s[12:15], s[0:1], 0x20
	s_load_b96 s[16:18], s[0:1], 0x48
	s_load_b64 s[26:27], s[0:1], 0x58
	v_lshl_add_u32 v0, v2, 4, v1
	s_lshl_b32 s0, ttmp7, 5
	v_lshlrev_b32_e32 v4, 3, v26
	s_lshl_b32 s1, ttmp9, 5
	v_cmp_neq_f64_e64 s31, s[8:9], 0
	v_and_b32_e32 v3, 31, v0
	v_lshrrev_b32_e32 v27, 5, v0
	v_lshrrev_b32_e32 v0, 3, v0
	s_and_b32 s2, s0, 0x1fffe0
	v_add_nc_u32_e32 v6, s1, v1
	v_cmp_neq_f64_e64 s28, s[6:7], 0
	v_or_b32_e32 v5, s1, v3
	v_add_nc_u32_e32 v12, s2, v0
	v_lshl_or_b32 v0, v0, 6, v4
	v_add_nc_u32_e32 v4, s2, v2
	v_lshlrev_b32_e32 v3, 3, v3
	v_cmp_gt_i32_e64 s2, s20, v6
	s_wait_kmcnt 0x0
	s_ashr_i32 s25, s24, 31
	v_add_nc_u32_e32 v29, 0x800, v0
	v_cmp_le_i32_e32 vcc_lo, v4, v6
	v_add_nc_u32_e32 v0, 16, v6
	s_cmp_gt_i32 s21, 0
	v_cmp_gt_i32_e64 s0, s20, v5
	s_cselect_b32 s33, -1, 0
	v_lshl_or_b32 v28, v27, 8, v3
	v_lshl_add_u32 v31, v2, 6, 0x800
	v_mad_co_i64_i32 v[2:3], null, v4, s18, 0
	s_and_b32 s29, vcc_lo, s2
	v_cmp_le_i32_e32 vcc_lo, v4, v0
	v_add_nc_u32_e32 v13, 16, v4
	v_mad_co_i64_i32 v[4:5], null, s30, v5, 0
	v_mad_co_i64_i32 v[8:9], null, s24, v26, 0
	v_cmp_gt_i32_e64 s3, s20, v0
	v_cmp_gt_i32_e64 s1, s20, v12
	s_lshl_b64 s[12:13], s[12:13], 3
	v_mad_co_i64_i32 v[10:11], null, v13, s18, 0
	v_lshlrev_b64_e32 v[4:5], 3, v[4:5]
	s_and_b32 s20, vcc_lo, s3
	v_cmp_le_i32_e32 vcc_lo, v13, v6
	v_lshlrev_b64_e32 v[8:9], 3, v[8:9]
	s_lshl_b64 s[4:5], s[4:5], 3
	v_lshlrev_b32_e32 v12, 3, v12
	v_ashrrev_i32_e32 v7, 31, v6
	s_and_b32 s18, vcc_lo, s2
	v_cmp_le_i32_e32 vcc_lo, v13, v0
	v_add_co_u32 v4, s2, v4, s12
	v_lshlrev_b32_e32 v13, 3, v27
	s_wait_alu 0xf1ff
	v_add_co_ci_u32_e64 v5, null, s13, v5, s2
	v_add_co_u32 v8, s2, v8, s4
	s_wait_alu 0xf1ff
	v_add_co_ci_u32_e64 v9, null, s5, v9, s2
	v_add_co_u32 v33, s2, v4, v13
	;; [unrolled: 3-line block ×3, first 2 shown]
	v_lshlrev_b64_e32 v[2:3], 3, v[2:3]
	v_lshlrev_b64_e32 v[4:5], 3, v[10:11]
	;; [unrolled: 1-line block ×3, first 2 shown]
	v_lshlrev_b32_e32 v30, 3, v1
	v_ashrrev_i32_e32 v1, 31, v0
	s_wait_alu 0xf1ff
	v_add_co_ci_u32_e64 v36, null, 0, v9, s2
	s_mov_b32 s23, 0
	s_and_b32 s30, s31, s33
	s_and_b32 s31, vcc_lo, s3
	s_lshl_b64 s[2:3], s[24:25], 6
	s_lshl_b64 s[4:5], s[26:27], 3
	s_branch .LBB358_6
.LBB358_5:                              ;   in Loop: Header=BB358_6 Depth=1
	s_wait_alu 0xfffe
	s_or_b32 exec_lo, exec_lo, s12
	s_add_co_i32 s22, s22, 0x10000
	s_delay_alu instid0(SALU_CYCLE_1)
	s_cmp_lt_u32 s22, s19
	s_cbranch_scc0 .LBB358_33
.LBB358_6:                              ; =>This Loop Header: Depth=1
                                        ;     Child Loop BB358_9 Depth 2
	s_lshl_b64 s[12:13], s[22:23], 3
	v_mov_b32_e32 v20, 0
	s_wait_alu 0xfffe
	s_add_nc_u64 s[24:25], s[16:17], s[12:13]
	v_mov_b32_e32 v12, 0
	global_load_b64 v[10:11], v32, s[24:25]
	v_dual_mov_b32 v21, 0 :: v_dual_mov_b32 v14, 0
	v_dual_mov_b32 v13, 0 :: v_dual_mov_b32 v8, 0
	v_mov_b32_e32 v15, 0
	v_mov_b32_e32 v9, 0
	s_and_not1_b32 vcc_lo, exec_lo, s30
	s_wait_alu 0xfffe
	s_cbranch_vccnz .LBB358_13
; %bb.7:                                ;   in Loop: Header=BB358_6 Depth=1
	s_add_nc_u64 s[24:25], s[10:11], s[12:13]
	s_add_nc_u64 s[12:13], s[14:15], s[12:13]
	s_clause 0x1
	global_load_b64 v[16:17], v32, s[24:25]
	global_load_b64 v[18:19], v32, s[12:13]
	v_mov_b32_e32 v8, 0
	v_dual_mov_b32 v14, 0 :: v_dual_mov_b32 v9, 0
	v_dual_mov_b32 v12, 0 :: v_dual_mov_b32 v15, 0
	;; [unrolled: 1-line block ×3, first 2 shown]
	v_mov_b32_e32 v21, 0
	s_mov_b32 s12, 0
	s_wait_loadcnt 0x1
	v_add_co_u32 v16, vcc_lo, v16, v33
	s_wait_alu 0xfffd
	v_add_co_ci_u32_e64 v17, null, v17, v34, vcc_lo
	s_wait_loadcnt 0x0
	v_add_co_u32 v18, vcc_lo, v18, v35
	s_wait_alu 0xfffd
	v_add_co_ci_u32_e64 v19, null, v19, v36, vcc_lo
	s_branch .LBB358_9
.LBB358_8:                              ;   in Loop: Header=BB358_9 Depth=2
	s_wait_alu 0xfffe
	s_or_b32 exec_lo, exec_lo, s13
	s_wait_loadcnt_dscnt 0x0
	ds_store_b64 v29, v[24:25]
	s_wait_dscnt 0x0
	s_barrier_signal -1
	s_barrier_wait -1
	global_inv scope:SCOPE_SE
	ds_load_b128 v[22:25], v31
	ds_load_2addr_b64 v[37:40], v30 offset1:16
	ds_load_b128 v[41:44], v31 offset:1024
	ds_load_b128 v[45:48], v31 offset:16
	;; [unrolled: 1-line block ×3, first 2 shown]
	v_add_co_u32 v16, vcc_lo, v16, 64
	s_wait_alu 0xfffd
	v_add_co_ci_u32_e64 v17, null, 0, v17, vcc_lo
	v_add_co_u32 v18, vcc_lo, v18, s2
	s_wait_alu 0xfffd
	v_add_co_ci_u32_e64 v19, null, s3, v19, vcc_lo
	s_add_co_i32 s12, s12, 8
	s_wait_alu 0xfffe
	s_cmp_lt_i32 s12, s21
	s_wait_dscnt 0x3
	v_fma_f64 v[20:21], v[37:38], v[22:23], v[20:21]
	v_fma_f64 v[22:23], v[39:40], v[22:23], v[14:15]
	s_wait_dscnt 0x2
	v_fma_f64 v[37:38], v[37:38], v[41:42], v[12:13]
	v_fma_f64 v[8:9], v[39:40], v[41:42], v[8:9]
	ds_load_2addr_b64 v[12:15], v30 offset0:32 offset1:48
	s_wait_dscnt 0x0
	v_fma_f64 v[20:21], v[12:13], v[24:25], v[20:21]
	v_fma_f64 v[22:23], v[14:15], v[24:25], v[22:23]
	v_fma_f64 v[24:25], v[12:13], v[43:44], v[37:38]
	v_fma_f64 v[8:9], v[14:15], v[43:44], v[8:9]
	ds_load_2addr_b64 v[12:15], v30 offset0:64 offset1:80
	s_wait_dscnt 0x0
	v_fma_f64 v[20:21], v[12:13], v[45:46], v[20:21]
	v_fma_f64 v[22:23], v[14:15], v[45:46], v[22:23]
	;; [unrolled: 6-line block ×3, first 2 shown]
	v_fma_f64 v[24:25], v[12:13], v[51:52], v[24:25]
	v_fma_f64 v[8:9], v[14:15], v[51:52], v[8:9]
	ds_load_b128 v[12:15], v31 offset:32
	ds_load_2addr_b64 v[20:23], v30 offset0:128 offset1:144
	ds_load_b128 v[37:40], v31 offset:1056
	ds_load_b128 v[41:44], v31 offset:48
	;; [unrolled: 1-line block ×3, first 2 shown]
	s_wait_dscnt 0x3
	v_fma_f64 v[49:50], v[20:21], v[12:13], v[49:50]
	v_fma_f64 v[12:13], v[22:23], v[12:13], v[53:54]
	s_wait_dscnt 0x2
	v_fma_f64 v[24:25], v[20:21], v[37:38], v[24:25]
	v_fma_f64 v[8:9], v[22:23], v[37:38], v[8:9]
	ds_load_2addr_b64 v[20:23], v30 offset0:160 offset1:176
	s_wait_dscnt 0x0
	v_fma_f64 v[37:38], v[20:21], v[14:15], v[49:50]
	v_fma_f64 v[49:50], v[22:23], v[14:15], v[12:13]
	;; [unrolled: 1-line block ×4, first 2 shown]
	ds_load_2addr_b64 v[12:15], v30 offset0:192 offset1:208
	ds_load_2addr_b64 v[22:25], v30 offset0:224 offset1:240
	s_wait_loadcnt_dscnt 0x0
	s_barrier_signal -1
	s_barrier_wait -1
	global_inv scope:SCOPE_SE
	v_fma_f64 v[37:38], v[12:13], v[41:42], v[37:38]
	v_fma_f64 v[39:40], v[14:15], v[41:42], v[49:50]
	;; [unrolled: 1-line block ×4, first 2 shown]
	s_delay_alu instid0(VALU_DEP_4) | instskip(NEXT) | instid1(VALU_DEP_4)
	v_fma_f64 v[20:21], v[22:23], v[43:44], v[37:38]
	v_fma_f64 v[14:15], v[24:25], v[43:44], v[39:40]
	s_delay_alu instid0(VALU_DEP_4) | instskip(NEXT) | instid1(VALU_DEP_4)
	v_fma_f64 v[12:13], v[22:23], v[47:48], v[12:13]
	v_fma_f64 v[8:9], v[24:25], v[47:48], v[8:9]
	s_cbranch_scc0 .LBB358_13
.LBB358_9:                              ;   Parent Loop BB358_6 Depth=1
                                        ; =>  This Inner Loop Header: Depth=2
	s_wait_alu 0xfffe
	v_add_nc_u32_e32 v22, s12, v27
	s_delay_alu instid0(VALU_DEP_1)
	v_cmp_gt_i32_e32 vcc_lo, s21, v22
	v_mov_b32_e32 v22, 0
	v_mov_b32_e32 v23, 0
	s_and_b32 s24, s0, vcc_lo
	s_wait_alu 0xfffe
	s_and_saveexec_b32 s13, s24
	s_cbranch_execz .LBB358_11
; %bb.10:                               ;   in Loop: Header=BB358_9 Depth=2
	flat_load_b64 v[22:23], v[16:17]
.LBB358_11:                             ;   in Loop: Header=BB358_9 Depth=2
	s_wait_alu 0xfffe
	s_or_b32 exec_lo, exec_lo, s13
	v_add_nc_u32_e32 v24, s12, v26
	s_wait_loadcnt_dscnt 0x0
	ds_store_b64 v28, v[22:23]
	v_cmp_gt_i32_e32 vcc_lo, s21, v24
	v_mov_b32_e32 v24, 0
	v_mov_b32_e32 v25, 0
	s_and_b32 s24, vcc_lo, s1
	s_wait_alu 0xfffe
	s_and_saveexec_b32 s13, s24
	s_cbranch_execz .LBB358_8
; %bb.12:                               ;   in Loop: Header=BB358_9 Depth=2
	flat_load_b64 v[24:25], v[18:19]
	s_branch .LBB358_8
.LBB358_13:                             ;   in Loop: Header=BB358_6 Depth=1
	s_wait_loadcnt 0x0
	v_add_co_u32 v16, vcc_lo, v10, s4
	s_wait_alu 0xfffd
	v_add_co_ci_u32_e64 v17, null, s5, v11, vcc_lo
	s_delay_alu instid0(VALU_DEP_2) | instskip(SKIP_1) | instid1(VALU_DEP_2)
	v_add_co_u32 v18, vcc_lo, v16, v2
	s_wait_alu 0xfffd
	v_add_co_ci_u32_e64 v19, null, v17, v3, vcc_lo
	s_and_saveexec_b32 s12, s29
	s_cbranch_execz .LBB358_17
; %bb.14:                               ;   in Loop: Header=BB358_6 Depth=1
	v_mul_f64_e32 v[10:11], s[8:9], v[20:21]
	s_and_b32 vcc_lo, exec_lo, s28
	s_wait_alu 0xfffe
	s_cbranch_vccz .LBB358_28
; %bb.15:                               ;   in Loop: Header=BB358_6 Depth=1
	v_add_co_u32 v20, vcc_lo, v18, v6
	s_wait_alu 0xfffd
	v_add_co_ci_u32_e64 v21, null, v19, v7, vcc_lo
	flat_load_b64 v[22:23], v[20:21]
	s_wait_loadcnt_dscnt 0x0
	v_fma_f64 v[22:23], s[6:7], v[22:23], v[10:11]
	flat_store_b64 v[20:21], v[22:23]
	s_cbranch_execnz .LBB358_17
.LBB358_16:                             ;   in Loop: Header=BB358_6 Depth=1
	v_add_co_u32 v20, vcc_lo, v18, v6
	s_wait_alu 0xfffd
	v_add_co_ci_u32_e64 v21, null, v19, v7, vcc_lo
	flat_store_b64 v[20:21], v[10:11]
.LBB358_17:                             ;   in Loop: Header=BB358_6 Depth=1
	s_wait_alu 0xfffe
	s_or_b32 exec_lo, exec_lo, s12
	s_and_saveexec_b32 s12, s20
	s_cbranch_execz .LBB358_21
; %bb.18:                               ;   in Loop: Header=BB358_6 Depth=1
	v_mul_f64_e32 v[10:11], s[8:9], v[14:15]
	s_and_not1_b32 vcc_lo, exec_lo, s28
	s_wait_alu 0xfffe
	s_cbranch_vccnz .LBB358_29
; %bb.19:                               ;   in Loop: Header=BB358_6 Depth=1
	v_lshlrev_b64_e32 v[14:15], 3, v[0:1]
	s_delay_alu instid0(VALU_DEP_1) | instskip(SKIP_1) | instid1(VALU_DEP_2)
	v_add_co_u32 v14, vcc_lo, v18, v14
	s_wait_alu 0xfffd
	v_add_co_ci_u32_e64 v15, null, v19, v15, vcc_lo
	flat_load_b64 v[20:21], v[14:15]
	s_wait_loadcnt_dscnt 0x0
	v_fma_f64 v[20:21], s[6:7], v[20:21], v[10:11]
	flat_store_b64 v[14:15], v[20:21]
	s_cbranch_execnz .LBB358_21
.LBB358_20:                             ;   in Loop: Header=BB358_6 Depth=1
	v_lshlrev_b64_e32 v[14:15], 3, v[0:1]
	s_delay_alu instid0(VALU_DEP_1) | instskip(SKIP_1) | instid1(VALU_DEP_2)
	v_add_co_u32 v14, vcc_lo, v18, v14
	s_wait_alu 0xfffd
	v_add_co_ci_u32_e64 v15, null, v19, v15, vcc_lo
	flat_store_b64 v[14:15], v[10:11]
.LBB358_21:                             ;   in Loop: Header=BB358_6 Depth=1
	s_wait_alu 0xfffe
	s_or_b32 exec_lo, exec_lo, s12
	v_add_co_u32 v14, vcc_lo, v16, v4
	s_wait_alu 0xfffd
	v_add_co_ci_u32_e64 v15, null, v17, v5, vcc_lo
	s_and_saveexec_b32 s12, s18
	s_cbranch_execz .LBB358_25
; %bb.22:                               ;   in Loop: Header=BB358_6 Depth=1
	v_mul_f64_e32 v[10:11], s[8:9], v[12:13]
	s_and_not1_b32 vcc_lo, exec_lo, s28
	s_wait_alu 0xfffe
	s_cbranch_vccnz .LBB358_30
; %bb.23:                               ;   in Loop: Header=BB358_6 Depth=1
	v_add_co_u32 v12, vcc_lo, v14, v6
	s_wait_alu 0xfffd
	v_add_co_ci_u32_e64 v13, null, v15, v7, vcc_lo
	flat_load_b64 v[16:17], v[12:13]
	s_wait_loadcnt_dscnt 0x0
	v_fma_f64 v[16:17], s[6:7], v[16:17], v[10:11]
	flat_store_b64 v[12:13], v[16:17]
	s_cbranch_execnz .LBB358_25
.LBB358_24:                             ;   in Loop: Header=BB358_6 Depth=1
	v_add_co_u32 v12, vcc_lo, v14, v6
	s_wait_alu 0xfffd
	v_add_co_ci_u32_e64 v13, null, v15, v7, vcc_lo
	flat_store_b64 v[12:13], v[10:11]
.LBB358_25:                             ;   in Loop: Header=BB358_6 Depth=1
	s_wait_alu 0xfffe
	s_or_b32 exec_lo, exec_lo, s12
	s_and_saveexec_b32 s12, s31
	s_cbranch_execz .LBB358_5
; %bb.26:                               ;   in Loop: Header=BB358_6 Depth=1
	v_mul_f64_e32 v[8:9], s[8:9], v[8:9]
	v_lshlrev_b64_e32 v[10:11], 3, v[0:1]
	s_and_not1_b32 vcc_lo, exec_lo, s28
	s_wait_alu 0xfffe
	s_cbranch_vccnz .LBB358_31
; %bb.27:                               ;   in Loop: Header=BB358_6 Depth=1
	s_delay_alu instid0(VALU_DEP_1)
	v_add_co_u32 v12, vcc_lo, v14, v10
	s_wait_alu 0xfffd
	v_add_co_ci_u32_e64 v13, null, v15, v11, vcc_lo
	flat_load_b64 v[16:17], v[12:13]
	s_wait_loadcnt_dscnt 0x0
	v_fma_f64 v[16:17], s[6:7], v[16:17], v[8:9]
	flat_store_b64 v[12:13], v[16:17]
	s_cbranch_execnz .LBB358_5
	s_branch .LBB358_32
.LBB358_28:                             ;   in Loop: Header=BB358_6 Depth=1
	s_branch .LBB358_16
.LBB358_29:                             ;   in Loop: Header=BB358_6 Depth=1
	s_branch .LBB358_20
.LBB358_30:                             ;   in Loop: Header=BB358_6 Depth=1
	s_branch .LBB358_24
.LBB358_31:                             ;   in Loop: Header=BB358_6 Depth=1
.LBB358_32:                             ;   in Loop: Header=BB358_6 Depth=1
	s_delay_alu instid0(VALU_DEP_1)
	v_add_co_u32 v10, vcc_lo, v14, v10
	s_wait_alu 0xfffd
	v_add_co_ci_u32_e64 v11, null, v15, v11, vcc_lo
	flat_store_b64 v[10:11], v[8:9]
	s_branch .LBB358_5
.LBB358_33:
	s_endpgm
	.section	.rodata,"a",@progbits
	.p2align	6, 0x0
	.amdhsa_kernel _ZL29rocblas_internal_gemmt_kernelIiLi16ELi32ELi8ELc67ELc84ELc76ELb0ELb0EddPKPKdPKPdEviT_T9_T10_S7_lS9_S7_lS8_T11_S7_li
		.amdhsa_group_segment_fixed_size 4096
		.amdhsa_private_segment_fixed_size 0
		.amdhsa_kernarg_size 100
		.amdhsa_user_sgpr_count 2
		.amdhsa_user_sgpr_dispatch_ptr 0
		.amdhsa_user_sgpr_queue_ptr 0
		.amdhsa_user_sgpr_kernarg_segment_ptr 1
		.amdhsa_user_sgpr_dispatch_id 0
		.amdhsa_user_sgpr_private_segment_size 0
		.amdhsa_wavefront_size32 1
		.amdhsa_uses_dynamic_stack 0
		.amdhsa_enable_private_segment 0
		.amdhsa_system_sgpr_workgroup_id_x 1
		.amdhsa_system_sgpr_workgroup_id_y 1
		.amdhsa_system_sgpr_workgroup_id_z 1
		.amdhsa_system_sgpr_workgroup_info 0
		.amdhsa_system_vgpr_workitem_id 1
		.amdhsa_next_free_vgpr 55
		.amdhsa_next_free_sgpr 34
		.amdhsa_reserve_vcc 1
		.amdhsa_float_round_mode_32 0
		.amdhsa_float_round_mode_16_64 0
		.amdhsa_float_denorm_mode_32 3
		.amdhsa_float_denorm_mode_16_64 3
		.amdhsa_fp16_overflow 0
		.amdhsa_workgroup_processor_mode 1
		.amdhsa_memory_ordered 1
		.amdhsa_forward_progress 1
		.amdhsa_inst_pref_size 17
		.amdhsa_round_robin_scheduling 0
		.amdhsa_exception_fp_ieee_invalid_op 0
		.amdhsa_exception_fp_denorm_src 0
		.amdhsa_exception_fp_ieee_div_zero 0
		.amdhsa_exception_fp_ieee_overflow 0
		.amdhsa_exception_fp_ieee_underflow 0
		.amdhsa_exception_fp_ieee_inexact 0
		.amdhsa_exception_int_div_zero 0
	.end_amdhsa_kernel
	.section	.text._ZL29rocblas_internal_gemmt_kernelIiLi16ELi32ELi8ELc67ELc84ELc76ELb0ELb0EddPKPKdPKPdEviT_T9_T10_S7_lS9_S7_lS8_T11_S7_li,"axG",@progbits,_ZL29rocblas_internal_gemmt_kernelIiLi16ELi32ELi8ELc67ELc84ELc76ELb0ELb0EddPKPKdPKPdEviT_T9_T10_S7_lS9_S7_lS8_T11_S7_li,comdat
.Lfunc_end358:
	.size	_ZL29rocblas_internal_gemmt_kernelIiLi16ELi32ELi8ELc67ELc84ELc76ELb0ELb0EddPKPKdPKPdEviT_T9_T10_S7_lS9_S7_lS8_T11_S7_li, .Lfunc_end358-_ZL29rocblas_internal_gemmt_kernelIiLi16ELi32ELi8ELc67ELc84ELc76ELb0ELb0EddPKPKdPKPdEviT_T9_T10_S7_lS9_S7_lS8_T11_S7_li
                                        ; -- End function
	.set _ZL29rocblas_internal_gemmt_kernelIiLi16ELi32ELi8ELc67ELc84ELc76ELb0ELb0EddPKPKdPKPdEviT_T9_T10_S7_lS9_S7_lS8_T11_S7_li.num_vgpr, 55
	.set _ZL29rocblas_internal_gemmt_kernelIiLi16ELi32ELi8ELc67ELc84ELc76ELb0ELb0EddPKPKdPKPdEviT_T9_T10_S7_lS9_S7_lS8_T11_S7_li.num_agpr, 0
	.set _ZL29rocblas_internal_gemmt_kernelIiLi16ELi32ELi8ELc67ELc84ELc76ELb0ELb0EddPKPKdPKPdEviT_T9_T10_S7_lS9_S7_lS8_T11_S7_li.numbered_sgpr, 34
	.set _ZL29rocblas_internal_gemmt_kernelIiLi16ELi32ELi8ELc67ELc84ELc76ELb0ELb0EddPKPKdPKPdEviT_T9_T10_S7_lS9_S7_lS8_T11_S7_li.num_named_barrier, 0
	.set _ZL29rocblas_internal_gemmt_kernelIiLi16ELi32ELi8ELc67ELc84ELc76ELb0ELb0EddPKPKdPKPdEviT_T9_T10_S7_lS9_S7_lS8_T11_S7_li.private_seg_size, 0
	.set _ZL29rocblas_internal_gemmt_kernelIiLi16ELi32ELi8ELc67ELc84ELc76ELb0ELb0EddPKPKdPKPdEviT_T9_T10_S7_lS9_S7_lS8_T11_S7_li.uses_vcc, 1
	.set _ZL29rocblas_internal_gemmt_kernelIiLi16ELi32ELi8ELc67ELc84ELc76ELb0ELb0EddPKPKdPKPdEviT_T9_T10_S7_lS9_S7_lS8_T11_S7_li.uses_flat_scratch, 0
	.set _ZL29rocblas_internal_gemmt_kernelIiLi16ELi32ELi8ELc67ELc84ELc76ELb0ELb0EddPKPKdPKPdEviT_T9_T10_S7_lS9_S7_lS8_T11_S7_li.has_dyn_sized_stack, 0
	.set _ZL29rocblas_internal_gemmt_kernelIiLi16ELi32ELi8ELc67ELc84ELc76ELb0ELb0EddPKPKdPKPdEviT_T9_T10_S7_lS9_S7_lS8_T11_S7_li.has_recursion, 0
	.set _ZL29rocblas_internal_gemmt_kernelIiLi16ELi32ELi8ELc67ELc84ELc76ELb0ELb0EddPKPKdPKPdEviT_T9_T10_S7_lS9_S7_lS8_T11_S7_li.has_indirect_call, 0
	.section	.AMDGPU.csdata,"",@progbits
; Kernel info:
; codeLenInByte = 2052
; TotalNumSgprs: 36
; NumVgprs: 55
; ScratchSize: 0
; MemoryBound: 0
; FloatMode: 240
; IeeeMode: 1
; LDSByteSize: 4096 bytes/workgroup (compile time only)
; SGPRBlocks: 0
; VGPRBlocks: 6
; NumSGPRsForWavesPerEU: 36
; NumVGPRsForWavesPerEU: 55
; Occupancy: 16
; WaveLimiterHint : 1
; COMPUTE_PGM_RSRC2:SCRATCH_EN: 0
; COMPUTE_PGM_RSRC2:USER_SGPR: 2
; COMPUTE_PGM_RSRC2:TRAP_HANDLER: 0
; COMPUTE_PGM_RSRC2:TGID_X_EN: 1
; COMPUTE_PGM_RSRC2:TGID_Y_EN: 1
; COMPUTE_PGM_RSRC2:TGID_Z_EN: 1
; COMPUTE_PGM_RSRC2:TIDIG_COMP_CNT: 1
	.section	.text._ZL29rocblas_internal_gemmt_kernelIiLi16ELi32ELi8ELc67ELc67ELc76ELb0ELb0EddPKPKdPKPdEviT_T9_T10_S7_lS9_S7_lS8_T11_S7_li,"axG",@progbits,_ZL29rocblas_internal_gemmt_kernelIiLi16ELi32ELi8ELc67ELc67ELc76ELb0ELb0EddPKPKdPKPdEviT_T9_T10_S7_lS9_S7_lS8_T11_S7_li,comdat
	.globl	_ZL29rocblas_internal_gemmt_kernelIiLi16ELi32ELi8ELc67ELc67ELc76ELb0ELb0EddPKPKdPKPdEviT_T9_T10_S7_lS9_S7_lS8_T11_S7_li ; -- Begin function _ZL29rocblas_internal_gemmt_kernelIiLi16ELi32ELi8ELc67ELc67ELc76ELb0ELb0EddPKPKdPKPdEviT_T9_T10_S7_lS9_S7_lS8_T11_S7_li
	.p2align	8
	.type	_ZL29rocblas_internal_gemmt_kernelIiLi16ELi32ELi8ELc67ELc67ELc76ELb0ELb0EddPKPKdPKPdEviT_T9_T10_S7_lS9_S7_lS8_T11_S7_li,@function
_ZL29rocblas_internal_gemmt_kernelIiLi16ELi32ELi8ELc67ELc67ELc76ELb0ELb0EddPKPKdPKPdEviT_T9_T10_S7_lS9_S7_lS8_T11_S7_li: ; @_ZL29rocblas_internal_gemmt_kernelIiLi16ELi32ELi8ELc67ELc67ELc76ELb0ELb0EddPKPKdPKPdEviT_T9_T10_S7_lS9_S7_lS8_T11_S7_li
; %bb.0:
	s_clause 0x2
	s_load_b128 s[4:7], s[0:1], 0x38
	s_load_b64 s[20:21], s[0:1], 0x0
	s_load_b128 s[8:11], s[0:1], 0x8
	s_wait_kmcnt 0x0
	v_cmp_neq_f64_e64 s2, s[6:7], 1.0
	s_and_b32 vcc_lo, exec_lo, s2
	s_cbranch_vccnz .LBB359_2
; %bb.1:
	v_cmp_neq_f64_e64 s2, s[8:9], 0
	s_cmp_lg_u32 s21, 0
	s_cselect_b32 s3, -1, 0
	s_delay_alu instid0(SALU_CYCLE_1)
	s_and_b32 s2, s3, s2
.LBB359_2:
	s_delay_alu instid0(SALU_CYCLE_1)
	s_and_not1_b32 vcc_lo, exec_lo, s2
	s_cbranch_vccnz .LBB359_33
; %bb.3:
	s_load_b32 s19, s[0:1], 0x60
	s_lshr_b32 s22, ttmp7, 16
	s_wait_kmcnt 0x0
	s_cmp_ge_u32 s22, s19
	s_cbranch_scc1 .LBB359_33
; %bb.4:
	v_dual_mov_b32 v32, 0 :: v_dual_and_b32 v1, 0x3ff, v0
	v_bfe_u32 v2, v0, 10, 10
	s_load_b32 s24, s[0:1], 0x30
	v_and_b32_e32 v26, 7, v0
	s_clause 0x3
	s_load_b32 s30, s[0:1], 0x18
	s_load_b128 s[12:15], s[0:1], 0x20
	s_load_b96 s[16:18], s[0:1], 0x48
	s_load_b64 s[26:27], s[0:1], 0x58
	v_lshl_add_u32 v0, v2, 4, v1
	s_lshl_b32 s0, ttmp7, 5
	v_lshlrev_b32_e32 v4, 3, v26
	s_lshl_b32 s1, ttmp9, 5
	v_cmp_neq_f64_e64 s31, s[8:9], 0
	v_and_b32_e32 v3, 31, v0
	v_lshrrev_b32_e32 v27, 5, v0
	v_lshrrev_b32_e32 v0, 3, v0
	s_and_b32 s2, s0, 0x1fffe0
	v_add_nc_u32_e32 v6, s1, v1
	v_cmp_neq_f64_e64 s28, s[6:7], 0
	v_or_b32_e32 v5, s1, v3
	v_add_nc_u32_e32 v12, s2, v0
	v_lshl_or_b32 v0, v0, 6, v4
	v_add_nc_u32_e32 v4, s2, v2
	v_lshlrev_b32_e32 v3, 3, v3
	v_cmp_gt_i32_e64 s2, s20, v6
	s_wait_kmcnt 0x0
	s_ashr_i32 s25, s24, 31
	v_add_nc_u32_e32 v29, 0x800, v0
	v_cmp_le_i32_e32 vcc_lo, v4, v6
	v_add_nc_u32_e32 v0, 16, v6
	s_cmp_gt_i32 s21, 0
	v_cmp_gt_i32_e64 s0, s20, v5
	s_cselect_b32 s33, -1, 0
	v_lshl_or_b32 v28, v27, 8, v3
	v_lshl_add_u32 v31, v2, 6, 0x800
	v_mad_co_i64_i32 v[2:3], null, v4, s18, 0
	s_and_b32 s29, vcc_lo, s2
	v_cmp_le_i32_e32 vcc_lo, v4, v0
	v_add_nc_u32_e32 v13, 16, v4
	v_mad_co_i64_i32 v[4:5], null, s30, v5, 0
	v_mad_co_i64_i32 v[8:9], null, s24, v26, 0
	v_cmp_gt_i32_e64 s3, s20, v0
	v_cmp_gt_i32_e64 s1, s20, v12
	s_lshl_b64 s[12:13], s[12:13], 3
	v_mad_co_i64_i32 v[10:11], null, v13, s18, 0
	v_lshlrev_b64_e32 v[4:5], 3, v[4:5]
	s_and_b32 s20, vcc_lo, s3
	v_cmp_le_i32_e32 vcc_lo, v13, v6
	v_lshlrev_b64_e32 v[8:9], 3, v[8:9]
	s_lshl_b64 s[4:5], s[4:5], 3
	v_lshlrev_b32_e32 v12, 3, v12
	v_ashrrev_i32_e32 v7, 31, v6
	s_and_b32 s18, vcc_lo, s2
	v_cmp_le_i32_e32 vcc_lo, v13, v0
	v_add_co_u32 v4, s2, v4, s12
	v_lshlrev_b32_e32 v13, 3, v27
	s_wait_alu 0xf1ff
	v_add_co_ci_u32_e64 v5, null, s13, v5, s2
	v_add_co_u32 v8, s2, v8, s4
	s_wait_alu 0xf1ff
	v_add_co_ci_u32_e64 v9, null, s5, v9, s2
	v_add_co_u32 v33, s2, v4, v13
	;; [unrolled: 3-line block ×3, first 2 shown]
	v_lshlrev_b64_e32 v[2:3], 3, v[2:3]
	v_lshlrev_b64_e32 v[4:5], 3, v[10:11]
	;; [unrolled: 1-line block ×3, first 2 shown]
	v_lshlrev_b32_e32 v30, 3, v1
	v_ashrrev_i32_e32 v1, 31, v0
	s_wait_alu 0xf1ff
	v_add_co_ci_u32_e64 v36, null, 0, v9, s2
	s_mov_b32 s23, 0
	s_and_b32 s30, s31, s33
	s_and_b32 s31, vcc_lo, s3
	s_lshl_b64 s[2:3], s[24:25], 6
	s_lshl_b64 s[4:5], s[26:27], 3
	s_branch .LBB359_6
.LBB359_5:                              ;   in Loop: Header=BB359_6 Depth=1
	s_wait_alu 0xfffe
	s_or_b32 exec_lo, exec_lo, s12
	s_add_co_i32 s22, s22, 0x10000
	s_delay_alu instid0(SALU_CYCLE_1)
	s_cmp_lt_u32 s22, s19
	s_cbranch_scc0 .LBB359_33
.LBB359_6:                              ; =>This Loop Header: Depth=1
                                        ;     Child Loop BB359_9 Depth 2
	s_lshl_b64 s[12:13], s[22:23], 3
	v_mov_b32_e32 v20, 0
	s_wait_alu 0xfffe
	s_add_nc_u64 s[24:25], s[16:17], s[12:13]
	v_mov_b32_e32 v12, 0
	global_load_b64 v[10:11], v32, s[24:25]
	v_dual_mov_b32 v21, 0 :: v_dual_mov_b32 v14, 0
	v_dual_mov_b32 v13, 0 :: v_dual_mov_b32 v8, 0
	v_mov_b32_e32 v15, 0
	v_mov_b32_e32 v9, 0
	s_and_not1_b32 vcc_lo, exec_lo, s30
	s_wait_alu 0xfffe
	s_cbranch_vccnz .LBB359_13
; %bb.7:                                ;   in Loop: Header=BB359_6 Depth=1
	s_add_nc_u64 s[24:25], s[10:11], s[12:13]
	s_add_nc_u64 s[12:13], s[14:15], s[12:13]
	s_clause 0x1
	global_load_b64 v[16:17], v32, s[24:25]
	global_load_b64 v[18:19], v32, s[12:13]
	v_mov_b32_e32 v8, 0
	v_dual_mov_b32 v14, 0 :: v_dual_mov_b32 v9, 0
	v_dual_mov_b32 v12, 0 :: v_dual_mov_b32 v15, 0
	v_dual_mov_b32 v20, 0 :: v_dual_mov_b32 v13, 0
	v_mov_b32_e32 v21, 0
	s_mov_b32 s12, 0
	s_wait_loadcnt 0x1
	v_add_co_u32 v16, vcc_lo, v16, v33
	s_wait_alu 0xfffd
	v_add_co_ci_u32_e64 v17, null, v17, v34, vcc_lo
	s_wait_loadcnt 0x0
	v_add_co_u32 v18, vcc_lo, v18, v35
	s_wait_alu 0xfffd
	v_add_co_ci_u32_e64 v19, null, v19, v36, vcc_lo
	s_branch .LBB359_9
.LBB359_8:                              ;   in Loop: Header=BB359_9 Depth=2
	s_wait_alu 0xfffe
	s_or_b32 exec_lo, exec_lo, s13
	s_wait_loadcnt_dscnt 0x0
	ds_store_b64 v29, v[24:25]
	s_wait_dscnt 0x0
	s_barrier_signal -1
	s_barrier_wait -1
	global_inv scope:SCOPE_SE
	ds_load_b128 v[22:25], v31
	ds_load_2addr_b64 v[37:40], v30 offset1:16
	ds_load_b128 v[41:44], v31 offset:1024
	ds_load_b128 v[45:48], v31 offset:16
	ds_load_b128 v[49:52], v31 offset:1040
	v_add_co_u32 v16, vcc_lo, v16, 64
	s_wait_alu 0xfffd
	v_add_co_ci_u32_e64 v17, null, 0, v17, vcc_lo
	v_add_co_u32 v18, vcc_lo, v18, s2
	s_wait_alu 0xfffd
	v_add_co_ci_u32_e64 v19, null, s3, v19, vcc_lo
	s_add_co_i32 s12, s12, 8
	s_wait_alu 0xfffe
	s_cmp_lt_i32 s12, s21
	s_wait_dscnt 0x3
	v_fma_f64 v[20:21], v[37:38], v[22:23], v[20:21]
	v_fma_f64 v[22:23], v[39:40], v[22:23], v[14:15]
	s_wait_dscnt 0x2
	v_fma_f64 v[37:38], v[37:38], v[41:42], v[12:13]
	v_fma_f64 v[8:9], v[39:40], v[41:42], v[8:9]
	ds_load_2addr_b64 v[12:15], v30 offset0:32 offset1:48
	s_wait_dscnt 0x0
	v_fma_f64 v[20:21], v[12:13], v[24:25], v[20:21]
	v_fma_f64 v[22:23], v[14:15], v[24:25], v[22:23]
	v_fma_f64 v[24:25], v[12:13], v[43:44], v[37:38]
	v_fma_f64 v[8:9], v[14:15], v[43:44], v[8:9]
	ds_load_2addr_b64 v[12:15], v30 offset0:64 offset1:80
	s_wait_dscnt 0x0
	v_fma_f64 v[20:21], v[12:13], v[45:46], v[20:21]
	v_fma_f64 v[22:23], v[14:15], v[45:46], v[22:23]
	;; [unrolled: 6-line block ×3, first 2 shown]
	v_fma_f64 v[24:25], v[12:13], v[51:52], v[24:25]
	v_fma_f64 v[8:9], v[14:15], v[51:52], v[8:9]
	ds_load_b128 v[12:15], v31 offset:32
	ds_load_2addr_b64 v[20:23], v30 offset0:128 offset1:144
	ds_load_b128 v[37:40], v31 offset:1056
	ds_load_b128 v[41:44], v31 offset:48
	;; [unrolled: 1-line block ×3, first 2 shown]
	s_wait_dscnt 0x3
	v_fma_f64 v[49:50], v[20:21], v[12:13], v[49:50]
	v_fma_f64 v[12:13], v[22:23], v[12:13], v[53:54]
	s_wait_dscnt 0x2
	v_fma_f64 v[24:25], v[20:21], v[37:38], v[24:25]
	v_fma_f64 v[8:9], v[22:23], v[37:38], v[8:9]
	ds_load_2addr_b64 v[20:23], v30 offset0:160 offset1:176
	s_wait_dscnt 0x0
	v_fma_f64 v[37:38], v[20:21], v[14:15], v[49:50]
	v_fma_f64 v[49:50], v[22:23], v[14:15], v[12:13]
	v_fma_f64 v[20:21], v[20:21], v[39:40], v[24:25]
	v_fma_f64 v[8:9], v[22:23], v[39:40], v[8:9]
	ds_load_2addr_b64 v[12:15], v30 offset0:192 offset1:208
	ds_load_2addr_b64 v[22:25], v30 offset0:224 offset1:240
	s_wait_loadcnt_dscnt 0x0
	s_barrier_signal -1
	s_barrier_wait -1
	global_inv scope:SCOPE_SE
	v_fma_f64 v[37:38], v[12:13], v[41:42], v[37:38]
	v_fma_f64 v[39:40], v[14:15], v[41:42], v[49:50]
	;; [unrolled: 1-line block ×4, first 2 shown]
	s_delay_alu instid0(VALU_DEP_4) | instskip(NEXT) | instid1(VALU_DEP_4)
	v_fma_f64 v[20:21], v[22:23], v[43:44], v[37:38]
	v_fma_f64 v[14:15], v[24:25], v[43:44], v[39:40]
	s_delay_alu instid0(VALU_DEP_4) | instskip(NEXT) | instid1(VALU_DEP_4)
	v_fma_f64 v[12:13], v[22:23], v[47:48], v[12:13]
	v_fma_f64 v[8:9], v[24:25], v[47:48], v[8:9]
	s_cbranch_scc0 .LBB359_13
.LBB359_9:                              ;   Parent Loop BB359_6 Depth=1
                                        ; =>  This Inner Loop Header: Depth=2
	s_wait_alu 0xfffe
	v_add_nc_u32_e32 v22, s12, v27
	s_delay_alu instid0(VALU_DEP_1)
	v_cmp_gt_i32_e32 vcc_lo, s21, v22
	v_mov_b32_e32 v22, 0
	v_mov_b32_e32 v23, 0
	s_and_b32 s24, s0, vcc_lo
	s_wait_alu 0xfffe
	s_and_saveexec_b32 s13, s24
	s_cbranch_execz .LBB359_11
; %bb.10:                               ;   in Loop: Header=BB359_9 Depth=2
	flat_load_b64 v[22:23], v[16:17]
.LBB359_11:                             ;   in Loop: Header=BB359_9 Depth=2
	s_wait_alu 0xfffe
	s_or_b32 exec_lo, exec_lo, s13
	v_add_nc_u32_e32 v24, s12, v26
	s_wait_loadcnt_dscnt 0x0
	ds_store_b64 v28, v[22:23]
	v_cmp_gt_i32_e32 vcc_lo, s21, v24
	v_mov_b32_e32 v24, 0
	v_mov_b32_e32 v25, 0
	s_and_b32 s24, vcc_lo, s1
	s_wait_alu 0xfffe
	s_and_saveexec_b32 s13, s24
	s_cbranch_execz .LBB359_8
; %bb.12:                               ;   in Loop: Header=BB359_9 Depth=2
	flat_load_b64 v[24:25], v[18:19]
	s_branch .LBB359_8
.LBB359_13:                             ;   in Loop: Header=BB359_6 Depth=1
	s_wait_loadcnt 0x0
	v_add_co_u32 v16, vcc_lo, v10, s4
	s_wait_alu 0xfffd
	v_add_co_ci_u32_e64 v17, null, s5, v11, vcc_lo
	s_delay_alu instid0(VALU_DEP_2) | instskip(SKIP_1) | instid1(VALU_DEP_2)
	v_add_co_u32 v18, vcc_lo, v16, v2
	s_wait_alu 0xfffd
	v_add_co_ci_u32_e64 v19, null, v17, v3, vcc_lo
	s_and_saveexec_b32 s12, s29
	s_cbranch_execz .LBB359_17
; %bb.14:                               ;   in Loop: Header=BB359_6 Depth=1
	v_mul_f64_e32 v[10:11], s[8:9], v[20:21]
	s_and_b32 vcc_lo, exec_lo, s28
	s_wait_alu 0xfffe
	s_cbranch_vccz .LBB359_28
; %bb.15:                               ;   in Loop: Header=BB359_6 Depth=1
	v_add_co_u32 v20, vcc_lo, v18, v6
	s_wait_alu 0xfffd
	v_add_co_ci_u32_e64 v21, null, v19, v7, vcc_lo
	flat_load_b64 v[22:23], v[20:21]
	s_wait_loadcnt_dscnt 0x0
	v_fma_f64 v[22:23], s[6:7], v[22:23], v[10:11]
	flat_store_b64 v[20:21], v[22:23]
	s_cbranch_execnz .LBB359_17
.LBB359_16:                             ;   in Loop: Header=BB359_6 Depth=1
	v_add_co_u32 v20, vcc_lo, v18, v6
	s_wait_alu 0xfffd
	v_add_co_ci_u32_e64 v21, null, v19, v7, vcc_lo
	flat_store_b64 v[20:21], v[10:11]
.LBB359_17:                             ;   in Loop: Header=BB359_6 Depth=1
	s_wait_alu 0xfffe
	s_or_b32 exec_lo, exec_lo, s12
	s_and_saveexec_b32 s12, s20
	s_cbranch_execz .LBB359_21
; %bb.18:                               ;   in Loop: Header=BB359_6 Depth=1
	v_mul_f64_e32 v[10:11], s[8:9], v[14:15]
	s_and_not1_b32 vcc_lo, exec_lo, s28
	s_wait_alu 0xfffe
	s_cbranch_vccnz .LBB359_29
; %bb.19:                               ;   in Loop: Header=BB359_6 Depth=1
	v_lshlrev_b64_e32 v[14:15], 3, v[0:1]
	s_delay_alu instid0(VALU_DEP_1) | instskip(SKIP_1) | instid1(VALU_DEP_2)
	v_add_co_u32 v14, vcc_lo, v18, v14
	s_wait_alu 0xfffd
	v_add_co_ci_u32_e64 v15, null, v19, v15, vcc_lo
	flat_load_b64 v[20:21], v[14:15]
	s_wait_loadcnt_dscnt 0x0
	v_fma_f64 v[20:21], s[6:7], v[20:21], v[10:11]
	flat_store_b64 v[14:15], v[20:21]
	s_cbranch_execnz .LBB359_21
.LBB359_20:                             ;   in Loop: Header=BB359_6 Depth=1
	v_lshlrev_b64_e32 v[14:15], 3, v[0:1]
	s_delay_alu instid0(VALU_DEP_1) | instskip(SKIP_1) | instid1(VALU_DEP_2)
	v_add_co_u32 v14, vcc_lo, v18, v14
	s_wait_alu 0xfffd
	v_add_co_ci_u32_e64 v15, null, v19, v15, vcc_lo
	flat_store_b64 v[14:15], v[10:11]
.LBB359_21:                             ;   in Loop: Header=BB359_6 Depth=1
	s_wait_alu 0xfffe
	s_or_b32 exec_lo, exec_lo, s12
	v_add_co_u32 v14, vcc_lo, v16, v4
	s_wait_alu 0xfffd
	v_add_co_ci_u32_e64 v15, null, v17, v5, vcc_lo
	s_and_saveexec_b32 s12, s18
	s_cbranch_execz .LBB359_25
; %bb.22:                               ;   in Loop: Header=BB359_6 Depth=1
	v_mul_f64_e32 v[10:11], s[8:9], v[12:13]
	s_and_not1_b32 vcc_lo, exec_lo, s28
	s_wait_alu 0xfffe
	s_cbranch_vccnz .LBB359_30
; %bb.23:                               ;   in Loop: Header=BB359_6 Depth=1
	v_add_co_u32 v12, vcc_lo, v14, v6
	s_wait_alu 0xfffd
	v_add_co_ci_u32_e64 v13, null, v15, v7, vcc_lo
	flat_load_b64 v[16:17], v[12:13]
	s_wait_loadcnt_dscnt 0x0
	v_fma_f64 v[16:17], s[6:7], v[16:17], v[10:11]
	flat_store_b64 v[12:13], v[16:17]
	s_cbranch_execnz .LBB359_25
.LBB359_24:                             ;   in Loop: Header=BB359_6 Depth=1
	v_add_co_u32 v12, vcc_lo, v14, v6
	s_wait_alu 0xfffd
	v_add_co_ci_u32_e64 v13, null, v15, v7, vcc_lo
	flat_store_b64 v[12:13], v[10:11]
.LBB359_25:                             ;   in Loop: Header=BB359_6 Depth=1
	s_wait_alu 0xfffe
	s_or_b32 exec_lo, exec_lo, s12
	s_and_saveexec_b32 s12, s31
	s_cbranch_execz .LBB359_5
; %bb.26:                               ;   in Loop: Header=BB359_6 Depth=1
	v_mul_f64_e32 v[8:9], s[8:9], v[8:9]
	v_lshlrev_b64_e32 v[10:11], 3, v[0:1]
	s_and_not1_b32 vcc_lo, exec_lo, s28
	s_wait_alu 0xfffe
	s_cbranch_vccnz .LBB359_31
; %bb.27:                               ;   in Loop: Header=BB359_6 Depth=1
	s_delay_alu instid0(VALU_DEP_1)
	v_add_co_u32 v12, vcc_lo, v14, v10
	s_wait_alu 0xfffd
	v_add_co_ci_u32_e64 v13, null, v15, v11, vcc_lo
	flat_load_b64 v[16:17], v[12:13]
	s_wait_loadcnt_dscnt 0x0
	v_fma_f64 v[16:17], s[6:7], v[16:17], v[8:9]
	flat_store_b64 v[12:13], v[16:17]
	s_cbranch_execnz .LBB359_5
	s_branch .LBB359_32
.LBB359_28:                             ;   in Loop: Header=BB359_6 Depth=1
	s_branch .LBB359_16
.LBB359_29:                             ;   in Loop: Header=BB359_6 Depth=1
	s_branch .LBB359_20
.LBB359_30:                             ;   in Loop: Header=BB359_6 Depth=1
	s_branch .LBB359_24
.LBB359_31:                             ;   in Loop: Header=BB359_6 Depth=1
.LBB359_32:                             ;   in Loop: Header=BB359_6 Depth=1
	s_delay_alu instid0(VALU_DEP_1)
	v_add_co_u32 v10, vcc_lo, v14, v10
	s_wait_alu 0xfffd
	v_add_co_ci_u32_e64 v11, null, v15, v11, vcc_lo
	flat_store_b64 v[10:11], v[8:9]
	s_branch .LBB359_5
.LBB359_33:
	s_endpgm
	.section	.rodata,"a",@progbits
	.p2align	6, 0x0
	.amdhsa_kernel _ZL29rocblas_internal_gemmt_kernelIiLi16ELi32ELi8ELc67ELc67ELc76ELb0ELb0EddPKPKdPKPdEviT_T9_T10_S7_lS9_S7_lS8_T11_S7_li
		.amdhsa_group_segment_fixed_size 4096
		.amdhsa_private_segment_fixed_size 0
		.amdhsa_kernarg_size 100
		.amdhsa_user_sgpr_count 2
		.amdhsa_user_sgpr_dispatch_ptr 0
		.amdhsa_user_sgpr_queue_ptr 0
		.amdhsa_user_sgpr_kernarg_segment_ptr 1
		.amdhsa_user_sgpr_dispatch_id 0
		.amdhsa_user_sgpr_private_segment_size 0
		.amdhsa_wavefront_size32 1
		.amdhsa_uses_dynamic_stack 0
		.amdhsa_enable_private_segment 0
		.amdhsa_system_sgpr_workgroup_id_x 1
		.amdhsa_system_sgpr_workgroup_id_y 1
		.amdhsa_system_sgpr_workgroup_id_z 1
		.amdhsa_system_sgpr_workgroup_info 0
		.amdhsa_system_vgpr_workitem_id 1
		.amdhsa_next_free_vgpr 55
		.amdhsa_next_free_sgpr 34
		.amdhsa_reserve_vcc 1
		.amdhsa_float_round_mode_32 0
		.amdhsa_float_round_mode_16_64 0
		.amdhsa_float_denorm_mode_32 3
		.amdhsa_float_denorm_mode_16_64 3
		.amdhsa_fp16_overflow 0
		.amdhsa_workgroup_processor_mode 1
		.amdhsa_memory_ordered 1
		.amdhsa_forward_progress 1
		.amdhsa_inst_pref_size 17
		.amdhsa_round_robin_scheduling 0
		.amdhsa_exception_fp_ieee_invalid_op 0
		.amdhsa_exception_fp_denorm_src 0
		.amdhsa_exception_fp_ieee_div_zero 0
		.amdhsa_exception_fp_ieee_overflow 0
		.amdhsa_exception_fp_ieee_underflow 0
		.amdhsa_exception_fp_ieee_inexact 0
		.amdhsa_exception_int_div_zero 0
	.end_amdhsa_kernel
	.section	.text._ZL29rocblas_internal_gemmt_kernelIiLi16ELi32ELi8ELc67ELc67ELc76ELb0ELb0EddPKPKdPKPdEviT_T9_T10_S7_lS9_S7_lS8_T11_S7_li,"axG",@progbits,_ZL29rocblas_internal_gemmt_kernelIiLi16ELi32ELi8ELc67ELc67ELc76ELb0ELb0EddPKPKdPKPdEviT_T9_T10_S7_lS9_S7_lS8_T11_S7_li,comdat
.Lfunc_end359:
	.size	_ZL29rocblas_internal_gemmt_kernelIiLi16ELi32ELi8ELc67ELc67ELc76ELb0ELb0EddPKPKdPKPdEviT_T9_T10_S7_lS9_S7_lS8_T11_S7_li, .Lfunc_end359-_ZL29rocblas_internal_gemmt_kernelIiLi16ELi32ELi8ELc67ELc67ELc76ELb0ELb0EddPKPKdPKPdEviT_T9_T10_S7_lS9_S7_lS8_T11_S7_li
                                        ; -- End function
	.set _ZL29rocblas_internal_gemmt_kernelIiLi16ELi32ELi8ELc67ELc67ELc76ELb0ELb0EddPKPKdPKPdEviT_T9_T10_S7_lS9_S7_lS8_T11_S7_li.num_vgpr, 55
	.set _ZL29rocblas_internal_gemmt_kernelIiLi16ELi32ELi8ELc67ELc67ELc76ELb0ELb0EddPKPKdPKPdEviT_T9_T10_S7_lS9_S7_lS8_T11_S7_li.num_agpr, 0
	.set _ZL29rocblas_internal_gemmt_kernelIiLi16ELi32ELi8ELc67ELc67ELc76ELb0ELb0EddPKPKdPKPdEviT_T9_T10_S7_lS9_S7_lS8_T11_S7_li.numbered_sgpr, 34
	.set _ZL29rocblas_internal_gemmt_kernelIiLi16ELi32ELi8ELc67ELc67ELc76ELb0ELb0EddPKPKdPKPdEviT_T9_T10_S7_lS9_S7_lS8_T11_S7_li.num_named_barrier, 0
	.set _ZL29rocblas_internal_gemmt_kernelIiLi16ELi32ELi8ELc67ELc67ELc76ELb0ELb0EddPKPKdPKPdEviT_T9_T10_S7_lS9_S7_lS8_T11_S7_li.private_seg_size, 0
	.set _ZL29rocblas_internal_gemmt_kernelIiLi16ELi32ELi8ELc67ELc67ELc76ELb0ELb0EddPKPKdPKPdEviT_T9_T10_S7_lS9_S7_lS8_T11_S7_li.uses_vcc, 1
	.set _ZL29rocblas_internal_gemmt_kernelIiLi16ELi32ELi8ELc67ELc67ELc76ELb0ELb0EddPKPKdPKPdEviT_T9_T10_S7_lS9_S7_lS8_T11_S7_li.uses_flat_scratch, 0
	.set _ZL29rocblas_internal_gemmt_kernelIiLi16ELi32ELi8ELc67ELc67ELc76ELb0ELb0EddPKPKdPKPdEviT_T9_T10_S7_lS9_S7_lS8_T11_S7_li.has_dyn_sized_stack, 0
	.set _ZL29rocblas_internal_gemmt_kernelIiLi16ELi32ELi8ELc67ELc67ELc76ELb0ELb0EddPKPKdPKPdEviT_T9_T10_S7_lS9_S7_lS8_T11_S7_li.has_recursion, 0
	.set _ZL29rocblas_internal_gemmt_kernelIiLi16ELi32ELi8ELc67ELc67ELc76ELb0ELb0EddPKPKdPKPdEviT_T9_T10_S7_lS9_S7_lS8_T11_S7_li.has_indirect_call, 0
	.section	.AMDGPU.csdata,"",@progbits
; Kernel info:
; codeLenInByte = 2052
; TotalNumSgprs: 36
; NumVgprs: 55
; ScratchSize: 0
; MemoryBound: 0
; FloatMode: 240
; IeeeMode: 1
; LDSByteSize: 4096 bytes/workgroup (compile time only)
; SGPRBlocks: 0
; VGPRBlocks: 6
; NumSGPRsForWavesPerEU: 36
; NumVGPRsForWavesPerEU: 55
; Occupancy: 16
; WaveLimiterHint : 1
; COMPUTE_PGM_RSRC2:SCRATCH_EN: 0
; COMPUTE_PGM_RSRC2:USER_SGPR: 2
; COMPUTE_PGM_RSRC2:TRAP_HANDLER: 0
; COMPUTE_PGM_RSRC2:TGID_X_EN: 1
; COMPUTE_PGM_RSRC2:TGID_Y_EN: 1
; COMPUTE_PGM_RSRC2:TGID_Z_EN: 1
; COMPUTE_PGM_RSRC2:TIDIG_COMP_CNT: 1
	.section	.text._ZL29rocblas_internal_gemmt_kernelIiLi16ELi32ELi8ELc78ELc78ELc85ELb0ELb0E19rocblas_complex_numIfEPKS1_PKS3_PKPS1_EviT_T9_T10_S9_lSB_S9_lSA_T11_S9_li,"axG",@progbits,_ZL29rocblas_internal_gemmt_kernelIiLi16ELi32ELi8ELc78ELc78ELc85ELb0ELb0E19rocblas_complex_numIfEPKS1_PKS3_PKPS1_EviT_T9_T10_S9_lSB_S9_lSA_T11_S9_li,comdat
	.globl	_ZL29rocblas_internal_gemmt_kernelIiLi16ELi32ELi8ELc78ELc78ELc85ELb0ELb0E19rocblas_complex_numIfEPKS1_PKS3_PKPS1_EviT_T9_T10_S9_lSB_S9_lSA_T11_S9_li ; -- Begin function _ZL29rocblas_internal_gemmt_kernelIiLi16ELi32ELi8ELc78ELc78ELc85ELb0ELb0E19rocblas_complex_numIfEPKS1_PKS3_PKPS1_EviT_T9_T10_S9_lSB_S9_lSA_T11_S9_li
	.p2align	8
	.type	_ZL29rocblas_internal_gemmt_kernelIiLi16ELi32ELi8ELc78ELc78ELc85ELb0ELb0E19rocblas_complex_numIfEPKS1_PKS3_PKPS1_EviT_T9_T10_S9_lSB_S9_lSA_T11_S9_li,@function
_ZL29rocblas_internal_gemmt_kernelIiLi16ELi32ELi8ELc78ELc78ELc85ELb0ELb0E19rocblas_complex_numIfEPKS1_PKS3_PKPS1_EviT_T9_T10_S9_lSB_S9_lSA_T11_S9_li: ; @_ZL29rocblas_internal_gemmt_kernelIiLi16ELi32ELi8ELc78ELc78ELc85ELb0ELb0E19rocblas_complex_numIfEPKS1_PKS3_PKPS1_EviT_T9_T10_S9_lSB_S9_lSA_T11_S9_li
; %bb.0:
	s_load_b128 s[12:15], s[0:1], 0x38
	s_wait_kmcnt 0x0
	s_load_b64 s[14:15], s[14:15], 0x0
	s_clause 0x1
	s_load_b128 s[4:7], s[0:1], 0x8
	s_load_b64 s[20:21], s[0:1], 0x0
	s_wait_kmcnt 0x0
	s_load_b64 s[22:23], s[4:5], 0x0
	s_cmp_eq_f32 s14, 1.0
	s_cselect_b32 s3, -1, 0
	s_and_b32 s2, s15, 0x7fffffff
	s_delay_alu instid0(SALU_CYCLE_1) | instskip(SKIP_1) | instid1(SALU_CYCLE_1)
	s_cmp_eq_u32 s2, 0
	s_cselect_b32 s2, -1, 0
	s_and_b32 s4, s3, s2
	s_mov_b32 s3, 0
	s_and_not1_b32 vcc_lo, exec_lo, s4
	s_mov_b32 s4, -1
	s_cbranch_vccnz .LBB360_4
; %bb.1:
	s_cmp_lg_u32 s21, 0
	s_cbranch_scc0 .LBB360_3
; %bb.2:
	s_wait_kmcnt 0x0
	s_cmp_neq_f32 s22, 0
	s_cselect_b32 s3, -1, 0
	s_cmp_neq_f32 s23, 0
	s_cselect_b32 s4, -1, 0
	s_delay_alu instid0(SALU_CYCLE_1)
	s_or_b32 s3, s3, s4
.LBB360_3:
	s_delay_alu instid0(SALU_CYCLE_1)
	s_mov_b32 s4, s3
.LBB360_4:
	s_delay_alu instid0(SALU_CYCLE_1)
	s_and_b32 vcc_lo, exec_lo, s4
	s_cbranch_vccz .LBB360_39
; %bb.5:
	s_load_b32 s19, s[0:1], 0x60
	s_lshr_b32 s24, ttmp7, 16
	s_wait_kmcnt 0x0
	s_cmp_ge_u32 s24, s19
	s_cbranch_scc1 .LBB360_39
; %bb.6:
	s_load_b32 s28, s[0:1], 0x18
	v_and_b32_e32 v1, 0x3ff, v0
	v_bfe_u32 v2, v0, 10, 10
	s_clause 0x3
	s_load_b128 s[8:11], s[0:1], 0x20
	s_load_b32 s5, s[0:1], 0x30
	s_load_b96 s[16:18], s[0:1], 0x48
	s_load_b64 s[26:27], s[0:1], 0x58
	s_lshl_b32 s1, ttmp7, 5
	v_and_b32_e32 v16, 7, v0
	s_lshl_b32 s0, ttmp9, 5
	v_lshl_add_u32 v0, v2, 4, v1
	s_and_b32 s1, s1, 0x1fffe0
	v_lshlrev_b32_e32 v17, 3, v1
	v_lshl_add_u32 v18, v2, 6, 0x800
	v_add_nc_u32_e32 v6, s0, v1
	v_add_nc_u32_e32 v1, s1, v2
	v_and_b32_e32 v2, 31, v0
	v_lshrrev_b32_e32 v3, 3, v0
	v_lshrrev_b32_e32 v19, 5, v0
	v_add_nc_u32_e32 v8, 16, v6
	v_lshlrev_b32_e32 v14, 3, v16
	v_or_b32_e32 v0, s0, v2
	v_add_nc_u32_e32 v12, s1, v3
	s_wait_kmcnt 0x0
	s_ashr_i32 s29, s28, 31
	s_cmp_neq_f32 s22, 0
	v_cmp_gt_i32_e64 s1, s20, v1
	v_mad_co_i64_i32 v[4:5], null, v19, s28, 0
	s_cselect_b32 s3, -1, 0
	s_cmp_neq_f32 s23, 0
	v_add_nc_u32_e32 v13, 16, v1
	v_lshlrev_b32_e32 v2, 3, v2
	v_lshl_or_b32 v3, v3, 6, v14
	s_cselect_b32 s0, -1, 0
	v_cmp_gt_i32_e32 vcc_lo, s20, v0
	s_wait_alu 0xfffe
	s_or_b32 s33, s3, s0
	s_cmp_gt_i32 s21, 0
	v_cmp_gt_i32_e64 s0, s20, v12
	s_cselect_b32 s34, -1, 0
	s_cmp_neq_f32 s14, 0
	v_cmp_gt_i32_e64 s3, s20, v13
	v_cmp_le_i32_e64 s4, v6, v13
	v_mad_co_i64_i32 v[10:11], null, v13, s18, 0
	s_cselect_b32 s35, -1, 0
	s_xor_b32 s36, s2, -1
	v_cmp_le_i32_e64 s2, v6, v1
	v_lshlrev_b64_e32 v[4:5], 3, v[4:5]
	v_lshl_or_b32 v20, v19, 8, v2
	v_add_nc_u32_e32 v21, 0x800, v3
	v_mad_co_i64_i32 v[2:3], null, v1, s18, 0
	s_and_b32 s30, s1, s2
	v_cmp_le_i32_e64 s2, v8, v1
	v_ashrrev_i32_e32 v1, 31, v0
	s_and_b32 s18, s3, s4
	v_ashrrev_i32_e32 v7, 31, v6
	v_ashrrev_i32_e32 v9, 31, v8
	s_and_b32 s20, s1, s2
	v_cmp_le_i32_e64 s1, v8, v13
	v_mad_co_i64_i32 v[12:13], null, s5, v12, 0
	v_lshlrev_b64_e32 v[0:1], 3, v[0:1]
	s_lshl_b64 s[4:5], s[12:13], 3
	s_delay_alu instid0(VALU_DEP_3)
	s_and_b32 s31, s3, s1
	s_lshl_b64 s[2:3], s[8:9], 3
	v_lshlrev_b64_e32 v[2:3], 3, v[2:3]
	v_add_co_u32 v15, s1, v4, s2
	s_wait_alu 0xf1ff
	v_add_co_ci_u32_e64 v23, null, s3, v5, s1
	v_lshlrev_b64_e32 v[4:5], 3, v[12:13]
	s_delay_alu instid0(VALU_DEP_3) | instskip(SKIP_1) | instid1(VALU_DEP_3)
	v_add_co_u32 v22, s1, v15, v0
	s_wait_alu 0xf1ff
	v_add_co_ci_u32_e64 v23, null, v23, v1, s1
	v_lshlrev_b64_e32 v[6:7], 3, v[6:7]
	s_wait_alu 0xfffe
	v_add_co_u32 v1, s1, v4, s4
	s_wait_alu 0xf1ff
	v_add_co_ci_u32_e64 v4, null, s5, v5, s1
	v_lshlrev_b64_e32 v[8:9], 3, v[8:9]
	s_delay_alu instid0(VALU_DEP_3) | instskip(SKIP_1) | instid1(VALU_DEP_3)
	v_add_co_u32 v24, s1, v1, v14
	s_wait_alu 0xf1ff
	v_add_co_ci_u32_e64 v25, null, 0, v4, s1
	v_lshlrev_b64_e32 v[4:5], 3, v[10:11]
	v_mov_b32_e32 v0, 0
	s_mov_b32 s25, 0
	s_lshl_b64 s[2:3], s[28:29], 6
	s_and_b32 s8, s33, s34
	s_or_b32 s9, s35, s36
	s_xor_b32 s12, vcc_lo, -1
	s_xor_b32 s13, s0, -1
	s_lshl_b64 s[0:1], s[26:27], 3
	s_branch .LBB360_8
.LBB360_7:                              ;   in Loop: Header=BB360_8 Depth=1
	s_wait_alu 0xfffe
	s_or_b32 exec_lo, exec_lo, s4
	s_add_co_i32 s24, s24, 0x10000
	s_delay_alu instid0(SALU_CYCLE_1)
	s_cmp_lt_u32 s24, s19
	s_cbranch_scc0 .LBB360_39
.LBB360_8:                              ; =>This Loop Header: Depth=1
                                        ;     Child Loop BB360_11 Depth 2
	s_lshl_b64 s[4:5], s[24:25], 3
	v_dual_mov_b32 v33, v0 :: v_dual_mov_b32 v32, v0
	s_wait_alu 0xfffe
	s_add_nc_u64 s[26:27], s[16:17], s[4:5]
	v_dual_mov_b32 v30, v0 :: v_dual_mov_b32 v31, v0
	global_load_b64 v[10:11], v0, s[26:27]
	v_dual_mov_b32 v28, v0 :: v_dual_mov_b32 v29, v0
	v_dual_mov_b32 v27, v0 :: v_dual_mov_b32 v26, v0
	s_and_not1_b32 vcc_lo, exec_lo, s8
	s_wait_alu 0xfffe
	s_cbranch_vccnz .LBB360_19
; %bb.9:                                ;   in Loop: Header=BB360_8 Depth=1
	s_add_nc_u64 s[26:27], s[6:7], s[4:5]
	s_add_nc_u64 s[4:5], s[10:11], s[4:5]
	s_clause 0x1
	global_load_b64 v[12:13], v0, s[26:27]
	global_load_b64 v[14:15], v0, s[4:5]
	v_dual_mov_b32 v26, 0 :: v_dual_mov_b32 v27, 0
	v_dual_mov_b32 v29, 0 :: v_dual_mov_b32 v28, 0
	;; [unrolled: 1-line block ×4, first 2 shown]
	s_mov_b32 s4, 0
	s_wait_loadcnt 0x1
	v_add_co_u32 v12, vcc_lo, v12, v22
	s_wait_alu 0xfffd
	v_add_co_ci_u32_e64 v13, null, v13, v23, vcc_lo
	s_wait_loadcnt 0x0
	v_add_co_u32 v14, vcc_lo, v14, v24
	s_wait_alu 0xfffd
	v_add_co_ci_u32_e64 v15, null, v15, v25, vcc_lo
	s_branch .LBB360_11
.LBB360_10:                             ;   in Loop: Header=BB360_11 Depth=2
	s_wait_alu 0xfffe
	s_or_b32 exec_lo, exec_lo, s5
	s_wait_dscnt 0x0
	s_barrier_signal -1
	s_barrier_wait -1
	global_inv scope:SCOPE_SE
	ds_load_b128 v[34:37], v18
	ds_load_2addr_b64 v[38:41], v17 offset1:16
	ds_load_b128 v[42:45], v18 offset:1024
	ds_load_b128 v[46:49], v18 offset:16
	;; [unrolled: 1-line block ×4, first 2 shown]
	ds_load_2addr_b64 v[58:61], v17 offset0:32 offset1:48
	ds_load_b128 v[62:65], v18 offset:1040
	v_add_co_u32 v12, vcc_lo, v12, s2
	s_wait_alu 0xfffd
	v_add_co_ci_u32_e64 v13, null, s3, v13, vcc_lo
	v_add_co_u32 v14, vcc_lo, v14, 64
	s_wait_alu 0xfffd
	v_add_co_ci_u32_e64 v15, null, 0, v15, vcc_lo
	s_add_co_i32 s4, s4, 8
	s_wait_alu 0xfffe
	s_cmp_lt_i32 s4, s21
	s_wait_dscnt 0x6
	v_dual_mul_f32 v1, v35, v39 :: v_dual_mul_f32 v68, v34, v41
	v_dual_mul_f32 v66, v34, v39 :: v_dual_mul_f32 v67, v35, v41
	s_wait_dscnt 0x5
	v_mul_f32_e32 v70, v43, v41
	s_delay_alu instid0(VALU_DEP_3) | instskip(SKIP_3) | instid1(VALU_DEP_4)
	v_fma_f32 v1, v34, v38, -v1
	v_dual_mul_f32 v41, v42, v41 :: v_dual_fmac_f32 v68, v35, v40
	v_fmac_f32_e32 v66, v35, v38
	v_fma_f32 v34, v34, v40, -v67
	v_add_f32_e32 v1, v33, v1
	v_mul_f32_e32 v69, v43, v39
	s_delay_alu instid0(VALU_DEP_4) | instskip(NEXT) | instid1(VALU_DEP_4)
	v_dual_mul_f32 v39, v42, v39 :: v_dual_add_f32 v32, v32, v66
	v_add_f32_e32 v33, v30, v34
	v_fmac_f32_e32 v41, v43, v40
	s_delay_alu instid0(VALU_DEP_4) | instskip(NEXT) | instid1(VALU_DEP_4)
	v_fma_f32 v35, v42, v38, -v69
	v_fmac_f32_e32 v39, v43, v38
	v_fma_f32 v38, v42, v40, -v70
	s_wait_dscnt 0x1
	v_dual_mul_f32 v40, v36, v59 :: v_dual_add_f32 v31, v31, v68
	v_mul_f32_e32 v42, v37, v61
	v_add_f32_e32 v34, v28, v35
	v_dual_add_f32 v35, v29, v39 :: v_dual_add_f32 v38, v27, v38
	ds_load_2addr_b64 v[27:30], v17 offset0:64 offset1:80
	v_fmac_f32_e32 v40, v37, v58
	v_dual_mul_f32 v39, v37, v59 :: v_dual_add_f32 v26, v26, v41
	v_mul_f32_e32 v41, v36, v61
	s_delay_alu instid0(VALU_DEP_3) | instskip(NEXT) | instid1(VALU_DEP_3)
	v_add_f32_e32 v40, v32, v40
	v_fma_f32 v39, v36, v58, -v39
	v_fma_f32 v36, v36, v60, -v42
	v_mul_f32_e32 v32, v44, v59
	s_delay_alu instid0(VALU_DEP_3) | instskip(SKIP_1) | instid1(VALU_DEP_4)
	v_add_f32_e32 v1, v1, v39
	v_mul_f32_e32 v39, v45, v59
	v_add_f32_e32 v36, v33, v36
	v_fmac_f32_e32 v41, v37, v60
	v_mul_f32_e32 v37, v45, v61
	v_fmac_f32_e32 v32, v45, v58
	v_fma_f32 v33, v44, v58, -v39
	s_delay_alu instid0(VALU_DEP_4) | instskip(SKIP_4) | instid1(VALU_DEP_3)
	v_add_f32_e32 v39, v31, v41
	v_mul_f32_e32 v41, v44, v61
	v_fma_f32 v31, v44, v60, -v37
	s_wait_dscnt 0x0
	v_dual_add_f32 v42, v34, v33 :: v_dual_mul_f32 v33, v47, v28
	v_dual_mul_f32 v44, v47, v30 :: v_dual_fmac_f32 v41, v45, v60
	v_mul_f32_e32 v37, v46, v28
	v_add_f32_e32 v38, v38, v31
	s_delay_alu instid0(VALU_DEP_3) | instskip(SKIP_3) | instid1(VALU_DEP_2)
	v_add_f32_e32 v41, v26, v41
	v_mul_f32_e32 v26, v46, v30
	v_fma_f32 v43, v46, v27, -v33
	v_fmac_f32_e32 v37, v47, v27
	v_dual_fmac_f32 v26, v47, v29 :: v_dual_add_f32 v1, v1, v43
	v_fma_f32 v43, v46, v29, -v44
	v_add_f32_e32 v35, v35, v32
	ds_load_2addr_b64 v[31:34], v17 offset0:96 offset1:112
	v_dual_add_f32 v37, v40, v37 :: v_dual_mul_f32 v40, v63, v28
	v_mul_f32_e32 v28, v62, v28
	v_dual_add_f32 v36, v36, v43 :: v_dual_mul_f32 v43, v63, v30
	v_mul_f32_e32 v30, v62, v30
	s_delay_alu instid0(VALU_DEP_4) | instskip(NEXT) | instid1(VALU_DEP_4)
	v_fma_f32 v40, v62, v27, -v40
	v_fmac_f32_e32 v28, v63, v27
	v_add_f32_e32 v39, v39, v26
	v_fma_f32 v26, v62, v29, -v43
	v_fmac_f32_e32 v30, v63, v29
	v_add_f32_e32 v40, v42, v40
	s_delay_alu instid0(VALU_DEP_3)
	v_dual_add_f32 v42, v35, v28 :: v_dual_add_f32 v43, v38, v26
	ds_load_2addr_b64 v[26:29], v17 offset0:128 offset1:144
	s_wait_dscnt 0x1
	v_mul_f32_e32 v35, v49, v32
	v_mul_f32_e32 v38, v48, v32
	;; [unrolled: 1-line block ×4, first 2 shown]
	s_delay_alu instid0(VALU_DEP_4) | instskip(NEXT) | instid1(VALU_DEP_4)
	v_fma_f32 v35, v48, v31, -v35
	v_fmac_f32_e32 v38, v49, v31
	s_delay_alu instid0(VALU_DEP_2) | instskip(SKIP_1) | instid1(VALU_DEP_3)
	v_add_f32_e32 v1, v1, v35
	v_mul_f32_e32 v35, v65, v32
	v_dual_mul_f32 v32, v64, v32 :: v_dual_add_f32 v45, v37, v38
	s_delay_alu instid0(VALU_DEP_2) | instskip(NEXT) | instid1(VALU_DEP_2)
	v_fma_f32 v46, v64, v31, -v35
	v_fmac_f32_e32 v32, v65, v31
	s_wait_dscnt 0x0
	v_mul_f32_e32 v31, v51, v27
	v_fma_f32 v44, v48, v33, -v44
	v_add_f32_e32 v41, v41, v30
	v_mul_f32_e32 v30, v48, v34
	v_mul_f32_e32 v58, v50, v29
	s_delay_alu instid0(VALU_DEP_4) | instskip(SKIP_2) | instid1(VALU_DEP_1)
	v_add_f32_e32 v44, v36, v44
	ds_load_b128 v[35:38], v18 offset:1056
	v_dual_fmac_f32 v30, v49, v33 :: v_dual_mul_f32 v49, v50, v27
	v_add_f32_e32 v48, v39, v30
	v_fma_f32 v30, v64, v33, -v47
	v_fma_f32 v39, v50, v26, -v31
	v_mul_f32_e32 v34, v64, v34
	v_fmac_f32_e32 v49, v51, v26
	v_add_f32_e32 v46, v40, v46
	v_add_f32_e32 v43, v43, v30
	;; [unrolled: 1-line block ×4, first 2 shown]
	v_fmac_f32_e32 v34, v65, v33
	ds_load_2addr_b64 v[30:33], v17 offset0:160 offset1:176
	v_mul_f32_e32 v40, v51, v29
	v_add_f32_e32 v45, v45, v49
	v_add_f32_e32 v34, v41, v34
	s_delay_alu instid0(VALU_DEP_3)
	v_fma_f32 v50, v50, v28, -v40
	ds_load_b128 v[39:42], v18 offset:1072
	s_wait_dscnt 0x2
	v_mul_f32_e32 v59, v36, v27
	v_dual_mul_f32 v27, v35, v27 :: v_dual_add_f32 v44, v44, v50
	v_fmac_f32_e32 v58, v51, v28
	v_mul_f32_e32 v50, v36, v29
	s_delay_alu instid0(VALU_DEP_4) | instskip(NEXT) | instid1(VALU_DEP_4)
	v_fma_f32 v49, v35, v26, -v59
	v_fmac_f32_e32 v27, v36, v26
	s_delay_alu instid0(VALU_DEP_4) | instskip(SKIP_1) | instid1(VALU_DEP_3)
	v_dual_mul_f32 v51, v35, v29 :: v_dual_add_f32 v48, v48, v58
	s_wait_dscnt 0x1
	v_dual_add_f32 v46, v46, v49 :: v_dual_mul_f32 v29, v53, v31
	v_fma_f32 v26, v35, v28, -v50
	v_add_f32_e32 v35, v47, v27
	v_fmac_f32_e32 v51, v36, v28
	v_mul_f32_e32 v36, v52, v31
	v_fma_f32 v47, v52, v30, -v29
	v_add_f32_e32 v43, v43, v26
	ds_load_2addr_b64 v[26:29], v17 offset0:192 offset1:208
	v_fmac_f32_e32 v36, v53, v30
	v_dual_mul_f32 v49, v53, v33 :: v_dual_add_f32 v50, v34, v51
	v_dual_add_f32 v1, v1, v47 :: v_dual_mul_f32 v34, v52, v33
	s_delay_alu instid0(VALU_DEP_3) | instskip(NEXT) | instid1(VALU_DEP_3)
	v_dual_add_f32 v45, v45, v36 :: v_dual_mul_f32 v36, v38, v31
	v_fma_f32 v47, v52, v32, -v49
	s_delay_alu instid0(VALU_DEP_3) | instskip(NEXT) | instid1(VALU_DEP_3)
	v_fmac_f32_e32 v34, v53, v32
	v_fma_f32 v36, v37, v30, -v36
	s_delay_alu instid0(VALU_DEP_3) | instskip(SKIP_1) | instid1(VALU_DEP_3)
	v_dual_add_f32 v44, v44, v47 :: v_dual_mul_f32 v47, v38, v33
	v_mul_f32_e32 v31, v37, v31
	v_dual_mul_f32 v33, v37, v33 :: v_dual_add_f32 v46, v46, v36
	s_delay_alu instid0(VALU_DEP_2) | instskip(SKIP_2) | instid1(VALU_DEP_4)
	v_fmac_f32_e32 v31, v38, v30
	v_add_f32_e32 v30, v48, v34
	v_fma_f32 v34, v37, v32, -v47
	v_fmac_f32_e32 v33, v38, v32
	s_wait_dscnt 0x0
	v_mul_f32_e32 v38, v54, v27
	v_dual_add_f32 v31, v35, v31 :: v_dual_mul_f32 v48, v54, v29
	v_add_f32_e32 v32, v43, v34
	ds_load_2addr_b64 v[34:37], v17 offset0:224 offset1:240
	v_dual_add_f32 v33, v50, v33 :: v_dual_fmac_f32 v38, v55, v26
	v_mul_f32_e32 v47, v55, v27
	v_fmac_f32_e32 v48, v55, v28
	s_wait_loadcnt_dscnt 0x0
	s_barrier_signal -1
	v_add_f32_e32 v38, v45, v38
	v_fma_f32 v43, v54, v26, -v47
	v_mul_f32_e32 v47, v55, v29
	v_mul_f32_e32 v45, v40, v29
	;; [unrolled: 1-line block ×3, first 2 shown]
	s_barrier_wait -1
	v_add_f32_e32 v1, v1, v43
	v_fma_f32 v47, v54, v28, -v47
	v_mul_f32_e32 v43, v40, v27
	v_fmac_f32_e32 v29, v40, v28
	global_inv scope:SCOPE_SE
	v_dual_add_f32 v44, v44, v47 :: v_dual_add_f32 v47, v30, v48
	v_fma_f32 v30, v39, v28, -v45
	v_mul_f32_e32 v27, v39, v27
	s_delay_alu instid0(VALU_DEP_1) | instskip(NEXT) | instid1(VALU_DEP_3)
	v_fmac_f32_e32 v27, v40, v26
	v_add_f32_e32 v40, v32, v30
	v_mul_f32_e32 v30, v57, v37
	v_fma_f32 v43, v39, v26, -v43
	v_mul_f32_e32 v39, v57, v35
	s_delay_alu instid0(VALU_DEP_2) | instskip(NEXT) | instid1(VALU_DEP_2)
	v_add_f32_e32 v26, v46, v43
	v_fma_f32 v28, v56, v34, -v39
	v_add_f32_e32 v39, v33, v29
	v_mul_f32_e32 v29, v41, v35
	s_delay_alu instid0(VALU_DEP_3) | instskip(SKIP_2) | instid1(VALU_DEP_2)
	v_add_f32_e32 v33, v1, v28
	v_fma_f32 v1, v56, v36, -v30
	v_mul_f32_e32 v28, v42, v35
	v_dual_fmac_f32 v29, v42, v34 :: v_dual_add_f32 v30, v44, v1
	s_delay_alu instid0(VALU_DEP_2) | instskip(SKIP_2) | instid1(VALU_DEP_2)
	v_fma_f32 v1, v41, v34, -v28
	v_mul_f32_e32 v43, v56, v35
	v_mul_f32_e32 v35, v42, v37
	v_dual_add_f32 v28, v26, v1 :: v_dual_fmac_f32 v43, v57, v34
	s_delay_alu instid0(VALU_DEP_2) | instskip(NEXT) | instid1(VALU_DEP_2)
	v_fma_f32 v34, v41, v36, -v35
	v_add_f32_e32 v32, v38, v43
	v_add_f32_e32 v27, v31, v27
	v_mul_f32_e32 v31, v56, v37
	v_mul_f32_e32 v37, v41, v37
	s_delay_alu instid0(VALU_DEP_3) | instskip(NEXT) | instid1(VALU_DEP_3)
	v_add_f32_e32 v29, v27, v29
	v_fmac_f32_e32 v31, v57, v36
	s_delay_alu instid0(VALU_DEP_3) | instskip(SKIP_1) | instid1(VALU_DEP_3)
	v_fmac_f32_e32 v37, v42, v36
	v_add_f32_e32 v27, v40, v34
	v_add_f32_e32 v31, v47, v31
	s_delay_alu instid0(VALU_DEP_3)
	v_add_f32_e32 v26, v39, v37
	s_cbranch_scc0 .LBB360_19
.LBB360_11:                             ;   Parent Loop BB360_8 Depth=1
                                        ; =>  This Inner Loop Header: Depth=2
	s_wait_alu 0xfffe
	v_add_nc_u32_e32 v1, s4, v19
	s_delay_alu instid0(VALU_DEP_1) | instskip(SKIP_3) | instid1(SALU_CYCLE_1)
	v_cmp_le_i32_e32 vcc_lo, s21, v1
	s_or_b32 s5, s12, vcc_lo
	s_wait_alu 0xfffe
	s_and_saveexec_b32 s26, s5
	s_xor_b32 s5, exec_lo, s26
; %bb.12:                               ;   in Loop: Header=BB360_11 Depth=2
	v_mov_b32_e32 v1, v0
	ds_store_b64 v20, v[0:1]
; %bb.13:                               ;   in Loop: Header=BB360_11 Depth=2
	s_wait_alu 0xfffe
	s_and_not1_saveexec_b32 s5, s5
	s_cbranch_execz .LBB360_15
; %bb.14:                               ;   in Loop: Header=BB360_11 Depth=2
	flat_load_b64 v[34:35], v[12:13]
	s_wait_loadcnt_dscnt 0x0
	ds_store_b64 v20, v[34:35]
.LBB360_15:                             ;   in Loop: Header=BB360_11 Depth=2
	s_wait_alu 0xfffe
	s_or_b32 exec_lo, exec_lo, s5
	v_add_nc_u32_e32 v1, s4, v16
	s_delay_alu instid0(VALU_DEP_1) | instskip(SKIP_3) | instid1(SALU_CYCLE_1)
	v_cmp_le_i32_e32 vcc_lo, s21, v1
	s_or_b32 s5, vcc_lo, s13
	s_wait_alu 0xfffe
	s_and_saveexec_b32 s26, s5
	s_xor_b32 s5, exec_lo, s26
; %bb.16:                               ;   in Loop: Header=BB360_11 Depth=2
	v_mov_b32_e32 v1, v0
	ds_store_b64 v21, v[0:1]
; %bb.17:                               ;   in Loop: Header=BB360_11 Depth=2
	s_wait_alu 0xfffe
	s_and_not1_saveexec_b32 s5, s5
	s_cbranch_execz .LBB360_10
; %bb.18:                               ;   in Loop: Header=BB360_11 Depth=2
	flat_load_b64 v[34:35], v[14:15]
	s_wait_loadcnt_dscnt 0x0
	ds_store_b64 v21, v[34:35]
	s_branch .LBB360_10
.LBB360_19:                             ;   in Loop: Header=BB360_8 Depth=1
	s_wait_loadcnt 0x0
	v_add_co_u32 v1, vcc_lo, v10, s0
	s_wait_alu 0xfffd
	v_add_co_ci_u32_e64 v12, null, s1, v11, vcc_lo
	s_delay_alu instid0(VALU_DEP_2) | instskip(SKIP_1) | instid1(VALU_DEP_2)
	v_add_co_u32 v13, vcc_lo, v1, v2
	s_wait_alu 0xfffd
	v_add_co_ci_u32_e64 v14, null, v12, v3, vcc_lo
	s_and_saveexec_b32 s4, s30
	s_cbranch_execz .LBB360_24
; %bb.20:                               ;   in Loop: Header=BB360_8 Depth=1
	v_mul_f32_e32 v11, s22, v32
	v_mul_f32_e32 v10, s23, v32
	s_and_b32 vcc_lo, exec_lo, s9
	s_mov_b32 s5, -1
	s_delay_alu instid0(VALU_DEP_2) | instskip(NEXT) | instid1(VALU_DEP_2)
	v_fmac_f32_e32 v11, s23, v33
	v_fma_f32 v10, v33, s22, -v10
	s_wait_alu 0xfffe
	s_cbranch_vccz .LBB360_22
; %bb.21:                               ;   in Loop: Header=BB360_8 Depth=1
	v_add_co_u32 v32, vcc_lo, v13, v6
	s_wait_alu 0xfffd
	v_add_co_ci_u32_e64 v33, null, v14, v7, vcc_lo
	s_mov_b32 s5, 0
	flat_load_b64 v[34:35], v[32:33]
	s_wait_loadcnt_dscnt 0x0
	v_mul_f32_e32 v15, s15, v35
	v_mul_f32_e32 v35, s14, v35
	s_delay_alu instid0(VALU_DEP_2) | instskip(NEXT) | instid1(VALU_DEP_1)
	v_fma_f32 v15, v34, s14, -v15
	v_dual_fmac_f32 v35, s15, v34 :: v_dual_add_f32 v34, v10, v15
	s_delay_alu instid0(VALU_DEP_1)
	v_add_f32_e32 v35, v11, v35
	flat_store_b64 v[32:33], v[34:35]
.LBB360_22:                             ;   in Loop: Header=BB360_8 Depth=1
	s_wait_alu 0xfffe
	s_and_not1_b32 vcc_lo, exec_lo, s5
	s_wait_alu 0xfffe
	s_cbranch_vccnz .LBB360_24
; %bb.23:                               ;   in Loop: Header=BB360_8 Depth=1
	v_add_co_u32 v32, vcc_lo, v13, v6
	s_wait_alu 0xfffd
	v_add_co_ci_u32_e64 v33, null, v14, v7, vcc_lo
	flat_store_b64 v[32:33], v[10:11]
.LBB360_24:                             ;   in Loop: Header=BB360_8 Depth=1
	s_wait_alu 0xfffe
	s_or_b32 exec_lo, exec_lo, s4
	s_and_saveexec_b32 s4, s20
	s_cbranch_execz .LBB360_29
; %bb.25:                               ;   in Loop: Header=BB360_8 Depth=1
	v_mul_f32_e32 v11, s22, v31
	v_mul_f32_e32 v10, s23, v31
	s_and_not1_b32 vcc_lo, exec_lo, s9
	s_mov_b32 s5, -1
	s_delay_alu instid0(VALU_DEP_2) | instskip(NEXT) | instid1(VALU_DEP_2)
	v_fmac_f32_e32 v11, s23, v30
	v_fma_f32 v10, v30, s22, -v10
	s_wait_alu 0xfffe
	s_cbranch_vccnz .LBB360_27
; %bb.26:                               ;   in Loop: Header=BB360_8 Depth=1
	v_add_co_u32 v30, vcc_lo, v13, v8
	s_wait_alu 0xfffd
	v_add_co_ci_u32_e64 v31, null, v14, v9, vcc_lo
	s_mov_b32 s5, 0
	flat_load_b64 v[32:33], v[30:31]
	s_wait_loadcnt_dscnt 0x0
	v_mul_f32_e32 v15, s15, v33
	s_delay_alu instid0(VALU_DEP_1) | instskip(SKIP_1) | instid1(VALU_DEP_1)
	v_fma_f32 v15, v32, s14, -v15
	v_mul_f32_e32 v33, s14, v33
	v_dual_fmac_f32 v33, s15, v32 :: v_dual_add_f32 v32, v10, v15
	s_delay_alu instid0(VALU_DEP_1)
	v_add_f32_e32 v33, v11, v33
	flat_store_b64 v[30:31], v[32:33]
.LBB360_27:                             ;   in Loop: Header=BB360_8 Depth=1
	s_wait_alu 0xfffe
	s_and_not1_b32 vcc_lo, exec_lo, s5
	s_wait_alu 0xfffe
	s_cbranch_vccnz .LBB360_29
; %bb.28:                               ;   in Loop: Header=BB360_8 Depth=1
	v_add_co_u32 v13, vcc_lo, v13, v8
	s_wait_alu 0xfffd
	v_add_co_ci_u32_e64 v14, null, v14, v9, vcc_lo
	flat_store_b64 v[13:14], v[10:11]
.LBB360_29:                             ;   in Loop: Header=BB360_8 Depth=1
	s_wait_alu 0xfffe
	s_or_b32 exec_lo, exec_lo, s4
	v_add_co_u32 v1, vcc_lo, v1, v4
	s_wait_alu 0xfffd
	v_add_co_ci_u32_e64 v12, null, v12, v5, vcc_lo
	s_and_saveexec_b32 s4, s18
	s_cbranch_execz .LBB360_34
; %bb.30:                               ;   in Loop: Header=BB360_8 Depth=1
	v_mul_f32_e32 v11, s22, v29
	v_mul_f32_e32 v10, s23, v29
	s_and_not1_b32 vcc_lo, exec_lo, s9
	s_mov_b32 s5, -1
	s_delay_alu instid0(VALU_DEP_2) | instskip(NEXT) | instid1(VALU_DEP_2)
	v_fmac_f32_e32 v11, s23, v28
	v_fma_f32 v10, v28, s22, -v10
	s_wait_alu 0xfffe
	s_cbranch_vccnz .LBB360_32
; %bb.31:                               ;   in Loop: Header=BB360_8 Depth=1
	v_add_co_u32 v13, vcc_lo, v1, v6
	s_wait_alu 0xfffd
	v_add_co_ci_u32_e64 v14, null, v12, v7, vcc_lo
	s_mov_b32 s5, 0
	flat_load_b64 v[28:29], v[13:14]
	s_wait_loadcnt_dscnt 0x0
	v_mul_f32_e32 v15, s15, v29
	s_delay_alu instid0(VALU_DEP_1) | instskip(SKIP_1) | instid1(VALU_DEP_1)
	v_fma_f32 v15, v28, s14, -v15
	v_mul_f32_e32 v29, s14, v29
	v_dual_fmac_f32 v29, s15, v28 :: v_dual_add_f32 v28, v10, v15
	s_delay_alu instid0(VALU_DEP_1)
	v_add_f32_e32 v29, v11, v29
	flat_store_b64 v[13:14], v[28:29]
.LBB360_32:                             ;   in Loop: Header=BB360_8 Depth=1
	s_wait_alu 0xfffe
	s_and_not1_b32 vcc_lo, exec_lo, s5
	s_wait_alu 0xfffe
	s_cbranch_vccnz .LBB360_34
; %bb.33:                               ;   in Loop: Header=BB360_8 Depth=1
	v_add_co_u32 v13, vcc_lo, v1, v6
	s_wait_alu 0xfffd
	v_add_co_ci_u32_e64 v14, null, v12, v7, vcc_lo
	flat_store_b64 v[13:14], v[10:11]
.LBB360_34:                             ;   in Loop: Header=BB360_8 Depth=1
	s_wait_alu 0xfffe
	s_or_b32 exec_lo, exec_lo, s4
	s_and_saveexec_b32 s4, s31
	s_cbranch_execz .LBB360_7
; %bb.35:                               ;   in Loop: Header=BB360_8 Depth=1
	v_mul_f32_e32 v11, s22, v26
	v_mul_f32_e32 v10, s23, v26
	s_and_not1_b32 vcc_lo, exec_lo, s9
	s_mov_b32 s5, -1
	s_delay_alu instid0(VALU_DEP_2) | instskip(NEXT) | instid1(VALU_DEP_2)
	v_fmac_f32_e32 v11, s23, v27
	v_fma_f32 v10, v27, s22, -v10
	s_wait_alu 0xfffe
	s_cbranch_vccnz .LBB360_37
; %bb.36:                               ;   in Loop: Header=BB360_8 Depth=1
	v_add_co_u32 v13, vcc_lo, v1, v8
	s_wait_alu 0xfffd
	v_add_co_ci_u32_e64 v14, null, v12, v9, vcc_lo
	s_mov_b32 s5, 0
	flat_load_b64 v[26:27], v[13:14]
	s_wait_loadcnt_dscnt 0x0
	v_mul_f32_e32 v15, s15, v27
	v_mul_f32_e32 v27, s14, v27
	s_delay_alu instid0(VALU_DEP_2) | instskip(NEXT) | instid1(VALU_DEP_1)
	v_fma_f32 v15, v26, s14, -v15
	v_dual_fmac_f32 v27, s15, v26 :: v_dual_add_f32 v26, v10, v15
	s_delay_alu instid0(VALU_DEP_1)
	v_add_f32_e32 v27, v11, v27
	flat_store_b64 v[13:14], v[26:27]
.LBB360_37:                             ;   in Loop: Header=BB360_8 Depth=1
	s_wait_alu 0xfffe
	s_and_not1_b32 vcc_lo, exec_lo, s5
	s_wait_alu 0xfffe
	s_cbranch_vccnz .LBB360_7
; %bb.38:                               ;   in Loop: Header=BB360_8 Depth=1
	v_add_co_u32 v13, vcc_lo, v1, v8
	s_wait_alu 0xfffd
	v_add_co_ci_u32_e64 v14, null, v12, v9, vcc_lo
	flat_store_b64 v[13:14], v[10:11]
	s_branch .LBB360_7
.LBB360_39:
	s_endpgm
	.section	.rodata,"a",@progbits
	.p2align	6, 0x0
	.amdhsa_kernel _ZL29rocblas_internal_gemmt_kernelIiLi16ELi32ELi8ELc78ELc78ELc85ELb0ELb0E19rocblas_complex_numIfEPKS1_PKS3_PKPS1_EviT_T9_T10_S9_lSB_S9_lSA_T11_S9_li
		.amdhsa_group_segment_fixed_size 4096
		.amdhsa_private_segment_fixed_size 0
		.amdhsa_kernarg_size 100
		.amdhsa_user_sgpr_count 2
		.amdhsa_user_sgpr_dispatch_ptr 0
		.amdhsa_user_sgpr_queue_ptr 0
		.amdhsa_user_sgpr_kernarg_segment_ptr 1
		.amdhsa_user_sgpr_dispatch_id 0
		.amdhsa_user_sgpr_private_segment_size 0
		.amdhsa_wavefront_size32 1
		.amdhsa_uses_dynamic_stack 0
		.amdhsa_enable_private_segment 0
		.amdhsa_system_sgpr_workgroup_id_x 1
		.amdhsa_system_sgpr_workgroup_id_y 1
		.amdhsa_system_sgpr_workgroup_id_z 1
		.amdhsa_system_sgpr_workgroup_info 0
		.amdhsa_system_vgpr_workitem_id 1
		.amdhsa_next_free_vgpr 71
		.amdhsa_next_free_sgpr 37
		.amdhsa_reserve_vcc 1
		.amdhsa_float_round_mode_32 0
		.amdhsa_float_round_mode_16_64 0
		.amdhsa_float_denorm_mode_32 3
		.amdhsa_float_denorm_mode_16_64 3
		.amdhsa_fp16_overflow 0
		.amdhsa_workgroup_processor_mode 1
		.amdhsa_memory_ordered 1
		.amdhsa_forward_progress 1
		.amdhsa_inst_pref_size 25
		.amdhsa_round_robin_scheduling 0
		.amdhsa_exception_fp_ieee_invalid_op 0
		.amdhsa_exception_fp_denorm_src 0
		.amdhsa_exception_fp_ieee_div_zero 0
		.amdhsa_exception_fp_ieee_overflow 0
		.amdhsa_exception_fp_ieee_underflow 0
		.amdhsa_exception_fp_ieee_inexact 0
		.amdhsa_exception_int_div_zero 0
	.end_amdhsa_kernel
	.section	.text._ZL29rocblas_internal_gemmt_kernelIiLi16ELi32ELi8ELc78ELc78ELc85ELb0ELb0E19rocblas_complex_numIfEPKS1_PKS3_PKPS1_EviT_T9_T10_S9_lSB_S9_lSA_T11_S9_li,"axG",@progbits,_ZL29rocblas_internal_gemmt_kernelIiLi16ELi32ELi8ELc78ELc78ELc85ELb0ELb0E19rocblas_complex_numIfEPKS1_PKS3_PKPS1_EviT_T9_T10_S9_lSB_S9_lSA_T11_S9_li,comdat
.Lfunc_end360:
	.size	_ZL29rocblas_internal_gemmt_kernelIiLi16ELi32ELi8ELc78ELc78ELc85ELb0ELb0E19rocblas_complex_numIfEPKS1_PKS3_PKPS1_EviT_T9_T10_S9_lSB_S9_lSA_T11_S9_li, .Lfunc_end360-_ZL29rocblas_internal_gemmt_kernelIiLi16ELi32ELi8ELc78ELc78ELc85ELb0ELb0E19rocblas_complex_numIfEPKS1_PKS3_PKPS1_EviT_T9_T10_S9_lSB_S9_lSA_T11_S9_li
                                        ; -- End function
	.set _ZL29rocblas_internal_gemmt_kernelIiLi16ELi32ELi8ELc78ELc78ELc85ELb0ELb0E19rocblas_complex_numIfEPKS1_PKS3_PKPS1_EviT_T9_T10_S9_lSB_S9_lSA_T11_S9_li.num_vgpr, 71
	.set _ZL29rocblas_internal_gemmt_kernelIiLi16ELi32ELi8ELc78ELc78ELc85ELb0ELb0E19rocblas_complex_numIfEPKS1_PKS3_PKPS1_EviT_T9_T10_S9_lSB_S9_lSA_T11_S9_li.num_agpr, 0
	.set _ZL29rocblas_internal_gemmt_kernelIiLi16ELi32ELi8ELc78ELc78ELc85ELb0ELb0E19rocblas_complex_numIfEPKS1_PKS3_PKPS1_EviT_T9_T10_S9_lSB_S9_lSA_T11_S9_li.numbered_sgpr, 37
	.set _ZL29rocblas_internal_gemmt_kernelIiLi16ELi32ELi8ELc78ELc78ELc85ELb0ELb0E19rocblas_complex_numIfEPKS1_PKS3_PKPS1_EviT_T9_T10_S9_lSB_S9_lSA_T11_S9_li.num_named_barrier, 0
	.set _ZL29rocblas_internal_gemmt_kernelIiLi16ELi32ELi8ELc78ELc78ELc85ELb0ELb0E19rocblas_complex_numIfEPKS1_PKS3_PKPS1_EviT_T9_T10_S9_lSB_S9_lSA_T11_S9_li.private_seg_size, 0
	.set _ZL29rocblas_internal_gemmt_kernelIiLi16ELi32ELi8ELc78ELc78ELc85ELb0ELb0E19rocblas_complex_numIfEPKS1_PKS3_PKPS1_EviT_T9_T10_S9_lSB_S9_lSA_T11_S9_li.uses_vcc, 1
	.set _ZL29rocblas_internal_gemmt_kernelIiLi16ELi32ELi8ELc78ELc78ELc85ELb0ELb0E19rocblas_complex_numIfEPKS1_PKS3_PKPS1_EviT_T9_T10_S9_lSB_S9_lSA_T11_S9_li.uses_flat_scratch, 0
	.set _ZL29rocblas_internal_gemmt_kernelIiLi16ELi32ELi8ELc78ELc78ELc85ELb0ELb0E19rocblas_complex_numIfEPKS1_PKS3_PKPS1_EviT_T9_T10_S9_lSB_S9_lSA_T11_S9_li.has_dyn_sized_stack, 0
	.set _ZL29rocblas_internal_gemmt_kernelIiLi16ELi32ELi8ELc78ELc78ELc85ELb0ELb0E19rocblas_complex_numIfEPKS1_PKS3_PKPS1_EviT_T9_T10_S9_lSB_S9_lSA_T11_S9_li.has_recursion, 0
	.set _ZL29rocblas_internal_gemmt_kernelIiLi16ELi32ELi8ELc78ELc78ELc85ELb0ELb0E19rocblas_complex_numIfEPKS1_PKS3_PKPS1_EviT_T9_T10_S9_lSB_S9_lSA_T11_S9_li.has_indirect_call, 0
	.section	.AMDGPU.csdata,"",@progbits
; Kernel info:
; codeLenInByte = 3200
; TotalNumSgprs: 39
; NumVgprs: 71
; ScratchSize: 0
; MemoryBound: 1
; FloatMode: 240
; IeeeMode: 1
; LDSByteSize: 4096 bytes/workgroup (compile time only)
; SGPRBlocks: 0
; VGPRBlocks: 8
; NumSGPRsForWavesPerEU: 39
; NumVGPRsForWavesPerEU: 71
; Occupancy: 16
; WaveLimiterHint : 1
; COMPUTE_PGM_RSRC2:SCRATCH_EN: 0
; COMPUTE_PGM_RSRC2:USER_SGPR: 2
; COMPUTE_PGM_RSRC2:TRAP_HANDLER: 0
; COMPUTE_PGM_RSRC2:TGID_X_EN: 1
; COMPUTE_PGM_RSRC2:TGID_Y_EN: 1
; COMPUTE_PGM_RSRC2:TGID_Z_EN: 1
; COMPUTE_PGM_RSRC2:TIDIG_COMP_CNT: 1
	.section	.text._ZL29rocblas_internal_gemmt_kernelIiLi16ELi32ELi8ELc78ELc84ELc85ELb0ELb0E19rocblas_complex_numIfEPKS1_PKS3_PKPS1_EviT_T9_T10_S9_lSB_S9_lSA_T11_S9_li,"axG",@progbits,_ZL29rocblas_internal_gemmt_kernelIiLi16ELi32ELi8ELc78ELc84ELc85ELb0ELb0E19rocblas_complex_numIfEPKS1_PKS3_PKPS1_EviT_T9_T10_S9_lSB_S9_lSA_T11_S9_li,comdat
	.globl	_ZL29rocblas_internal_gemmt_kernelIiLi16ELi32ELi8ELc78ELc84ELc85ELb0ELb0E19rocblas_complex_numIfEPKS1_PKS3_PKPS1_EviT_T9_T10_S9_lSB_S9_lSA_T11_S9_li ; -- Begin function _ZL29rocblas_internal_gemmt_kernelIiLi16ELi32ELi8ELc78ELc84ELc85ELb0ELb0E19rocblas_complex_numIfEPKS1_PKS3_PKPS1_EviT_T9_T10_S9_lSB_S9_lSA_T11_S9_li
	.p2align	8
	.type	_ZL29rocblas_internal_gemmt_kernelIiLi16ELi32ELi8ELc78ELc84ELc85ELb0ELb0E19rocblas_complex_numIfEPKS1_PKS3_PKPS1_EviT_T9_T10_S9_lSB_S9_lSA_T11_S9_li,@function
_ZL29rocblas_internal_gemmt_kernelIiLi16ELi32ELi8ELc78ELc84ELc85ELb0ELb0E19rocblas_complex_numIfEPKS1_PKS3_PKPS1_EviT_T9_T10_S9_lSB_S9_lSA_T11_S9_li: ; @_ZL29rocblas_internal_gemmt_kernelIiLi16ELi32ELi8ELc78ELc84ELc85ELb0ELb0E19rocblas_complex_numIfEPKS1_PKS3_PKPS1_EviT_T9_T10_S9_lSB_S9_lSA_T11_S9_li
; %bb.0:
	s_load_b128 s[12:15], s[0:1], 0x38
	s_wait_kmcnt 0x0
	s_load_b64 s[14:15], s[14:15], 0x0
	s_clause 0x1
	s_load_b128 s[4:7], s[0:1], 0x8
	s_load_b64 s[20:21], s[0:1], 0x0
	s_wait_kmcnt 0x0
	s_load_b64 s[22:23], s[4:5], 0x0
	s_cmp_eq_f32 s14, 1.0
	s_cselect_b32 s3, -1, 0
	s_and_b32 s2, s15, 0x7fffffff
	s_delay_alu instid0(SALU_CYCLE_1) | instskip(SKIP_1) | instid1(SALU_CYCLE_1)
	s_cmp_eq_u32 s2, 0
	s_cselect_b32 s2, -1, 0
	s_and_b32 s4, s3, s2
	s_mov_b32 s3, 0
	s_and_not1_b32 vcc_lo, exec_lo, s4
	s_mov_b32 s4, -1
	s_cbranch_vccnz .LBB361_4
; %bb.1:
	s_cmp_lg_u32 s21, 0
	s_cbranch_scc0 .LBB361_3
; %bb.2:
	s_wait_kmcnt 0x0
	s_cmp_neq_f32 s22, 0
	s_cselect_b32 s3, -1, 0
	s_cmp_neq_f32 s23, 0
	s_cselect_b32 s4, -1, 0
	s_delay_alu instid0(SALU_CYCLE_1)
	s_or_b32 s3, s3, s4
.LBB361_3:
	s_delay_alu instid0(SALU_CYCLE_1)
	s_mov_b32 s4, s3
.LBB361_4:
	s_delay_alu instid0(SALU_CYCLE_1)
	s_and_b32 vcc_lo, exec_lo, s4
	s_cbranch_vccz .LBB361_39
; %bb.5:
	s_load_b32 s19, s[0:1], 0x60
	s_lshr_b32 s24, ttmp7, 16
	s_wait_kmcnt 0x0
	s_cmp_ge_u32 s24, s19
	s_cbranch_scc1 .LBB361_39
; %bb.6:
	s_clause 0x2
	s_load_b32 s30, s[0:1], 0x18
	s_load_b32 s26, s[0:1], 0x30
	s_load_b128 s[8:11], s[0:1], 0x20
	v_and_b32_e32 v1, 0x3ff, v0
	v_bfe_u32 v2, v0, 10, 10
	v_and_b32_e32 v16, 7, v0
	s_clause 0x1
	s_load_b96 s[16:18], s[0:1], 0x48
	s_load_b64 s[28:29], s[0:1], 0x58
	s_lshl_b32 s0, ttmp7, 5
	s_lshl_b32 s1, ttmp9, 5
	v_lshl_add_u32 v0, v2, 4, v1
	s_and_b32 s3, s0, 0x1fffe0
	v_lshlrev_b32_e32 v3, 3, v16
	v_add_nc_u32_e32 v6, s1, v1
	v_lshlrev_b32_e32 v17, 3, v1
	v_and_b32_e32 v4, 31, v0
	v_lshrrev_b32_e32 v18, 5, v0
	v_lshrrev_b32_e32 v5, 3, v0
	v_add_nc_u32_e32 v8, 16, v6
	v_lshl_add_u32 v21, v2, 6, 0x800
	v_or_b32_e32 v0, s1, v4
	s_wait_kmcnt 0x0
	s_ashr_i32 s31, s30, 31
	s_ashr_i32 s27, s26, 31
	s_cmp_neq_f32 s22, 0
	v_lshlrev_b32_e32 v4, 3, v4
	v_lshl_or_b32 v3, v5, 6, v3
	v_add_nc_u32_e32 v14, s3, v5
	s_cselect_b32 s4, -1, 0
	s_cmp_neq_f32 s23, 0
	v_lshl_or_b32 v19, v18, 8, v4
	v_add_nc_u32_e32 v4, s3, v2
	v_add_nc_u32_e32 v20, 0x800, v3
	s_cselect_b32 s5, -1, 0
	v_cmp_gt_i32_e32 vcc_lo, s20, v0
	s_or_b32 s35, s4, s5
	s_cmp_gt_i32 s21, 0
	v_cmp_gt_i32_e64 s1, s20, v4
	s_cselect_b32 s36, -1, 0
	s_cmp_neq_f32 s14, 0
	v_add_nc_u32_e32 v1, 16, v4
	v_mad_co_i64_i32 v[2:3], null, v4, s18, 0
	s_cselect_b32 s37, -1, 0
	s_xor_b32 s38, s2, -1
	v_cmp_le_i32_e64 s2, v6, v4
	v_cmp_gt_i32_e64 s0, s20, v14
	v_cmp_gt_i32_e64 s3, s20, v1
	v_cmp_le_i32_e64 s4, v6, v1
	v_mad_co_i64_i32 v[12:13], null, s26, v16, 0
	s_and_b32 s33, s1, s2
	v_cmp_le_i32_e64 s2, v8, v4
	v_mad_co_i64_i32 v[4:5], null, v18, s30, 0
	v_mad_co_i64_i32 v[10:11], null, v1, s18, 0
	s_and_b32 s20, s1, s2
	v_cmp_le_i32_e64 s1, v8, v1
	v_ashrrev_i32_e32 v1, 31, v0
	s_and_b32 s18, s3, s4
	v_lshlrev_b64_e32 v[4:5], 3, v[4:5]
	s_lshl_b64 s[4:5], s[12:13], 3
	s_and_b32 s34, s3, s1
	s_lshl_b64 s[2:3], s[8:9], 3
	v_lshlrev_b64_e32 v[0:1], 3, v[0:1]
	v_ashrrev_i32_e32 v7, 31, v6
	s_wait_alu 0xfffe
	v_add_co_u32 v15, s1, v4, s2
	s_wait_alu 0xf1ff
	v_add_co_ci_u32_e64 v23, null, s3, v5, s1
	v_lshlrev_b64_e32 v[4:5], 3, v[12:13]
	s_delay_alu instid0(VALU_DEP_3) | instskip(SKIP_1) | instid1(VALU_DEP_3)
	v_add_co_u32 v22, s1, v15, v0
	s_wait_alu 0xf1ff
	v_add_co_ci_u32_e64 v23, null, v23, v1, s1
	v_lshlrev_b32_e32 v1, 3, v14
	s_delay_alu instid0(VALU_DEP_4) | instskip(SKIP_3) | instid1(VALU_DEP_3)
	v_add_co_u32 v4, s1, v4, s4
	v_ashrrev_i32_e32 v9, 31, v8
	s_wait_alu 0xf1ff
	v_add_co_ci_u32_e64 v5, null, s5, v5, s1
	v_add_co_u32 v24, s1, v4, v1
	v_lshlrev_b64_e32 v[2:3], 3, v[2:3]
	s_wait_alu 0xf1ff
	s_delay_alu instid0(VALU_DEP_3)
	v_add_co_ci_u32_e64 v25, null, 0, v5, s1
	v_lshlrev_b64_e32 v[4:5], 3, v[10:11]
	v_lshlrev_b64_e32 v[6:7], 3, v[6:7]
	;; [unrolled: 1-line block ×3, first 2 shown]
	v_mov_b32_e32 v0, 0
	s_mov_b32 s25, 0
	s_lshl_b64 s[2:3], s[30:31], 6
	s_lshl_b64 s[4:5], s[26:27], 6
	s_and_b32 s12, s35, s36
	s_or_b32 s13, s37, s38
	s_xor_b32 s26, vcc_lo, -1
	s_xor_b32 s27, s0, -1
	s_lshl_b64 s[0:1], s[28:29], 3
	s_branch .LBB361_8
.LBB361_7:                              ;   in Loop: Header=BB361_8 Depth=1
	s_wait_alu 0xfffe
	s_or_b32 exec_lo, exec_lo, s8
	s_add_co_i32 s24, s24, 0x10000
	s_delay_alu instid0(SALU_CYCLE_1)
	s_cmp_lt_u32 s24, s19
	s_cbranch_scc0 .LBB361_39
.LBB361_8:                              ; =>This Loop Header: Depth=1
                                        ;     Child Loop BB361_11 Depth 2
	s_lshl_b64 s[8:9], s[24:25], 3
	v_dual_mov_b32 v33, v0 :: v_dual_mov_b32 v32, v0
	s_wait_alu 0xfffe
	s_add_nc_u64 s[28:29], s[16:17], s[8:9]
	v_dual_mov_b32 v30, v0 :: v_dual_mov_b32 v31, v0
	global_load_b64 v[10:11], v0, s[28:29]
	v_dual_mov_b32 v28, v0 :: v_dual_mov_b32 v29, v0
	v_dual_mov_b32 v27, v0 :: v_dual_mov_b32 v26, v0
	s_and_not1_b32 vcc_lo, exec_lo, s12
	s_wait_alu 0xfffe
	s_cbranch_vccnz .LBB361_19
; %bb.9:                                ;   in Loop: Header=BB361_8 Depth=1
	s_add_nc_u64 s[28:29], s[6:7], s[8:9]
	s_add_nc_u64 s[8:9], s[10:11], s[8:9]
	s_clause 0x1
	global_load_b64 v[12:13], v0, s[28:29]
	global_load_b64 v[14:15], v0, s[8:9]
	v_dual_mov_b32 v26, 0 :: v_dual_mov_b32 v27, 0
	v_dual_mov_b32 v29, 0 :: v_dual_mov_b32 v28, 0
	;; [unrolled: 1-line block ×4, first 2 shown]
	s_mov_b32 s8, 0
	s_wait_loadcnt 0x1
	v_add_co_u32 v12, vcc_lo, v12, v22
	s_wait_alu 0xfffd
	v_add_co_ci_u32_e64 v13, null, v13, v23, vcc_lo
	s_wait_loadcnt 0x0
	v_add_co_u32 v14, vcc_lo, v14, v24
	s_wait_alu 0xfffd
	v_add_co_ci_u32_e64 v15, null, v15, v25, vcc_lo
	s_branch .LBB361_11
.LBB361_10:                             ;   in Loop: Header=BB361_11 Depth=2
	s_wait_alu 0xfffe
	s_or_b32 exec_lo, exec_lo, s9
	s_wait_dscnt 0x0
	s_barrier_signal -1
	s_barrier_wait -1
	global_inv scope:SCOPE_SE
	ds_load_b128 v[34:37], v21
	ds_load_2addr_b64 v[38:41], v17 offset1:16
	ds_load_b128 v[42:45], v21 offset:1024
	ds_load_b128 v[46:49], v21 offset:16
	;; [unrolled: 1-line block ×4, first 2 shown]
	ds_load_2addr_b64 v[58:61], v17 offset0:32 offset1:48
	ds_load_b128 v[62:65], v21 offset:1040
	v_add_co_u32 v12, vcc_lo, v12, s2
	s_wait_alu 0xfffd
	v_add_co_ci_u32_e64 v13, null, s3, v13, vcc_lo
	v_add_co_u32 v14, vcc_lo, v14, s4
	s_wait_alu 0xfffd
	v_add_co_ci_u32_e64 v15, null, s5, v15, vcc_lo
	s_add_co_i32 s8, s8, 8
	s_wait_alu 0xfffe
	s_cmp_lt_i32 s8, s21
	s_wait_dscnt 0x6
	v_dual_mul_f32 v1, v35, v39 :: v_dual_mul_f32 v68, v34, v41
	v_dual_mul_f32 v66, v34, v39 :: v_dual_mul_f32 v67, v35, v41
	s_wait_dscnt 0x5
	v_mul_f32_e32 v70, v43, v41
	s_delay_alu instid0(VALU_DEP_3) | instskip(SKIP_3) | instid1(VALU_DEP_4)
	v_fma_f32 v1, v34, v38, -v1
	v_dual_mul_f32 v41, v42, v41 :: v_dual_fmac_f32 v68, v35, v40
	v_fmac_f32_e32 v66, v35, v38
	v_fma_f32 v34, v34, v40, -v67
	v_add_f32_e32 v1, v33, v1
	v_mul_f32_e32 v69, v43, v39
	s_delay_alu instid0(VALU_DEP_4) | instskip(NEXT) | instid1(VALU_DEP_4)
	v_dual_mul_f32 v39, v42, v39 :: v_dual_add_f32 v32, v32, v66
	v_add_f32_e32 v33, v30, v34
	v_fmac_f32_e32 v41, v43, v40
	s_delay_alu instid0(VALU_DEP_4) | instskip(NEXT) | instid1(VALU_DEP_4)
	v_fma_f32 v35, v42, v38, -v69
	v_fmac_f32_e32 v39, v43, v38
	v_fma_f32 v38, v42, v40, -v70
	s_wait_dscnt 0x1
	v_dual_mul_f32 v40, v36, v59 :: v_dual_add_f32 v31, v31, v68
	v_mul_f32_e32 v42, v37, v61
	v_add_f32_e32 v34, v28, v35
	v_dual_add_f32 v35, v29, v39 :: v_dual_add_f32 v38, v27, v38
	ds_load_2addr_b64 v[27:30], v17 offset0:64 offset1:80
	v_fmac_f32_e32 v40, v37, v58
	v_dual_mul_f32 v39, v37, v59 :: v_dual_add_f32 v26, v26, v41
	v_mul_f32_e32 v41, v36, v61
	s_delay_alu instid0(VALU_DEP_3) | instskip(NEXT) | instid1(VALU_DEP_3)
	v_add_f32_e32 v40, v32, v40
	v_fma_f32 v39, v36, v58, -v39
	v_fma_f32 v36, v36, v60, -v42
	v_mul_f32_e32 v32, v44, v59
	s_delay_alu instid0(VALU_DEP_3) | instskip(SKIP_1) | instid1(VALU_DEP_4)
	v_add_f32_e32 v1, v1, v39
	v_mul_f32_e32 v39, v45, v59
	v_add_f32_e32 v36, v33, v36
	v_fmac_f32_e32 v41, v37, v60
	v_mul_f32_e32 v37, v45, v61
	v_fmac_f32_e32 v32, v45, v58
	v_fma_f32 v33, v44, v58, -v39
	s_delay_alu instid0(VALU_DEP_4) | instskip(SKIP_4) | instid1(VALU_DEP_3)
	v_add_f32_e32 v39, v31, v41
	v_mul_f32_e32 v41, v44, v61
	v_fma_f32 v31, v44, v60, -v37
	s_wait_dscnt 0x0
	v_dual_add_f32 v42, v34, v33 :: v_dual_mul_f32 v33, v47, v28
	v_dual_mul_f32 v44, v47, v30 :: v_dual_fmac_f32 v41, v45, v60
	v_mul_f32_e32 v37, v46, v28
	v_add_f32_e32 v38, v38, v31
	s_delay_alu instid0(VALU_DEP_3) | instskip(SKIP_3) | instid1(VALU_DEP_2)
	v_add_f32_e32 v41, v26, v41
	v_mul_f32_e32 v26, v46, v30
	v_fma_f32 v43, v46, v27, -v33
	v_fmac_f32_e32 v37, v47, v27
	v_dual_fmac_f32 v26, v47, v29 :: v_dual_add_f32 v1, v1, v43
	v_fma_f32 v43, v46, v29, -v44
	v_add_f32_e32 v35, v35, v32
	ds_load_2addr_b64 v[31:34], v17 offset0:96 offset1:112
	v_dual_add_f32 v37, v40, v37 :: v_dual_mul_f32 v40, v63, v28
	v_mul_f32_e32 v28, v62, v28
	v_dual_add_f32 v36, v36, v43 :: v_dual_mul_f32 v43, v63, v30
	v_mul_f32_e32 v30, v62, v30
	s_delay_alu instid0(VALU_DEP_4) | instskip(NEXT) | instid1(VALU_DEP_4)
	v_fma_f32 v40, v62, v27, -v40
	v_fmac_f32_e32 v28, v63, v27
	v_add_f32_e32 v39, v39, v26
	v_fma_f32 v26, v62, v29, -v43
	v_fmac_f32_e32 v30, v63, v29
	v_add_f32_e32 v40, v42, v40
	s_delay_alu instid0(VALU_DEP_3)
	v_dual_add_f32 v42, v35, v28 :: v_dual_add_f32 v43, v38, v26
	ds_load_2addr_b64 v[26:29], v17 offset0:128 offset1:144
	s_wait_dscnt 0x1
	v_mul_f32_e32 v35, v49, v32
	v_mul_f32_e32 v38, v48, v32
	;; [unrolled: 1-line block ×4, first 2 shown]
	s_delay_alu instid0(VALU_DEP_4) | instskip(NEXT) | instid1(VALU_DEP_4)
	v_fma_f32 v35, v48, v31, -v35
	v_fmac_f32_e32 v38, v49, v31
	s_delay_alu instid0(VALU_DEP_2) | instskip(SKIP_1) | instid1(VALU_DEP_3)
	v_add_f32_e32 v1, v1, v35
	v_mul_f32_e32 v35, v65, v32
	v_dual_mul_f32 v32, v64, v32 :: v_dual_add_f32 v45, v37, v38
	s_delay_alu instid0(VALU_DEP_2) | instskip(NEXT) | instid1(VALU_DEP_2)
	v_fma_f32 v46, v64, v31, -v35
	v_fmac_f32_e32 v32, v65, v31
	s_wait_dscnt 0x0
	v_mul_f32_e32 v31, v51, v27
	v_fma_f32 v44, v48, v33, -v44
	v_add_f32_e32 v41, v41, v30
	v_mul_f32_e32 v30, v48, v34
	v_mul_f32_e32 v58, v50, v29
	s_delay_alu instid0(VALU_DEP_4) | instskip(SKIP_2) | instid1(VALU_DEP_1)
	v_add_f32_e32 v44, v36, v44
	ds_load_b128 v[35:38], v21 offset:1056
	v_dual_fmac_f32 v30, v49, v33 :: v_dual_mul_f32 v49, v50, v27
	v_add_f32_e32 v48, v39, v30
	v_fma_f32 v30, v64, v33, -v47
	v_fma_f32 v39, v50, v26, -v31
	v_mul_f32_e32 v34, v64, v34
	v_fmac_f32_e32 v49, v51, v26
	v_add_f32_e32 v46, v40, v46
	v_add_f32_e32 v43, v43, v30
	;; [unrolled: 1-line block ×4, first 2 shown]
	v_fmac_f32_e32 v34, v65, v33
	ds_load_2addr_b64 v[30:33], v17 offset0:160 offset1:176
	v_mul_f32_e32 v40, v51, v29
	v_add_f32_e32 v45, v45, v49
	v_add_f32_e32 v34, v41, v34
	s_delay_alu instid0(VALU_DEP_3)
	v_fma_f32 v50, v50, v28, -v40
	ds_load_b128 v[39:42], v21 offset:1072
	s_wait_dscnt 0x2
	v_mul_f32_e32 v59, v36, v27
	v_dual_mul_f32 v27, v35, v27 :: v_dual_add_f32 v44, v44, v50
	v_fmac_f32_e32 v58, v51, v28
	v_mul_f32_e32 v50, v36, v29
	s_delay_alu instid0(VALU_DEP_4) | instskip(NEXT) | instid1(VALU_DEP_4)
	v_fma_f32 v49, v35, v26, -v59
	v_fmac_f32_e32 v27, v36, v26
	s_delay_alu instid0(VALU_DEP_4) | instskip(SKIP_1) | instid1(VALU_DEP_3)
	v_dual_mul_f32 v51, v35, v29 :: v_dual_add_f32 v48, v48, v58
	s_wait_dscnt 0x1
	v_dual_add_f32 v46, v46, v49 :: v_dual_mul_f32 v29, v53, v31
	v_fma_f32 v26, v35, v28, -v50
	v_add_f32_e32 v35, v47, v27
	v_fmac_f32_e32 v51, v36, v28
	v_mul_f32_e32 v36, v52, v31
	v_fma_f32 v47, v52, v30, -v29
	v_add_f32_e32 v43, v43, v26
	ds_load_2addr_b64 v[26:29], v17 offset0:192 offset1:208
	v_fmac_f32_e32 v36, v53, v30
	v_dual_mul_f32 v49, v53, v33 :: v_dual_add_f32 v50, v34, v51
	v_dual_add_f32 v1, v1, v47 :: v_dual_mul_f32 v34, v52, v33
	s_delay_alu instid0(VALU_DEP_3) | instskip(NEXT) | instid1(VALU_DEP_3)
	v_dual_add_f32 v45, v45, v36 :: v_dual_mul_f32 v36, v38, v31
	v_fma_f32 v47, v52, v32, -v49
	s_delay_alu instid0(VALU_DEP_3) | instskip(NEXT) | instid1(VALU_DEP_3)
	v_fmac_f32_e32 v34, v53, v32
	v_fma_f32 v36, v37, v30, -v36
	s_delay_alu instid0(VALU_DEP_3) | instskip(SKIP_1) | instid1(VALU_DEP_3)
	v_dual_add_f32 v44, v44, v47 :: v_dual_mul_f32 v47, v38, v33
	v_mul_f32_e32 v31, v37, v31
	v_dual_mul_f32 v33, v37, v33 :: v_dual_add_f32 v46, v46, v36
	s_delay_alu instid0(VALU_DEP_2) | instskip(SKIP_2) | instid1(VALU_DEP_4)
	v_fmac_f32_e32 v31, v38, v30
	v_add_f32_e32 v30, v48, v34
	v_fma_f32 v34, v37, v32, -v47
	v_fmac_f32_e32 v33, v38, v32
	s_wait_dscnt 0x0
	v_mul_f32_e32 v38, v54, v27
	v_dual_add_f32 v31, v35, v31 :: v_dual_mul_f32 v48, v54, v29
	v_add_f32_e32 v32, v43, v34
	ds_load_2addr_b64 v[34:37], v17 offset0:224 offset1:240
	v_dual_add_f32 v33, v50, v33 :: v_dual_fmac_f32 v38, v55, v26
	v_mul_f32_e32 v47, v55, v27
	v_fmac_f32_e32 v48, v55, v28
	s_wait_loadcnt_dscnt 0x0
	s_barrier_signal -1
	v_add_f32_e32 v38, v45, v38
	v_fma_f32 v43, v54, v26, -v47
	v_mul_f32_e32 v47, v55, v29
	v_mul_f32_e32 v45, v40, v29
	;; [unrolled: 1-line block ×3, first 2 shown]
	s_barrier_wait -1
	v_add_f32_e32 v1, v1, v43
	v_fma_f32 v47, v54, v28, -v47
	v_mul_f32_e32 v43, v40, v27
	v_fmac_f32_e32 v29, v40, v28
	global_inv scope:SCOPE_SE
	v_dual_add_f32 v44, v44, v47 :: v_dual_add_f32 v47, v30, v48
	v_fma_f32 v30, v39, v28, -v45
	v_mul_f32_e32 v27, v39, v27
	s_delay_alu instid0(VALU_DEP_1) | instskip(NEXT) | instid1(VALU_DEP_3)
	v_fmac_f32_e32 v27, v40, v26
	v_add_f32_e32 v40, v32, v30
	v_mul_f32_e32 v30, v57, v37
	v_fma_f32 v43, v39, v26, -v43
	v_mul_f32_e32 v39, v57, v35
	s_delay_alu instid0(VALU_DEP_2) | instskip(NEXT) | instid1(VALU_DEP_2)
	v_add_f32_e32 v26, v46, v43
	v_fma_f32 v28, v56, v34, -v39
	v_add_f32_e32 v39, v33, v29
	v_mul_f32_e32 v29, v41, v35
	s_delay_alu instid0(VALU_DEP_3) | instskip(SKIP_2) | instid1(VALU_DEP_2)
	v_add_f32_e32 v33, v1, v28
	v_fma_f32 v1, v56, v36, -v30
	v_mul_f32_e32 v28, v42, v35
	v_dual_fmac_f32 v29, v42, v34 :: v_dual_add_f32 v30, v44, v1
	s_delay_alu instid0(VALU_DEP_2) | instskip(SKIP_2) | instid1(VALU_DEP_2)
	v_fma_f32 v1, v41, v34, -v28
	v_mul_f32_e32 v43, v56, v35
	v_mul_f32_e32 v35, v42, v37
	v_dual_add_f32 v28, v26, v1 :: v_dual_fmac_f32 v43, v57, v34
	s_delay_alu instid0(VALU_DEP_2) | instskip(NEXT) | instid1(VALU_DEP_2)
	v_fma_f32 v34, v41, v36, -v35
	v_add_f32_e32 v32, v38, v43
	v_add_f32_e32 v27, v31, v27
	v_mul_f32_e32 v31, v56, v37
	v_mul_f32_e32 v37, v41, v37
	s_delay_alu instid0(VALU_DEP_3) | instskip(NEXT) | instid1(VALU_DEP_3)
	v_add_f32_e32 v29, v27, v29
	v_fmac_f32_e32 v31, v57, v36
	s_delay_alu instid0(VALU_DEP_3) | instskip(SKIP_1) | instid1(VALU_DEP_3)
	v_fmac_f32_e32 v37, v42, v36
	v_add_f32_e32 v27, v40, v34
	v_add_f32_e32 v31, v47, v31
	s_delay_alu instid0(VALU_DEP_3)
	v_add_f32_e32 v26, v39, v37
	s_cbranch_scc0 .LBB361_19
.LBB361_11:                             ;   Parent Loop BB361_8 Depth=1
                                        ; =>  This Inner Loop Header: Depth=2
	s_wait_alu 0xfffe
	v_add_nc_u32_e32 v1, s8, v18
	s_delay_alu instid0(VALU_DEP_1) | instskip(SKIP_3) | instid1(SALU_CYCLE_1)
	v_cmp_le_i32_e32 vcc_lo, s21, v1
	s_or_b32 s9, s26, vcc_lo
	s_wait_alu 0xfffe
	s_and_saveexec_b32 s28, s9
	s_xor_b32 s9, exec_lo, s28
; %bb.12:                               ;   in Loop: Header=BB361_11 Depth=2
	v_mov_b32_e32 v1, v0
	ds_store_b64 v19, v[0:1]
; %bb.13:                               ;   in Loop: Header=BB361_11 Depth=2
	s_wait_alu 0xfffe
	s_and_not1_saveexec_b32 s9, s9
	s_cbranch_execz .LBB361_15
; %bb.14:                               ;   in Loop: Header=BB361_11 Depth=2
	flat_load_b64 v[34:35], v[12:13]
	s_wait_loadcnt_dscnt 0x0
	ds_store_b64 v19, v[34:35]
.LBB361_15:                             ;   in Loop: Header=BB361_11 Depth=2
	s_wait_alu 0xfffe
	s_or_b32 exec_lo, exec_lo, s9
	v_add_nc_u32_e32 v1, s8, v16
	s_delay_alu instid0(VALU_DEP_1) | instskip(SKIP_3) | instid1(SALU_CYCLE_1)
	v_cmp_le_i32_e32 vcc_lo, s21, v1
	s_or_b32 s9, vcc_lo, s27
	s_wait_alu 0xfffe
	s_and_saveexec_b32 s28, s9
	s_xor_b32 s9, exec_lo, s28
; %bb.16:                               ;   in Loop: Header=BB361_11 Depth=2
	v_mov_b32_e32 v1, v0
	ds_store_b64 v20, v[0:1]
; %bb.17:                               ;   in Loop: Header=BB361_11 Depth=2
	s_wait_alu 0xfffe
	s_and_not1_saveexec_b32 s9, s9
	s_cbranch_execz .LBB361_10
; %bb.18:                               ;   in Loop: Header=BB361_11 Depth=2
	flat_load_b64 v[34:35], v[14:15]
	s_wait_loadcnt_dscnt 0x0
	ds_store_b64 v20, v[34:35]
	s_branch .LBB361_10
.LBB361_19:                             ;   in Loop: Header=BB361_8 Depth=1
	s_wait_loadcnt 0x0
	s_wait_alu 0xfffe
	v_add_co_u32 v1, vcc_lo, v10, s0
	s_wait_alu 0xfffd
	v_add_co_ci_u32_e64 v12, null, s1, v11, vcc_lo
	s_delay_alu instid0(VALU_DEP_2) | instskip(SKIP_1) | instid1(VALU_DEP_2)
	v_add_co_u32 v13, vcc_lo, v1, v2
	s_wait_alu 0xfffd
	v_add_co_ci_u32_e64 v14, null, v12, v3, vcc_lo
	s_and_saveexec_b32 s8, s33
	s_cbranch_execz .LBB361_24
; %bb.20:                               ;   in Loop: Header=BB361_8 Depth=1
	v_mul_f32_e32 v11, s22, v32
	v_mul_f32_e32 v10, s23, v32
	s_and_b32 vcc_lo, exec_lo, s13
	s_mov_b32 s9, -1
	s_delay_alu instid0(VALU_DEP_2) | instskip(NEXT) | instid1(VALU_DEP_2)
	v_fmac_f32_e32 v11, s23, v33
	v_fma_f32 v10, v33, s22, -v10
	s_wait_alu 0xfffe
	s_cbranch_vccz .LBB361_22
; %bb.21:                               ;   in Loop: Header=BB361_8 Depth=1
	v_add_co_u32 v32, vcc_lo, v13, v6
	s_wait_alu 0xfffd
	v_add_co_ci_u32_e64 v33, null, v14, v7, vcc_lo
	s_mov_b32 s9, 0
	flat_load_b64 v[34:35], v[32:33]
	s_wait_loadcnt_dscnt 0x0
	v_mul_f32_e32 v15, s15, v35
	v_mul_f32_e32 v35, s14, v35
	s_delay_alu instid0(VALU_DEP_2) | instskip(NEXT) | instid1(VALU_DEP_1)
	v_fma_f32 v15, v34, s14, -v15
	v_dual_fmac_f32 v35, s15, v34 :: v_dual_add_f32 v34, v10, v15
	s_delay_alu instid0(VALU_DEP_1)
	v_add_f32_e32 v35, v11, v35
	flat_store_b64 v[32:33], v[34:35]
.LBB361_22:                             ;   in Loop: Header=BB361_8 Depth=1
	s_wait_alu 0xfffe
	s_and_not1_b32 vcc_lo, exec_lo, s9
	s_wait_alu 0xfffe
	s_cbranch_vccnz .LBB361_24
; %bb.23:                               ;   in Loop: Header=BB361_8 Depth=1
	v_add_co_u32 v32, vcc_lo, v13, v6
	s_wait_alu 0xfffd
	v_add_co_ci_u32_e64 v33, null, v14, v7, vcc_lo
	flat_store_b64 v[32:33], v[10:11]
.LBB361_24:                             ;   in Loop: Header=BB361_8 Depth=1
	s_wait_alu 0xfffe
	s_or_b32 exec_lo, exec_lo, s8
	s_and_saveexec_b32 s8, s20
	s_cbranch_execz .LBB361_29
; %bb.25:                               ;   in Loop: Header=BB361_8 Depth=1
	v_mul_f32_e32 v11, s22, v31
	v_mul_f32_e32 v10, s23, v31
	s_and_not1_b32 vcc_lo, exec_lo, s13
	s_mov_b32 s9, -1
	s_delay_alu instid0(VALU_DEP_2) | instskip(NEXT) | instid1(VALU_DEP_2)
	v_fmac_f32_e32 v11, s23, v30
	v_fma_f32 v10, v30, s22, -v10
	s_wait_alu 0xfffe
	s_cbranch_vccnz .LBB361_27
; %bb.26:                               ;   in Loop: Header=BB361_8 Depth=1
	v_add_co_u32 v30, vcc_lo, v13, v8
	s_wait_alu 0xfffd
	v_add_co_ci_u32_e64 v31, null, v14, v9, vcc_lo
	s_mov_b32 s9, 0
	flat_load_b64 v[32:33], v[30:31]
	s_wait_loadcnt_dscnt 0x0
	v_mul_f32_e32 v15, s15, v33
	s_delay_alu instid0(VALU_DEP_1) | instskip(SKIP_1) | instid1(VALU_DEP_1)
	v_fma_f32 v15, v32, s14, -v15
	v_mul_f32_e32 v33, s14, v33
	v_dual_fmac_f32 v33, s15, v32 :: v_dual_add_f32 v32, v10, v15
	s_delay_alu instid0(VALU_DEP_1)
	v_add_f32_e32 v33, v11, v33
	flat_store_b64 v[30:31], v[32:33]
.LBB361_27:                             ;   in Loop: Header=BB361_8 Depth=1
	s_wait_alu 0xfffe
	s_and_not1_b32 vcc_lo, exec_lo, s9
	s_wait_alu 0xfffe
	s_cbranch_vccnz .LBB361_29
; %bb.28:                               ;   in Loop: Header=BB361_8 Depth=1
	v_add_co_u32 v13, vcc_lo, v13, v8
	s_wait_alu 0xfffd
	v_add_co_ci_u32_e64 v14, null, v14, v9, vcc_lo
	flat_store_b64 v[13:14], v[10:11]
.LBB361_29:                             ;   in Loop: Header=BB361_8 Depth=1
	s_wait_alu 0xfffe
	s_or_b32 exec_lo, exec_lo, s8
	v_add_co_u32 v1, vcc_lo, v1, v4
	s_wait_alu 0xfffd
	v_add_co_ci_u32_e64 v12, null, v12, v5, vcc_lo
	s_and_saveexec_b32 s8, s18
	s_cbranch_execz .LBB361_34
; %bb.30:                               ;   in Loop: Header=BB361_8 Depth=1
	v_mul_f32_e32 v11, s22, v29
	v_mul_f32_e32 v10, s23, v29
	s_and_not1_b32 vcc_lo, exec_lo, s13
	s_mov_b32 s9, -1
	s_delay_alu instid0(VALU_DEP_2) | instskip(NEXT) | instid1(VALU_DEP_2)
	v_fmac_f32_e32 v11, s23, v28
	v_fma_f32 v10, v28, s22, -v10
	s_wait_alu 0xfffe
	s_cbranch_vccnz .LBB361_32
; %bb.31:                               ;   in Loop: Header=BB361_8 Depth=1
	v_add_co_u32 v13, vcc_lo, v1, v6
	s_wait_alu 0xfffd
	v_add_co_ci_u32_e64 v14, null, v12, v7, vcc_lo
	s_mov_b32 s9, 0
	flat_load_b64 v[28:29], v[13:14]
	s_wait_loadcnt_dscnt 0x0
	v_mul_f32_e32 v15, s15, v29
	s_delay_alu instid0(VALU_DEP_1) | instskip(SKIP_1) | instid1(VALU_DEP_1)
	v_fma_f32 v15, v28, s14, -v15
	v_mul_f32_e32 v29, s14, v29
	v_dual_fmac_f32 v29, s15, v28 :: v_dual_add_f32 v28, v10, v15
	s_delay_alu instid0(VALU_DEP_1)
	v_add_f32_e32 v29, v11, v29
	flat_store_b64 v[13:14], v[28:29]
.LBB361_32:                             ;   in Loop: Header=BB361_8 Depth=1
	s_wait_alu 0xfffe
	s_and_not1_b32 vcc_lo, exec_lo, s9
	s_wait_alu 0xfffe
	s_cbranch_vccnz .LBB361_34
; %bb.33:                               ;   in Loop: Header=BB361_8 Depth=1
	v_add_co_u32 v13, vcc_lo, v1, v6
	s_wait_alu 0xfffd
	v_add_co_ci_u32_e64 v14, null, v12, v7, vcc_lo
	flat_store_b64 v[13:14], v[10:11]
.LBB361_34:                             ;   in Loop: Header=BB361_8 Depth=1
	s_wait_alu 0xfffe
	s_or_b32 exec_lo, exec_lo, s8
	s_and_saveexec_b32 s8, s34
	s_cbranch_execz .LBB361_7
; %bb.35:                               ;   in Loop: Header=BB361_8 Depth=1
	v_mul_f32_e32 v11, s22, v26
	v_mul_f32_e32 v10, s23, v26
	s_and_not1_b32 vcc_lo, exec_lo, s13
	s_mov_b32 s9, -1
	s_delay_alu instid0(VALU_DEP_2) | instskip(NEXT) | instid1(VALU_DEP_2)
	v_fmac_f32_e32 v11, s23, v27
	v_fma_f32 v10, v27, s22, -v10
	s_wait_alu 0xfffe
	s_cbranch_vccnz .LBB361_37
; %bb.36:                               ;   in Loop: Header=BB361_8 Depth=1
	v_add_co_u32 v13, vcc_lo, v1, v8
	s_wait_alu 0xfffd
	v_add_co_ci_u32_e64 v14, null, v12, v9, vcc_lo
	s_mov_b32 s9, 0
	flat_load_b64 v[26:27], v[13:14]
	s_wait_loadcnt_dscnt 0x0
	v_mul_f32_e32 v15, s15, v27
	v_mul_f32_e32 v27, s14, v27
	s_delay_alu instid0(VALU_DEP_2) | instskip(NEXT) | instid1(VALU_DEP_1)
	v_fma_f32 v15, v26, s14, -v15
	v_dual_fmac_f32 v27, s15, v26 :: v_dual_add_f32 v26, v10, v15
	s_delay_alu instid0(VALU_DEP_1)
	v_add_f32_e32 v27, v11, v27
	flat_store_b64 v[13:14], v[26:27]
.LBB361_37:                             ;   in Loop: Header=BB361_8 Depth=1
	s_wait_alu 0xfffe
	s_and_not1_b32 vcc_lo, exec_lo, s9
	s_wait_alu 0xfffe
	s_cbranch_vccnz .LBB361_7
; %bb.38:                               ;   in Loop: Header=BB361_8 Depth=1
	v_add_co_u32 v13, vcc_lo, v1, v8
	s_wait_alu 0xfffd
	v_add_co_ci_u32_e64 v14, null, v12, v9, vcc_lo
	flat_store_b64 v[13:14], v[10:11]
	s_branch .LBB361_7
.LBB361_39:
	s_endpgm
	.section	.rodata,"a",@progbits
	.p2align	6, 0x0
	.amdhsa_kernel _ZL29rocblas_internal_gemmt_kernelIiLi16ELi32ELi8ELc78ELc84ELc85ELb0ELb0E19rocblas_complex_numIfEPKS1_PKS3_PKPS1_EviT_T9_T10_S9_lSB_S9_lSA_T11_S9_li
		.amdhsa_group_segment_fixed_size 4096
		.amdhsa_private_segment_fixed_size 0
		.amdhsa_kernarg_size 100
		.amdhsa_user_sgpr_count 2
		.amdhsa_user_sgpr_dispatch_ptr 0
		.amdhsa_user_sgpr_queue_ptr 0
		.amdhsa_user_sgpr_kernarg_segment_ptr 1
		.amdhsa_user_sgpr_dispatch_id 0
		.amdhsa_user_sgpr_private_segment_size 0
		.amdhsa_wavefront_size32 1
		.amdhsa_uses_dynamic_stack 0
		.amdhsa_enable_private_segment 0
		.amdhsa_system_sgpr_workgroup_id_x 1
		.amdhsa_system_sgpr_workgroup_id_y 1
		.amdhsa_system_sgpr_workgroup_id_z 1
		.amdhsa_system_sgpr_workgroup_info 0
		.amdhsa_system_vgpr_workitem_id 1
		.amdhsa_next_free_vgpr 71
		.amdhsa_next_free_sgpr 39
		.amdhsa_reserve_vcc 1
		.amdhsa_float_round_mode_32 0
		.amdhsa_float_round_mode_16_64 0
		.amdhsa_float_denorm_mode_32 3
		.amdhsa_float_denorm_mode_16_64 3
		.amdhsa_fp16_overflow 0
		.amdhsa_workgroup_processor_mode 1
		.amdhsa_memory_ordered 1
		.amdhsa_forward_progress 1
		.amdhsa_inst_pref_size 26
		.amdhsa_round_robin_scheduling 0
		.amdhsa_exception_fp_ieee_invalid_op 0
		.amdhsa_exception_fp_denorm_src 0
		.amdhsa_exception_fp_ieee_div_zero 0
		.amdhsa_exception_fp_ieee_overflow 0
		.amdhsa_exception_fp_ieee_underflow 0
		.amdhsa_exception_fp_ieee_inexact 0
		.amdhsa_exception_int_div_zero 0
	.end_amdhsa_kernel
	.section	.text._ZL29rocblas_internal_gemmt_kernelIiLi16ELi32ELi8ELc78ELc84ELc85ELb0ELb0E19rocblas_complex_numIfEPKS1_PKS3_PKPS1_EviT_T9_T10_S9_lSB_S9_lSA_T11_S9_li,"axG",@progbits,_ZL29rocblas_internal_gemmt_kernelIiLi16ELi32ELi8ELc78ELc84ELc85ELb0ELb0E19rocblas_complex_numIfEPKS1_PKS3_PKPS1_EviT_T9_T10_S9_lSB_S9_lSA_T11_S9_li,comdat
.Lfunc_end361:
	.size	_ZL29rocblas_internal_gemmt_kernelIiLi16ELi32ELi8ELc78ELc84ELc85ELb0ELb0E19rocblas_complex_numIfEPKS1_PKS3_PKPS1_EviT_T9_T10_S9_lSB_S9_lSA_T11_S9_li, .Lfunc_end361-_ZL29rocblas_internal_gemmt_kernelIiLi16ELi32ELi8ELc78ELc84ELc85ELb0ELb0E19rocblas_complex_numIfEPKS1_PKS3_PKPS1_EviT_T9_T10_S9_lSB_S9_lSA_T11_S9_li
                                        ; -- End function
	.set _ZL29rocblas_internal_gemmt_kernelIiLi16ELi32ELi8ELc78ELc84ELc85ELb0ELb0E19rocblas_complex_numIfEPKS1_PKS3_PKPS1_EviT_T9_T10_S9_lSB_S9_lSA_T11_S9_li.num_vgpr, 71
	.set _ZL29rocblas_internal_gemmt_kernelIiLi16ELi32ELi8ELc78ELc84ELc85ELb0ELb0E19rocblas_complex_numIfEPKS1_PKS3_PKPS1_EviT_T9_T10_S9_lSB_S9_lSA_T11_S9_li.num_agpr, 0
	.set _ZL29rocblas_internal_gemmt_kernelIiLi16ELi32ELi8ELc78ELc84ELc85ELb0ELb0E19rocblas_complex_numIfEPKS1_PKS3_PKPS1_EviT_T9_T10_S9_lSB_S9_lSA_T11_S9_li.numbered_sgpr, 39
	.set _ZL29rocblas_internal_gemmt_kernelIiLi16ELi32ELi8ELc78ELc84ELc85ELb0ELb0E19rocblas_complex_numIfEPKS1_PKS3_PKPS1_EviT_T9_T10_S9_lSB_S9_lSA_T11_S9_li.num_named_barrier, 0
	.set _ZL29rocblas_internal_gemmt_kernelIiLi16ELi32ELi8ELc78ELc84ELc85ELb0ELb0E19rocblas_complex_numIfEPKS1_PKS3_PKPS1_EviT_T9_T10_S9_lSB_S9_lSA_T11_S9_li.private_seg_size, 0
	.set _ZL29rocblas_internal_gemmt_kernelIiLi16ELi32ELi8ELc78ELc84ELc85ELb0ELb0E19rocblas_complex_numIfEPKS1_PKS3_PKPS1_EviT_T9_T10_S9_lSB_S9_lSA_T11_S9_li.uses_vcc, 1
	.set _ZL29rocblas_internal_gemmt_kernelIiLi16ELi32ELi8ELc78ELc84ELc85ELb0ELb0E19rocblas_complex_numIfEPKS1_PKS3_PKPS1_EviT_T9_T10_S9_lSB_S9_lSA_T11_S9_li.uses_flat_scratch, 0
	.set _ZL29rocblas_internal_gemmt_kernelIiLi16ELi32ELi8ELc78ELc84ELc85ELb0ELb0E19rocblas_complex_numIfEPKS1_PKS3_PKPS1_EviT_T9_T10_S9_lSB_S9_lSA_T11_S9_li.has_dyn_sized_stack, 0
	.set _ZL29rocblas_internal_gemmt_kernelIiLi16ELi32ELi8ELc78ELc84ELc85ELb0ELb0E19rocblas_complex_numIfEPKS1_PKS3_PKPS1_EviT_T9_T10_S9_lSB_S9_lSA_T11_S9_li.has_recursion, 0
	.set _ZL29rocblas_internal_gemmt_kernelIiLi16ELi32ELi8ELc78ELc84ELc85ELb0ELb0E19rocblas_complex_numIfEPKS1_PKS3_PKPS1_EviT_T9_T10_S9_lSB_S9_lSA_T11_S9_li.has_indirect_call, 0
	.section	.AMDGPU.csdata,"",@progbits
; Kernel info:
; codeLenInByte = 3216
; TotalNumSgprs: 41
; NumVgprs: 71
; ScratchSize: 0
; MemoryBound: 1
; FloatMode: 240
; IeeeMode: 1
; LDSByteSize: 4096 bytes/workgroup (compile time only)
; SGPRBlocks: 0
; VGPRBlocks: 8
; NumSGPRsForWavesPerEU: 41
; NumVGPRsForWavesPerEU: 71
; Occupancy: 16
; WaveLimiterHint : 1
; COMPUTE_PGM_RSRC2:SCRATCH_EN: 0
; COMPUTE_PGM_RSRC2:USER_SGPR: 2
; COMPUTE_PGM_RSRC2:TRAP_HANDLER: 0
; COMPUTE_PGM_RSRC2:TGID_X_EN: 1
; COMPUTE_PGM_RSRC2:TGID_Y_EN: 1
; COMPUTE_PGM_RSRC2:TGID_Z_EN: 1
; COMPUTE_PGM_RSRC2:TIDIG_COMP_CNT: 1
	.section	.text._ZL29rocblas_internal_gemmt_kernelIiLi16ELi32ELi8ELc78ELc67ELc85ELb0ELb1E19rocblas_complex_numIfEPKS1_PKS3_PKPS1_EviT_T9_T10_S9_lSB_S9_lSA_T11_S9_li,"axG",@progbits,_ZL29rocblas_internal_gemmt_kernelIiLi16ELi32ELi8ELc78ELc67ELc85ELb0ELb1E19rocblas_complex_numIfEPKS1_PKS3_PKPS1_EviT_T9_T10_S9_lSB_S9_lSA_T11_S9_li,comdat
	.globl	_ZL29rocblas_internal_gemmt_kernelIiLi16ELi32ELi8ELc78ELc67ELc85ELb0ELb1E19rocblas_complex_numIfEPKS1_PKS3_PKPS1_EviT_T9_T10_S9_lSB_S9_lSA_T11_S9_li ; -- Begin function _ZL29rocblas_internal_gemmt_kernelIiLi16ELi32ELi8ELc78ELc67ELc85ELb0ELb1E19rocblas_complex_numIfEPKS1_PKS3_PKPS1_EviT_T9_T10_S9_lSB_S9_lSA_T11_S9_li
	.p2align	8
	.type	_ZL29rocblas_internal_gemmt_kernelIiLi16ELi32ELi8ELc78ELc67ELc85ELb0ELb1E19rocblas_complex_numIfEPKS1_PKS3_PKPS1_EviT_T9_T10_S9_lSB_S9_lSA_T11_S9_li,@function
_ZL29rocblas_internal_gemmt_kernelIiLi16ELi32ELi8ELc78ELc67ELc85ELb0ELb1E19rocblas_complex_numIfEPKS1_PKS3_PKPS1_EviT_T9_T10_S9_lSB_S9_lSA_T11_S9_li: ; @_ZL29rocblas_internal_gemmt_kernelIiLi16ELi32ELi8ELc78ELc67ELc85ELb0ELb1E19rocblas_complex_numIfEPKS1_PKS3_PKPS1_EviT_T9_T10_S9_lSB_S9_lSA_T11_S9_li
; %bb.0:
	s_load_b128 s[12:15], s[0:1], 0x38
	s_wait_kmcnt 0x0
	s_load_b64 s[14:15], s[14:15], 0x0
	s_clause 0x1
	s_load_b128 s[4:7], s[0:1], 0x8
	s_load_b64 s[20:21], s[0:1], 0x0
	s_wait_kmcnt 0x0
	s_load_b64 s[4:5], s[4:5], 0x0
	s_cmp_eq_f32 s14, 1.0
	s_cselect_b32 s3, -1, 0
	s_and_b32 s2, s15, 0x7fffffff
	s_delay_alu instid0(SALU_CYCLE_1) | instskip(SKIP_1) | instid1(SALU_CYCLE_1)
	s_cmp_eq_u32 s2, 0
	s_cselect_b32 s2, -1, 0
	s_and_b32 s8, s3, s2
	s_mov_b32 s3, 0
	s_and_not1_b32 vcc_lo, exec_lo, s8
	s_mov_b32 s8, -1
	s_cbranch_vccnz .LBB362_4
; %bb.1:
	s_cmp_lg_u32 s21, 0
	s_cbranch_scc0 .LBB362_3
; %bb.2:
	s_wait_kmcnt 0x0
	s_cmp_neq_f32 s4, 0
	s_cselect_b32 s3, -1, 0
	s_cmp_neq_f32 s5, 0
	s_cselect_b32 s8, -1, 0
	s_delay_alu instid0(SALU_CYCLE_1)
	s_or_b32 s3, s3, s8
.LBB362_3:
	s_delay_alu instid0(SALU_CYCLE_1)
	s_mov_b32 s8, s3
.LBB362_4:
	s_delay_alu instid0(SALU_CYCLE_1)
	s_and_b32 vcc_lo, exec_lo, s8
	s_cbranch_vccz .LBB362_39
; %bb.5:
	s_load_b32 s19, s[0:1], 0x60
	s_lshr_b32 s22, ttmp7, 16
	s_wait_kmcnt 0x0
	s_cmp_ge_u32 s22, s19
	s_cbranch_scc1 .LBB362_39
; %bb.6:
	s_clause 0x2
	s_load_b32 s26, s[0:1], 0x18
	s_load_b32 s24, s[0:1], 0x30
	s_load_b128 s[8:11], s[0:1], 0x20
	v_and_b32_e32 v1, 0x3ff, v0
	v_bfe_u32 v2, v0, 10, 10
	s_clause 0x1
	s_load_b96 s[16:18], s[0:1], 0x48
	s_load_b64 s[28:29], s[0:1], 0x58
	s_lshl_b32 s1, ttmp7, 5
	s_lshl_b32 s0, ttmp9, 5
	s_and_b32 s1, s1, 0x1fffe0
	v_and_b32_e32 v16, 7, v0
	v_lshl_add_u32 v0, v2, 4, v1
	v_add_nc_u32_e32 v6, s0, v1
	v_lshlrev_b32_e32 v20, 3, v1
	v_add_nc_u32_e32 v1, s1, v2
	v_lshlrev_b32_e32 v3, 3, v16
	v_and_b32_e32 v4, 31, v0
	v_lshrrev_b32_e32 v5, 3, v0
	v_lshrrev_b32_e32 v17, 5, v0
	v_add_nc_u32_e32 v8, 16, v6
	v_lshl_add_u32 v21, v2, 6, 0x800
	s_wait_kmcnt 0x0
	s_ashr_i32 s27, s26, 31
	s_ashr_i32 s25, s24, 31
	s_cmp_neq_f32 s4, 0
	v_or_b32_e32 v0, s0, v4
	v_lshlrev_b32_e32 v4, 3, v4
	v_lshl_or_b32 v3, v5, 6, v3
	s_cselect_b32 s3, -1, 0
	s_cmp_neq_f32 s5, 0
	v_add_nc_u32_e32 v14, s1, v5
	v_lshl_or_b32 v18, v17, 8, v4
	v_mad_co_i64_i32 v[4:5], null, v17, s26, 0
	s_cselect_b32 s30, -1, 0
	v_add_nc_u32_e32 v19, 0x800, v3
	s_or_b32 s33, s3, s30
	s_cmp_gt_i32 s21, 0
	v_cmp_gt_i32_e64 s1, s20, v1
	s_cselect_b32 s34, -1, 0
	s_cmp_neq_f32 s14, 0
	v_cmp_le_i32_e64 s3, v8, v1
	v_mad_co_i64_i32 v[2:3], null, v1, s18, 0
	s_cselect_b32 s35, -1, 0
	s_xor_b32 s36, s2, -1
	v_cmp_le_i32_e64 s2, v6, v1
	v_add_nc_u32_e32 v1, 16, v1
	v_mad_co_i64_i32 v[10:11], null, s24, v16, 0
	s_and_b32 s31, s1, s3
	s_and_b32 s30, s1, s2
	v_cmp_gt_i32_e64 s1, s20, v1
	v_cmp_le_i32_e64 s2, v6, v1
	v_cmp_le_i32_e64 s3, v8, v1
	v_lshlrev_b64_e32 v[4:5], 3, v[4:5]
	v_mad_co_i64_i32 v[12:13], null, v1, s18, 0
	v_ashrrev_i32_e32 v1, 31, v0
	v_cmp_gt_i32_e32 vcc_lo, s20, v0
	v_cmp_gt_i32_e64 s0, s20, v14
	s_and_b32 s18, s1, s2
	s_and_b32 s20, s1, s3
	s_lshl_b64 s[2:3], s[8:9], 3
	v_lshlrev_b64_e32 v[10:11], 3, v[10:11]
	v_add_co_u32 v4, s1, v4, s2
	v_lshlrev_b64_e32 v[0:1], 3, v[0:1]
	s_wait_alu 0xf1ff
	v_add_co_ci_u32_e64 v5, null, s3, v5, s1
	s_lshl_b64 s[2:3], s[12:13], 3
	v_lshlrev_b32_e32 v14, 3, v14
	s_wait_alu 0xfffe
	v_add_co_u32 v10, s1, v10, s2
	v_add_co_u32 v22, s2, v4, v0
	v_ashrrev_i32_e32 v7, 31, v6
	v_ashrrev_i32_e32 v9, 31, v8
	s_wait_alu 0xf1ff
	v_add_co_ci_u32_e64 v23, null, v5, v1, s2
	v_add_co_ci_u32_e64 v1, null, s3, v11, s1
	v_add_co_u32 v4, s1, v10, v14
	v_lshlrev_b64_e32 v[2:3], 3, v[2:3]
	v_lshlrev_b64_e32 v[6:7], 3, v[6:7]
	;; [unrolled: 1-line block ×3, first 2 shown]
	s_delay_alu instid0(VALU_DEP_4)
	v_or_b32_e32 v25, 4, v4
	v_lshlrev_b64_e32 v[4:5], 3, v[12:13]
	v_mov_b32_e32 v0, 0
	s_wait_alu 0xf1ff
	v_add_co_ci_u32_e64 v24, null, 0, v1, s1
	s_mov_b32 s23, 0
	s_lshl_b64 s[2:3], s[26:27], 6
	s_lshl_b64 s[8:9], s[24:25], 6
	s_and_b32 s24, s33, s34
	s_or_b32 s25, s35, s36
	s_xor_b32 s26, vcc_lo, -1
	s_xor_b32 s27, s0, -1
	s_lshl_b64 s[0:1], s[28:29], 3
	s_branch .LBB362_8
.LBB362_7:                              ;   in Loop: Header=BB362_8 Depth=1
	s_wait_alu 0xfffe
	s_or_b32 exec_lo, exec_lo, s12
	s_add_co_i32 s22, s22, 0x10000
	s_delay_alu instid0(SALU_CYCLE_1)
	s_cmp_lt_u32 s22, s19
	s_cbranch_scc0 .LBB362_39
.LBB362_8:                              ; =>This Loop Header: Depth=1
                                        ;     Child Loop BB362_11 Depth 2
	s_lshl_b64 s[12:13], s[22:23], 3
	v_dual_mov_b32 v33, v0 :: v_dual_mov_b32 v32, v0
	s_wait_alu 0xfffe
	s_add_nc_u64 s[28:29], s[16:17], s[12:13]
	v_dual_mov_b32 v30, v0 :: v_dual_mov_b32 v31, v0
	global_load_b64 v[10:11], v0, s[28:29]
	v_dual_mov_b32 v28, v0 :: v_dual_mov_b32 v29, v0
	v_dual_mov_b32 v27, v0 :: v_dual_mov_b32 v26, v0
	s_and_not1_b32 vcc_lo, exec_lo, s24
	s_wait_alu 0xfffe
	s_cbranch_vccnz .LBB362_19
; %bb.9:                                ;   in Loop: Header=BB362_8 Depth=1
	s_add_nc_u64 s[28:29], s[6:7], s[12:13]
	s_add_nc_u64 s[12:13], s[10:11], s[12:13]
	s_clause 0x1
	global_load_b64 v[12:13], v0, s[28:29]
	global_load_b64 v[14:15], v0, s[12:13]
	v_dual_mov_b32 v26, 0 :: v_dual_mov_b32 v27, 0
	v_dual_mov_b32 v29, 0 :: v_dual_mov_b32 v28, 0
	;; [unrolled: 1-line block ×4, first 2 shown]
	s_mov_b32 s12, 0
	s_wait_loadcnt 0x1
	v_add_co_u32 v12, vcc_lo, v12, v22
	s_wait_alu 0xfffd
	v_add_co_ci_u32_e64 v13, null, v13, v23, vcc_lo
	s_wait_loadcnt 0x0
	v_add_co_u32 v14, vcc_lo, v14, v25
	s_wait_alu 0xfffd
	v_add_co_ci_u32_e64 v15, null, v15, v24, vcc_lo
	s_branch .LBB362_11
.LBB362_10:                             ;   in Loop: Header=BB362_11 Depth=2
	s_or_b32 exec_lo, exec_lo, s13
	ds_store_b32 v19, v1 offset:4
	s_wait_dscnt 0x0
	s_barrier_signal -1
	s_barrier_wait -1
	global_inv scope:SCOPE_SE
	ds_load_b128 v[34:37], v21
	ds_load_2addr_b64 v[38:41], v20 offset1:16
	ds_load_b128 v[42:45], v21 offset:1024
	ds_load_b128 v[46:49], v21 offset:16
	;; [unrolled: 1-line block ×4, first 2 shown]
	ds_load_2addr_b64 v[58:61], v20 offset0:32 offset1:48
	ds_load_b128 v[62:65], v21 offset:1040
	v_add_co_u32 v12, vcc_lo, v12, s2
	s_wait_alu 0xfffd
	v_add_co_ci_u32_e64 v13, null, s3, v13, vcc_lo
	v_add_co_u32 v14, vcc_lo, v14, s8
	s_wait_alu 0xfffd
	v_add_co_ci_u32_e64 v15, null, s9, v15, vcc_lo
	s_add_co_i32 s12, s12, 8
	s_wait_alu 0xfffe
	s_cmp_lt_i32 s12, s21
	s_wait_dscnt 0x6
	v_dual_mul_f32 v1, v35, v39 :: v_dual_mul_f32 v68, v34, v41
	v_dual_mul_f32 v66, v34, v39 :: v_dual_mul_f32 v67, v35, v41
	s_wait_dscnt 0x5
	v_mul_f32_e32 v70, v43, v41
	s_delay_alu instid0(VALU_DEP_3) | instskip(SKIP_3) | instid1(VALU_DEP_4)
	v_fma_f32 v1, v34, v38, -v1
	v_dual_mul_f32 v41, v42, v41 :: v_dual_fmac_f32 v68, v35, v40
	v_fmac_f32_e32 v66, v35, v38
	v_fma_f32 v34, v34, v40, -v67
	v_add_f32_e32 v1, v33, v1
	v_mul_f32_e32 v69, v43, v39
	s_delay_alu instid0(VALU_DEP_4) | instskip(NEXT) | instid1(VALU_DEP_4)
	v_dual_mul_f32 v39, v42, v39 :: v_dual_add_f32 v32, v32, v66
	v_add_f32_e32 v33, v30, v34
	v_fma_f32 v30, v42, v40, -v70
	s_delay_alu instid0(VALU_DEP_4) | instskip(NEXT) | instid1(VALU_DEP_4)
	v_fma_f32 v35, v42, v38, -v69
	v_fmac_f32_e32 v39, v43, v38
	s_wait_dscnt 0x1
	v_dual_add_f32 v31, v31, v68 :: v_dual_mul_f32 v38, v37, v59
	v_dual_fmac_f32 v41, v43, v40 :: v_dual_mul_f32 v42, v37, v61
	v_add_f32_e32 v34, v28, v35
	v_add_f32_e32 v35, v29, v39
	v_dual_add_f32 v39, v27, v30 :: v_dual_mul_f32 v40, v36, v59
	ds_load_2addr_b64 v[27:30], v20 offset0:64 offset1:80
	v_fma_f32 v38, v36, v58, -v38
	v_add_f32_e32 v26, v26, v41
	v_dual_mul_f32 v41, v36, v61 :: v_dual_fmac_f32 v40, v37, v58
	v_fma_f32 v36, v36, v60, -v42
	s_delay_alu instid0(VALU_DEP_4) | instskip(SKIP_1) | instid1(VALU_DEP_4)
	v_add_f32_e32 v1, v1, v38
	v_mul_f32_e32 v38, v45, v59
	v_fmac_f32_e32 v41, v37, v60
	v_add_f32_e32 v40, v32, v40
	v_mul_f32_e32 v32, v44, v59
	v_add_f32_e32 v36, v33, v36
	v_fma_f32 v33, v44, v58, -v38
	v_mul_f32_e32 v37, v45, v61
	v_add_f32_e32 v38, v31, v41
	v_dual_mul_f32 v41, v44, v61 :: v_dual_fmac_f32 v32, v45, v58
	s_delay_alu instid0(VALU_DEP_4) | instskip(NEXT) | instid1(VALU_DEP_4)
	v_add_f32_e32 v42, v34, v33
	v_fma_f32 v31, v44, v60, -v37
	s_wait_dscnt 0x0
	v_mul_f32_e32 v33, v47, v28
	v_fmac_f32_e32 v41, v45, v60
	v_add_f32_e32 v35, v35, v32
	v_add_f32_e32 v39, v39, v31
	v_mul_f32_e32 v44, v47, v30
	v_fma_f32 v43, v46, v27, -v33
	ds_load_2addr_b64 v[31:34], v20 offset0:96 offset1:112
	v_add_f32_e32 v41, v26, v41
	v_mul_f32_e32 v26, v46, v30
	v_mul_f32_e32 v37, v46, v28
	v_add_f32_e32 v1, v1, v43
	v_fma_f32 v43, v46, v29, -v44
	s_delay_alu instid0(VALU_DEP_4) | instskip(NEXT) | instid1(VALU_DEP_4)
	v_fmac_f32_e32 v26, v47, v29
	v_fmac_f32_e32 v37, v47, v27
	s_delay_alu instid0(VALU_DEP_3) | instskip(NEXT) | instid1(VALU_DEP_2)
	v_dual_add_f32 v36, v36, v43 :: v_dual_mul_f32 v43, v63, v30
	v_dual_mul_f32 v30, v62, v30 :: v_dual_add_f32 v37, v40, v37
	v_mul_f32_e32 v40, v63, v28
	v_mul_f32_e32 v28, v62, v28
	v_add_f32_e32 v44, v38, v26
	v_fma_f32 v26, v62, v29, -v43
	s_delay_alu instid0(VALU_DEP_4) | instskip(SKIP_2) | instid1(VALU_DEP_3)
	v_fma_f32 v40, v62, v27, -v40
	s_wait_dscnt 0x0
	v_dual_fmac_f32 v28, v63, v27 :: v_dual_mul_f32 v43, v49, v34
	v_add_f32_e32 v39, v39, v26
	s_delay_alu instid0(VALU_DEP_3) | instskip(NEXT) | instid1(VALU_DEP_3)
	v_dual_mul_f32 v47, v65, v34 :: v_dual_add_f32 v40, v42, v40
	v_add_f32_e32 v42, v35, v28
	v_mul_f32_e32 v35, v49, v32
	v_fma_f32 v43, v48, v33, -v43
	s_delay_alu instid0(VALU_DEP_2)
	v_fma_f32 v35, v48, v31, -v35
	v_fmac_f32_e32 v30, v63, v29
	ds_load_2addr_b64 v[26:29], v20 offset0:128 offset1:144
	v_add_f32_e32 v43, v36, v43
	v_dual_add_f32 v1, v1, v35 :: v_dual_mul_f32 v38, v48, v32
	v_add_f32_e32 v41, v41, v30
	v_dual_mul_f32 v30, v48, v34 :: v_dual_mul_f32 v35, v65, v32
	v_mul_f32_e32 v32, v64, v32
	v_mul_f32_e32 v34, v64, v34
	s_delay_alu instid0(VALU_DEP_3) | instskip(NEXT) | instid1(VALU_DEP_4)
	v_fmac_f32_e32 v30, v49, v33
	v_fma_f32 v46, v64, v31, -v35
	s_delay_alu instid0(VALU_DEP_4) | instskip(SKIP_1) | instid1(VALU_DEP_4)
	v_fmac_f32_e32 v32, v65, v31
	v_fmac_f32_e32 v38, v49, v31
	v_add_f32_e32 v44, v44, v30
	v_fma_f32 v30, v64, v33, -v47
	s_wait_dscnt 0x0
	v_mul_f32_e32 v49, v50, v27
	v_dual_mul_f32 v31, v51, v27 :: v_dual_mul_f32 v58, v50, v29
	s_delay_alu instid0(VALU_DEP_2)
	v_fmac_f32_e32 v49, v51, v26
	v_add_f32_e32 v47, v42, v32
	v_add_f32_e32 v45, v37, v38
	ds_load_b128 v[35:38], v21 offset:1056
	v_fmac_f32_e32 v34, v65, v33
	v_add_f32_e32 v48, v39, v30
	v_fma_f32 v39, v50, v26, -v31
	v_add_f32_e32 v46, v40, v46
	ds_load_2addr_b64 v[30:33], v20 offset0:160 offset1:176
	v_mul_f32_e32 v40, v51, v29
	v_add_f32_e32 v34, v41, v34
	v_add_f32_e32 v1, v1, v39
	;; [unrolled: 1-line block ×3, first 2 shown]
	s_delay_alu instid0(VALU_DEP_4)
	v_fma_f32 v50, v50, v28, -v40
	ds_load_b128 v[39:42], v21 offset:1072
	v_add_f32_e32 v43, v43, v50
	s_wait_dscnt 0x2
	v_mul_f32_e32 v59, v36, v27
	v_mul_f32_e32 v27, v35, v27
	v_fmac_f32_e32 v58, v51, v28
	v_mul_f32_e32 v50, v36, v29
	v_mul_f32_e32 v51, v35, v29
	v_fma_f32 v49, v35, v26, -v59
	v_fmac_f32_e32 v27, v36, v26
	s_wait_dscnt 0x1
	v_dual_add_f32 v44, v44, v58 :: v_dual_mul_f32 v29, v53, v31
	v_fma_f32 v26, v35, v28, -v50
	v_fmac_f32_e32 v51, v36, v28
	v_mul_f32_e32 v36, v52, v31
	v_dual_add_f32 v46, v46, v49 :: v_dual_add_f32 v35, v47, v27
	v_mul_f32_e32 v49, v53, v33
	s_delay_alu instid0(VALU_DEP_3)
	v_fmac_f32_e32 v36, v53, v30
	v_dual_add_f32 v47, v48, v26 :: v_dual_add_f32 v50, v34, v51
	v_fma_f32 v48, v52, v30, -v29
	ds_load_2addr_b64 v[26:29], v20 offset0:192 offset1:208
	v_dual_mul_f32 v34, v52, v33 :: v_dual_add_f32 v45, v45, v36
	v_dual_mul_f32 v36, v38, v31 :: v_dual_add_f32 v1, v1, v48
	v_fma_f32 v48, v52, v32, -v49
	v_mul_f32_e32 v31, v37, v31
	s_delay_alu instid0(VALU_DEP_3) | instskip(NEXT) | instid1(VALU_DEP_3)
	v_fma_f32 v36, v37, v30, -v36
	v_dual_add_f32 v43, v43, v48 :: v_dual_mul_f32 v48, v38, v33
	s_delay_alu instid0(VALU_DEP_3) | instskip(NEXT) | instid1(VALU_DEP_1)
	v_dual_fmac_f32 v34, v53, v32 :: v_dual_fmac_f32 v31, v38, v30
	v_dual_mul_f32 v33, v37, v33 :: v_dual_add_f32 v30, v44, v34
	s_delay_alu instid0(VALU_DEP_3) | instskip(NEXT) | instid1(VALU_DEP_3)
	v_fma_f32 v34, v37, v32, -v48
	v_dual_add_f32 v44, v46, v36 :: v_dual_add_f32 v31, v35, v31
	s_wait_dscnt 0x0
	v_mul_f32_e32 v48, v54, v29
	v_dual_mul_f32 v46, v55, v27 :: v_dual_fmac_f32 v33, v38, v32
	v_add_f32_e32 v32, v47, v34
	ds_load_2addr_b64 v[34:37], v20 offset0:224 offset1:240
	v_dual_mul_f32 v38, v54, v27 :: v_dual_mul_f32 v47, v55, v29
	v_fma_f32 v46, v54, v26, -v46
	v_dual_fmac_f32 v48, v55, v28 :: v_dual_add_f32 v33, v50, v33
	s_delay_alu instid0(VALU_DEP_3) | instskip(NEXT) | instid1(VALU_DEP_4)
	v_fmac_f32_e32 v38, v55, v26
	v_fma_f32 v47, v54, v28, -v47
	s_delay_alu instid0(VALU_DEP_4) | instskip(SKIP_2) | instid1(VALU_DEP_3)
	v_dual_add_f32 v1, v1, v46 :: v_dual_mul_f32 v46, v40, v27
	v_mul_f32_e32 v27, v39, v27
	s_wait_loadcnt_dscnt 0x0
	v_add_f32_e32 v43, v43, v47
	v_dual_add_f32 v47, v30, v48 :: v_dual_add_f32 v38, v45, v38
	v_fma_f32 v45, v39, v26, -v46
	v_mul_f32_e32 v46, v40, v29
	v_fmac_f32_e32 v27, v40, v26
	v_mul_f32_e32 v29, v39, v29
	s_barrier_signal -1
	v_add_f32_e32 v26, v44, v45
	v_fma_f32 v30, v39, v28, -v46
	v_mul_f32_e32 v39, v57, v35
	v_mul_f32_e32 v44, v56, v35
	v_fmac_f32_e32 v29, v40, v28
	s_delay_alu instid0(VALU_DEP_4) | instskip(NEXT) | instid1(VALU_DEP_4)
	v_dual_add_f32 v27, v31, v27 :: v_dual_add_f32 v40, v32, v30
	v_fma_f32 v28, v56, v34, -v39
	s_delay_alu instid0(VALU_DEP_4) | instskip(NEXT) | instid1(VALU_DEP_4)
	v_fmac_f32_e32 v44, v57, v34
	v_add_f32_e32 v39, v33, v29
	v_mul_f32_e32 v31, v56, v37
	s_barrier_wait -1
	v_dual_add_f32 v33, v1, v28 :: v_dual_mul_f32 v28, v42, v35
	v_mul_f32_e32 v29, v41, v35
	v_mul_f32_e32 v30, v57, v37
	;; [unrolled: 1-line block ×3, first 2 shown]
	v_dual_mul_f32 v37, v41, v37 :: v_dual_add_f32 v32, v38, v44
	s_delay_alu instid0(VALU_DEP_4) | instskip(NEXT) | instid1(VALU_DEP_4)
	v_fmac_f32_e32 v29, v42, v34
	v_fma_f32 v1, v56, v36, -v30
	global_inv scope:SCOPE_SE
	v_fmac_f32_e32 v37, v42, v36
	v_add_f32_e32 v29, v27, v29
	v_add_f32_e32 v30, v43, v1
	v_fma_f32 v1, v41, v34, -v28
	v_fmac_f32_e32 v31, v57, v36
	v_fma_f32 v34, v41, v36, -v35
	s_delay_alu instid0(VALU_DEP_2) | instskip(NEXT) | instid1(VALU_DEP_2)
	v_dual_add_f32 v28, v26, v1 :: v_dual_add_f32 v31, v47, v31
	v_dual_add_f32 v27, v40, v34 :: v_dual_add_f32 v26, v39, v37
	s_cbranch_scc0 .LBB362_19
.LBB362_11:                             ;   Parent Loop BB362_8 Depth=1
                                        ; =>  This Inner Loop Header: Depth=2
	s_wait_alu 0xfffe
	v_add_nc_u32_e32 v1, s12, v17
	s_delay_alu instid0(VALU_DEP_1) | instskip(SKIP_3) | instid1(SALU_CYCLE_1)
	v_cmp_le_i32_e32 vcc_lo, s21, v1
	s_or_b32 s13, s26, vcc_lo
	s_wait_alu 0xfffe
	s_and_saveexec_b32 s28, s13
	s_xor_b32 s13, exec_lo, s28
; %bb.12:                               ;   in Loop: Header=BB362_11 Depth=2
	v_mov_b32_e32 v1, v0
	ds_store_b64 v18, v[0:1]
; %bb.13:                               ;   in Loop: Header=BB362_11 Depth=2
	s_wait_alu 0xfffe
	s_and_not1_saveexec_b32 s13, s13
	s_cbranch_execz .LBB362_15
; %bb.14:                               ;   in Loop: Header=BB362_11 Depth=2
	flat_load_b64 v[34:35], v[12:13]
	s_wait_loadcnt_dscnt 0x0
	ds_store_b64 v18, v[34:35]
.LBB362_15:                             ;   in Loop: Header=BB362_11 Depth=2
	s_wait_alu 0xfffe
	s_or_b32 exec_lo, exec_lo, s13
	v_add_nc_u32_e32 v1, s12, v16
	s_delay_alu instid0(VALU_DEP_1) | instskip(SKIP_3) | instid1(SALU_CYCLE_1)
	v_cmp_le_i32_e32 vcc_lo, s21, v1
	s_or_b32 s13, vcc_lo, s27
	s_wait_alu 0xfffe
	s_and_saveexec_b32 s28, s13
	s_xor_b32 s13, exec_lo, s28
; %bb.16:                               ;   in Loop: Header=BB362_11 Depth=2
	ds_store_b32 v19, v0
; %bb.17:                               ;   in Loop: Header=BB362_11 Depth=2
	s_wait_alu 0xfffe
	s_or_saveexec_b32 s13, s13
	v_mov_b32_e32 v1, 0
	s_wait_alu 0xfffe
	s_xor_b32 exec_lo, exec_lo, s13
	s_cbranch_execz .LBB362_10
; %bb.18:                               ;   in Loop: Header=BB362_11 Depth=2
	flat_load_b64 v[34:35], v[14:15] offset:-4
	s_wait_loadcnt_dscnt 0x0
	v_xor_b32_e32 v1, 0x80000000, v35
	ds_store_b32 v19, v34
	s_branch .LBB362_10
.LBB362_19:                             ;   in Loop: Header=BB362_8 Depth=1
	s_wait_loadcnt 0x0
	v_add_co_u32 v1, vcc_lo, v10, s0
	s_wait_alu 0xfffd
	v_add_co_ci_u32_e64 v12, null, s1, v11, vcc_lo
	s_delay_alu instid0(VALU_DEP_2) | instskip(SKIP_1) | instid1(VALU_DEP_2)
	v_add_co_u32 v13, vcc_lo, v1, v2
	s_wait_alu 0xfffd
	v_add_co_ci_u32_e64 v14, null, v12, v3, vcc_lo
	s_and_saveexec_b32 s12, s30
	s_cbranch_execz .LBB362_24
; %bb.20:                               ;   in Loop: Header=BB362_8 Depth=1
	v_mul_f32_e32 v11, s4, v32
	v_mul_f32_e32 v10, s5, v32
	s_and_b32 vcc_lo, exec_lo, s25
	s_mov_b32 s13, -1
	s_delay_alu instid0(VALU_DEP_2) | instskip(NEXT) | instid1(VALU_DEP_2)
	v_fmac_f32_e32 v11, s5, v33
	v_fma_f32 v10, v33, s4, -v10
	s_wait_alu 0xfffe
	s_cbranch_vccz .LBB362_22
; %bb.21:                               ;   in Loop: Header=BB362_8 Depth=1
	v_add_co_u32 v32, vcc_lo, v13, v6
	s_wait_alu 0xfffd
	v_add_co_ci_u32_e64 v33, null, v14, v7, vcc_lo
	s_mov_b32 s13, 0
	flat_load_b64 v[34:35], v[32:33]
	s_wait_loadcnt_dscnt 0x0
	v_mul_f32_e32 v15, s15, v35
	v_mul_f32_e32 v35, s14, v35
	s_delay_alu instid0(VALU_DEP_2) | instskip(NEXT) | instid1(VALU_DEP_1)
	v_fma_f32 v15, v34, s14, -v15
	v_dual_fmac_f32 v35, s15, v34 :: v_dual_add_f32 v34, v10, v15
	s_delay_alu instid0(VALU_DEP_1)
	v_add_f32_e32 v35, v11, v35
	flat_store_b64 v[32:33], v[34:35]
.LBB362_22:                             ;   in Loop: Header=BB362_8 Depth=1
	s_wait_alu 0xfffe
	s_and_not1_b32 vcc_lo, exec_lo, s13
	s_wait_alu 0xfffe
	s_cbranch_vccnz .LBB362_24
; %bb.23:                               ;   in Loop: Header=BB362_8 Depth=1
	v_add_co_u32 v32, vcc_lo, v13, v6
	s_wait_alu 0xfffd
	v_add_co_ci_u32_e64 v33, null, v14, v7, vcc_lo
	flat_store_b64 v[32:33], v[10:11]
.LBB362_24:                             ;   in Loop: Header=BB362_8 Depth=1
	s_wait_alu 0xfffe
	s_or_b32 exec_lo, exec_lo, s12
	s_and_saveexec_b32 s12, s31
	s_cbranch_execz .LBB362_29
; %bb.25:                               ;   in Loop: Header=BB362_8 Depth=1
	v_mul_f32_e32 v11, s4, v31
	v_mul_f32_e32 v10, s5, v31
	s_and_not1_b32 vcc_lo, exec_lo, s25
	s_mov_b32 s13, -1
	s_delay_alu instid0(VALU_DEP_2) | instskip(NEXT) | instid1(VALU_DEP_2)
	v_fmac_f32_e32 v11, s5, v30
	v_fma_f32 v10, v30, s4, -v10
	s_wait_alu 0xfffe
	s_cbranch_vccnz .LBB362_27
; %bb.26:                               ;   in Loop: Header=BB362_8 Depth=1
	v_add_co_u32 v30, vcc_lo, v13, v8
	s_wait_alu 0xfffd
	v_add_co_ci_u32_e64 v31, null, v14, v9, vcc_lo
	s_mov_b32 s13, 0
	flat_load_b64 v[32:33], v[30:31]
	s_wait_loadcnt_dscnt 0x0
	v_mul_f32_e32 v15, s15, v33
	s_delay_alu instid0(VALU_DEP_1) | instskip(SKIP_1) | instid1(VALU_DEP_1)
	v_fma_f32 v15, v32, s14, -v15
	v_mul_f32_e32 v33, s14, v33
	v_dual_fmac_f32 v33, s15, v32 :: v_dual_add_f32 v32, v10, v15
	s_delay_alu instid0(VALU_DEP_1)
	v_add_f32_e32 v33, v11, v33
	flat_store_b64 v[30:31], v[32:33]
.LBB362_27:                             ;   in Loop: Header=BB362_8 Depth=1
	s_wait_alu 0xfffe
	s_and_not1_b32 vcc_lo, exec_lo, s13
	s_wait_alu 0xfffe
	s_cbranch_vccnz .LBB362_29
; %bb.28:                               ;   in Loop: Header=BB362_8 Depth=1
	v_add_co_u32 v13, vcc_lo, v13, v8
	s_wait_alu 0xfffd
	v_add_co_ci_u32_e64 v14, null, v14, v9, vcc_lo
	flat_store_b64 v[13:14], v[10:11]
.LBB362_29:                             ;   in Loop: Header=BB362_8 Depth=1
	s_wait_alu 0xfffe
	s_or_b32 exec_lo, exec_lo, s12
	v_add_co_u32 v1, vcc_lo, v1, v4
	s_wait_alu 0xfffd
	v_add_co_ci_u32_e64 v12, null, v12, v5, vcc_lo
	s_and_saveexec_b32 s12, s18
	s_cbranch_execz .LBB362_34
; %bb.30:                               ;   in Loop: Header=BB362_8 Depth=1
	v_mul_f32_e32 v11, s4, v29
	v_mul_f32_e32 v10, s5, v29
	s_and_not1_b32 vcc_lo, exec_lo, s25
	s_mov_b32 s13, -1
	s_delay_alu instid0(VALU_DEP_2) | instskip(NEXT) | instid1(VALU_DEP_2)
	v_fmac_f32_e32 v11, s5, v28
	v_fma_f32 v10, v28, s4, -v10
	s_wait_alu 0xfffe
	s_cbranch_vccnz .LBB362_32
; %bb.31:                               ;   in Loop: Header=BB362_8 Depth=1
	v_add_co_u32 v13, vcc_lo, v1, v6
	s_wait_alu 0xfffd
	v_add_co_ci_u32_e64 v14, null, v12, v7, vcc_lo
	s_mov_b32 s13, 0
	flat_load_b64 v[28:29], v[13:14]
	s_wait_loadcnt_dscnt 0x0
	v_mul_f32_e32 v15, s15, v29
	s_delay_alu instid0(VALU_DEP_1) | instskip(SKIP_1) | instid1(VALU_DEP_1)
	v_fma_f32 v15, v28, s14, -v15
	v_mul_f32_e32 v29, s14, v29
	v_dual_fmac_f32 v29, s15, v28 :: v_dual_add_f32 v28, v10, v15
	s_delay_alu instid0(VALU_DEP_1)
	v_add_f32_e32 v29, v11, v29
	flat_store_b64 v[13:14], v[28:29]
.LBB362_32:                             ;   in Loop: Header=BB362_8 Depth=1
	s_wait_alu 0xfffe
	s_and_not1_b32 vcc_lo, exec_lo, s13
	s_wait_alu 0xfffe
	s_cbranch_vccnz .LBB362_34
; %bb.33:                               ;   in Loop: Header=BB362_8 Depth=1
	v_add_co_u32 v13, vcc_lo, v1, v6
	s_wait_alu 0xfffd
	v_add_co_ci_u32_e64 v14, null, v12, v7, vcc_lo
	flat_store_b64 v[13:14], v[10:11]
.LBB362_34:                             ;   in Loop: Header=BB362_8 Depth=1
	s_wait_alu 0xfffe
	s_or_b32 exec_lo, exec_lo, s12
	s_and_saveexec_b32 s12, s20
	s_cbranch_execz .LBB362_7
; %bb.35:                               ;   in Loop: Header=BB362_8 Depth=1
	v_mul_f32_e32 v11, s4, v26
	v_mul_f32_e32 v10, s5, v26
	s_and_not1_b32 vcc_lo, exec_lo, s25
	s_mov_b32 s13, -1
	s_delay_alu instid0(VALU_DEP_2) | instskip(NEXT) | instid1(VALU_DEP_2)
	v_fmac_f32_e32 v11, s5, v27
	v_fma_f32 v10, v27, s4, -v10
	s_wait_alu 0xfffe
	s_cbranch_vccnz .LBB362_37
; %bb.36:                               ;   in Loop: Header=BB362_8 Depth=1
	v_add_co_u32 v13, vcc_lo, v1, v8
	s_wait_alu 0xfffd
	v_add_co_ci_u32_e64 v14, null, v12, v9, vcc_lo
	s_mov_b32 s13, 0
	flat_load_b64 v[26:27], v[13:14]
	s_wait_loadcnt_dscnt 0x0
	v_mul_f32_e32 v15, s15, v27
	v_mul_f32_e32 v27, s14, v27
	s_delay_alu instid0(VALU_DEP_2) | instskip(NEXT) | instid1(VALU_DEP_1)
	v_fma_f32 v15, v26, s14, -v15
	v_dual_fmac_f32 v27, s15, v26 :: v_dual_add_f32 v26, v10, v15
	s_delay_alu instid0(VALU_DEP_1)
	v_add_f32_e32 v27, v11, v27
	flat_store_b64 v[13:14], v[26:27]
.LBB362_37:                             ;   in Loop: Header=BB362_8 Depth=1
	s_wait_alu 0xfffe
	s_and_not1_b32 vcc_lo, exec_lo, s13
	s_wait_alu 0xfffe
	s_cbranch_vccnz .LBB362_7
; %bb.38:                               ;   in Loop: Header=BB362_8 Depth=1
	v_add_co_u32 v13, vcc_lo, v1, v8
	s_wait_alu 0xfffd
	v_add_co_ci_u32_e64 v14, null, v12, v9, vcc_lo
	flat_store_b64 v[13:14], v[10:11]
	s_branch .LBB362_7
.LBB362_39:
	s_endpgm
	.section	.rodata,"a",@progbits
	.p2align	6, 0x0
	.amdhsa_kernel _ZL29rocblas_internal_gemmt_kernelIiLi16ELi32ELi8ELc78ELc67ELc85ELb0ELb1E19rocblas_complex_numIfEPKS1_PKS3_PKPS1_EviT_T9_T10_S9_lSB_S9_lSA_T11_S9_li
		.amdhsa_group_segment_fixed_size 4096
		.amdhsa_private_segment_fixed_size 0
		.amdhsa_kernarg_size 100
		.amdhsa_user_sgpr_count 2
		.amdhsa_user_sgpr_dispatch_ptr 0
		.amdhsa_user_sgpr_queue_ptr 0
		.amdhsa_user_sgpr_kernarg_segment_ptr 1
		.amdhsa_user_sgpr_dispatch_id 0
		.amdhsa_user_sgpr_private_segment_size 0
		.amdhsa_wavefront_size32 1
		.amdhsa_uses_dynamic_stack 0
		.amdhsa_enable_private_segment 0
		.amdhsa_system_sgpr_workgroup_id_x 1
		.amdhsa_system_sgpr_workgroup_id_y 1
		.amdhsa_system_sgpr_workgroup_id_z 1
		.amdhsa_system_sgpr_workgroup_info 0
		.amdhsa_system_vgpr_workitem_id 1
		.amdhsa_next_free_vgpr 71
		.amdhsa_next_free_sgpr 37
		.amdhsa_reserve_vcc 1
		.amdhsa_float_round_mode_32 0
		.amdhsa_float_round_mode_16_64 0
		.amdhsa_float_denorm_mode_32 3
		.amdhsa_float_denorm_mode_16_64 3
		.amdhsa_fp16_overflow 0
		.amdhsa_workgroup_processor_mode 1
		.amdhsa_memory_ordered 1
		.amdhsa_forward_progress 1
		.amdhsa_inst_pref_size 26
		.amdhsa_round_robin_scheduling 0
		.amdhsa_exception_fp_ieee_invalid_op 0
		.amdhsa_exception_fp_denorm_src 0
		.amdhsa_exception_fp_ieee_div_zero 0
		.amdhsa_exception_fp_ieee_overflow 0
		.amdhsa_exception_fp_ieee_underflow 0
		.amdhsa_exception_fp_ieee_inexact 0
		.amdhsa_exception_int_div_zero 0
	.end_amdhsa_kernel
	.section	.text._ZL29rocblas_internal_gemmt_kernelIiLi16ELi32ELi8ELc78ELc67ELc85ELb0ELb1E19rocblas_complex_numIfEPKS1_PKS3_PKPS1_EviT_T9_T10_S9_lSB_S9_lSA_T11_S9_li,"axG",@progbits,_ZL29rocblas_internal_gemmt_kernelIiLi16ELi32ELi8ELc78ELc67ELc85ELb0ELb1E19rocblas_complex_numIfEPKS1_PKS3_PKPS1_EviT_T9_T10_S9_lSB_S9_lSA_T11_S9_li,comdat
.Lfunc_end362:
	.size	_ZL29rocblas_internal_gemmt_kernelIiLi16ELi32ELi8ELc78ELc67ELc85ELb0ELb1E19rocblas_complex_numIfEPKS1_PKS3_PKPS1_EviT_T9_T10_S9_lSB_S9_lSA_T11_S9_li, .Lfunc_end362-_ZL29rocblas_internal_gemmt_kernelIiLi16ELi32ELi8ELc78ELc67ELc85ELb0ELb1E19rocblas_complex_numIfEPKS1_PKS3_PKPS1_EviT_T9_T10_S9_lSB_S9_lSA_T11_S9_li
                                        ; -- End function
	.set _ZL29rocblas_internal_gemmt_kernelIiLi16ELi32ELi8ELc78ELc67ELc85ELb0ELb1E19rocblas_complex_numIfEPKS1_PKS3_PKPS1_EviT_T9_T10_S9_lSB_S9_lSA_T11_S9_li.num_vgpr, 71
	.set _ZL29rocblas_internal_gemmt_kernelIiLi16ELi32ELi8ELc78ELc67ELc85ELb0ELb1E19rocblas_complex_numIfEPKS1_PKS3_PKPS1_EviT_T9_T10_S9_lSB_S9_lSA_T11_S9_li.num_agpr, 0
	.set _ZL29rocblas_internal_gemmt_kernelIiLi16ELi32ELi8ELc78ELc67ELc85ELb0ELb1E19rocblas_complex_numIfEPKS1_PKS3_PKPS1_EviT_T9_T10_S9_lSB_S9_lSA_T11_S9_li.numbered_sgpr, 37
	.set _ZL29rocblas_internal_gemmt_kernelIiLi16ELi32ELi8ELc78ELc67ELc85ELb0ELb1E19rocblas_complex_numIfEPKS1_PKS3_PKPS1_EviT_T9_T10_S9_lSB_S9_lSA_T11_S9_li.num_named_barrier, 0
	.set _ZL29rocblas_internal_gemmt_kernelIiLi16ELi32ELi8ELc78ELc67ELc85ELb0ELb1E19rocblas_complex_numIfEPKS1_PKS3_PKPS1_EviT_T9_T10_S9_lSB_S9_lSA_T11_S9_li.private_seg_size, 0
	.set _ZL29rocblas_internal_gemmt_kernelIiLi16ELi32ELi8ELc78ELc67ELc85ELb0ELb1E19rocblas_complex_numIfEPKS1_PKS3_PKPS1_EviT_T9_T10_S9_lSB_S9_lSA_T11_S9_li.uses_vcc, 1
	.set _ZL29rocblas_internal_gemmt_kernelIiLi16ELi32ELi8ELc78ELc67ELc85ELb0ELb1E19rocblas_complex_numIfEPKS1_PKS3_PKPS1_EviT_T9_T10_S9_lSB_S9_lSA_T11_S9_li.uses_flat_scratch, 0
	.set _ZL29rocblas_internal_gemmt_kernelIiLi16ELi32ELi8ELc78ELc67ELc85ELb0ELb1E19rocblas_complex_numIfEPKS1_PKS3_PKPS1_EviT_T9_T10_S9_lSB_S9_lSA_T11_S9_li.has_dyn_sized_stack, 0
	.set _ZL29rocblas_internal_gemmt_kernelIiLi16ELi32ELi8ELc78ELc67ELc85ELb0ELb1E19rocblas_complex_numIfEPKS1_PKS3_PKPS1_EviT_T9_T10_S9_lSB_S9_lSA_T11_S9_li.has_recursion, 0
	.set _ZL29rocblas_internal_gemmt_kernelIiLi16ELi32ELi8ELc78ELc67ELc85ELb0ELb1E19rocblas_complex_numIfEPKS1_PKS3_PKPS1_EviT_T9_T10_S9_lSB_S9_lSA_T11_S9_li.has_indirect_call, 0
	.section	.AMDGPU.csdata,"",@progbits
; Kernel info:
; codeLenInByte = 3208
; TotalNumSgprs: 39
; NumVgprs: 71
; ScratchSize: 0
; MemoryBound: 1
; FloatMode: 240
; IeeeMode: 1
; LDSByteSize: 4096 bytes/workgroup (compile time only)
; SGPRBlocks: 0
; VGPRBlocks: 8
; NumSGPRsForWavesPerEU: 39
; NumVGPRsForWavesPerEU: 71
; Occupancy: 16
; WaveLimiterHint : 1
; COMPUTE_PGM_RSRC2:SCRATCH_EN: 0
; COMPUTE_PGM_RSRC2:USER_SGPR: 2
; COMPUTE_PGM_RSRC2:TRAP_HANDLER: 0
; COMPUTE_PGM_RSRC2:TGID_X_EN: 1
; COMPUTE_PGM_RSRC2:TGID_Y_EN: 1
; COMPUTE_PGM_RSRC2:TGID_Z_EN: 1
; COMPUTE_PGM_RSRC2:TIDIG_COMP_CNT: 1
	.section	.text._ZL29rocblas_internal_gemmt_kernelIiLi16ELi32ELi8ELc84ELc78ELc85ELb0ELb0E19rocblas_complex_numIfEPKS1_PKS3_PKPS1_EviT_T9_T10_S9_lSB_S9_lSA_T11_S9_li,"axG",@progbits,_ZL29rocblas_internal_gemmt_kernelIiLi16ELi32ELi8ELc84ELc78ELc85ELb0ELb0E19rocblas_complex_numIfEPKS1_PKS3_PKPS1_EviT_T9_T10_S9_lSB_S9_lSA_T11_S9_li,comdat
	.globl	_ZL29rocblas_internal_gemmt_kernelIiLi16ELi32ELi8ELc84ELc78ELc85ELb0ELb0E19rocblas_complex_numIfEPKS1_PKS3_PKPS1_EviT_T9_T10_S9_lSB_S9_lSA_T11_S9_li ; -- Begin function _ZL29rocblas_internal_gemmt_kernelIiLi16ELi32ELi8ELc84ELc78ELc85ELb0ELb0E19rocblas_complex_numIfEPKS1_PKS3_PKPS1_EviT_T9_T10_S9_lSB_S9_lSA_T11_S9_li
	.p2align	8
	.type	_ZL29rocblas_internal_gemmt_kernelIiLi16ELi32ELi8ELc84ELc78ELc85ELb0ELb0E19rocblas_complex_numIfEPKS1_PKS3_PKPS1_EviT_T9_T10_S9_lSB_S9_lSA_T11_S9_li,@function
_ZL29rocblas_internal_gemmt_kernelIiLi16ELi32ELi8ELc84ELc78ELc85ELb0ELb0E19rocblas_complex_numIfEPKS1_PKS3_PKPS1_EviT_T9_T10_S9_lSB_S9_lSA_T11_S9_li: ; @_ZL29rocblas_internal_gemmt_kernelIiLi16ELi32ELi8ELc84ELc78ELc85ELb0ELb0E19rocblas_complex_numIfEPKS1_PKS3_PKPS1_EviT_T9_T10_S9_lSB_S9_lSA_T11_S9_li
; %bb.0:
	s_load_b128 s[12:15], s[0:1], 0x38
	s_wait_kmcnt 0x0
	s_load_b64 s[14:15], s[14:15], 0x0
	s_clause 0x1
	s_load_b128 s[4:7], s[0:1], 0x8
	s_load_b64 s[20:21], s[0:1], 0x0
	s_wait_kmcnt 0x0
	s_load_b64 s[4:5], s[4:5], 0x0
	s_cmp_eq_f32 s14, 1.0
	s_cselect_b32 s2, -1, 0
	s_and_b32 s3, s15, 0x7fffffff
	s_delay_alu instid0(SALU_CYCLE_1) | instskip(SKIP_1) | instid1(SALU_CYCLE_1)
	s_cmp_eq_u32 s3, 0
	s_cselect_b32 s3, -1, 0
	s_and_b32 s8, s2, s3
	s_mov_b32 s2, 0
	s_and_not1_b32 vcc_lo, exec_lo, s8
	s_mov_b32 s8, -1
	s_cbranch_vccnz .LBB363_4
; %bb.1:
	s_cmp_lg_u32 s21, 0
	s_cbranch_scc0 .LBB363_3
; %bb.2:
	s_wait_kmcnt 0x0
	s_cmp_neq_f32 s4, 0
	s_cselect_b32 s2, -1, 0
	s_cmp_neq_f32 s5, 0
	s_cselect_b32 s8, -1, 0
	s_delay_alu instid0(SALU_CYCLE_1)
	s_or_b32 s2, s2, s8
.LBB363_3:
	s_delay_alu instid0(SALU_CYCLE_1)
	s_mov_b32 s8, s2
.LBB363_4:
	s_delay_alu instid0(SALU_CYCLE_1)
	s_and_b32 vcc_lo, exec_lo, s8
	s_cbranch_vccz .LBB363_39
; %bb.5:
	s_load_b32 s19, s[0:1], 0x60
	s_lshr_b32 s22, ttmp7, 16
	s_wait_kmcnt 0x0
	s_cmp_ge_u32 s22, s19
	s_cbranch_scc1 .LBB363_39
; %bb.6:
	v_and_b32_e32 v1, 0x3ff, v0
	v_bfe_u32 v2, v0, 10, 10
	v_and_b32_e32 v16, 7, v0
	s_lshl_b32 s2, ttmp7, 5
	s_clause 0x4
	s_load_b32 s28, s[0:1], 0x18
	s_load_b128 s[8:11], s[0:1], 0x20
	s_load_b32 s29, s[0:1], 0x30
	s_load_b96 s[16:18], s[0:1], 0x48
	s_load_b64 s[24:25], s[0:1], 0x58
	v_lshl_add_u32 v0, v2, 4, v1
	s_lshl_b32 s26, ttmp9, 5
	s_and_b32 s2, s2, 0x1fffe0
	s_cmp_neq_f32 s4, 0
	v_lshlrev_b32_e32 v14, 3, v16
	v_lshrrev_b32_e32 v17, 5, v0
	v_lshrrev_b32_e32 v3, 3, v0
	v_and_b32_e32 v0, 31, v0
	s_cselect_b32 s27, -1, 0
	s_cmp_neq_f32 s5, 0
	v_add_nc_u32_e32 v6, s26, v1
	v_add_nc_u32_e32 v5, s2, v3
	v_or_b32_e32 v4, s26, v0
	v_lshlrev_b32_e32 v0, 3, v0
	s_cselect_b32 s0, -1, 0
	v_lshl_or_b32 v3, v3, 6, v14
	s_or_b32 s30, s27, s0
	s_cmp_gt_i32 s21, 0
	v_lshl_or_b32 v18, v17, 8, v0
	v_add_nc_u32_e32 v0, s2, v2
	v_add_nc_u32_e32 v8, 16, v6
	s_cselect_b32 s31, -1, 0
	s_cmp_neq_f32 s14, 0
	v_cmp_gt_i32_e32 vcc_lo, s20, v4
	v_add_nc_u32_e32 v19, 0x800, v3
	s_wait_kmcnt 0x0
	v_mad_co_i64_i32 v[3:4], null, s28, v4, 0
	v_lshlrev_b32_e32 v20, 3, v1
	v_lshl_add_u32 v21, v2, 6, 0x800
	s_cselect_b32 s33, -1, 0
	v_cmp_gt_i32_e64 s1, s20, v0
	v_cmp_le_i32_e64 s2, v6, v0
	s_xor_b32 s34, s3, -1
	v_cmp_le_i32_e64 s3, v8, v0
	v_mad_co_i64_i32 v[1:2], null, v0, s18, 0
	v_add_nc_u32_e32 v0, 16, v0
	v_mad_co_i64_i32 v[10:11], null, s29, v5, 0
	s_and_b32 s26, s1, s2
	s_and_b32 s27, s1, s3
	v_cmp_gt_i32_e64 s1, s20, v0
	v_cmp_le_i32_e64 s2, v6, v0
	v_cmp_le_i32_e64 s3, v8, v0
	v_lshlrev_b64_e32 v[3:4], 3, v[3:4]
	v_cmp_gt_i32_e64 s0, s20, v5
	v_mad_co_i64_i32 v[12:13], null, v0, s18, 0
	s_and_b32 s18, s1, s2
	s_and_b32 s20, s1, s3
	s_lshl_b64 s[2:3], s[8:9], 3
	v_lshlrev_b64_e32 v[10:11], 3, v[10:11]
	s_wait_alu 0xfffe
	v_add_co_u32 v3, s1, v3, s2
	s_delay_alu instid0(VALU_DEP_1)
	v_add_co_ci_u32_e64 v4, null, s3, v4, s1
	v_lshlrev_b32_e32 v5, 3, v17
	s_lshl_b64 s[2:3], s[12:13], 3
	v_ashrrev_i32_e32 v7, 31, v6
	s_wait_alu 0xfffe
	v_add_co_u32 v10, s1, v10, s2
	v_ashrrev_i32_e32 v9, 31, v8
	s_wait_alu 0xf1ff
	v_add_co_ci_u32_e64 v11, null, s3, v11, s1
	v_add_co_u32 v22, s1, v3, v5
	s_wait_alu 0xf1ff
	v_add_co_ci_u32_e64 v23, null, 0, v4, s1
	v_add_co_u32 v24, s1, v10, v14
	v_lshlrev_b64_e32 v[2:3], 3, v[1:2]
	v_lshlrev_b64_e32 v[4:5], 3, v[12:13]
	;; [unrolled: 1-line block ×4, first 2 shown]
	v_mov_b32_e32 v0, 0
	s_wait_alu 0xf1ff
	v_add_co_ci_u32_e64 v25, null, 0, v11, s1
	s_mov_b32 s23, 0
	s_and_b32 s8, s30, s31
	s_or_b32 s9, s33, s34
	s_xor_b32 s12, vcc_lo, -1
	s_xor_b32 s13, s0, -1
	s_lshl_b64 s[0:1], s[24:25], 3
	s_branch .LBB363_8
.LBB363_7:                              ;   in Loop: Header=BB363_8 Depth=1
	s_wait_alu 0xfffe
	s_or_b32 exec_lo, exec_lo, s2
	s_add_co_i32 s22, s22, 0x10000
	s_delay_alu instid0(SALU_CYCLE_1)
	s_cmp_lt_u32 s22, s19
	s_cbranch_scc0 .LBB363_39
.LBB363_8:                              ; =>This Loop Header: Depth=1
                                        ;     Child Loop BB363_11 Depth 2
	s_lshl_b64 s[2:3], s[22:23], 3
	v_dual_mov_b32 v33, v0 :: v_dual_mov_b32 v32, v0
	s_wait_alu 0xfffe
	s_add_nc_u64 s[24:25], s[16:17], s[2:3]
	v_dual_mov_b32 v30, v0 :: v_dual_mov_b32 v31, v0
	global_load_b64 v[10:11], v0, s[24:25]
	v_dual_mov_b32 v28, v0 :: v_dual_mov_b32 v29, v0
	v_dual_mov_b32 v27, v0 :: v_dual_mov_b32 v26, v0
	s_and_not1_b32 vcc_lo, exec_lo, s8
	s_wait_alu 0xfffe
	s_cbranch_vccnz .LBB363_19
; %bb.9:                                ;   in Loop: Header=BB363_8 Depth=1
	s_add_nc_u64 s[24:25], s[6:7], s[2:3]
	s_add_nc_u64 s[2:3], s[10:11], s[2:3]
	s_clause 0x1
	global_load_b64 v[12:13], v0, s[24:25]
	global_load_b64 v[14:15], v0, s[2:3]
	v_dual_mov_b32 v26, 0 :: v_dual_mov_b32 v27, 0
	v_dual_mov_b32 v29, 0 :: v_dual_mov_b32 v28, 0
	;; [unrolled: 1-line block ×4, first 2 shown]
	s_mov_b32 s2, 0
	s_wait_loadcnt 0x1
	v_add_co_u32 v12, vcc_lo, v12, v22
	s_wait_alu 0xfffd
	v_add_co_ci_u32_e64 v13, null, v13, v23, vcc_lo
	s_wait_loadcnt 0x0
	v_add_co_u32 v14, vcc_lo, v14, v24
	s_wait_alu 0xfffd
	v_add_co_ci_u32_e64 v15, null, v15, v25, vcc_lo
	s_branch .LBB363_11
.LBB363_10:                             ;   in Loop: Header=BB363_11 Depth=2
	s_wait_alu 0xfffe
	s_or_b32 exec_lo, exec_lo, s3
	s_wait_dscnt 0x0
	s_barrier_signal -1
	s_barrier_wait -1
	global_inv scope:SCOPE_SE
	ds_load_b128 v[34:37], v21
	ds_load_2addr_b64 v[38:41], v20 offset1:16
	ds_load_b128 v[42:45], v21 offset:1024
	ds_load_b128 v[46:49], v21 offset:16
	ds_load_b128 v[50:53], v21 offset:32
	ds_load_b128 v[54:57], v21 offset:48
	ds_load_2addr_b64 v[58:61], v20 offset0:32 offset1:48
	ds_load_b128 v[62:65], v21 offset:1040
	v_add_co_u32 v12, vcc_lo, v12, 64
	s_wait_alu 0xfffd
	v_add_co_ci_u32_e64 v13, null, 0, v13, vcc_lo
	v_add_co_u32 v14, vcc_lo, v14, 64
	s_wait_alu 0xfffd
	v_add_co_ci_u32_e64 v15, null, 0, v15, vcc_lo
	s_add_co_i32 s2, s2, 8
	s_wait_alu 0xfffe
	s_cmp_lt_i32 s2, s21
	s_wait_dscnt 0x6
	v_dual_mul_f32 v1, v35, v39 :: v_dual_mul_f32 v68, v34, v41
	v_dual_mul_f32 v66, v34, v39 :: v_dual_mul_f32 v67, v35, v41
	s_wait_dscnt 0x5
	v_mul_f32_e32 v70, v43, v41
	s_delay_alu instid0(VALU_DEP_3) | instskip(SKIP_3) | instid1(VALU_DEP_4)
	v_fma_f32 v1, v34, v38, -v1
	v_dual_mul_f32 v41, v42, v41 :: v_dual_fmac_f32 v68, v35, v40
	v_fmac_f32_e32 v66, v35, v38
	v_fma_f32 v34, v34, v40, -v67
	v_add_f32_e32 v1, v33, v1
	v_mul_f32_e32 v69, v43, v39
	s_delay_alu instid0(VALU_DEP_4) | instskip(NEXT) | instid1(VALU_DEP_4)
	v_dual_mul_f32 v39, v42, v39 :: v_dual_add_f32 v32, v32, v66
	v_add_f32_e32 v33, v30, v34
	v_fmac_f32_e32 v41, v43, v40
	s_delay_alu instid0(VALU_DEP_4) | instskip(NEXT) | instid1(VALU_DEP_4)
	v_fma_f32 v35, v42, v38, -v69
	v_fmac_f32_e32 v39, v43, v38
	v_fma_f32 v38, v42, v40, -v70
	s_wait_dscnt 0x1
	v_dual_mul_f32 v40, v36, v59 :: v_dual_add_f32 v31, v31, v68
	v_mul_f32_e32 v42, v37, v61
	v_add_f32_e32 v34, v28, v35
	v_dual_add_f32 v35, v29, v39 :: v_dual_add_f32 v38, v27, v38
	ds_load_2addr_b64 v[27:30], v20 offset0:64 offset1:80
	v_fmac_f32_e32 v40, v37, v58
	v_dual_mul_f32 v39, v37, v59 :: v_dual_add_f32 v26, v26, v41
	v_mul_f32_e32 v41, v36, v61
	s_delay_alu instid0(VALU_DEP_3) | instskip(NEXT) | instid1(VALU_DEP_3)
	v_add_f32_e32 v40, v32, v40
	v_fma_f32 v39, v36, v58, -v39
	v_fma_f32 v36, v36, v60, -v42
	v_mul_f32_e32 v32, v44, v59
	s_delay_alu instid0(VALU_DEP_3) | instskip(SKIP_1) | instid1(VALU_DEP_4)
	v_add_f32_e32 v1, v1, v39
	v_mul_f32_e32 v39, v45, v59
	v_add_f32_e32 v36, v33, v36
	v_fmac_f32_e32 v41, v37, v60
	v_mul_f32_e32 v37, v45, v61
	v_fmac_f32_e32 v32, v45, v58
	v_fma_f32 v33, v44, v58, -v39
	s_delay_alu instid0(VALU_DEP_4) | instskip(SKIP_4) | instid1(VALU_DEP_3)
	v_add_f32_e32 v39, v31, v41
	v_mul_f32_e32 v41, v44, v61
	v_fma_f32 v31, v44, v60, -v37
	s_wait_dscnt 0x0
	v_dual_add_f32 v42, v34, v33 :: v_dual_mul_f32 v33, v47, v28
	v_dual_mul_f32 v44, v47, v30 :: v_dual_fmac_f32 v41, v45, v60
	v_mul_f32_e32 v37, v46, v28
	v_add_f32_e32 v38, v38, v31
	s_delay_alu instid0(VALU_DEP_3) | instskip(SKIP_3) | instid1(VALU_DEP_2)
	v_add_f32_e32 v41, v26, v41
	v_mul_f32_e32 v26, v46, v30
	v_fma_f32 v43, v46, v27, -v33
	v_fmac_f32_e32 v37, v47, v27
	v_dual_fmac_f32 v26, v47, v29 :: v_dual_add_f32 v1, v1, v43
	v_fma_f32 v43, v46, v29, -v44
	v_add_f32_e32 v35, v35, v32
	ds_load_2addr_b64 v[31:34], v20 offset0:96 offset1:112
	v_dual_add_f32 v37, v40, v37 :: v_dual_mul_f32 v40, v63, v28
	v_mul_f32_e32 v28, v62, v28
	v_dual_add_f32 v36, v36, v43 :: v_dual_mul_f32 v43, v63, v30
	v_mul_f32_e32 v30, v62, v30
	s_delay_alu instid0(VALU_DEP_4) | instskip(NEXT) | instid1(VALU_DEP_4)
	v_fma_f32 v40, v62, v27, -v40
	v_fmac_f32_e32 v28, v63, v27
	v_add_f32_e32 v39, v39, v26
	v_fma_f32 v26, v62, v29, -v43
	v_fmac_f32_e32 v30, v63, v29
	v_add_f32_e32 v40, v42, v40
	s_delay_alu instid0(VALU_DEP_3)
	v_dual_add_f32 v42, v35, v28 :: v_dual_add_f32 v43, v38, v26
	ds_load_2addr_b64 v[26:29], v20 offset0:128 offset1:144
	s_wait_dscnt 0x1
	v_mul_f32_e32 v35, v49, v32
	v_mul_f32_e32 v38, v48, v32
	;; [unrolled: 1-line block ×4, first 2 shown]
	s_delay_alu instid0(VALU_DEP_4) | instskip(NEXT) | instid1(VALU_DEP_4)
	v_fma_f32 v35, v48, v31, -v35
	v_fmac_f32_e32 v38, v49, v31
	s_delay_alu instid0(VALU_DEP_2) | instskip(SKIP_1) | instid1(VALU_DEP_3)
	v_add_f32_e32 v1, v1, v35
	v_mul_f32_e32 v35, v65, v32
	v_dual_mul_f32 v32, v64, v32 :: v_dual_add_f32 v45, v37, v38
	s_delay_alu instid0(VALU_DEP_2) | instskip(NEXT) | instid1(VALU_DEP_2)
	v_fma_f32 v46, v64, v31, -v35
	v_fmac_f32_e32 v32, v65, v31
	s_wait_dscnt 0x0
	v_mul_f32_e32 v31, v51, v27
	v_fma_f32 v44, v48, v33, -v44
	v_add_f32_e32 v41, v41, v30
	v_mul_f32_e32 v30, v48, v34
	v_mul_f32_e32 v58, v50, v29
	s_delay_alu instid0(VALU_DEP_4) | instskip(SKIP_2) | instid1(VALU_DEP_1)
	v_add_f32_e32 v44, v36, v44
	ds_load_b128 v[35:38], v21 offset:1056
	v_dual_fmac_f32 v30, v49, v33 :: v_dual_mul_f32 v49, v50, v27
	v_add_f32_e32 v48, v39, v30
	v_fma_f32 v30, v64, v33, -v47
	v_fma_f32 v39, v50, v26, -v31
	v_mul_f32_e32 v34, v64, v34
	v_fmac_f32_e32 v49, v51, v26
	v_add_f32_e32 v46, v40, v46
	v_add_f32_e32 v43, v43, v30
	;; [unrolled: 1-line block ×4, first 2 shown]
	v_fmac_f32_e32 v34, v65, v33
	ds_load_2addr_b64 v[30:33], v20 offset0:160 offset1:176
	v_mul_f32_e32 v40, v51, v29
	v_add_f32_e32 v45, v45, v49
	v_add_f32_e32 v34, v41, v34
	s_delay_alu instid0(VALU_DEP_3)
	v_fma_f32 v50, v50, v28, -v40
	ds_load_b128 v[39:42], v21 offset:1072
	s_wait_dscnt 0x2
	v_mul_f32_e32 v59, v36, v27
	v_dual_mul_f32 v27, v35, v27 :: v_dual_add_f32 v44, v44, v50
	v_fmac_f32_e32 v58, v51, v28
	v_mul_f32_e32 v50, v36, v29
	s_delay_alu instid0(VALU_DEP_4) | instskip(NEXT) | instid1(VALU_DEP_4)
	v_fma_f32 v49, v35, v26, -v59
	v_fmac_f32_e32 v27, v36, v26
	s_delay_alu instid0(VALU_DEP_4) | instskip(SKIP_1) | instid1(VALU_DEP_3)
	v_dual_mul_f32 v51, v35, v29 :: v_dual_add_f32 v48, v48, v58
	s_wait_dscnt 0x1
	v_dual_add_f32 v46, v46, v49 :: v_dual_mul_f32 v29, v53, v31
	v_fma_f32 v26, v35, v28, -v50
	v_add_f32_e32 v35, v47, v27
	v_fmac_f32_e32 v51, v36, v28
	v_mul_f32_e32 v36, v52, v31
	v_fma_f32 v47, v52, v30, -v29
	v_add_f32_e32 v43, v43, v26
	ds_load_2addr_b64 v[26:29], v20 offset0:192 offset1:208
	v_fmac_f32_e32 v36, v53, v30
	v_dual_mul_f32 v49, v53, v33 :: v_dual_add_f32 v50, v34, v51
	v_dual_add_f32 v1, v1, v47 :: v_dual_mul_f32 v34, v52, v33
	s_delay_alu instid0(VALU_DEP_3) | instskip(NEXT) | instid1(VALU_DEP_3)
	v_dual_add_f32 v45, v45, v36 :: v_dual_mul_f32 v36, v38, v31
	v_fma_f32 v47, v52, v32, -v49
	s_delay_alu instid0(VALU_DEP_3) | instskip(NEXT) | instid1(VALU_DEP_3)
	v_fmac_f32_e32 v34, v53, v32
	v_fma_f32 v36, v37, v30, -v36
	s_delay_alu instid0(VALU_DEP_3) | instskip(SKIP_1) | instid1(VALU_DEP_3)
	v_dual_add_f32 v44, v44, v47 :: v_dual_mul_f32 v47, v38, v33
	v_mul_f32_e32 v31, v37, v31
	v_dual_mul_f32 v33, v37, v33 :: v_dual_add_f32 v46, v46, v36
	s_delay_alu instid0(VALU_DEP_2) | instskip(SKIP_2) | instid1(VALU_DEP_4)
	v_fmac_f32_e32 v31, v38, v30
	v_add_f32_e32 v30, v48, v34
	v_fma_f32 v34, v37, v32, -v47
	v_fmac_f32_e32 v33, v38, v32
	s_wait_dscnt 0x0
	v_mul_f32_e32 v38, v54, v27
	v_dual_add_f32 v31, v35, v31 :: v_dual_mul_f32 v48, v54, v29
	v_add_f32_e32 v32, v43, v34
	ds_load_2addr_b64 v[34:37], v20 offset0:224 offset1:240
	v_dual_add_f32 v33, v50, v33 :: v_dual_fmac_f32 v38, v55, v26
	v_mul_f32_e32 v47, v55, v27
	v_fmac_f32_e32 v48, v55, v28
	s_wait_loadcnt_dscnt 0x0
	s_barrier_signal -1
	v_add_f32_e32 v38, v45, v38
	v_fma_f32 v43, v54, v26, -v47
	v_mul_f32_e32 v47, v55, v29
	v_mul_f32_e32 v45, v40, v29
	;; [unrolled: 1-line block ×3, first 2 shown]
	s_barrier_wait -1
	v_add_f32_e32 v1, v1, v43
	v_fma_f32 v47, v54, v28, -v47
	v_mul_f32_e32 v43, v40, v27
	v_fmac_f32_e32 v29, v40, v28
	global_inv scope:SCOPE_SE
	v_dual_add_f32 v44, v44, v47 :: v_dual_add_f32 v47, v30, v48
	v_fma_f32 v30, v39, v28, -v45
	v_mul_f32_e32 v27, v39, v27
	s_delay_alu instid0(VALU_DEP_1) | instskip(NEXT) | instid1(VALU_DEP_3)
	v_fmac_f32_e32 v27, v40, v26
	v_add_f32_e32 v40, v32, v30
	v_mul_f32_e32 v30, v57, v37
	v_fma_f32 v43, v39, v26, -v43
	v_mul_f32_e32 v39, v57, v35
	s_delay_alu instid0(VALU_DEP_2) | instskip(NEXT) | instid1(VALU_DEP_2)
	v_add_f32_e32 v26, v46, v43
	v_fma_f32 v28, v56, v34, -v39
	v_add_f32_e32 v39, v33, v29
	v_mul_f32_e32 v29, v41, v35
	s_delay_alu instid0(VALU_DEP_3) | instskip(SKIP_2) | instid1(VALU_DEP_2)
	v_add_f32_e32 v33, v1, v28
	v_fma_f32 v1, v56, v36, -v30
	v_mul_f32_e32 v28, v42, v35
	v_dual_fmac_f32 v29, v42, v34 :: v_dual_add_f32 v30, v44, v1
	s_delay_alu instid0(VALU_DEP_2) | instskip(SKIP_2) | instid1(VALU_DEP_2)
	v_fma_f32 v1, v41, v34, -v28
	v_mul_f32_e32 v43, v56, v35
	v_mul_f32_e32 v35, v42, v37
	v_dual_add_f32 v28, v26, v1 :: v_dual_fmac_f32 v43, v57, v34
	s_delay_alu instid0(VALU_DEP_2) | instskip(NEXT) | instid1(VALU_DEP_2)
	v_fma_f32 v34, v41, v36, -v35
	v_add_f32_e32 v32, v38, v43
	v_add_f32_e32 v27, v31, v27
	v_mul_f32_e32 v31, v56, v37
	v_mul_f32_e32 v37, v41, v37
	s_delay_alu instid0(VALU_DEP_3) | instskip(NEXT) | instid1(VALU_DEP_3)
	v_add_f32_e32 v29, v27, v29
	v_fmac_f32_e32 v31, v57, v36
	s_delay_alu instid0(VALU_DEP_3) | instskip(SKIP_1) | instid1(VALU_DEP_3)
	v_fmac_f32_e32 v37, v42, v36
	v_add_f32_e32 v27, v40, v34
	v_add_f32_e32 v31, v47, v31
	s_delay_alu instid0(VALU_DEP_3)
	v_add_f32_e32 v26, v39, v37
	s_cbranch_scc0 .LBB363_19
.LBB363_11:                             ;   Parent Loop BB363_8 Depth=1
                                        ; =>  This Inner Loop Header: Depth=2
	s_wait_alu 0xfffe
	v_add_nc_u32_e32 v1, s2, v17
	s_delay_alu instid0(VALU_DEP_1) | instskip(SKIP_3) | instid1(SALU_CYCLE_1)
	v_cmp_le_i32_e32 vcc_lo, s21, v1
	s_or_b32 s3, s12, vcc_lo
	s_wait_alu 0xfffe
	s_and_saveexec_b32 s24, s3
	s_xor_b32 s3, exec_lo, s24
; %bb.12:                               ;   in Loop: Header=BB363_11 Depth=2
	v_mov_b32_e32 v1, v0
	ds_store_b64 v18, v[0:1]
; %bb.13:                               ;   in Loop: Header=BB363_11 Depth=2
	s_wait_alu 0xfffe
	s_and_not1_saveexec_b32 s3, s3
	s_cbranch_execz .LBB363_15
; %bb.14:                               ;   in Loop: Header=BB363_11 Depth=2
	flat_load_b64 v[34:35], v[12:13]
	s_wait_loadcnt_dscnt 0x0
	ds_store_b64 v18, v[34:35]
.LBB363_15:                             ;   in Loop: Header=BB363_11 Depth=2
	s_wait_alu 0xfffe
	s_or_b32 exec_lo, exec_lo, s3
	v_add_nc_u32_e32 v1, s2, v16
	s_delay_alu instid0(VALU_DEP_1) | instskip(SKIP_3) | instid1(SALU_CYCLE_1)
	v_cmp_le_i32_e32 vcc_lo, s21, v1
	s_or_b32 s3, vcc_lo, s13
	s_wait_alu 0xfffe
	s_and_saveexec_b32 s24, s3
	s_xor_b32 s3, exec_lo, s24
; %bb.16:                               ;   in Loop: Header=BB363_11 Depth=2
	v_mov_b32_e32 v1, v0
	ds_store_b64 v19, v[0:1]
; %bb.17:                               ;   in Loop: Header=BB363_11 Depth=2
	s_wait_alu 0xfffe
	s_and_not1_saveexec_b32 s3, s3
	s_cbranch_execz .LBB363_10
; %bb.18:                               ;   in Loop: Header=BB363_11 Depth=2
	flat_load_b64 v[34:35], v[14:15]
	s_wait_loadcnt_dscnt 0x0
	ds_store_b64 v19, v[34:35]
	s_branch .LBB363_10
.LBB363_19:                             ;   in Loop: Header=BB363_8 Depth=1
	s_wait_loadcnt 0x0
	v_add_co_u32 v1, vcc_lo, v10, s0
	s_wait_alu 0xfffd
	v_add_co_ci_u32_e64 v12, null, s1, v11, vcc_lo
	s_delay_alu instid0(VALU_DEP_2) | instskip(SKIP_1) | instid1(VALU_DEP_2)
	v_add_co_u32 v13, vcc_lo, v1, v2
	s_wait_alu 0xfffd
	v_add_co_ci_u32_e64 v14, null, v12, v3, vcc_lo
	s_and_saveexec_b32 s2, s26
	s_cbranch_execz .LBB363_24
; %bb.20:                               ;   in Loop: Header=BB363_8 Depth=1
	v_mul_f32_e32 v11, s4, v32
	v_mul_f32_e32 v10, s5, v32
	s_and_b32 vcc_lo, exec_lo, s9
	s_mov_b32 s3, -1
	s_delay_alu instid0(VALU_DEP_2) | instskip(NEXT) | instid1(VALU_DEP_2)
	v_fmac_f32_e32 v11, s5, v33
	v_fma_f32 v10, v33, s4, -v10
	s_wait_alu 0xfffe
	s_cbranch_vccz .LBB363_22
; %bb.21:                               ;   in Loop: Header=BB363_8 Depth=1
	v_add_co_u32 v32, vcc_lo, v13, v6
	s_wait_alu 0xfffd
	v_add_co_ci_u32_e64 v33, null, v14, v7, vcc_lo
	s_mov_b32 s3, 0
	flat_load_b64 v[34:35], v[32:33]
	s_wait_loadcnt_dscnt 0x0
	v_mul_f32_e32 v15, s15, v35
	v_mul_f32_e32 v35, s14, v35
	s_delay_alu instid0(VALU_DEP_2) | instskip(NEXT) | instid1(VALU_DEP_1)
	v_fma_f32 v15, v34, s14, -v15
	v_dual_fmac_f32 v35, s15, v34 :: v_dual_add_f32 v34, v10, v15
	s_delay_alu instid0(VALU_DEP_1)
	v_add_f32_e32 v35, v11, v35
	flat_store_b64 v[32:33], v[34:35]
.LBB363_22:                             ;   in Loop: Header=BB363_8 Depth=1
	s_wait_alu 0xfffe
	s_and_not1_b32 vcc_lo, exec_lo, s3
	s_wait_alu 0xfffe
	s_cbranch_vccnz .LBB363_24
; %bb.23:                               ;   in Loop: Header=BB363_8 Depth=1
	v_add_co_u32 v32, vcc_lo, v13, v6
	s_wait_alu 0xfffd
	v_add_co_ci_u32_e64 v33, null, v14, v7, vcc_lo
	flat_store_b64 v[32:33], v[10:11]
.LBB363_24:                             ;   in Loop: Header=BB363_8 Depth=1
	s_wait_alu 0xfffe
	s_or_b32 exec_lo, exec_lo, s2
	s_and_saveexec_b32 s2, s27
	s_cbranch_execz .LBB363_29
; %bb.25:                               ;   in Loop: Header=BB363_8 Depth=1
	v_mul_f32_e32 v11, s4, v31
	v_mul_f32_e32 v10, s5, v31
	s_and_not1_b32 vcc_lo, exec_lo, s9
	s_mov_b32 s3, -1
	s_delay_alu instid0(VALU_DEP_2) | instskip(NEXT) | instid1(VALU_DEP_2)
	v_fmac_f32_e32 v11, s5, v30
	v_fma_f32 v10, v30, s4, -v10
	s_wait_alu 0xfffe
	s_cbranch_vccnz .LBB363_27
; %bb.26:                               ;   in Loop: Header=BB363_8 Depth=1
	v_add_co_u32 v30, vcc_lo, v13, v8
	s_wait_alu 0xfffd
	v_add_co_ci_u32_e64 v31, null, v14, v9, vcc_lo
	s_mov_b32 s3, 0
	flat_load_b64 v[32:33], v[30:31]
	s_wait_loadcnt_dscnt 0x0
	v_mul_f32_e32 v15, s15, v33
	s_delay_alu instid0(VALU_DEP_1) | instskip(SKIP_1) | instid1(VALU_DEP_1)
	v_fma_f32 v15, v32, s14, -v15
	v_mul_f32_e32 v33, s14, v33
	v_dual_fmac_f32 v33, s15, v32 :: v_dual_add_f32 v32, v10, v15
	s_delay_alu instid0(VALU_DEP_1)
	v_add_f32_e32 v33, v11, v33
	flat_store_b64 v[30:31], v[32:33]
.LBB363_27:                             ;   in Loop: Header=BB363_8 Depth=1
	s_wait_alu 0xfffe
	s_and_not1_b32 vcc_lo, exec_lo, s3
	s_wait_alu 0xfffe
	s_cbranch_vccnz .LBB363_29
; %bb.28:                               ;   in Loop: Header=BB363_8 Depth=1
	v_add_co_u32 v13, vcc_lo, v13, v8
	s_wait_alu 0xfffd
	v_add_co_ci_u32_e64 v14, null, v14, v9, vcc_lo
	flat_store_b64 v[13:14], v[10:11]
.LBB363_29:                             ;   in Loop: Header=BB363_8 Depth=1
	s_wait_alu 0xfffe
	s_or_b32 exec_lo, exec_lo, s2
	v_add_co_u32 v1, vcc_lo, v1, v4
	s_wait_alu 0xfffd
	v_add_co_ci_u32_e64 v12, null, v12, v5, vcc_lo
	s_and_saveexec_b32 s2, s18
	s_cbranch_execz .LBB363_34
; %bb.30:                               ;   in Loop: Header=BB363_8 Depth=1
	v_mul_f32_e32 v11, s4, v29
	v_mul_f32_e32 v10, s5, v29
	s_and_not1_b32 vcc_lo, exec_lo, s9
	s_mov_b32 s3, -1
	s_delay_alu instid0(VALU_DEP_2) | instskip(NEXT) | instid1(VALU_DEP_2)
	v_fmac_f32_e32 v11, s5, v28
	v_fma_f32 v10, v28, s4, -v10
	s_wait_alu 0xfffe
	s_cbranch_vccnz .LBB363_32
; %bb.31:                               ;   in Loop: Header=BB363_8 Depth=1
	v_add_co_u32 v13, vcc_lo, v1, v6
	s_wait_alu 0xfffd
	v_add_co_ci_u32_e64 v14, null, v12, v7, vcc_lo
	s_mov_b32 s3, 0
	flat_load_b64 v[28:29], v[13:14]
	s_wait_loadcnt_dscnt 0x0
	v_mul_f32_e32 v15, s15, v29
	s_delay_alu instid0(VALU_DEP_1) | instskip(SKIP_1) | instid1(VALU_DEP_1)
	v_fma_f32 v15, v28, s14, -v15
	v_mul_f32_e32 v29, s14, v29
	v_dual_fmac_f32 v29, s15, v28 :: v_dual_add_f32 v28, v10, v15
	s_delay_alu instid0(VALU_DEP_1)
	v_add_f32_e32 v29, v11, v29
	flat_store_b64 v[13:14], v[28:29]
.LBB363_32:                             ;   in Loop: Header=BB363_8 Depth=1
	s_wait_alu 0xfffe
	s_and_not1_b32 vcc_lo, exec_lo, s3
	s_wait_alu 0xfffe
	s_cbranch_vccnz .LBB363_34
; %bb.33:                               ;   in Loop: Header=BB363_8 Depth=1
	v_add_co_u32 v13, vcc_lo, v1, v6
	s_wait_alu 0xfffd
	v_add_co_ci_u32_e64 v14, null, v12, v7, vcc_lo
	flat_store_b64 v[13:14], v[10:11]
.LBB363_34:                             ;   in Loop: Header=BB363_8 Depth=1
	s_wait_alu 0xfffe
	s_or_b32 exec_lo, exec_lo, s2
	s_and_saveexec_b32 s2, s20
	s_cbranch_execz .LBB363_7
; %bb.35:                               ;   in Loop: Header=BB363_8 Depth=1
	v_mul_f32_e32 v11, s4, v26
	v_mul_f32_e32 v10, s5, v26
	s_and_not1_b32 vcc_lo, exec_lo, s9
	s_mov_b32 s3, -1
	s_delay_alu instid0(VALU_DEP_2) | instskip(NEXT) | instid1(VALU_DEP_2)
	v_fmac_f32_e32 v11, s5, v27
	v_fma_f32 v10, v27, s4, -v10
	s_wait_alu 0xfffe
	s_cbranch_vccnz .LBB363_37
; %bb.36:                               ;   in Loop: Header=BB363_8 Depth=1
	v_add_co_u32 v13, vcc_lo, v1, v8
	s_wait_alu 0xfffd
	v_add_co_ci_u32_e64 v14, null, v12, v9, vcc_lo
	s_mov_b32 s3, 0
	flat_load_b64 v[26:27], v[13:14]
	s_wait_loadcnt_dscnt 0x0
	v_mul_f32_e32 v15, s15, v27
	v_mul_f32_e32 v27, s14, v27
	s_delay_alu instid0(VALU_DEP_2) | instskip(NEXT) | instid1(VALU_DEP_1)
	v_fma_f32 v15, v26, s14, -v15
	v_dual_fmac_f32 v27, s15, v26 :: v_dual_add_f32 v26, v10, v15
	s_delay_alu instid0(VALU_DEP_1)
	v_add_f32_e32 v27, v11, v27
	flat_store_b64 v[13:14], v[26:27]
.LBB363_37:                             ;   in Loop: Header=BB363_8 Depth=1
	s_wait_alu 0xfffe
	s_and_not1_b32 vcc_lo, exec_lo, s3
	s_wait_alu 0xfffe
	s_cbranch_vccnz .LBB363_7
; %bb.38:                               ;   in Loop: Header=BB363_8 Depth=1
	v_add_co_u32 v13, vcc_lo, v1, v8
	s_wait_alu 0xfffd
	v_add_co_ci_u32_e64 v14, null, v12, v9, vcc_lo
	flat_store_b64 v[13:14], v[10:11]
	s_branch .LBB363_7
.LBB363_39:
	s_endpgm
	.section	.rodata,"a",@progbits
	.p2align	6, 0x0
	.amdhsa_kernel _ZL29rocblas_internal_gemmt_kernelIiLi16ELi32ELi8ELc84ELc78ELc85ELb0ELb0E19rocblas_complex_numIfEPKS1_PKS3_PKPS1_EviT_T9_T10_S9_lSB_S9_lSA_T11_S9_li
		.amdhsa_group_segment_fixed_size 4096
		.amdhsa_private_segment_fixed_size 0
		.amdhsa_kernarg_size 100
		.amdhsa_user_sgpr_count 2
		.amdhsa_user_sgpr_dispatch_ptr 0
		.amdhsa_user_sgpr_queue_ptr 0
		.amdhsa_user_sgpr_kernarg_segment_ptr 1
		.amdhsa_user_sgpr_dispatch_id 0
		.amdhsa_user_sgpr_private_segment_size 0
		.amdhsa_wavefront_size32 1
		.amdhsa_uses_dynamic_stack 0
		.amdhsa_enable_private_segment 0
		.amdhsa_system_sgpr_workgroup_id_x 1
		.amdhsa_system_sgpr_workgroup_id_y 1
		.amdhsa_system_sgpr_workgroup_id_z 1
		.amdhsa_system_sgpr_workgroup_info 0
		.amdhsa_system_vgpr_workitem_id 1
		.amdhsa_next_free_vgpr 71
		.amdhsa_next_free_sgpr 35
		.amdhsa_reserve_vcc 1
		.amdhsa_float_round_mode_32 0
		.amdhsa_float_round_mode_16_64 0
		.amdhsa_float_denorm_mode_32 3
		.amdhsa_float_denorm_mode_16_64 3
		.amdhsa_fp16_overflow 0
		.amdhsa_workgroup_processor_mode 1
		.amdhsa_memory_ordered 1
		.amdhsa_forward_progress 1
		.amdhsa_inst_pref_size 25
		.amdhsa_round_robin_scheduling 0
		.amdhsa_exception_fp_ieee_invalid_op 0
		.amdhsa_exception_fp_denorm_src 0
		.amdhsa_exception_fp_ieee_div_zero 0
		.amdhsa_exception_fp_ieee_overflow 0
		.amdhsa_exception_fp_ieee_underflow 0
		.amdhsa_exception_fp_ieee_inexact 0
		.amdhsa_exception_int_div_zero 0
	.end_amdhsa_kernel
	.section	.text._ZL29rocblas_internal_gemmt_kernelIiLi16ELi32ELi8ELc84ELc78ELc85ELb0ELb0E19rocblas_complex_numIfEPKS1_PKS3_PKPS1_EviT_T9_T10_S9_lSB_S9_lSA_T11_S9_li,"axG",@progbits,_ZL29rocblas_internal_gemmt_kernelIiLi16ELi32ELi8ELc84ELc78ELc85ELb0ELb0E19rocblas_complex_numIfEPKS1_PKS3_PKPS1_EviT_T9_T10_S9_lSB_S9_lSA_T11_S9_li,comdat
.Lfunc_end363:
	.size	_ZL29rocblas_internal_gemmt_kernelIiLi16ELi32ELi8ELc84ELc78ELc85ELb0ELb0E19rocblas_complex_numIfEPKS1_PKS3_PKPS1_EviT_T9_T10_S9_lSB_S9_lSA_T11_S9_li, .Lfunc_end363-_ZL29rocblas_internal_gemmt_kernelIiLi16ELi32ELi8ELc84ELc78ELc85ELb0ELb0E19rocblas_complex_numIfEPKS1_PKS3_PKPS1_EviT_T9_T10_S9_lSB_S9_lSA_T11_S9_li
                                        ; -- End function
	.set _ZL29rocblas_internal_gemmt_kernelIiLi16ELi32ELi8ELc84ELc78ELc85ELb0ELb0E19rocblas_complex_numIfEPKS1_PKS3_PKPS1_EviT_T9_T10_S9_lSB_S9_lSA_T11_S9_li.num_vgpr, 71
	.set _ZL29rocblas_internal_gemmt_kernelIiLi16ELi32ELi8ELc84ELc78ELc85ELb0ELb0E19rocblas_complex_numIfEPKS1_PKS3_PKPS1_EviT_T9_T10_S9_lSB_S9_lSA_T11_S9_li.num_agpr, 0
	.set _ZL29rocblas_internal_gemmt_kernelIiLi16ELi32ELi8ELc84ELc78ELc85ELb0ELb0E19rocblas_complex_numIfEPKS1_PKS3_PKPS1_EviT_T9_T10_S9_lSB_S9_lSA_T11_S9_li.numbered_sgpr, 35
	.set _ZL29rocblas_internal_gemmt_kernelIiLi16ELi32ELi8ELc84ELc78ELc85ELb0ELb0E19rocblas_complex_numIfEPKS1_PKS3_PKPS1_EviT_T9_T10_S9_lSB_S9_lSA_T11_S9_li.num_named_barrier, 0
	.set _ZL29rocblas_internal_gemmt_kernelIiLi16ELi32ELi8ELc84ELc78ELc85ELb0ELb0E19rocblas_complex_numIfEPKS1_PKS3_PKPS1_EviT_T9_T10_S9_lSB_S9_lSA_T11_S9_li.private_seg_size, 0
	.set _ZL29rocblas_internal_gemmt_kernelIiLi16ELi32ELi8ELc84ELc78ELc85ELb0ELb0E19rocblas_complex_numIfEPKS1_PKS3_PKPS1_EviT_T9_T10_S9_lSB_S9_lSA_T11_S9_li.uses_vcc, 1
	.set _ZL29rocblas_internal_gemmt_kernelIiLi16ELi32ELi8ELc84ELc78ELc85ELb0ELb0E19rocblas_complex_numIfEPKS1_PKS3_PKPS1_EviT_T9_T10_S9_lSB_S9_lSA_T11_S9_li.uses_flat_scratch, 0
	.set _ZL29rocblas_internal_gemmt_kernelIiLi16ELi32ELi8ELc84ELc78ELc85ELb0ELb0E19rocblas_complex_numIfEPKS1_PKS3_PKPS1_EviT_T9_T10_S9_lSB_S9_lSA_T11_S9_li.has_dyn_sized_stack, 0
	.set _ZL29rocblas_internal_gemmt_kernelIiLi16ELi32ELi8ELc84ELc78ELc85ELb0ELb0E19rocblas_complex_numIfEPKS1_PKS3_PKPS1_EviT_T9_T10_S9_lSB_S9_lSA_T11_S9_li.has_recursion, 0
	.set _ZL29rocblas_internal_gemmt_kernelIiLi16ELi32ELi8ELc84ELc78ELc85ELb0ELb0E19rocblas_complex_numIfEPKS1_PKS3_PKPS1_EviT_T9_T10_S9_lSB_S9_lSA_T11_S9_li.has_indirect_call, 0
	.section	.AMDGPU.csdata,"",@progbits
; Kernel info:
; codeLenInByte = 3176
; TotalNumSgprs: 37
; NumVgprs: 71
; ScratchSize: 0
; MemoryBound: 1
; FloatMode: 240
; IeeeMode: 1
; LDSByteSize: 4096 bytes/workgroup (compile time only)
; SGPRBlocks: 0
; VGPRBlocks: 8
; NumSGPRsForWavesPerEU: 37
; NumVGPRsForWavesPerEU: 71
; Occupancy: 16
; WaveLimiterHint : 1
; COMPUTE_PGM_RSRC2:SCRATCH_EN: 0
; COMPUTE_PGM_RSRC2:USER_SGPR: 2
; COMPUTE_PGM_RSRC2:TRAP_HANDLER: 0
; COMPUTE_PGM_RSRC2:TGID_X_EN: 1
; COMPUTE_PGM_RSRC2:TGID_Y_EN: 1
; COMPUTE_PGM_RSRC2:TGID_Z_EN: 1
; COMPUTE_PGM_RSRC2:TIDIG_COMP_CNT: 1
	.section	.text._ZL29rocblas_internal_gemmt_kernelIiLi16ELi32ELi8ELc84ELc84ELc85ELb0ELb0E19rocblas_complex_numIfEPKS1_PKS3_PKPS1_EviT_T9_T10_S9_lSB_S9_lSA_T11_S9_li,"axG",@progbits,_ZL29rocblas_internal_gemmt_kernelIiLi16ELi32ELi8ELc84ELc84ELc85ELb0ELb0E19rocblas_complex_numIfEPKS1_PKS3_PKPS1_EviT_T9_T10_S9_lSB_S9_lSA_T11_S9_li,comdat
	.globl	_ZL29rocblas_internal_gemmt_kernelIiLi16ELi32ELi8ELc84ELc84ELc85ELb0ELb0E19rocblas_complex_numIfEPKS1_PKS3_PKPS1_EviT_T9_T10_S9_lSB_S9_lSA_T11_S9_li ; -- Begin function _ZL29rocblas_internal_gemmt_kernelIiLi16ELi32ELi8ELc84ELc84ELc85ELb0ELb0E19rocblas_complex_numIfEPKS1_PKS3_PKPS1_EviT_T9_T10_S9_lSB_S9_lSA_T11_S9_li
	.p2align	8
	.type	_ZL29rocblas_internal_gemmt_kernelIiLi16ELi32ELi8ELc84ELc84ELc85ELb0ELb0E19rocblas_complex_numIfEPKS1_PKS3_PKPS1_EviT_T9_T10_S9_lSB_S9_lSA_T11_S9_li,@function
_ZL29rocblas_internal_gemmt_kernelIiLi16ELi32ELi8ELc84ELc84ELc85ELb0ELb0E19rocblas_complex_numIfEPKS1_PKS3_PKPS1_EviT_T9_T10_S9_lSB_S9_lSA_T11_S9_li: ; @_ZL29rocblas_internal_gemmt_kernelIiLi16ELi32ELi8ELc84ELc84ELc85ELb0ELb0E19rocblas_complex_numIfEPKS1_PKS3_PKPS1_EviT_T9_T10_S9_lSB_S9_lSA_T11_S9_li
; %bb.0:
	s_load_b128 s[12:15], s[0:1], 0x38
	s_wait_kmcnt 0x0
	s_load_b64 s[14:15], s[14:15], 0x0
	s_clause 0x1
	s_load_b128 s[4:7], s[0:1], 0x8
	s_load_b64 s[20:21], s[0:1], 0x0
	s_wait_kmcnt 0x0
	s_load_b64 s[4:5], s[4:5], 0x0
	s_cmp_eq_f32 s14, 1.0
	s_cselect_b32 s2, -1, 0
	s_and_b32 s3, s15, 0x7fffffff
	s_delay_alu instid0(SALU_CYCLE_1) | instskip(SKIP_1) | instid1(SALU_CYCLE_1)
	s_cmp_eq_u32 s3, 0
	s_cselect_b32 s3, -1, 0
	s_and_b32 s8, s2, s3
	s_mov_b32 s2, 0
	s_and_not1_b32 vcc_lo, exec_lo, s8
	s_mov_b32 s8, -1
	s_cbranch_vccnz .LBB364_4
; %bb.1:
	s_cmp_lg_u32 s21, 0
	s_cbranch_scc0 .LBB364_3
; %bb.2:
	s_wait_kmcnt 0x0
	s_cmp_neq_f32 s4, 0
	s_cselect_b32 s2, -1, 0
	s_cmp_neq_f32 s5, 0
	s_cselect_b32 s8, -1, 0
	s_delay_alu instid0(SALU_CYCLE_1)
	s_or_b32 s2, s2, s8
.LBB364_3:
	s_delay_alu instid0(SALU_CYCLE_1)
	s_mov_b32 s8, s2
.LBB364_4:
	s_delay_alu instid0(SALU_CYCLE_1)
	s_and_b32 vcc_lo, exec_lo, s8
	s_cbranch_vccz .LBB364_39
; %bb.5:
	s_load_b32 s19, s[0:1], 0x60
	s_lshr_b32 s22, ttmp7, 16
	s_wait_kmcnt 0x0
	s_cmp_ge_u32 s22, s19
	s_cbranch_scc1 .LBB364_39
; %bb.6:
	s_clause 0x2
	s_load_b32 s24, s[0:1], 0x30
	s_load_b32 s30, s[0:1], 0x18
	s_load_b128 s[8:11], s[0:1], 0x20
	v_and_b32_e32 v1, 0x3ff, v0
	v_bfe_u32 v2, v0, 10, 10
	v_and_b32_e32 v16, 7, v0
	s_clause 0x1
	s_load_b96 s[16:18], s[0:1], 0x48
	s_load_b64 s[26:27], s[0:1], 0x58
	s_lshl_b32 s1, ttmp7, 5
	s_lshl_b32 s0, ttmp9, 5
	v_lshl_add_u32 v0, v2, 4, v1
	s_and_b32 s1, s1, 0x1fffe0
	v_lshlrev_b32_e32 v3, 3, v16
	v_add_nc_u32_e32 v4, s1, v2
	v_add_nc_u32_e32 v6, s0, v1
	v_lshrrev_b32_e32 v7, 3, v0
	v_and_b32_e32 v5, 31, v0
	v_lshrrev_b32_e32 v17, 5, v0
	v_lshlrev_b32_e32 v20, 3, v1
	v_add_nc_u32_e32 v8, 16, v6
	v_add_nc_u32_e32 v14, s1, v7
	s_wait_kmcnt 0x0
	s_ashr_i32 s25, s24, 31
	s_cmp_neq_f32 s4, 0
	v_or_b32_e32 v0, s0, v5
	v_lshlrev_b32_e32 v5, 3, v5
	v_lshl_or_b32 v3, v7, 6, v3
	s_cselect_b32 s1, -1, 0
	s_cmp_neq_f32 s5, 0
	v_lshl_add_u32 v21, v2, 6, 0x800
	v_lshl_or_b32 v18, v17, 8, v5
	v_add_nc_u32_e32 v19, 0x800, v3
	s_cselect_b32 s2, -1, 0
	v_mad_co_i64_i32 v[1:2], null, v4, s18, 0
	s_wait_alu 0xfffe
	s_or_b32 s31, s1, s2
	s_cmp_gt_i32 s21, 0
	v_cmp_gt_i32_e64 s1, s20, v4
	s_cselect_b32 s33, -1, 0
	s_cmp_neq_f32 s14, 0
	v_cmp_le_i32_e64 s2, v6, v4
	v_add_nc_u32_e32 v5, 16, v4
	v_mad_co_i64_i32 v[10:11], null, s24, v16, 0
	s_cselect_b32 s34, -1, 0
	s_xor_b32 s35, s3, -1
	v_cmp_le_i32_e64 s3, v8, v4
	v_mad_co_i64_i32 v[3:4], null, s30, v0, 0
	s_and_b32 s28, s1, s2
	v_cmp_le_i32_e64 s2, v6, v5
	s_and_b32 s29, s1, s3
	v_cmp_gt_i32_e64 s1, s20, v5
	v_cmp_le_i32_e64 s3, v8, v5
	v_cmp_gt_i32_e32 vcc_lo, s20, v0
	v_lshlrev_b64_e32 v[3:4], 3, v[3:4]
	v_cmp_gt_i32_e64 s0, s20, v14
	v_mad_co_i64_i32 v[12:13], null, v5, s18, 0
	s_and_b32 s18, s1, s2
	s_and_b32 s20, s1, s3
	s_lshl_b64 s[2:3], s[8:9], 3
	v_lshlrev_b64_e32 v[10:11], 3, v[10:11]
	v_add_co_u32 v3, s1, v3, s2
	s_wait_alu 0xf1ff
	v_add_co_ci_u32_e64 v4, null, s3, v4, s1
	v_lshlrev_b32_e32 v5, 3, v17
	s_lshl_b64 s[2:3], s[12:13], 3
	v_lshlrev_b32_e32 v14, 3, v14
	s_wait_alu 0xfffe
	v_add_co_u32 v10, s1, v10, s2
	v_ashrrev_i32_e32 v7, 31, v6
	v_ashrrev_i32_e32 v9, 31, v8
	s_wait_alu 0xf1ff
	v_add_co_ci_u32_e64 v11, null, s3, v11, s1
	v_add_co_u32 v22, s1, v3, v5
	s_wait_alu 0xf1ff
	v_add_co_ci_u32_e64 v23, null, 0, v4, s1
	v_add_co_u32 v24, s1, v10, v14
	v_lshlrev_b64_e32 v[2:3], 3, v[1:2]
	v_lshlrev_b64_e32 v[4:5], 3, v[12:13]
	;; [unrolled: 1-line block ×4, first 2 shown]
	v_mov_b32_e32 v0, 0
	s_wait_alu 0xf1ff
	v_add_co_ci_u32_e64 v25, null, 0, v11, s1
	s_mov_b32 s23, 0
	s_lshl_b64 s[2:3], s[24:25], 6
	s_and_b32 s12, s31, s33
	s_or_b32 s13, s34, s35
	s_xor_b32 s24, vcc_lo, -1
	s_xor_b32 s25, s0, -1
	s_lshl_b64 s[0:1], s[26:27], 3
	s_branch .LBB364_8
.LBB364_7:                              ;   in Loop: Header=BB364_8 Depth=1
	s_wait_alu 0xfffe
	s_or_b32 exec_lo, exec_lo, s8
	s_add_co_i32 s22, s22, 0x10000
	s_delay_alu instid0(SALU_CYCLE_1)
	s_cmp_lt_u32 s22, s19
	s_cbranch_scc0 .LBB364_39
.LBB364_8:                              ; =>This Loop Header: Depth=1
                                        ;     Child Loop BB364_11 Depth 2
	s_lshl_b64 s[8:9], s[22:23], 3
	v_dual_mov_b32 v33, v0 :: v_dual_mov_b32 v32, v0
	s_wait_alu 0xfffe
	s_add_nc_u64 s[26:27], s[16:17], s[8:9]
	v_dual_mov_b32 v30, v0 :: v_dual_mov_b32 v31, v0
	global_load_b64 v[10:11], v0, s[26:27]
	v_dual_mov_b32 v28, v0 :: v_dual_mov_b32 v29, v0
	v_dual_mov_b32 v27, v0 :: v_dual_mov_b32 v26, v0
	s_and_not1_b32 vcc_lo, exec_lo, s12
	s_wait_alu 0xfffe
	s_cbranch_vccnz .LBB364_19
; %bb.9:                                ;   in Loop: Header=BB364_8 Depth=1
	s_add_nc_u64 s[26:27], s[6:7], s[8:9]
	s_add_nc_u64 s[8:9], s[10:11], s[8:9]
	s_clause 0x1
	global_load_b64 v[12:13], v0, s[26:27]
	global_load_b64 v[14:15], v0, s[8:9]
	v_dual_mov_b32 v26, 0 :: v_dual_mov_b32 v27, 0
	v_dual_mov_b32 v29, 0 :: v_dual_mov_b32 v28, 0
	;; [unrolled: 1-line block ×4, first 2 shown]
	s_mov_b32 s8, 0
	s_wait_loadcnt 0x1
	v_add_co_u32 v12, vcc_lo, v12, v22
	s_wait_alu 0xfffd
	v_add_co_ci_u32_e64 v13, null, v13, v23, vcc_lo
	s_wait_loadcnt 0x0
	v_add_co_u32 v14, vcc_lo, v14, v24
	s_wait_alu 0xfffd
	v_add_co_ci_u32_e64 v15, null, v15, v25, vcc_lo
	s_branch .LBB364_11
.LBB364_10:                             ;   in Loop: Header=BB364_11 Depth=2
	s_wait_alu 0xfffe
	s_or_b32 exec_lo, exec_lo, s9
	s_wait_dscnt 0x0
	s_barrier_signal -1
	s_barrier_wait -1
	global_inv scope:SCOPE_SE
	ds_load_b128 v[34:37], v21
	ds_load_2addr_b64 v[38:41], v20 offset1:16
	ds_load_b128 v[42:45], v21 offset:1024
	ds_load_b128 v[46:49], v21 offset:16
	;; [unrolled: 1-line block ×4, first 2 shown]
	ds_load_2addr_b64 v[58:61], v20 offset0:32 offset1:48
	ds_load_b128 v[62:65], v21 offset:1040
	v_add_co_u32 v12, vcc_lo, v12, 64
	s_wait_alu 0xfffd
	v_add_co_ci_u32_e64 v13, null, 0, v13, vcc_lo
	v_add_co_u32 v14, vcc_lo, v14, s2
	s_wait_alu 0xfffd
	v_add_co_ci_u32_e64 v15, null, s3, v15, vcc_lo
	s_add_co_i32 s8, s8, 8
	s_wait_alu 0xfffe
	s_cmp_lt_i32 s8, s21
	s_wait_dscnt 0x6
	v_dual_mul_f32 v1, v35, v39 :: v_dual_mul_f32 v68, v34, v41
	v_dual_mul_f32 v66, v34, v39 :: v_dual_mul_f32 v67, v35, v41
	s_wait_dscnt 0x5
	v_mul_f32_e32 v70, v43, v41
	s_delay_alu instid0(VALU_DEP_3) | instskip(SKIP_3) | instid1(VALU_DEP_4)
	v_fma_f32 v1, v34, v38, -v1
	v_dual_mul_f32 v41, v42, v41 :: v_dual_fmac_f32 v68, v35, v40
	v_fmac_f32_e32 v66, v35, v38
	v_fma_f32 v34, v34, v40, -v67
	v_add_f32_e32 v1, v33, v1
	v_mul_f32_e32 v69, v43, v39
	s_delay_alu instid0(VALU_DEP_4) | instskip(NEXT) | instid1(VALU_DEP_4)
	v_dual_mul_f32 v39, v42, v39 :: v_dual_add_f32 v32, v32, v66
	v_add_f32_e32 v33, v30, v34
	v_fmac_f32_e32 v41, v43, v40
	s_delay_alu instid0(VALU_DEP_4) | instskip(NEXT) | instid1(VALU_DEP_4)
	v_fma_f32 v35, v42, v38, -v69
	v_fmac_f32_e32 v39, v43, v38
	v_fma_f32 v38, v42, v40, -v70
	s_wait_dscnt 0x1
	v_dual_mul_f32 v40, v36, v59 :: v_dual_add_f32 v31, v31, v68
	v_mul_f32_e32 v42, v37, v61
	v_add_f32_e32 v34, v28, v35
	v_dual_add_f32 v35, v29, v39 :: v_dual_add_f32 v38, v27, v38
	ds_load_2addr_b64 v[27:30], v20 offset0:64 offset1:80
	v_fmac_f32_e32 v40, v37, v58
	v_dual_mul_f32 v39, v37, v59 :: v_dual_add_f32 v26, v26, v41
	v_mul_f32_e32 v41, v36, v61
	s_delay_alu instid0(VALU_DEP_3) | instskip(NEXT) | instid1(VALU_DEP_3)
	v_add_f32_e32 v40, v32, v40
	v_fma_f32 v39, v36, v58, -v39
	v_fma_f32 v36, v36, v60, -v42
	v_mul_f32_e32 v32, v44, v59
	s_delay_alu instid0(VALU_DEP_3) | instskip(SKIP_1) | instid1(VALU_DEP_4)
	v_add_f32_e32 v1, v1, v39
	v_mul_f32_e32 v39, v45, v59
	v_add_f32_e32 v36, v33, v36
	v_fmac_f32_e32 v41, v37, v60
	v_mul_f32_e32 v37, v45, v61
	v_fmac_f32_e32 v32, v45, v58
	v_fma_f32 v33, v44, v58, -v39
	s_delay_alu instid0(VALU_DEP_4) | instskip(SKIP_4) | instid1(VALU_DEP_3)
	v_add_f32_e32 v39, v31, v41
	v_mul_f32_e32 v41, v44, v61
	v_fma_f32 v31, v44, v60, -v37
	s_wait_dscnt 0x0
	v_dual_add_f32 v42, v34, v33 :: v_dual_mul_f32 v33, v47, v28
	v_dual_mul_f32 v44, v47, v30 :: v_dual_fmac_f32 v41, v45, v60
	v_mul_f32_e32 v37, v46, v28
	v_add_f32_e32 v38, v38, v31
	s_delay_alu instid0(VALU_DEP_3) | instskip(SKIP_3) | instid1(VALU_DEP_2)
	v_add_f32_e32 v41, v26, v41
	v_mul_f32_e32 v26, v46, v30
	v_fma_f32 v43, v46, v27, -v33
	v_fmac_f32_e32 v37, v47, v27
	v_dual_fmac_f32 v26, v47, v29 :: v_dual_add_f32 v1, v1, v43
	v_fma_f32 v43, v46, v29, -v44
	v_add_f32_e32 v35, v35, v32
	ds_load_2addr_b64 v[31:34], v20 offset0:96 offset1:112
	v_dual_add_f32 v37, v40, v37 :: v_dual_mul_f32 v40, v63, v28
	v_mul_f32_e32 v28, v62, v28
	v_dual_add_f32 v36, v36, v43 :: v_dual_mul_f32 v43, v63, v30
	v_mul_f32_e32 v30, v62, v30
	s_delay_alu instid0(VALU_DEP_4) | instskip(NEXT) | instid1(VALU_DEP_4)
	v_fma_f32 v40, v62, v27, -v40
	v_fmac_f32_e32 v28, v63, v27
	v_add_f32_e32 v39, v39, v26
	v_fma_f32 v26, v62, v29, -v43
	v_fmac_f32_e32 v30, v63, v29
	v_add_f32_e32 v40, v42, v40
	s_delay_alu instid0(VALU_DEP_3)
	v_dual_add_f32 v42, v35, v28 :: v_dual_add_f32 v43, v38, v26
	ds_load_2addr_b64 v[26:29], v20 offset0:128 offset1:144
	s_wait_dscnt 0x1
	v_mul_f32_e32 v35, v49, v32
	v_mul_f32_e32 v38, v48, v32
	;; [unrolled: 1-line block ×4, first 2 shown]
	s_delay_alu instid0(VALU_DEP_4) | instskip(NEXT) | instid1(VALU_DEP_4)
	v_fma_f32 v35, v48, v31, -v35
	v_fmac_f32_e32 v38, v49, v31
	s_delay_alu instid0(VALU_DEP_2) | instskip(SKIP_1) | instid1(VALU_DEP_3)
	v_add_f32_e32 v1, v1, v35
	v_mul_f32_e32 v35, v65, v32
	v_dual_mul_f32 v32, v64, v32 :: v_dual_add_f32 v45, v37, v38
	s_delay_alu instid0(VALU_DEP_2) | instskip(NEXT) | instid1(VALU_DEP_2)
	v_fma_f32 v46, v64, v31, -v35
	v_fmac_f32_e32 v32, v65, v31
	s_wait_dscnt 0x0
	v_mul_f32_e32 v31, v51, v27
	v_fma_f32 v44, v48, v33, -v44
	v_add_f32_e32 v41, v41, v30
	v_mul_f32_e32 v30, v48, v34
	v_mul_f32_e32 v58, v50, v29
	s_delay_alu instid0(VALU_DEP_4) | instskip(SKIP_2) | instid1(VALU_DEP_1)
	v_add_f32_e32 v44, v36, v44
	ds_load_b128 v[35:38], v21 offset:1056
	v_dual_fmac_f32 v30, v49, v33 :: v_dual_mul_f32 v49, v50, v27
	v_add_f32_e32 v48, v39, v30
	v_fma_f32 v30, v64, v33, -v47
	v_fma_f32 v39, v50, v26, -v31
	v_mul_f32_e32 v34, v64, v34
	v_fmac_f32_e32 v49, v51, v26
	v_add_f32_e32 v46, v40, v46
	v_add_f32_e32 v43, v43, v30
	;; [unrolled: 1-line block ×4, first 2 shown]
	v_fmac_f32_e32 v34, v65, v33
	ds_load_2addr_b64 v[30:33], v20 offset0:160 offset1:176
	v_mul_f32_e32 v40, v51, v29
	v_add_f32_e32 v45, v45, v49
	v_add_f32_e32 v34, v41, v34
	s_delay_alu instid0(VALU_DEP_3)
	v_fma_f32 v50, v50, v28, -v40
	ds_load_b128 v[39:42], v21 offset:1072
	s_wait_dscnt 0x2
	v_mul_f32_e32 v59, v36, v27
	v_dual_mul_f32 v27, v35, v27 :: v_dual_add_f32 v44, v44, v50
	v_fmac_f32_e32 v58, v51, v28
	v_mul_f32_e32 v50, v36, v29
	s_delay_alu instid0(VALU_DEP_4) | instskip(NEXT) | instid1(VALU_DEP_4)
	v_fma_f32 v49, v35, v26, -v59
	v_fmac_f32_e32 v27, v36, v26
	s_delay_alu instid0(VALU_DEP_4) | instskip(SKIP_1) | instid1(VALU_DEP_3)
	v_dual_mul_f32 v51, v35, v29 :: v_dual_add_f32 v48, v48, v58
	s_wait_dscnt 0x1
	v_dual_add_f32 v46, v46, v49 :: v_dual_mul_f32 v29, v53, v31
	v_fma_f32 v26, v35, v28, -v50
	v_add_f32_e32 v35, v47, v27
	v_fmac_f32_e32 v51, v36, v28
	v_mul_f32_e32 v36, v52, v31
	v_fma_f32 v47, v52, v30, -v29
	v_add_f32_e32 v43, v43, v26
	ds_load_2addr_b64 v[26:29], v20 offset0:192 offset1:208
	v_fmac_f32_e32 v36, v53, v30
	v_dual_mul_f32 v49, v53, v33 :: v_dual_add_f32 v50, v34, v51
	v_dual_add_f32 v1, v1, v47 :: v_dual_mul_f32 v34, v52, v33
	s_delay_alu instid0(VALU_DEP_3) | instskip(NEXT) | instid1(VALU_DEP_3)
	v_dual_add_f32 v45, v45, v36 :: v_dual_mul_f32 v36, v38, v31
	v_fma_f32 v47, v52, v32, -v49
	s_delay_alu instid0(VALU_DEP_3) | instskip(NEXT) | instid1(VALU_DEP_3)
	v_fmac_f32_e32 v34, v53, v32
	v_fma_f32 v36, v37, v30, -v36
	s_delay_alu instid0(VALU_DEP_3) | instskip(SKIP_1) | instid1(VALU_DEP_3)
	v_dual_add_f32 v44, v44, v47 :: v_dual_mul_f32 v47, v38, v33
	v_mul_f32_e32 v31, v37, v31
	v_dual_mul_f32 v33, v37, v33 :: v_dual_add_f32 v46, v46, v36
	s_delay_alu instid0(VALU_DEP_2) | instskip(SKIP_2) | instid1(VALU_DEP_4)
	v_fmac_f32_e32 v31, v38, v30
	v_add_f32_e32 v30, v48, v34
	v_fma_f32 v34, v37, v32, -v47
	v_fmac_f32_e32 v33, v38, v32
	s_wait_dscnt 0x0
	v_mul_f32_e32 v38, v54, v27
	v_dual_add_f32 v31, v35, v31 :: v_dual_mul_f32 v48, v54, v29
	v_add_f32_e32 v32, v43, v34
	ds_load_2addr_b64 v[34:37], v20 offset0:224 offset1:240
	v_dual_add_f32 v33, v50, v33 :: v_dual_fmac_f32 v38, v55, v26
	v_mul_f32_e32 v47, v55, v27
	v_fmac_f32_e32 v48, v55, v28
	s_wait_loadcnt_dscnt 0x0
	s_barrier_signal -1
	v_add_f32_e32 v38, v45, v38
	v_fma_f32 v43, v54, v26, -v47
	v_mul_f32_e32 v47, v55, v29
	v_mul_f32_e32 v45, v40, v29
	;; [unrolled: 1-line block ×3, first 2 shown]
	s_barrier_wait -1
	v_add_f32_e32 v1, v1, v43
	v_fma_f32 v47, v54, v28, -v47
	v_mul_f32_e32 v43, v40, v27
	v_fmac_f32_e32 v29, v40, v28
	global_inv scope:SCOPE_SE
	v_dual_add_f32 v44, v44, v47 :: v_dual_add_f32 v47, v30, v48
	v_fma_f32 v30, v39, v28, -v45
	v_mul_f32_e32 v27, v39, v27
	s_delay_alu instid0(VALU_DEP_1) | instskip(NEXT) | instid1(VALU_DEP_3)
	v_fmac_f32_e32 v27, v40, v26
	v_add_f32_e32 v40, v32, v30
	v_mul_f32_e32 v30, v57, v37
	v_fma_f32 v43, v39, v26, -v43
	v_mul_f32_e32 v39, v57, v35
	s_delay_alu instid0(VALU_DEP_2) | instskip(NEXT) | instid1(VALU_DEP_2)
	v_add_f32_e32 v26, v46, v43
	v_fma_f32 v28, v56, v34, -v39
	v_add_f32_e32 v39, v33, v29
	v_mul_f32_e32 v29, v41, v35
	s_delay_alu instid0(VALU_DEP_3) | instskip(SKIP_2) | instid1(VALU_DEP_2)
	v_add_f32_e32 v33, v1, v28
	v_fma_f32 v1, v56, v36, -v30
	v_mul_f32_e32 v28, v42, v35
	v_dual_fmac_f32 v29, v42, v34 :: v_dual_add_f32 v30, v44, v1
	s_delay_alu instid0(VALU_DEP_2) | instskip(SKIP_2) | instid1(VALU_DEP_2)
	v_fma_f32 v1, v41, v34, -v28
	v_mul_f32_e32 v43, v56, v35
	v_mul_f32_e32 v35, v42, v37
	v_dual_add_f32 v28, v26, v1 :: v_dual_fmac_f32 v43, v57, v34
	s_delay_alu instid0(VALU_DEP_2) | instskip(NEXT) | instid1(VALU_DEP_2)
	v_fma_f32 v34, v41, v36, -v35
	v_add_f32_e32 v32, v38, v43
	v_add_f32_e32 v27, v31, v27
	v_mul_f32_e32 v31, v56, v37
	v_mul_f32_e32 v37, v41, v37
	s_delay_alu instid0(VALU_DEP_3) | instskip(NEXT) | instid1(VALU_DEP_3)
	v_add_f32_e32 v29, v27, v29
	v_fmac_f32_e32 v31, v57, v36
	s_delay_alu instid0(VALU_DEP_3) | instskip(SKIP_1) | instid1(VALU_DEP_3)
	v_fmac_f32_e32 v37, v42, v36
	v_add_f32_e32 v27, v40, v34
	v_add_f32_e32 v31, v47, v31
	s_delay_alu instid0(VALU_DEP_3)
	v_add_f32_e32 v26, v39, v37
	s_cbranch_scc0 .LBB364_19
.LBB364_11:                             ;   Parent Loop BB364_8 Depth=1
                                        ; =>  This Inner Loop Header: Depth=2
	s_wait_alu 0xfffe
	v_add_nc_u32_e32 v1, s8, v17
	s_delay_alu instid0(VALU_DEP_1) | instskip(SKIP_3) | instid1(SALU_CYCLE_1)
	v_cmp_le_i32_e32 vcc_lo, s21, v1
	s_or_b32 s9, s24, vcc_lo
	s_wait_alu 0xfffe
	s_and_saveexec_b32 s26, s9
	s_xor_b32 s9, exec_lo, s26
; %bb.12:                               ;   in Loop: Header=BB364_11 Depth=2
	v_mov_b32_e32 v1, v0
	ds_store_b64 v18, v[0:1]
; %bb.13:                               ;   in Loop: Header=BB364_11 Depth=2
	s_wait_alu 0xfffe
	s_and_not1_saveexec_b32 s9, s9
	s_cbranch_execz .LBB364_15
; %bb.14:                               ;   in Loop: Header=BB364_11 Depth=2
	flat_load_b64 v[34:35], v[12:13]
	s_wait_loadcnt_dscnt 0x0
	ds_store_b64 v18, v[34:35]
.LBB364_15:                             ;   in Loop: Header=BB364_11 Depth=2
	s_wait_alu 0xfffe
	s_or_b32 exec_lo, exec_lo, s9
	v_add_nc_u32_e32 v1, s8, v16
	s_delay_alu instid0(VALU_DEP_1) | instskip(SKIP_3) | instid1(SALU_CYCLE_1)
	v_cmp_le_i32_e32 vcc_lo, s21, v1
	s_or_b32 s9, vcc_lo, s25
	s_wait_alu 0xfffe
	s_and_saveexec_b32 s26, s9
	s_xor_b32 s9, exec_lo, s26
; %bb.16:                               ;   in Loop: Header=BB364_11 Depth=2
	v_mov_b32_e32 v1, v0
	ds_store_b64 v19, v[0:1]
; %bb.17:                               ;   in Loop: Header=BB364_11 Depth=2
	s_wait_alu 0xfffe
	s_and_not1_saveexec_b32 s9, s9
	s_cbranch_execz .LBB364_10
; %bb.18:                               ;   in Loop: Header=BB364_11 Depth=2
	flat_load_b64 v[34:35], v[14:15]
	s_wait_loadcnt_dscnt 0x0
	ds_store_b64 v19, v[34:35]
	s_branch .LBB364_10
.LBB364_19:                             ;   in Loop: Header=BB364_8 Depth=1
	s_wait_loadcnt 0x0
	s_wait_alu 0xfffe
	v_add_co_u32 v1, vcc_lo, v10, s0
	s_wait_alu 0xfffd
	v_add_co_ci_u32_e64 v12, null, s1, v11, vcc_lo
	s_delay_alu instid0(VALU_DEP_2) | instskip(SKIP_1) | instid1(VALU_DEP_2)
	v_add_co_u32 v13, vcc_lo, v1, v2
	s_wait_alu 0xfffd
	v_add_co_ci_u32_e64 v14, null, v12, v3, vcc_lo
	s_and_saveexec_b32 s8, s28
	s_cbranch_execz .LBB364_24
; %bb.20:                               ;   in Loop: Header=BB364_8 Depth=1
	v_mul_f32_e32 v11, s4, v32
	v_mul_f32_e32 v10, s5, v32
	s_and_b32 vcc_lo, exec_lo, s13
	s_mov_b32 s9, -1
	s_delay_alu instid0(VALU_DEP_2) | instskip(NEXT) | instid1(VALU_DEP_2)
	v_fmac_f32_e32 v11, s5, v33
	v_fma_f32 v10, v33, s4, -v10
	s_wait_alu 0xfffe
	s_cbranch_vccz .LBB364_22
; %bb.21:                               ;   in Loop: Header=BB364_8 Depth=1
	v_add_co_u32 v32, vcc_lo, v13, v6
	s_wait_alu 0xfffd
	v_add_co_ci_u32_e64 v33, null, v14, v7, vcc_lo
	s_mov_b32 s9, 0
	flat_load_b64 v[34:35], v[32:33]
	s_wait_loadcnt_dscnt 0x0
	v_mul_f32_e32 v15, s15, v35
	v_mul_f32_e32 v35, s14, v35
	s_delay_alu instid0(VALU_DEP_2) | instskip(NEXT) | instid1(VALU_DEP_1)
	v_fma_f32 v15, v34, s14, -v15
	v_dual_fmac_f32 v35, s15, v34 :: v_dual_add_f32 v34, v10, v15
	s_delay_alu instid0(VALU_DEP_1)
	v_add_f32_e32 v35, v11, v35
	flat_store_b64 v[32:33], v[34:35]
.LBB364_22:                             ;   in Loop: Header=BB364_8 Depth=1
	s_wait_alu 0xfffe
	s_and_not1_b32 vcc_lo, exec_lo, s9
	s_wait_alu 0xfffe
	s_cbranch_vccnz .LBB364_24
; %bb.23:                               ;   in Loop: Header=BB364_8 Depth=1
	v_add_co_u32 v32, vcc_lo, v13, v6
	s_wait_alu 0xfffd
	v_add_co_ci_u32_e64 v33, null, v14, v7, vcc_lo
	flat_store_b64 v[32:33], v[10:11]
.LBB364_24:                             ;   in Loop: Header=BB364_8 Depth=1
	s_wait_alu 0xfffe
	s_or_b32 exec_lo, exec_lo, s8
	s_and_saveexec_b32 s8, s29
	s_cbranch_execz .LBB364_29
; %bb.25:                               ;   in Loop: Header=BB364_8 Depth=1
	v_mul_f32_e32 v11, s4, v31
	v_mul_f32_e32 v10, s5, v31
	s_and_not1_b32 vcc_lo, exec_lo, s13
	s_mov_b32 s9, -1
	s_delay_alu instid0(VALU_DEP_2) | instskip(NEXT) | instid1(VALU_DEP_2)
	v_fmac_f32_e32 v11, s5, v30
	v_fma_f32 v10, v30, s4, -v10
	s_wait_alu 0xfffe
	s_cbranch_vccnz .LBB364_27
; %bb.26:                               ;   in Loop: Header=BB364_8 Depth=1
	v_add_co_u32 v30, vcc_lo, v13, v8
	s_wait_alu 0xfffd
	v_add_co_ci_u32_e64 v31, null, v14, v9, vcc_lo
	s_mov_b32 s9, 0
	flat_load_b64 v[32:33], v[30:31]
	s_wait_loadcnt_dscnt 0x0
	v_mul_f32_e32 v15, s15, v33
	s_delay_alu instid0(VALU_DEP_1) | instskip(SKIP_1) | instid1(VALU_DEP_1)
	v_fma_f32 v15, v32, s14, -v15
	v_mul_f32_e32 v33, s14, v33
	v_dual_fmac_f32 v33, s15, v32 :: v_dual_add_f32 v32, v10, v15
	s_delay_alu instid0(VALU_DEP_1)
	v_add_f32_e32 v33, v11, v33
	flat_store_b64 v[30:31], v[32:33]
.LBB364_27:                             ;   in Loop: Header=BB364_8 Depth=1
	s_wait_alu 0xfffe
	s_and_not1_b32 vcc_lo, exec_lo, s9
	s_wait_alu 0xfffe
	s_cbranch_vccnz .LBB364_29
; %bb.28:                               ;   in Loop: Header=BB364_8 Depth=1
	v_add_co_u32 v13, vcc_lo, v13, v8
	s_wait_alu 0xfffd
	v_add_co_ci_u32_e64 v14, null, v14, v9, vcc_lo
	flat_store_b64 v[13:14], v[10:11]
.LBB364_29:                             ;   in Loop: Header=BB364_8 Depth=1
	s_wait_alu 0xfffe
	s_or_b32 exec_lo, exec_lo, s8
	v_add_co_u32 v1, vcc_lo, v1, v4
	s_wait_alu 0xfffd
	v_add_co_ci_u32_e64 v12, null, v12, v5, vcc_lo
	s_and_saveexec_b32 s8, s18
	s_cbranch_execz .LBB364_34
; %bb.30:                               ;   in Loop: Header=BB364_8 Depth=1
	v_mul_f32_e32 v11, s4, v29
	v_mul_f32_e32 v10, s5, v29
	s_and_not1_b32 vcc_lo, exec_lo, s13
	s_mov_b32 s9, -1
	s_delay_alu instid0(VALU_DEP_2) | instskip(NEXT) | instid1(VALU_DEP_2)
	v_fmac_f32_e32 v11, s5, v28
	v_fma_f32 v10, v28, s4, -v10
	s_wait_alu 0xfffe
	s_cbranch_vccnz .LBB364_32
; %bb.31:                               ;   in Loop: Header=BB364_8 Depth=1
	v_add_co_u32 v13, vcc_lo, v1, v6
	s_wait_alu 0xfffd
	v_add_co_ci_u32_e64 v14, null, v12, v7, vcc_lo
	s_mov_b32 s9, 0
	flat_load_b64 v[28:29], v[13:14]
	s_wait_loadcnt_dscnt 0x0
	v_mul_f32_e32 v15, s15, v29
	s_delay_alu instid0(VALU_DEP_1) | instskip(SKIP_1) | instid1(VALU_DEP_1)
	v_fma_f32 v15, v28, s14, -v15
	v_mul_f32_e32 v29, s14, v29
	v_dual_fmac_f32 v29, s15, v28 :: v_dual_add_f32 v28, v10, v15
	s_delay_alu instid0(VALU_DEP_1)
	v_add_f32_e32 v29, v11, v29
	flat_store_b64 v[13:14], v[28:29]
.LBB364_32:                             ;   in Loop: Header=BB364_8 Depth=1
	s_wait_alu 0xfffe
	s_and_not1_b32 vcc_lo, exec_lo, s9
	s_wait_alu 0xfffe
	s_cbranch_vccnz .LBB364_34
; %bb.33:                               ;   in Loop: Header=BB364_8 Depth=1
	v_add_co_u32 v13, vcc_lo, v1, v6
	s_wait_alu 0xfffd
	v_add_co_ci_u32_e64 v14, null, v12, v7, vcc_lo
	flat_store_b64 v[13:14], v[10:11]
.LBB364_34:                             ;   in Loop: Header=BB364_8 Depth=1
	s_wait_alu 0xfffe
	s_or_b32 exec_lo, exec_lo, s8
	s_and_saveexec_b32 s8, s20
	s_cbranch_execz .LBB364_7
; %bb.35:                               ;   in Loop: Header=BB364_8 Depth=1
	v_mul_f32_e32 v11, s4, v26
	v_mul_f32_e32 v10, s5, v26
	s_and_not1_b32 vcc_lo, exec_lo, s13
	s_mov_b32 s9, -1
	s_delay_alu instid0(VALU_DEP_2) | instskip(NEXT) | instid1(VALU_DEP_2)
	v_fmac_f32_e32 v11, s5, v27
	v_fma_f32 v10, v27, s4, -v10
	s_wait_alu 0xfffe
	s_cbranch_vccnz .LBB364_37
; %bb.36:                               ;   in Loop: Header=BB364_8 Depth=1
	v_add_co_u32 v13, vcc_lo, v1, v8
	s_wait_alu 0xfffd
	v_add_co_ci_u32_e64 v14, null, v12, v9, vcc_lo
	s_mov_b32 s9, 0
	flat_load_b64 v[26:27], v[13:14]
	s_wait_loadcnt_dscnt 0x0
	v_mul_f32_e32 v15, s15, v27
	v_mul_f32_e32 v27, s14, v27
	s_delay_alu instid0(VALU_DEP_2) | instskip(NEXT) | instid1(VALU_DEP_1)
	v_fma_f32 v15, v26, s14, -v15
	v_dual_fmac_f32 v27, s15, v26 :: v_dual_add_f32 v26, v10, v15
	s_delay_alu instid0(VALU_DEP_1)
	v_add_f32_e32 v27, v11, v27
	flat_store_b64 v[13:14], v[26:27]
.LBB364_37:                             ;   in Loop: Header=BB364_8 Depth=1
	s_wait_alu 0xfffe
	s_and_not1_b32 vcc_lo, exec_lo, s9
	s_wait_alu 0xfffe
	s_cbranch_vccnz .LBB364_7
; %bb.38:                               ;   in Loop: Header=BB364_8 Depth=1
	v_add_co_u32 v13, vcc_lo, v1, v8
	s_wait_alu 0xfffd
	v_add_co_ci_u32_e64 v14, null, v12, v9, vcc_lo
	flat_store_b64 v[13:14], v[10:11]
	s_branch .LBB364_7
.LBB364_39:
	s_endpgm
	.section	.rodata,"a",@progbits
	.p2align	6, 0x0
	.amdhsa_kernel _ZL29rocblas_internal_gemmt_kernelIiLi16ELi32ELi8ELc84ELc84ELc85ELb0ELb0E19rocblas_complex_numIfEPKS1_PKS3_PKPS1_EviT_T9_T10_S9_lSB_S9_lSA_T11_S9_li
		.amdhsa_group_segment_fixed_size 4096
		.amdhsa_private_segment_fixed_size 0
		.amdhsa_kernarg_size 100
		.amdhsa_user_sgpr_count 2
		.amdhsa_user_sgpr_dispatch_ptr 0
		.amdhsa_user_sgpr_queue_ptr 0
		.amdhsa_user_sgpr_kernarg_segment_ptr 1
		.amdhsa_user_sgpr_dispatch_id 0
		.amdhsa_user_sgpr_private_segment_size 0
		.amdhsa_wavefront_size32 1
		.amdhsa_uses_dynamic_stack 0
		.amdhsa_enable_private_segment 0
		.amdhsa_system_sgpr_workgroup_id_x 1
		.amdhsa_system_sgpr_workgroup_id_y 1
		.amdhsa_system_sgpr_workgroup_id_z 1
		.amdhsa_system_sgpr_workgroup_info 0
		.amdhsa_system_vgpr_workitem_id 1
		.amdhsa_next_free_vgpr 71
		.amdhsa_next_free_sgpr 36
		.amdhsa_reserve_vcc 1
		.amdhsa_float_round_mode_32 0
		.amdhsa_float_round_mode_16_64 0
		.amdhsa_float_denorm_mode_32 3
		.amdhsa_float_denorm_mode_16_64 3
		.amdhsa_fp16_overflow 0
		.amdhsa_workgroup_processor_mode 1
		.amdhsa_memory_ordered 1
		.amdhsa_forward_progress 1
		.amdhsa_inst_pref_size 25
		.amdhsa_round_robin_scheduling 0
		.amdhsa_exception_fp_ieee_invalid_op 0
		.amdhsa_exception_fp_denorm_src 0
		.amdhsa_exception_fp_ieee_div_zero 0
		.amdhsa_exception_fp_ieee_overflow 0
		.amdhsa_exception_fp_ieee_underflow 0
		.amdhsa_exception_fp_ieee_inexact 0
		.amdhsa_exception_int_div_zero 0
	.end_amdhsa_kernel
	.section	.text._ZL29rocblas_internal_gemmt_kernelIiLi16ELi32ELi8ELc84ELc84ELc85ELb0ELb0E19rocblas_complex_numIfEPKS1_PKS3_PKPS1_EviT_T9_T10_S9_lSB_S9_lSA_T11_S9_li,"axG",@progbits,_ZL29rocblas_internal_gemmt_kernelIiLi16ELi32ELi8ELc84ELc84ELc85ELb0ELb0E19rocblas_complex_numIfEPKS1_PKS3_PKPS1_EviT_T9_T10_S9_lSB_S9_lSA_T11_S9_li,comdat
.Lfunc_end364:
	.size	_ZL29rocblas_internal_gemmt_kernelIiLi16ELi32ELi8ELc84ELc84ELc85ELb0ELb0E19rocblas_complex_numIfEPKS1_PKS3_PKPS1_EviT_T9_T10_S9_lSB_S9_lSA_T11_S9_li, .Lfunc_end364-_ZL29rocblas_internal_gemmt_kernelIiLi16ELi32ELi8ELc84ELc84ELc85ELb0ELb0E19rocblas_complex_numIfEPKS1_PKS3_PKPS1_EviT_T9_T10_S9_lSB_S9_lSA_T11_S9_li
                                        ; -- End function
	.set _ZL29rocblas_internal_gemmt_kernelIiLi16ELi32ELi8ELc84ELc84ELc85ELb0ELb0E19rocblas_complex_numIfEPKS1_PKS3_PKPS1_EviT_T9_T10_S9_lSB_S9_lSA_T11_S9_li.num_vgpr, 71
	.set _ZL29rocblas_internal_gemmt_kernelIiLi16ELi32ELi8ELc84ELc84ELc85ELb0ELb0E19rocblas_complex_numIfEPKS1_PKS3_PKPS1_EviT_T9_T10_S9_lSB_S9_lSA_T11_S9_li.num_agpr, 0
	.set _ZL29rocblas_internal_gemmt_kernelIiLi16ELi32ELi8ELc84ELc84ELc85ELb0ELb0E19rocblas_complex_numIfEPKS1_PKS3_PKPS1_EviT_T9_T10_S9_lSB_S9_lSA_T11_S9_li.numbered_sgpr, 36
	.set _ZL29rocblas_internal_gemmt_kernelIiLi16ELi32ELi8ELc84ELc84ELc85ELb0ELb0E19rocblas_complex_numIfEPKS1_PKS3_PKPS1_EviT_T9_T10_S9_lSB_S9_lSA_T11_S9_li.num_named_barrier, 0
	.set _ZL29rocblas_internal_gemmt_kernelIiLi16ELi32ELi8ELc84ELc84ELc85ELb0ELb0E19rocblas_complex_numIfEPKS1_PKS3_PKPS1_EviT_T9_T10_S9_lSB_S9_lSA_T11_S9_li.private_seg_size, 0
	.set _ZL29rocblas_internal_gemmt_kernelIiLi16ELi32ELi8ELc84ELc84ELc85ELb0ELb0E19rocblas_complex_numIfEPKS1_PKS3_PKPS1_EviT_T9_T10_S9_lSB_S9_lSA_T11_S9_li.uses_vcc, 1
	.set _ZL29rocblas_internal_gemmt_kernelIiLi16ELi32ELi8ELc84ELc84ELc85ELb0ELb0E19rocblas_complex_numIfEPKS1_PKS3_PKPS1_EviT_T9_T10_S9_lSB_S9_lSA_T11_S9_li.uses_flat_scratch, 0
	.set _ZL29rocblas_internal_gemmt_kernelIiLi16ELi32ELi8ELc84ELc84ELc85ELb0ELb0E19rocblas_complex_numIfEPKS1_PKS3_PKPS1_EviT_T9_T10_S9_lSB_S9_lSA_T11_S9_li.has_dyn_sized_stack, 0
	.set _ZL29rocblas_internal_gemmt_kernelIiLi16ELi32ELi8ELc84ELc84ELc85ELb0ELb0E19rocblas_complex_numIfEPKS1_PKS3_PKPS1_EviT_T9_T10_S9_lSB_S9_lSA_T11_S9_li.has_recursion, 0
	.set _ZL29rocblas_internal_gemmt_kernelIiLi16ELi32ELi8ELc84ELc84ELc85ELb0ELb0E19rocblas_complex_numIfEPKS1_PKS3_PKPS1_EviT_T9_T10_S9_lSB_S9_lSA_T11_S9_li.has_indirect_call, 0
	.section	.AMDGPU.csdata,"",@progbits
; Kernel info:
; codeLenInByte = 3196
; TotalNumSgprs: 38
; NumVgprs: 71
; ScratchSize: 0
; MemoryBound: 1
; FloatMode: 240
; IeeeMode: 1
; LDSByteSize: 4096 bytes/workgroup (compile time only)
; SGPRBlocks: 0
; VGPRBlocks: 8
; NumSGPRsForWavesPerEU: 38
; NumVGPRsForWavesPerEU: 71
; Occupancy: 16
; WaveLimiterHint : 1
; COMPUTE_PGM_RSRC2:SCRATCH_EN: 0
; COMPUTE_PGM_RSRC2:USER_SGPR: 2
; COMPUTE_PGM_RSRC2:TRAP_HANDLER: 0
; COMPUTE_PGM_RSRC2:TGID_X_EN: 1
; COMPUTE_PGM_RSRC2:TGID_Y_EN: 1
; COMPUTE_PGM_RSRC2:TGID_Z_EN: 1
; COMPUTE_PGM_RSRC2:TIDIG_COMP_CNT: 1
	.section	.text._ZL29rocblas_internal_gemmt_kernelIiLi16ELi32ELi8ELc84ELc67ELc85ELb0ELb1E19rocblas_complex_numIfEPKS1_PKS3_PKPS1_EviT_T9_T10_S9_lSB_S9_lSA_T11_S9_li,"axG",@progbits,_ZL29rocblas_internal_gemmt_kernelIiLi16ELi32ELi8ELc84ELc67ELc85ELb0ELb1E19rocblas_complex_numIfEPKS1_PKS3_PKPS1_EviT_T9_T10_S9_lSB_S9_lSA_T11_S9_li,comdat
	.globl	_ZL29rocblas_internal_gemmt_kernelIiLi16ELi32ELi8ELc84ELc67ELc85ELb0ELb1E19rocblas_complex_numIfEPKS1_PKS3_PKPS1_EviT_T9_T10_S9_lSB_S9_lSA_T11_S9_li ; -- Begin function _ZL29rocblas_internal_gemmt_kernelIiLi16ELi32ELi8ELc84ELc67ELc85ELb0ELb1E19rocblas_complex_numIfEPKS1_PKS3_PKPS1_EviT_T9_T10_S9_lSB_S9_lSA_T11_S9_li
	.p2align	8
	.type	_ZL29rocblas_internal_gemmt_kernelIiLi16ELi32ELi8ELc84ELc67ELc85ELb0ELb1E19rocblas_complex_numIfEPKS1_PKS3_PKPS1_EviT_T9_T10_S9_lSB_S9_lSA_T11_S9_li,@function
_ZL29rocblas_internal_gemmt_kernelIiLi16ELi32ELi8ELc84ELc67ELc85ELb0ELb1E19rocblas_complex_numIfEPKS1_PKS3_PKPS1_EviT_T9_T10_S9_lSB_S9_lSA_T11_S9_li: ; @_ZL29rocblas_internal_gemmt_kernelIiLi16ELi32ELi8ELc84ELc67ELc85ELb0ELb1E19rocblas_complex_numIfEPKS1_PKS3_PKPS1_EviT_T9_T10_S9_lSB_S9_lSA_T11_S9_li
; %bb.0:
	s_load_b128 s[12:15], s[0:1], 0x38
	s_wait_kmcnt 0x0
	s_load_b64 s[14:15], s[14:15], 0x0
	s_clause 0x1
	s_load_b128 s[4:7], s[0:1], 0x8
	s_load_b64 s[20:21], s[0:1], 0x0
	s_wait_kmcnt 0x0
	s_load_b64 s[4:5], s[4:5], 0x0
	s_cmp_eq_f32 s14, 1.0
	s_cselect_b32 s2, -1, 0
	s_and_b32 s3, s15, 0x7fffffff
	s_delay_alu instid0(SALU_CYCLE_1) | instskip(SKIP_1) | instid1(SALU_CYCLE_1)
	s_cmp_eq_u32 s3, 0
	s_cselect_b32 s3, -1, 0
	s_and_b32 s8, s2, s3
	s_mov_b32 s2, 0
	s_and_not1_b32 vcc_lo, exec_lo, s8
	s_mov_b32 s8, -1
	s_cbranch_vccnz .LBB365_4
; %bb.1:
	s_cmp_lg_u32 s21, 0
	s_cbranch_scc0 .LBB365_3
; %bb.2:
	s_wait_kmcnt 0x0
	s_cmp_neq_f32 s4, 0
	s_cselect_b32 s2, -1, 0
	s_cmp_neq_f32 s5, 0
	s_cselect_b32 s8, -1, 0
	s_delay_alu instid0(SALU_CYCLE_1)
	s_or_b32 s2, s2, s8
.LBB365_3:
	s_delay_alu instid0(SALU_CYCLE_1)
	s_mov_b32 s8, s2
.LBB365_4:
	s_delay_alu instid0(SALU_CYCLE_1)
	s_and_b32 vcc_lo, exec_lo, s8
	s_cbranch_vccz .LBB365_39
; %bb.5:
	s_load_b32 s19, s[0:1], 0x60
	s_lshr_b32 s22, ttmp7, 16
	s_wait_kmcnt 0x0
	s_cmp_ge_u32 s22, s19
	s_cbranch_scc1 .LBB365_39
; %bb.6:
	s_clause 0x2
	s_load_b32 s24, s[0:1], 0x30
	s_load_b32 s30, s[0:1], 0x18
	s_load_b128 s[8:11], s[0:1], 0x20
	v_and_b32_e32 v1, 0x3ff, v0
	v_bfe_u32 v2, v0, 10, 10
	v_and_b32_e32 v16, 7, v0
	s_clause 0x1
	s_load_b96 s[16:18], s[0:1], 0x48
	s_load_b64 s[26:27], s[0:1], 0x58
	s_lshl_b32 s1, ttmp7, 5
	s_lshl_b32 s0, ttmp9, 5
	v_lshl_add_u32 v0, v2, 4, v1
	s_and_b32 s1, s1, 0x1fffe0
	v_lshlrev_b32_e32 v3, 3, v16
	v_add_nc_u32_e32 v4, s1, v2
	v_add_nc_u32_e32 v6, s0, v1
	v_lshrrev_b32_e32 v7, 3, v0
	v_and_b32_e32 v5, 31, v0
	v_lshrrev_b32_e32 v17, 5, v0
	v_lshlrev_b32_e32 v20, 3, v1
	v_add_nc_u32_e32 v8, 16, v6
	v_add_nc_u32_e32 v14, s1, v7
	s_wait_kmcnt 0x0
	s_ashr_i32 s25, s24, 31
	s_cmp_neq_f32 s4, 0
	v_or_b32_e32 v0, s0, v5
	v_lshlrev_b32_e32 v5, 3, v5
	v_lshl_or_b32 v3, v7, 6, v3
	s_cselect_b32 s1, -1, 0
	s_cmp_neq_f32 s5, 0
	v_lshl_add_u32 v21, v2, 6, 0x800
	v_lshl_or_b32 v18, v17, 8, v5
	v_add_nc_u32_e32 v19, 0x800, v3
	s_cselect_b32 s2, -1, 0
	v_mad_co_i64_i32 v[1:2], null, v4, s18, 0
	s_wait_alu 0xfffe
	s_or_b32 s31, s1, s2
	s_cmp_gt_i32 s21, 0
	v_cmp_gt_i32_e64 s1, s20, v4
	s_cselect_b32 s33, -1, 0
	s_cmp_neq_f32 s14, 0
	v_cmp_le_i32_e64 s2, v6, v4
	v_add_nc_u32_e32 v5, 16, v4
	v_mad_co_i64_i32 v[10:11], null, s24, v16, 0
	s_cselect_b32 s34, -1, 0
	s_xor_b32 s35, s3, -1
	v_cmp_le_i32_e64 s3, v8, v4
	v_mad_co_i64_i32 v[3:4], null, s30, v0, 0
	s_and_b32 s28, s1, s2
	v_cmp_le_i32_e64 s2, v6, v5
	s_and_b32 s29, s1, s3
	v_cmp_gt_i32_e64 s1, s20, v5
	v_cmp_le_i32_e64 s3, v8, v5
	v_cmp_gt_i32_e32 vcc_lo, s20, v0
	v_lshlrev_b64_e32 v[3:4], 3, v[3:4]
	v_cmp_gt_i32_e64 s0, s20, v14
	v_mad_co_i64_i32 v[12:13], null, v5, s18, 0
	s_and_b32 s18, s1, s2
	s_and_b32 s20, s1, s3
	s_lshl_b64 s[2:3], s[8:9], 3
	v_lshlrev_b64_e32 v[10:11], 3, v[10:11]
	v_add_co_u32 v3, s1, v3, s2
	s_wait_alu 0xf1ff
	v_add_co_ci_u32_e64 v4, null, s3, v4, s1
	s_lshl_b64 s[2:3], s[12:13], 3
	v_lshlrev_b32_e32 v14, 3, v14
	s_wait_alu 0xfffe
	v_add_co_u32 v10, s1, v10, s2
	v_lshlrev_b32_e32 v5, 3, v17
	v_ashrrev_i32_e32 v7, 31, v6
	v_ashrrev_i32_e32 v9, 31, v8
	s_wait_alu 0xf1ff
	v_add_co_ci_u32_e64 v11, null, s3, v11, s1
	v_add_co_u32 v10, s1, v10, v14
	v_add_co_u32 v22, s2, v3, v5
	s_wait_alu 0xf1ff
	v_add_co_ci_u32_e64 v23, null, 0, v4, s2
	v_lshlrev_b64_e32 v[2:3], 3, v[1:2]
	v_lshlrev_b64_e32 v[4:5], 3, v[12:13]
	;; [unrolled: 1-line block ×4, first 2 shown]
	v_mov_b32_e32 v0, 0
	v_add_co_ci_u32_e64 v24, null, 0, v11, s1
	v_or_b32_e32 v25, 4, v10
	s_mov_b32 s23, 0
	s_lshl_b64 s[2:3], s[24:25], 6
	s_and_b32 s12, s31, s33
	s_or_b32 s13, s34, s35
	s_xor_b32 s24, vcc_lo, -1
	s_xor_b32 s25, s0, -1
	s_lshl_b64 s[0:1], s[26:27], 3
	s_branch .LBB365_8
.LBB365_7:                              ;   in Loop: Header=BB365_8 Depth=1
	s_wait_alu 0xfffe
	s_or_b32 exec_lo, exec_lo, s8
	s_add_co_i32 s22, s22, 0x10000
	s_delay_alu instid0(SALU_CYCLE_1)
	s_cmp_lt_u32 s22, s19
	s_cbranch_scc0 .LBB365_39
.LBB365_8:                              ; =>This Loop Header: Depth=1
                                        ;     Child Loop BB365_11 Depth 2
	s_lshl_b64 s[8:9], s[22:23], 3
	v_dual_mov_b32 v33, v0 :: v_dual_mov_b32 v32, v0
	s_wait_alu 0xfffe
	s_add_nc_u64 s[26:27], s[16:17], s[8:9]
	v_dual_mov_b32 v30, v0 :: v_dual_mov_b32 v31, v0
	global_load_b64 v[10:11], v0, s[26:27]
	v_dual_mov_b32 v28, v0 :: v_dual_mov_b32 v29, v0
	v_dual_mov_b32 v27, v0 :: v_dual_mov_b32 v26, v0
	s_and_not1_b32 vcc_lo, exec_lo, s12
	s_wait_alu 0xfffe
	s_cbranch_vccnz .LBB365_19
; %bb.9:                                ;   in Loop: Header=BB365_8 Depth=1
	s_add_nc_u64 s[26:27], s[6:7], s[8:9]
	s_add_nc_u64 s[8:9], s[10:11], s[8:9]
	s_clause 0x1
	global_load_b64 v[12:13], v0, s[26:27]
	global_load_b64 v[14:15], v0, s[8:9]
	v_dual_mov_b32 v26, 0 :: v_dual_mov_b32 v27, 0
	v_dual_mov_b32 v29, 0 :: v_dual_mov_b32 v28, 0
	;; [unrolled: 1-line block ×4, first 2 shown]
	s_mov_b32 s8, 0
	s_wait_loadcnt 0x1
	v_add_co_u32 v12, vcc_lo, v12, v22
	s_wait_alu 0xfffd
	v_add_co_ci_u32_e64 v13, null, v13, v23, vcc_lo
	s_wait_loadcnt 0x0
	v_add_co_u32 v14, vcc_lo, v14, v25
	s_wait_alu 0xfffd
	v_add_co_ci_u32_e64 v15, null, v15, v24, vcc_lo
	s_branch .LBB365_11
.LBB365_10:                             ;   in Loop: Header=BB365_11 Depth=2
	s_or_b32 exec_lo, exec_lo, s9
	ds_store_b32 v19, v1 offset:4
	s_wait_dscnt 0x0
	s_barrier_signal -1
	s_barrier_wait -1
	global_inv scope:SCOPE_SE
	ds_load_b128 v[34:37], v21
	ds_load_2addr_b64 v[38:41], v20 offset1:16
	ds_load_b128 v[42:45], v21 offset:1024
	ds_load_b128 v[46:49], v21 offset:16
	;; [unrolled: 1-line block ×4, first 2 shown]
	ds_load_2addr_b64 v[58:61], v20 offset0:32 offset1:48
	ds_load_b128 v[62:65], v21 offset:1040
	v_add_co_u32 v12, vcc_lo, v12, 64
	s_wait_alu 0xfffd
	v_add_co_ci_u32_e64 v13, null, 0, v13, vcc_lo
	v_add_co_u32 v14, vcc_lo, v14, s2
	s_wait_alu 0xfffd
	v_add_co_ci_u32_e64 v15, null, s3, v15, vcc_lo
	s_add_co_i32 s8, s8, 8
	s_wait_alu 0xfffe
	s_cmp_lt_i32 s8, s21
	s_wait_dscnt 0x6
	v_dual_mul_f32 v1, v35, v39 :: v_dual_mul_f32 v68, v34, v41
	v_dual_mul_f32 v66, v34, v39 :: v_dual_mul_f32 v67, v35, v41
	s_wait_dscnt 0x5
	v_mul_f32_e32 v70, v43, v41
	s_delay_alu instid0(VALU_DEP_3) | instskip(SKIP_3) | instid1(VALU_DEP_4)
	v_fma_f32 v1, v34, v38, -v1
	v_dual_mul_f32 v41, v42, v41 :: v_dual_fmac_f32 v68, v35, v40
	v_fmac_f32_e32 v66, v35, v38
	v_fma_f32 v34, v34, v40, -v67
	v_add_f32_e32 v1, v33, v1
	v_mul_f32_e32 v69, v43, v39
	s_delay_alu instid0(VALU_DEP_4) | instskip(NEXT) | instid1(VALU_DEP_4)
	v_dual_mul_f32 v39, v42, v39 :: v_dual_add_f32 v32, v32, v66
	v_add_f32_e32 v33, v30, v34
	v_fma_f32 v30, v42, v40, -v70
	s_delay_alu instid0(VALU_DEP_4) | instskip(NEXT) | instid1(VALU_DEP_4)
	v_fma_f32 v35, v42, v38, -v69
	v_fmac_f32_e32 v39, v43, v38
	s_wait_dscnt 0x1
	v_dual_add_f32 v31, v31, v68 :: v_dual_mul_f32 v38, v37, v59
	v_dual_fmac_f32 v41, v43, v40 :: v_dual_mul_f32 v42, v37, v61
	v_add_f32_e32 v34, v28, v35
	v_add_f32_e32 v35, v29, v39
	v_dual_add_f32 v39, v27, v30 :: v_dual_mul_f32 v40, v36, v59
	ds_load_2addr_b64 v[27:30], v20 offset0:64 offset1:80
	v_fma_f32 v38, v36, v58, -v38
	v_add_f32_e32 v26, v26, v41
	v_dual_mul_f32 v41, v36, v61 :: v_dual_fmac_f32 v40, v37, v58
	v_fma_f32 v36, v36, v60, -v42
	s_delay_alu instid0(VALU_DEP_4) | instskip(SKIP_1) | instid1(VALU_DEP_4)
	v_add_f32_e32 v1, v1, v38
	v_mul_f32_e32 v38, v45, v59
	v_fmac_f32_e32 v41, v37, v60
	v_add_f32_e32 v40, v32, v40
	v_mul_f32_e32 v32, v44, v59
	v_add_f32_e32 v36, v33, v36
	v_fma_f32 v33, v44, v58, -v38
	v_mul_f32_e32 v37, v45, v61
	v_add_f32_e32 v38, v31, v41
	v_dual_mul_f32 v41, v44, v61 :: v_dual_fmac_f32 v32, v45, v58
	s_delay_alu instid0(VALU_DEP_4) | instskip(NEXT) | instid1(VALU_DEP_4)
	v_add_f32_e32 v42, v34, v33
	v_fma_f32 v31, v44, v60, -v37
	s_wait_dscnt 0x0
	v_mul_f32_e32 v33, v47, v28
	v_fmac_f32_e32 v41, v45, v60
	v_add_f32_e32 v35, v35, v32
	v_add_f32_e32 v39, v39, v31
	v_mul_f32_e32 v44, v47, v30
	v_fma_f32 v43, v46, v27, -v33
	ds_load_2addr_b64 v[31:34], v20 offset0:96 offset1:112
	v_add_f32_e32 v41, v26, v41
	v_mul_f32_e32 v26, v46, v30
	v_mul_f32_e32 v37, v46, v28
	v_add_f32_e32 v1, v1, v43
	v_fma_f32 v43, v46, v29, -v44
	s_delay_alu instid0(VALU_DEP_4) | instskip(NEXT) | instid1(VALU_DEP_4)
	v_fmac_f32_e32 v26, v47, v29
	v_fmac_f32_e32 v37, v47, v27
	s_delay_alu instid0(VALU_DEP_3) | instskip(NEXT) | instid1(VALU_DEP_2)
	v_dual_add_f32 v36, v36, v43 :: v_dual_mul_f32 v43, v63, v30
	v_dual_mul_f32 v30, v62, v30 :: v_dual_add_f32 v37, v40, v37
	v_mul_f32_e32 v40, v63, v28
	v_mul_f32_e32 v28, v62, v28
	v_add_f32_e32 v44, v38, v26
	v_fma_f32 v26, v62, v29, -v43
	s_delay_alu instid0(VALU_DEP_4) | instskip(SKIP_2) | instid1(VALU_DEP_3)
	v_fma_f32 v40, v62, v27, -v40
	s_wait_dscnt 0x0
	v_dual_fmac_f32 v28, v63, v27 :: v_dual_mul_f32 v43, v49, v34
	v_add_f32_e32 v39, v39, v26
	s_delay_alu instid0(VALU_DEP_3) | instskip(NEXT) | instid1(VALU_DEP_3)
	v_dual_mul_f32 v47, v65, v34 :: v_dual_add_f32 v40, v42, v40
	v_add_f32_e32 v42, v35, v28
	v_mul_f32_e32 v35, v49, v32
	v_fma_f32 v43, v48, v33, -v43
	s_delay_alu instid0(VALU_DEP_2)
	v_fma_f32 v35, v48, v31, -v35
	v_fmac_f32_e32 v30, v63, v29
	ds_load_2addr_b64 v[26:29], v20 offset0:128 offset1:144
	v_add_f32_e32 v43, v36, v43
	v_dual_add_f32 v1, v1, v35 :: v_dual_mul_f32 v38, v48, v32
	v_add_f32_e32 v41, v41, v30
	v_dual_mul_f32 v30, v48, v34 :: v_dual_mul_f32 v35, v65, v32
	v_mul_f32_e32 v32, v64, v32
	v_mul_f32_e32 v34, v64, v34
	s_delay_alu instid0(VALU_DEP_3) | instskip(NEXT) | instid1(VALU_DEP_4)
	v_fmac_f32_e32 v30, v49, v33
	v_fma_f32 v46, v64, v31, -v35
	s_delay_alu instid0(VALU_DEP_4) | instskip(SKIP_1) | instid1(VALU_DEP_4)
	v_fmac_f32_e32 v32, v65, v31
	v_fmac_f32_e32 v38, v49, v31
	v_add_f32_e32 v44, v44, v30
	v_fma_f32 v30, v64, v33, -v47
	s_wait_dscnt 0x0
	v_mul_f32_e32 v49, v50, v27
	v_dual_mul_f32 v31, v51, v27 :: v_dual_mul_f32 v58, v50, v29
	s_delay_alu instid0(VALU_DEP_2)
	v_fmac_f32_e32 v49, v51, v26
	v_add_f32_e32 v47, v42, v32
	v_add_f32_e32 v45, v37, v38
	ds_load_b128 v[35:38], v21 offset:1056
	v_fmac_f32_e32 v34, v65, v33
	v_add_f32_e32 v48, v39, v30
	v_fma_f32 v39, v50, v26, -v31
	v_add_f32_e32 v46, v40, v46
	ds_load_2addr_b64 v[30:33], v20 offset0:160 offset1:176
	v_mul_f32_e32 v40, v51, v29
	v_add_f32_e32 v34, v41, v34
	v_add_f32_e32 v1, v1, v39
	;; [unrolled: 1-line block ×3, first 2 shown]
	s_delay_alu instid0(VALU_DEP_4)
	v_fma_f32 v50, v50, v28, -v40
	ds_load_b128 v[39:42], v21 offset:1072
	v_add_f32_e32 v43, v43, v50
	s_wait_dscnt 0x2
	v_mul_f32_e32 v59, v36, v27
	v_mul_f32_e32 v27, v35, v27
	v_fmac_f32_e32 v58, v51, v28
	v_mul_f32_e32 v50, v36, v29
	v_mul_f32_e32 v51, v35, v29
	v_fma_f32 v49, v35, v26, -v59
	v_fmac_f32_e32 v27, v36, v26
	s_wait_dscnt 0x1
	v_dual_add_f32 v44, v44, v58 :: v_dual_mul_f32 v29, v53, v31
	v_fma_f32 v26, v35, v28, -v50
	v_fmac_f32_e32 v51, v36, v28
	v_mul_f32_e32 v36, v52, v31
	v_dual_add_f32 v46, v46, v49 :: v_dual_add_f32 v35, v47, v27
	v_mul_f32_e32 v49, v53, v33
	s_delay_alu instid0(VALU_DEP_3)
	v_fmac_f32_e32 v36, v53, v30
	v_dual_add_f32 v47, v48, v26 :: v_dual_add_f32 v50, v34, v51
	v_fma_f32 v48, v52, v30, -v29
	ds_load_2addr_b64 v[26:29], v20 offset0:192 offset1:208
	v_dual_mul_f32 v34, v52, v33 :: v_dual_add_f32 v45, v45, v36
	v_dual_mul_f32 v36, v38, v31 :: v_dual_add_f32 v1, v1, v48
	v_fma_f32 v48, v52, v32, -v49
	v_mul_f32_e32 v31, v37, v31
	s_delay_alu instid0(VALU_DEP_3) | instskip(NEXT) | instid1(VALU_DEP_3)
	v_fma_f32 v36, v37, v30, -v36
	v_dual_add_f32 v43, v43, v48 :: v_dual_mul_f32 v48, v38, v33
	s_delay_alu instid0(VALU_DEP_3) | instskip(NEXT) | instid1(VALU_DEP_1)
	v_dual_fmac_f32 v34, v53, v32 :: v_dual_fmac_f32 v31, v38, v30
	v_dual_mul_f32 v33, v37, v33 :: v_dual_add_f32 v30, v44, v34
	s_delay_alu instid0(VALU_DEP_3) | instskip(NEXT) | instid1(VALU_DEP_3)
	v_fma_f32 v34, v37, v32, -v48
	v_dual_add_f32 v44, v46, v36 :: v_dual_add_f32 v31, v35, v31
	s_wait_dscnt 0x0
	v_mul_f32_e32 v48, v54, v29
	v_dual_mul_f32 v46, v55, v27 :: v_dual_fmac_f32 v33, v38, v32
	v_add_f32_e32 v32, v47, v34
	ds_load_2addr_b64 v[34:37], v20 offset0:224 offset1:240
	v_dual_mul_f32 v38, v54, v27 :: v_dual_mul_f32 v47, v55, v29
	v_fma_f32 v46, v54, v26, -v46
	v_dual_fmac_f32 v48, v55, v28 :: v_dual_add_f32 v33, v50, v33
	s_delay_alu instid0(VALU_DEP_3) | instskip(NEXT) | instid1(VALU_DEP_4)
	v_fmac_f32_e32 v38, v55, v26
	v_fma_f32 v47, v54, v28, -v47
	s_delay_alu instid0(VALU_DEP_4) | instskip(SKIP_2) | instid1(VALU_DEP_3)
	v_dual_add_f32 v1, v1, v46 :: v_dual_mul_f32 v46, v40, v27
	v_mul_f32_e32 v27, v39, v27
	s_wait_loadcnt_dscnt 0x0
	v_add_f32_e32 v43, v43, v47
	v_dual_add_f32 v47, v30, v48 :: v_dual_add_f32 v38, v45, v38
	v_fma_f32 v45, v39, v26, -v46
	v_mul_f32_e32 v46, v40, v29
	v_fmac_f32_e32 v27, v40, v26
	v_mul_f32_e32 v29, v39, v29
	s_barrier_signal -1
	v_add_f32_e32 v26, v44, v45
	v_fma_f32 v30, v39, v28, -v46
	v_mul_f32_e32 v39, v57, v35
	v_mul_f32_e32 v44, v56, v35
	v_fmac_f32_e32 v29, v40, v28
	s_delay_alu instid0(VALU_DEP_4) | instskip(NEXT) | instid1(VALU_DEP_4)
	v_dual_add_f32 v27, v31, v27 :: v_dual_add_f32 v40, v32, v30
	v_fma_f32 v28, v56, v34, -v39
	s_delay_alu instid0(VALU_DEP_4) | instskip(NEXT) | instid1(VALU_DEP_4)
	v_fmac_f32_e32 v44, v57, v34
	v_add_f32_e32 v39, v33, v29
	v_mul_f32_e32 v31, v56, v37
	s_barrier_wait -1
	v_dual_add_f32 v33, v1, v28 :: v_dual_mul_f32 v28, v42, v35
	v_mul_f32_e32 v29, v41, v35
	v_mul_f32_e32 v30, v57, v37
	v_mul_f32_e32 v35, v42, v37
	v_dual_mul_f32 v37, v41, v37 :: v_dual_add_f32 v32, v38, v44
	s_delay_alu instid0(VALU_DEP_4) | instskip(NEXT) | instid1(VALU_DEP_4)
	v_fmac_f32_e32 v29, v42, v34
	v_fma_f32 v1, v56, v36, -v30
	global_inv scope:SCOPE_SE
	v_fmac_f32_e32 v37, v42, v36
	v_add_f32_e32 v29, v27, v29
	v_add_f32_e32 v30, v43, v1
	v_fma_f32 v1, v41, v34, -v28
	v_fmac_f32_e32 v31, v57, v36
	v_fma_f32 v34, v41, v36, -v35
	s_delay_alu instid0(VALU_DEP_2) | instskip(NEXT) | instid1(VALU_DEP_2)
	v_dual_add_f32 v28, v26, v1 :: v_dual_add_f32 v31, v47, v31
	v_dual_add_f32 v27, v40, v34 :: v_dual_add_f32 v26, v39, v37
	s_cbranch_scc0 .LBB365_19
.LBB365_11:                             ;   Parent Loop BB365_8 Depth=1
                                        ; =>  This Inner Loop Header: Depth=2
	s_wait_alu 0xfffe
	v_add_nc_u32_e32 v1, s8, v17
	s_delay_alu instid0(VALU_DEP_1) | instskip(SKIP_3) | instid1(SALU_CYCLE_1)
	v_cmp_le_i32_e32 vcc_lo, s21, v1
	s_or_b32 s9, s24, vcc_lo
	s_wait_alu 0xfffe
	s_and_saveexec_b32 s26, s9
	s_xor_b32 s9, exec_lo, s26
; %bb.12:                               ;   in Loop: Header=BB365_11 Depth=2
	v_mov_b32_e32 v1, v0
	ds_store_b64 v18, v[0:1]
; %bb.13:                               ;   in Loop: Header=BB365_11 Depth=2
	s_wait_alu 0xfffe
	s_and_not1_saveexec_b32 s9, s9
	s_cbranch_execz .LBB365_15
; %bb.14:                               ;   in Loop: Header=BB365_11 Depth=2
	flat_load_b64 v[34:35], v[12:13]
	s_wait_loadcnt_dscnt 0x0
	ds_store_b64 v18, v[34:35]
.LBB365_15:                             ;   in Loop: Header=BB365_11 Depth=2
	s_wait_alu 0xfffe
	s_or_b32 exec_lo, exec_lo, s9
	v_add_nc_u32_e32 v1, s8, v16
	s_delay_alu instid0(VALU_DEP_1) | instskip(SKIP_3) | instid1(SALU_CYCLE_1)
	v_cmp_le_i32_e32 vcc_lo, s21, v1
	s_or_b32 s9, vcc_lo, s25
	s_wait_alu 0xfffe
	s_and_saveexec_b32 s26, s9
	s_xor_b32 s9, exec_lo, s26
; %bb.16:                               ;   in Loop: Header=BB365_11 Depth=2
	ds_store_b32 v19, v0
; %bb.17:                               ;   in Loop: Header=BB365_11 Depth=2
	s_wait_alu 0xfffe
	s_or_saveexec_b32 s9, s9
	v_mov_b32_e32 v1, 0
	s_wait_alu 0xfffe
	s_xor_b32 exec_lo, exec_lo, s9
	s_cbranch_execz .LBB365_10
; %bb.18:                               ;   in Loop: Header=BB365_11 Depth=2
	flat_load_b64 v[34:35], v[14:15] offset:-4
	s_wait_loadcnt_dscnt 0x0
	v_xor_b32_e32 v1, 0x80000000, v35
	ds_store_b32 v19, v34
	s_branch .LBB365_10
.LBB365_19:                             ;   in Loop: Header=BB365_8 Depth=1
	s_wait_loadcnt 0x0
	s_wait_alu 0xfffe
	v_add_co_u32 v1, vcc_lo, v10, s0
	s_wait_alu 0xfffd
	v_add_co_ci_u32_e64 v12, null, s1, v11, vcc_lo
	s_delay_alu instid0(VALU_DEP_2) | instskip(SKIP_1) | instid1(VALU_DEP_2)
	v_add_co_u32 v13, vcc_lo, v1, v2
	s_wait_alu 0xfffd
	v_add_co_ci_u32_e64 v14, null, v12, v3, vcc_lo
	s_and_saveexec_b32 s8, s28
	s_cbranch_execz .LBB365_24
; %bb.20:                               ;   in Loop: Header=BB365_8 Depth=1
	v_mul_f32_e32 v11, s4, v32
	v_mul_f32_e32 v10, s5, v32
	s_and_b32 vcc_lo, exec_lo, s13
	s_mov_b32 s9, -1
	s_delay_alu instid0(VALU_DEP_2) | instskip(NEXT) | instid1(VALU_DEP_2)
	v_fmac_f32_e32 v11, s5, v33
	v_fma_f32 v10, v33, s4, -v10
	s_wait_alu 0xfffe
	s_cbranch_vccz .LBB365_22
; %bb.21:                               ;   in Loop: Header=BB365_8 Depth=1
	v_add_co_u32 v32, vcc_lo, v13, v6
	s_wait_alu 0xfffd
	v_add_co_ci_u32_e64 v33, null, v14, v7, vcc_lo
	s_mov_b32 s9, 0
	flat_load_b64 v[34:35], v[32:33]
	s_wait_loadcnt_dscnt 0x0
	v_mul_f32_e32 v15, s15, v35
	v_mul_f32_e32 v35, s14, v35
	s_delay_alu instid0(VALU_DEP_2) | instskip(NEXT) | instid1(VALU_DEP_1)
	v_fma_f32 v15, v34, s14, -v15
	v_dual_fmac_f32 v35, s15, v34 :: v_dual_add_f32 v34, v10, v15
	s_delay_alu instid0(VALU_DEP_1)
	v_add_f32_e32 v35, v11, v35
	flat_store_b64 v[32:33], v[34:35]
.LBB365_22:                             ;   in Loop: Header=BB365_8 Depth=1
	s_wait_alu 0xfffe
	s_and_not1_b32 vcc_lo, exec_lo, s9
	s_wait_alu 0xfffe
	s_cbranch_vccnz .LBB365_24
; %bb.23:                               ;   in Loop: Header=BB365_8 Depth=1
	v_add_co_u32 v32, vcc_lo, v13, v6
	s_wait_alu 0xfffd
	v_add_co_ci_u32_e64 v33, null, v14, v7, vcc_lo
	flat_store_b64 v[32:33], v[10:11]
.LBB365_24:                             ;   in Loop: Header=BB365_8 Depth=1
	s_wait_alu 0xfffe
	s_or_b32 exec_lo, exec_lo, s8
	s_and_saveexec_b32 s8, s29
	s_cbranch_execz .LBB365_29
; %bb.25:                               ;   in Loop: Header=BB365_8 Depth=1
	v_mul_f32_e32 v11, s4, v31
	v_mul_f32_e32 v10, s5, v31
	s_and_not1_b32 vcc_lo, exec_lo, s13
	s_mov_b32 s9, -1
	s_delay_alu instid0(VALU_DEP_2) | instskip(NEXT) | instid1(VALU_DEP_2)
	v_fmac_f32_e32 v11, s5, v30
	v_fma_f32 v10, v30, s4, -v10
	s_wait_alu 0xfffe
	s_cbranch_vccnz .LBB365_27
; %bb.26:                               ;   in Loop: Header=BB365_8 Depth=1
	v_add_co_u32 v30, vcc_lo, v13, v8
	s_wait_alu 0xfffd
	v_add_co_ci_u32_e64 v31, null, v14, v9, vcc_lo
	s_mov_b32 s9, 0
	flat_load_b64 v[32:33], v[30:31]
	s_wait_loadcnt_dscnt 0x0
	v_mul_f32_e32 v15, s15, v33
	s_delay_alu instid0(VALU_DEP_1) | instskip(SKIP_1) | instid1(VALU_DEP_1)
	v_fma_f32 v15, v32, s14, -v15
	v_mul_f32_e32 v33, s14, v33
	v_dual_fmac_f32 v33, s15, v32 :: v_dual_add_f32 v32, v10, v15
	s_delay_alu instid0(VALU_DEP_1)
	v_add_f32_e32 v33, v11, v33
	flat_store_b64 v[30:31], v[32:33]
.LBB365_27:                             ;   in Loop: Header=BB365_8 Depth=1
	s_wait_alu 0xfffe
	s_and_not1_b32 vcc_lo, exec_lo, s9
	s_wait_alu 0xfffe
	s_cbranch_vccnz .LBB365_29
; %bb.28:                               ;   in Loop: Header=BB365_8 Depth=1
	v_add_co_u32 v13, vcc_lo, v13, v8
	s_wait_alu 0xfffd
	v_add_co_ci_u32_e64 v14, null, v14, v9, vcc_lo
	flat_store_b64 v[13:14], v[10:11]
.LBB365_29:                             ;   in Loop: Header=BB365_8 Depth=1
	s_wait_alu 0xfffe
	s_or_b32 exec_lo, exec_lo, s8
	v_add_co_u32 v1, vcc_lo, v1, v4
	s_wait_alu 0xfffd
	v_add_co_ci_u32_e64 v12, null, v12, v5, vcc_lo
	s_and_saveexec_b32 s8, s18
	s_cbranch_execz .LBB365_34
; %bb.30:                               ;   in Loop: Header=BB365_8 Depth=1
	v_mul_f32_e32 v11, s4, v29
	v_mul_f32_e32 v10, s5, v29
	s_and_not1_b32 vcc_lo, exec_lo, s13
	s_mov_b32 s9, -1
	s_delay_alu instid0(VALU_DEP_2) | instskip(NEXT) | instid1(VALU_DEP_2)
	v_fmac_f32_e32 v11, s5, v28
	v_fma_f32 v10, v28, s4, -v10
	s_wait_alu 0xfffe
	s_cbranch_vccnz .LBB365_32
; %bb.31:                               ;   in Loop: Header=BB365_8 Depth=1
	v_add_co_u32 v13, vcc_lo, v1, v6
	s_wait_alu 0xfffd
	v_add_co_ci_u32_e64 v14, null, v12, v7, vcc_lo
	s_mov_b32 s9, 0
	flat_load_b64 v[28:29], v[13:14]
	s_wait_loadcnt_dscnt 0x0
	v_mul_f32_e32 v15, s15, v29
	s_delay_alu instid0(VALU_DEP_1) | instskip(SKIP_1) | instid1(VALU_DEP_1)
	v_fma_f32 v15, v28, s14, -v15
	v_mul_f32_e32 v29, s14, v29
	v_dual_fmac_f32 v29, s15, v28 :: v_dual_add_f32 v28, v10, v15
	s_delay_alu instid0(VALU_DEP_1)
	v_add_f32_e32 v29, v11, v29
	flat_store_b64 v[13:14], v[28:29]
.LBB365_32:                             ;   in Loop: Header=BB365_8 Depth=1
	s_wait_alu 0xfffe
	s_and_not1_b32 vcc_lo, exec_lo, s9
	s_wait_alu 0xfffe
	s_cbranch_vccnz .LBB365_34
; %bb.33:                               ;   in Loop: Header=BB365_8 Depth=1
	v_add_co_u32 v13, vcc_lo, v1, v6
	s_wait_alu 0xfffd
	v_add_co_ci_u32_e64 v14, null, v12, v7, vcc_lo
	flat_store_b64 v[13:14], v[10:11]
.LBB365_34:                             ;   in Loop: Header=BB365_8 Depth=1
	s_wait_alu 0xfffe
	s_or_b32 exec_lo, exec_lo, s8
	s_and_saveexec_b32 s8, s20
	s_cbranch_execz .LBB365_7
; %bb.35:                               ;   in Loop: Header=BB365_8 Depth=1
	v_mul_f32_e32 v11, s4, v26
	v_mul_f32_e32 v10, s5, v26
	s_and_not1_b32 vcc_lo, exec_lo, s13
	s_mov_b32 s9, -1
	s_delay_alu instid0(VALU_DEP_2) | instskip(NEXT) | instid1(VALU_DEP_2)
	v_fmac_f32_e32 v11, s5, v27
	v_fma_f32 v10, v27, s4, -v10
	s_wait_alu 0xfffe
	s_cbranch_vccnz .LBB365_37
; %bb.36:                               ;   in Loop: Header=BB365_8 Depth=1
	v_add_co_u32 v13, vcc_lo, v1, v8
	s_wait_alu 0xfffd
	v_add_co_ci_u32_e64 v14, null, v12, v9, vcc_lo
	s_mov_b32 s9, 0
	flat_load_b64 v[26:27], v[13:14]
	s_wait_loadcnt_dscnt 0x0
	v_mul_f32_e32 v15, s15, v27
	v_mul_f32_e32 v27, s14, v27
	s_delay_alu instid0(VALU_DEP_2) | instskip(NEXT) | instid1(VALU_DEP_1)
	v_fma_f32 v15, v26, s14, -v15
	v_dual_fmac_f32 v27, s15, v26 :: v_dual_add_f32 v26, v10, v15
	s_delay_alu instid0(VALU_DEP_1)
	v_add_f32_e32 v27, v11, v27
	flat_store_b64 v[13:14], v[26:27]
.LBB365_37:                             ;   in Loop: Header=BB365_8 Depth=1
	s_wait_alu 0xfffe
	s_and_not1_b32 vcc_lo, exec_lo, s9
	s_wait_alu 0xfffe
	s_cbranch_vccnz .LBB365_7
; %bb.38:                               ;   in Loop: Header=BB365_8 Depth=1
	v_add_co_u32 v13, vcc_lo, v1, v8
	s_wait_alu 0xfffd
	v_add_co_ci_u32_e64 v14, null, v12, v9, vcc_lo
	flat_store_b64 v[13:14], v[10:11]
	s_branch .LBB365_7
.LBB365_39:
	s_endpgm
	.section	.rodata,"a",@progbits
	.p2align	6, 0x0
	.amdhsa_kernel _ZL29rocblas_internal_gemmt_kernelIiLi16ELi32ELi8ELc84ELc67ELc85ELb0ELb1E19rocblas_complex_numIfEPKS1_PKS3_PKPS1_EviT_T9_T10_S9_lSB_S9_lSA_T11_S9_li
		.amdhsa_group_segment_fixed_size 4096
		.amdhsa_private_segment_fixed_size 0
		.amdhsa_kernarg_size 100
		.amdhsa_user_sgpr_count 2
		.amdhsa_user_sgpr_dispatch_ptr 0
		.amdhsa_user_sgpr_queue_ptr 0
		.amdhsa_user_sgpr_kernarg_segment_ptr 1
		.amdhsa_user_sgpr_dispatch_id 0
		.amdhsa_user_sgpr_private_segment_size 0
		.amdhsa_wavefront_size32 1
		.amdhsa_uses_dynamic_stack 0
		.amdhsa_enable_private_segment 0
		.amdhsa_system_sgpr_workgroup_id_x 1
		.amdhsa_system_sgpr_workgroup_id_y 1
		.amdhsa_system_sgpr_workgroup_id_z 1
		.amdhsa_system_sgpr_workgroup_info 0
		.amdhsa_system_vgpr_workitem_id 1
		.amdhsa_next_free_vgpr 71
		.amdhsa_next_free_sgpr 36
		.amdhsa_reserve_vcc 1
		.amdhsa_float_round_mode_32 0
		.amdhsa_float_round_mode_16_64 0
		.amdhsa_float_denorm_mode_32 3
		.amdhsa_float_denorm_mode_16_64 3
		.amdhsa_fp16_overflow 0
		.amdhsa_workgroup_processor_mode 1
		.amdhsa_memory_ordered 1
		.amdhsa_forward_progress 1
		.amdhsa_inst_pref_size 25
		.amdhsa_round_robin_scheduling 0
		.amdhsa_exception_fp_ieee_invalid_op 0
		.amdhsa_exception_fp_denorm_src 0
		.amdhsa_exception_fp_ieee_div_zero 0
		.amdhsa_exception_fp_ieee_overflow 0
		.amdhsa_exception_fp_ieee_underflow 0
		.amdhsa_exception_fp_ieee_inexact 0
		.amdhsa_exception_int_div_zero 0
	.end_amdhsa_kernel
	.section	.text._ZL29rocblas_internal_gemmt_kernelIiLi16ELi32ELi8ELc84ELc67ELc85ELb0ELb1E19rocblas_complex_numIfEPKS1_PKS3_PKPS1_EviT_T9_T10_S9_lSB_S9_lSA_T11_S9_li,"axG",@progbits,_ZL29rocblas_internal_gemmt_kernelIiLi16ELi32ELi8ELc84ELc67ELc85ELb0ELb1E19rocblas_complex_numIfEPKS1_PKS3_PKPS1_EviT_T9_T10_S9_lSB_S9_lSA_T11_S9_li,comdat
.Lfunc_end365:
	.size	_ZL29rocblas_internal_gemmt_kernelIiLi16ELi32ELi8ELc84ELc67ELc85ELb0ELb1E19rocblas_complex_numIfEPKS1_PKS3_PKPS1_EviT_T9_T10_S9_lSB_S9_lSA_T11_S9_li, .Lfunc_end365-_ZL29rocblas_internal_gemmt_kernelIiLi16ELi32ELi8ELc84ELc67ELc85ELb0ELb1E19rocblas_complex_numIfEPKS1_PKS3_PKPS1_EviT_T9_T10_S9_lSB_S9_lSA_T11_S9_li
                                        ; -- End function
	.set _ZL29rocblas_internal_gemmt_kernelIiLi16ELi32ELi8ELc84ELc67ELc85ELb0ELb1E19rocblas_complex_numIfEPKS1_PKS3_PKPS1_EviT_T9_T10_S9_lSB_S9_lSA_T11_S9_li.num_vgpr, 71
	.set _ZL29rocblas_internal_gemmt_kernelIiLi16ELi32ELi8ELc84ELc67ELc85ELb0ELb1E19rocblas_complex_numIfEPKS1_PKS3_PKPS1_EviT_T9_T10_S9_lSB_S9_lSA_T11_S9_li.num_agpr, 0
	.set _ZL29rocblas_internal_gemmt_kernelIiLi16ELi32ELi8ELc84ELc67ELc85ELb0ELb1E19rocblas_complex_numIfEPKS1_PKS3_PKPS1_EviT_T9_T10_S9_lSB_S9_lSA_T11_S9_li.numbered_sgpr, 36
	.set _ZL29rocblas_internal_gemmt_kernelIiLi16ELi32ELi8ELc84ELc67ELc85ELb0ELb1E19rocblas_complex_numIfEPKS1_PKS3_PKPS1_EviT_T9_T10_S9_lSB_S9_lSA_T11_S9_li.num_named_barrier, 0
	.set _ZL29rocblas_internal_gemmt_kernelIiLi16ELi32ELi8ELc84ELc67ELc85ELb0ELb1E19rocblas_complex_numIfEPKS1_PKS3_PKPS1_EviT_T9_T10_S9_lSB_S9_lSA_T11_S9_li.private_seg_size, 0
	.set _ZL29rocblas_internal_gemmt_kernelIiLi16ELi32ELi8ELc84ELc67ELc85ELb0ELb1E19rocblas_complex_numIfEPKS1_PKS3_PKPS1_EviT_T9_T10_S9_lSB_S9_lSA_T11_S9_li.uses_vcc, 1
	.set _ZL29rocblas_internal_gemmt_kernelIiLi16ELi32ELi8ELc84ELc67ELc85ELb0ELb1E19rocblas_complex_numIfEPKS1_PKS3_PKPS1_EviT_T9_T10_S9_lSB_S9_lSA_T11_S9_li.uses_flat_scratch, 0
	.set _ZL29rocblas_internal_gemmt_kernelIiLi16ELi32ELi8ELc84ELc67ELc85ELb0ELb1E19rocblas_complex_numIfEPKS1_PKS3_PKPS1_EviT_T9_T10_S9_lSB_S9_lSA_T11_S9_li.has_dyn_sized_stack, 0
	.set _ZL29rocblas_internal_gemmt_kernelIiLi16ELi32ELi8ELc84ELc67ELc85ELb0ELb1E19rocblas_complex_numIfEPKS1_PKS3_PKPS1_EviT_T9_T10_S9_lSB_S9_lSA_T11_S9_li.has_recursion, 0
	.set _ZL29rocblas_internal_gemmt_kernelIiLi16ELi32ELi8ELc84ELc67ELc85ELb0ELb1E19rocblas_complex_numIfEPKS1_PKS3_PKPS1_EviT_T9_T10_S9_lSB_S9_lSA_T11_S9_li.has_indirect_call, 0
	.section	.AMDGPU.csdata,"",@progbits
; Kernel info:
; codeLenInByte = 3200
; TotalNumSgprs: 38
; NumVgprs: 71
; ScratchSize: 0
; MemoryBound: 1
; FloatMode: 240
; IeeeMode: 1
; LDSByteSize: 4096 bytes/workgroup (compile time only)
; SGPRBlocks: 0
; VGPRBlocks: 8
; NumSGPRsForWavesPerEU: 38
; NumVGPRsForWavesPerEU: 71
; Occupancy: 16
; WaveLimiterHint : 1
; COMPUTE_PGM_RSRC2:SCRATCH_EN: 0
; COMPUTE_PGM_RSRC2:USER_SGPR: 2
; COMPUTE_PGM_RSRC2:TRAP_HANDLER: 0
; COMPUTE_PGM_RSRC2:TGID_X_EN: 1
; COMPUTE_PGM_RSRC2:TGID_Y_EN: 1
; COMPUTE_PGM_RSRC2:TGID_Z_EN: 1
; COMPUTE_PGM_RSRC2:TIDIG_COMP_CNT: 1
	.section	.text._ZL29rocblas_internal_gemmt_kernelIiLi16ELi32ELi8ELc67ELc78ELc85ELb1ELb0E19rocblas_complex_numIfEPKS1_PKS3_PKPS1_EviT_T9_T10_S9_lSB_S9_lSA_T11_S9_li,"axG",@progbits,_ZL29rocblas_internal_gemmt_kernelIiLi16ELi32ELi8ELc67ELc78ELc85ELb1ELb0E19rocblas_complex_numIfEPKS1_PKS3_PKPS1_EviT_T9_T10_S9_lSB_S9_lSA_T11_S9_li,comdat
	.globl	_ZL29rocblas_internal_gemmt_kernelIiLi16ELi32ELi8ELc67ELc78ELc85ELb1ELb0E19rocblas_complex_numIfEPKS1_PKS3_PKPS1_EviT_T9_T10_S9_lSB_S9_lSA_T11_S9_li ; -- Begin function _ZL29rocblas_internal_gemmt_kernelIiLi16ELi32ELi8ELc67ELc78ELc85ELb1ELb0E19rocblas_complex_numIfEPKS1_PKS3_PKPS1_EviT_T9_T10_S9_lSB_S9_lSA_T11_S9_li
	.p2align	8
	.type	_ZL29rocblas_internal_gemmt_kernelIiLi16ELi32ELi8ELc67ELc78ELc85ELb1ELb0E19rocblas_complex_numIfEPKS1_PKS3_PKPS1_EviT_T9_T10_S9_lSB_S9_lSA_T11_S9_li,@function
_ZL29rocblas_internal_gemmt_kernelIiLi16ELi32ELi8ELc67ELc78ELc85ELb1ELb0E19rocblas_complex_numIfEPKS1_PKS3_PKPS1_EviT_T9_T10_S9_lSB_S9_lSA_T11_S9_li: ; @_ZL29rocblas_internal_gemmt_kernelIiLi16ELi32ELi8ELc67ELc78ELc85ELb1ELb0E19rocblas_complex_numIfEPKS1_PKS3_PKPS1_EviT_T9_T10_S9_lSB_S9_lSA_T11_S9_li
; %bb.0:
	s_load_b128 s[12:15], s[0:1], 0x38
	s_wait_kmcnt 0x0
	s_load_b64 s[14:15], s[14:15], 0x0
	s_clause 0x1
	s_load_b128 s[4:7], s[0:1], 0x8
	s_load_b64 s[20:21], s[0:1], 0x0
	s_wait_kmcnt 0x0
	s_load_b64 s[4:5], s[4:5], 0x0
	s_cmp_eq_f32 s14, 1.0
	s_cselect_b32 s3, -1, 0
	s_and_b32 s2, s15, 0x7fffffff
	s_delay_alu instid0(SALU_CYCLE_1) | instskip(SKIP_1) | instid1(SALU_CYCLE_1)
	s_cmp_eq_u32 s2, 0
	s_cselect_b32 s2, -1, 0
	s_and_b32 s8, s3, s2
	s_mov_b32 s3, 0
	s_and_not1_b32 vcc_lo, exec_lo, s8
	s_mov_b32 s8, -1
	s_cbranch_vccnz .LBB366_4
; %bb.1:
	s_cmp_lg_u32 s21, 0
	s_cbranch_scc0 .LBB366_3
; %bb.2:
	s_wait_kmcnt 0x0
	s_cmp_neq_f32 s4, 0
	s_cselect_b32 s3, -1, 0
	s_cmp_neq_f32 s5, 0
	s_cselect_b32 s8, -1, 0
	s_delay_alu instid0(SALU_CYCLE_1)
	s_or_b32 s3, s3, s8
.LBB366_3:
	s_delay_alu instid0(SALU_CYCLE_1)
	s_mov_b32 s8, s3
.LBB366_4:
	s_delay_alu instid0(SALU_CYCLE_1)
	s_and_b32 vcc_lo, exec_lo, s8
	s_cbranch_vccz .LBB366_39
; %bb.5:
	s_load_b32 s19, s[0:1], 0x60
	s_lshr_b32 s22, ttmp7, 16
	s_wait_kmcnt 0x0
	s_cmp_ge_u32 s22, s19
	s_cbranch_scc1 .LBB366_39
; %bb.6:
	v_and_b32_e32 v1, 0x3ff, v0
	v_bfe_u32 v2, v0, 10, 10
	v_and_b32_e32 v16, 7, v0
	s_lshl_b32 s3, ttmp7, 5
	s_clause 0x2
	s_load_b32 s28, s[0:1], 0x18
	s_load_b128 s[8:11], s[0:1], 0x20
	s_load_b32 s29, s[0:1], 0x30
	s_lshl_b32 s26, ttmp9, 5
	v_lshl_add_u32 v0, v2, 4, v1
	s_and_b32 s3, s3, 0x1fffe0
	s_cmp_neq_f32 s4, 0
	v_lshlrev_b32_e32 v14, 3, v16
	v_add_nc_u32_e32 v6, s26, v1
	v_lshrrev_b32_e32 v17, 5, v0
	v_lshrrev_b32_e32 v3, 3, v0
	v_and_b32_e32 v0, 31, v0
	s_cselect_b32 s27, -1, 0
	s_cmp_neq_f32 s5, 0
	s_clause 0x1
	s_load_b96 s[16:18], s[0:1], 0x48
	s_load_b64 s[24:25], s[0:1], 0x58
	v_add_nc_u32_e32 v5, s3, v3
	v_or_b32_e32 v4, s26, v0
	v_lshlrev_b32_e32 v0, 3, v0
	s_cselect_b32 s0, -1, 0
	v_lshl_or_b32 v3, v3, 6, v14
	s_or_b32 s30, s27, s0
	s_cmp_gt_i32 s21, 0
	v_lshl_or_b32 v18, v17, 8, v0
	v_add_nc_u32_e32 v0, s3, v2
	v_add_nc_u32_e32 v8, 16, v6
	s_cselect_b32 s31, -1, 0
	s_cmp_neq_f32 s14, 0
	v_cmp_gt_i32_e32 vcc_lo, s20, v4
	v_add_nc_u32_e32 v19, 0x800, v3
	s_wait_kmcnt 0x0
	v_mad_co_i64_i32 v[3:4], null, s28, v4, 0
	s_cselect_b32 s33, -1, 0
	s_xor_b32 s34, s2, -1
	v_cmp_gt_i32_e64 s1, s20, v0
	v_cmp_le_i32_e64 s2, v6, v0
	v_cmp_le_i32_e64 s3, v8, v0
	v_add_nc_u32_e32 v10, 16, v0
	v_lshlrev_b64_e32 v[3:4], 3, v[3:4]
	v_mad_co_i64_i32 v[12:13], null, s29, v5, 0
	s_and_b32 s26, s1, s2
	s_and_b32 s27, s1, s3
	v_cmp_gt_i32_e64 s1, s20, v10
	v_cmp_le_i32_e64 s2, v6, v10
	v_cmp_le_i32_e64 s3, v8, v10
	v_cmp_gt_i32_e64 s0, s20, v5
	v_lshlrev_b32_e32 v20, 3, v1
	v_lshl_add_u32 v21, v2, 6, 0x800
	v_mad_co_i64_i32 v[1:2], null, v0, s18, 0
	v_mad_co_i64_i32 v[10:11], null, v10, s18, 0
	s_and_b32 s18, s1, s2
	s_and_b32 s20, s1, s3
	s_lshl_b64 s[2:3], s[8:9], 3
	v_lshlrev_b32_e32 v5, 3, v17
	s_wait_alu 0xfffe
	v_add_co_u32 v15, s1, v3, s2
	s_delay_alu instid0(VALU_DEP_1) | instskip(SKIP_1) | instid1(VALU_DEP_3)
	v_add_co_ci_u32_e64 v22, null, s3, v4, s1
	v_lshlrev_b64_e32 v[3:4], 3, v[12:13]
	v_add_co_u32 v5, s1, v15, v5
	s_lshl_b64 s[2:3], s[12:13], 3
	s_wait_alu 0xf1ff
	v_add_co_ci_u32_e64 v22, null, 0, v22, s1
	s_wait_alu 0xfffe
	v_add_co_u32 v3, s1, v3, s2
	v_ashrrev_i32_e32 v7, 31, v6
	v_ashrrev_i32_e32 v9, 31, v8
	s_wait_alu 0xf1ff
	v_add_co_ci_u32_e64 v4, null, s3, v4, s1
	v_add_co_u32 v24, s1, v3, v14
	v_or_b32_e32 v23, 4, v5
	s_wait_alu 0xf1ff
	s_delay_alu instid0(VALU_DEP_3)
	v_add_co_ci_u32_e64 v25, null, 0, v4, s1
	v_lshlrev_b64_e32 v[2:3], 3, v[1:2]
	v_lshlrev_b64_e32 v[4:5], 3, v[10:11]
	;; [unrolled: 1-line block ×4, first 2 shown]
	v_mov_b32_e32 v0, 0
	s_mov_b32 s23, 0
	s_and_b32 s8, s30, s31
	s_or_b32 s9, s33, s34
	s_xor_b32 s12, vcc_lo, -1
	s_xor_b32 s13, s0, -1
	s_lshl_b64 s[0:1], s[24:25], 3
	s_branch .LBB366_8
.LBB366_7:                              ;   in Loop: Header=BB366_8 Depth=1
	s_wait_alu 0xfffe
	s_or_b32 exec_lo, exec_lo, s2
	s_add_co_i32 s22, s22, 0x10000
	s_delay_alu instid0(SALU_CYCLE_1)
	s_cmp_lt_u32 s22, s19
	s_cbranch_scc0 .LBB366_39
.LBB366_8:                              ; =>This Loop Header: Depth=1
                                        ;     Child Loop BB366_11 Depth 2
	s_lshl_b64 s[2:3], s[22:23], 3
	v_dual_mov_b32 v33, v0 :: v_dual_mov_b32 v32, v0
	s_wait_alu 0xfffe
	s_add_nc_u64 s[24:25], s[16:17], s[2:3]
	v_dual_mov_b32 v30, v0 :: v_dual_mov_b32 v31, v0
	global_load_b64 v[10:11], v0, s[24:25]
	v_dual_mov_b32 v28, v0 :: v_dual_mov_b32 v29, v0
	v_dual_mov_b32 v27, v0 :: v_dual_mov_b32 v26, v0
	s_and_not1_b32 vcc_lo, exec_lo, s8
	s_wait_alu 0xfffe
	s_cbranch_vccnz .LBB366_19
; %bb.9:                                ;   in Loop: Header=BB366_8 Depth=1
	s_add_nc_u64 s[24:25], s[6:7], s[2:3]
	s_add_nc_u64 s[2:3], s[10:11], s[2:3]
	s_clause 0x1
	global_load_b64 v[12:13], v0, s[24:25]
	global_load_b64 v[14:15], v0, s[2:3]
	v_dual_mov_b32 v26, 0 :: v_dual_mov_b32 v27, 0
	v_dual_mov_b32 v29, 0 :: v_dual_mov_b32 v28, 0
	v_dual_mov_b32 v31, 0 :: v_dual_mov_b32 v30, 0
	v_dual_mov_b32 v32, 0 :: v_dual_mov_b32 v33, 0
	s_mov_b32 s2, 0
	s_wait_loadcnt 0x1
	v_add_co_u32 v12, vcc_lo, v12, v23
	s_wait_alu 0xfffd
	v_add_co_ci_u32_e64 v13, null, v13, v22, vcc_lo
	s_wait_loadcnt 0x0
	v_add_co_u32 v14, vcc_lo, v14, v24
	s_wait_alu 0xfffd
	v_add_co_ci_u32_e64 v15, null, v15, v25, vcc_lo
	s_branch .LBB366_11
.LBB366_10:                             ;   in Loop: Header=BB366_11 Depth=2
	s_wait_alu 0xfffe
	s_or_b32 exec_lo, exec_lo, s3
	s_wait_dscnt 0x0
	s_barrier_signal -1
	s_barrier_wait -1
	global_inv scope:SCOPE_SE
	ds_load_b128 v[34:37], v21
	ds_load_2addr_b64 v[38:41], v20 offset1:16
	ds_load_b128 v[42:45], v21 offset:1024
	ds_load_b128 v[46:49], v21 offset:16
	;; [unrolled: 1-line block ×4, first 2 shown]
	ds_load_2addr_b64 v[58:61], v20 offset0:32 offset1:48
	ds_load_b128 v[62:65], v21 offset:1040
	v_add_co_u32 v12, vcc_lo, v12, 64
	s_wait_alu 0xfffd
	v_add_co_ci_u32_e64 v13, null, 0, v13, vcc_lo
	v_add_co_u32 v14, vcc_lo, v14, 64
	s_wait_alu 0xfffd
	v_add_co_ci_u32_e64 v15, null, 0, v15, vcc_lo
	s_add_co_i32 s2, s2, 8
	s_wait_alu 0xfffe
	s_cmp_lt_i32 s2, s21
	s_wait_dscnt 0x6
	v_dual_mul_f32 v1, v35, v39 :: v_dual_mul_f32 v68, v34, v41
	v_dual_mul_f32 v66, v34, v39 :: v_dual_mul_f32 v67, v35, v41
	s_wait_dscnt 0x5
	v_mul_f32_e32 v70, v43, v41
	s_delay_alu instid0(VALU_DEP_3) | instskip(SKIP_3) | instid1(VALU_DEP_4)
	v_fma_f32 v1, v34, v38, -v1
	v_dual_mul_f32 v41, v42, v41 :: v_dual_fmac_f32 v68, v35, v40
	v_fmac_f32_e32 v66, v35, v38
	v_fma_f32 v34, v34, v40, -v67
	v_add_f32_e32 v1, v33, v1
	v_mul_f32_e32 v69, v43, v39
	s_delay_alu instid0(VALU_DEP_4) | instskip(NEXT) | instid1(VALU_DEP_4)
	v_dual_mul_f32 v39, v42, v39 :: v_dual_add_f32 v32, v32, v66
	v_add_f32_e32 v33, v30, v34
	v_fmac_f32_e32 v41, v43, v40
	s_delay_alu instid0(VALU_DEP_4) | instskip(NEXT) | instid1(VALU_DEP_4)
	v_fma_f32 v35, v42, v38, -v69
	v_fmac_f32_e32 v39, v43, v38
	v_fma_f32 v38, v42, v40, -v70
	s_wait_dscnt 0x1
	v_dual_mul_f32 v40, v36, v59 :: v_dual_add_f32 v31, v31, v68
	v_mul_f32_e32 v42, v37, v61
	v_add_f32_e32 v34, v28, v35
	v_dual_add_f32 v35, v29, v39 :: v_dual_add_f32 v38, v27, v38
	ds_load_2addr_b64 v[27:30], v20 offset0:64 offset1:80
	v_fmac_f32_e32 v40, v37, v58
	v_dual_mul_f32 v39, v37, v59 :: v_dual_add_f32 v26, v26, v41
	v_mul_f32_e32 v41, v36, v61
	s_delay_alu instid0(VALU_DEP_3) | instskip(NEXT) | instid1(VALU_DEP_3)
	v_add_f32_e32 v40, v32, v40
	v_fma_f32 v39, v36, v58, -v39
	v_fma_f32 v36, v36, v60, -v42
	v_mul_f32_e32 v32, v44, v59
	s_delay_alu instid0(VALU_DEP_3) | instskip(SKIP_1) | instid1(VALU_DEP_4)
	v_add_f32_e32 v1, v1, v39
	v_mul_f32_e32 v39, v45, v59
	v_add_f32_e32 v36, v33, v36
	v_fmac_f32_e32 v41, v37, v60
	v_mul_f32_e32 v37, v45, v61
	v_fmac_f32_e32 v32, v45, v58
	v_fma_f32 v33, v44, v58, -v39
	s_delay_alu instid0(VALU_DEP_4) | instskip(SKIP_4) | instid1(VALU_DEP_3)
	v_add_f32_e32 v39, v31, v41
	v_mul_f32_e32 v41, v44, v61
	v_fma_f32 v31, v44, v60, -v37
	s_wait_dscnt 0x0
	v_dual_add_f32 v42, v34, v33 :: v_dual_mul_f32 v33, v47, v28
	v_dual_mul_f32 v44, v47, v30 :: v_dual_fmac_f32 v41, v45, v60
	v_mul_f32_e32 v37, v46, v28
	v_add_f32_e32 v38, v38, v31
	s_delay_alu instid0(VALU_DEP_3) | instskip(SKIP_3) | instid1(VALU_DEP_2)
	v_add_f32_e32 v41, v26, v41
	v_mul_f32_e32 v26, v46, v30
	v_fma_f32 v43, v46, v27, -v33
	v_fmac_f32_e32 v37, v47, v27
	v_dual_fmac_f32 v26, v47, v29 :: v_dual_add_f32 v1, v1, v43
	v_fma_f32 v43, v46, v29, -v44
	v_add_f32_e32 v35, v35, v32
	ds_load_2addr_b64 v[31:34], v20 offset0:96 offset1:112
	v_dual_add_f32 v37, v40, v37 :: v_dual_mul_f32 v40, v63, v28
	v_mul_f32_e32 v28, v62, v28
	v_dual_add_f32 v36, v36, v43 :: v_dual_mul_f32 v43, v63, v30
	v_mul_f32_e32 v30, v62, v30
	s_delay_alu instid0(VALU_DEP_4) | instskip(NEXT) | instid1(VALU_DEP_4)
	v_fma_f32 v40, v62, v27, -v40
	v_fmac_f32_e32 v28, v63, v27
	v_add_f32_e32 v39, v39, v26
	v_fma_f32 v26, v62, v29, -v43
	v_fmac_f32_e32 v30, v63, v29
	v_add_f32_e32 v40, v42, v40
	s_delay_alu instid0(VALU_DEP_3)
	v_dual_add_f32 v42, v35, v28 :: v_dual_add_f32 v43, v38, v26
	ds_load_2addr_b64 v[26:29], v20 offset0:128 offset1:144
	s_wait_dscnt 0x1
	v_mul_f32_e32 v35, v49, v32
	v_mul_f32_e32 v38, v48, v32
	;; [unrolled: 1-line block ×4, first 2 shown]
	s_delay_alu instid0(VALU_DEP_4) | instskip(NEXT) | instid1(VALU_DEP_4)
	v_fma_f32 v35, v48, v31, -v35
	v_fmac_f32_e32 v38, v49, v31
	s_delay_alu instid0(VALU_DEP_2) | instskip(SKIP_1) | instid1(VALU_DEP_3)
	v_add_f32_e32 v1, v1, v35
	v_mul_f32_e32 v35, v65, v32
	v_dual_mul_f32 v32, v64, v32 :: v_dual_add_f32 v45, v37, v38
	s_delay_alu instid0(VALU_DEP_2) | instskip(NEXT) | instid1(VALU_DEP_2)
	v_fma_f32 v46, v64, v31, -v35
	v_fmac_f32_e32 v32, v65, v31
	s_wait_dscnt 0x0
	v_mul_f32_e32 v31, v51, v27
	v_fma_f32 v44, v48, v33, -v44
	v_add_f32_e32 v41, v41, v30
	v_mul_f32_e32 v30, v48, v34
	v_mul_f32_e32 v58, v50, v29
	s_delay_alu instid0(VALU_DEP_4) | instskip(SKIP_2) | instid1(VALU_DEP_1)
	v_add_f32_e32 v44, v36, v44
	ds_load_b128 v[35:38], v21 offset:1056
	v_dual_fmac_f32 v30, v49, v33 :: v_dual_mul_f32 v49, v50, v27
	v_add_f32_e32 v48, v39, v30
	v_fma_f32 v30, v64, v33, -v47
	v_fma_f32 v39, v50, v26, -v31
	v_mul_f32_e32 v34, v64, v34
	v_fmac_f32_e32 v49, v51, v26
	v_add_f32_e32 v46, v40, v46
	v_add_f32_e32 v43, v43, v30
	;; [unrolled: 1-line block ×4, first 2 shown]
	v_fmac_f32_e32 v34, v65, v33
	ds_load_2addr_b64 v[30:33], v20 offset0:160 offset1:176
	v_mul_f32_e32 v40, v51, v29
	v_add_f32_e32 v45, v45, v49
	v_add_f32_e32 v34, v41, v34
	s_delay_alu instid0(VALU_DEP_3)
	v_fma_f32 v50, v50, v28, -v40
	ds_load_b128 v[39:42], v21 offset:1072
	s_wait_dscnt 0x2
	v_mul_f32_e32 v59, v36, v27
	v_dual_mul_f32 v27, v35, v27 :: v_dual_add_f32 v44, v44, v50
	v_fmac_f32_e32 v58, v51, v28
	v_mul_f32_e32 v50, v36, v29
	s_delay_alu instid0(VALU_DEP_4) | instskip(NEXT) | instid1(VALU_DEP_4)
	v_fma_f32 v49, v35, v26, -v59
	v_fmac_f32_e32 v27, v36, v26
	s_delay_alu instid0(VALU_DEP_4) | instskip(SKIP_1) | instid1(VALU_DEP_3)
	v_dual_mul_f32 v51, v35, v29 :: v_dual_add_f32 v48, v48, v58
	s_wait_dscnt 0x1
	v_dual_add_f32 v46, v46, v49 :: v_dual_mul_f32 v29, v53, v31
	v_fma_f32 v26, v35, v28, -v50
	v_add_f32_e32 v35, v47, v27
	v_fmac_f32_e32 v51, v36, v28
	v_mul_f32_e32 v36, v52, v31
	v_fma_f32 v47, v52, v30, -v29
	v_add_f32_e32 v43, v43, v26
	ds_load_2addr_b64 v[26:29], v20 offset0:192 offset1:208
	v_fmac_f32_e32 v36, v53, v30
	v_dual_mul_f32 v49, v53, v33 :: v_dual_add_f32 v50, v34, v51
	v_dual_add_f32 v1, v1, v47 :: v_dual_mul_f32 v34, v52, v33
	s_delay_alu instid0(VALU_DEP_3) | instskip(NEXT) | instid1(VALU_DEP_3)
	v_dual_add_f32 v45, v45, v36 :: v_dual_mul_f32 v36, v38, v31
	v_fma_f32 v47, v52, v32, -v49
	s_delay_alu instid0(VALU_DEP_3) | instskip(NEXT) | instid1(VALU_DEP_3)
	v_fmac_f32_e32 v34, v53, v32
	v_fma_f32 v36, v37, v30, -v36
	s_delay_alu instid0(VALU_DEP_3) | instskip(SKIP_1) | instid1(VALU_DEP_3)
	v_dual_add_f32 v44, v44, v47 :: v_dual_mul_f32 v47, v38, v33
	v_mul_f32_e32 v31, v37, v31
	v_dual_mul_f32 v33, v37, v33 :: v_dual_add_f32 v46, v46, v36
	s_delay_alu instid0(VALU_DEP_2) | instskip(SKIP_2) | instid1(VALU_DEP_4)
	v_fmac_f32_e32 v31, v38, v30
	v_add_f32_e32 v30, v48, v34
	v_fma_f32 v34, v37, v32, -v47
	v_fmac_f32_e32 v33, v38, v32
	s_wait_dscnt 0x0
	v_mul_f32_e32 v38, v54, v27
	v_dual_add_f32 v31, v35, v31 :: v_dual_mul_f32 v48, v54, v29
	v_add_f32_e32 v32, v43, v34
	ds_load_2addr_b64 v[34:37], v20 offset0:224 offset1:240
	v_dual_add_f32 v33, v50, v33 :: v_dual_fmac_f32 v38, v55, v26
	v_mul_f32_e32 v47, v55, v27
	v_fmac_f32_e32 v48, v55, v28
	s_wait_loadcnt_dscnt 0x0
	s_barrier_signal -1
	v_add_f32_e32 v38, v45, v38
	v_fma_f32 v43, v54, v26, -v47
	v_mul_f32_e32 v47, v55, v29
	v_mul_f32_e32 v45, v40, v29
	;; [unrolled: 1-line block ×3, first 2 shown]
	s_barrier_wait -1
	v_add_f32_e32 v1, v1, v43
	v_fma_f32 v47, v54, v28, -v47
	v_mul_f32_e32 v43, v40, v27
	v_fmac_f32_e32 v29, v40, v28
	global_inv scope:SCOPE_SE
	v_dual_add_f32 v44, v44, v47 :: v_dual_add_f32 v47, v30, v48
	v_fma_f32 v30, v39, v28, -v45
	v_mul_f32_e32 v27, v39, v27
	s_delay_alu instid0(VALU_DEP_1) | instskip(NEXT) | instid1(VALU_DEP_3)
	v_fmac_f32_e32 v27, v40, v26
	v_add_f32_e32 v40, v32, v30
	v_mul_f32_e32 v30, v57, v37
	v_fma_f32 v43, v39, v26, -v43
	v_mul_f32_e32 v39, v57, v35
	s_delay_alu instid0(VALU_DEP_2) | instskip(NEXT) | instid1(VALU_DEP_2)
	v_add_f32_e32 v26, v46, v43
	v_fma_f32 v28, v56, v34, -v39
	v_add_f32_e32 v39, v33, v29
	v_mul_f32_e32 v29, v41, v35
	s_delay_alu instid0(VALU_DEP_3) | instskip(SKIP_2) | instid1(VALU_DEP_2)
	v_add_f32_e32 v33, v1, v28
	v_fma_f32 v1, v56, v36, -v30
	v_mul_f32_e32 v28, v42, v35
	v_dual_fmac_f32 v29, v42, v34 :: v_dual_add_f32 v30, v44, v1
	s_delay_alu instid0(VALU_DEP_2) | instskip(SKIP_2) | instid1(VALU_DEP_2)
	v_fma_f32 v1, v41, v34, -v28
	v_mul_f32_e32 v43, v56, v35
	v_mul_f32_e32 v35, v42, v37
	v_dual_add_f32 v28, v26, v1 :: v_dual_fmac_f32 v43, v57, v34
	s_delay_alu instid0(VALU_DEP_2) | instskip(NEXT) | instid1(VALU_DEP_2)
	v_fma_f32 v34, v41, v36, -v35
	v_add_f32_e32 v32, v38, v43
	v_add_f32_e32 v27, v31, v27
	v_mul_f32_e32 v31, v56, v37
	v_mul_f32_e32 v37, v41, v37
	s_delay_alu instid0(VALU_DEP_3) | instskip(NEXT) | instid1(VALU_DEP_3)
	v_add_f32_e32 v29, v27, v29
	v_fmac_f32_e32 v31, v57, v36
	s_delay_alu instid0(VALU_DEP_3) | instskip(SKIP_1) | instid1(VALU_DEP_3)
	v_fmac_f32_e32 v37, v42, v36
	v_add_f32_e32 v27, v40, v34
	v_add_f32_e32 v31, v47, v31
	s_delay_alu instid0(VALU_DEP_3)
	v_add_f32_e32 v26, v39, v37
	s_cbranch_scc0 .LBB366_19
.LBB366_11:                             ;   Parent Loop BB366_8 Depth=1
                                        ; =>  This Inner Loop Header: Depth=2
	s_wait_alu 0xfffe
	v_add_nc_u32_e32 v1, s2, v17
	s_delay_alu instid0(VALU_DEP_1) | instskip(SKIP_3) | instid1(SALU_CYCLE_1)
	v_cmp_le_i32_e32 vcc_lo, s21, v1
	s_or_b32 s3, s12, vcc_lo
	s_wait_alu 0xfffe
	s_and_saveexec_b32 s24, s3
	s_xor_b32 s3, exec_lo, s24
; %bb.12:                               ;   in Loop: Header=BB366_11 Depth=2
	ds_store_b32 v18, v0
; %bb.13:                               ;   in Loop: Header=BB366_11 Depth=2
	s_wait_alu 0xfffe
	s_or_saveexec_b32 s3, s3
	v_mov_b32_e32 v1, 0
	s_wait_alu 0xfffe
	s_xor_b32 exec_lo, exec_lo, s3
	s_cbranch_execz .LBB366_15
; %bb.14:                               ;   in Loop: Header=BB366_11 Depth=2
	flat_load_b64 v[34:35], v[12:13] offset:-4
	s_wait_loadcnt_dscnt 0x0
	v_xor_b32_e32 v1, 0x80000000, v35
	ds_store_b32 v18, v34
.LBB366_15:                             ;   in Loop: Header=BB366_11 Depth=2
	s_or_b32 exec_lo, exec_lo, s3
	v_add_nc_u32_e32 v34, s2, v16
	ds_store_b32 v18, v1 offset:4
	v_cmp_le_i32_e32 vcc_lo, s21, v34
	s_or_b32 s3, vcc_lo, s13
	s_wait_alu 0xfffe
	s_and_saveexec_b32 s24, s3
	s_delay_alu instid0(SALU_CYCLE_1)
	s_xor_b32 s3, exec_lo, s24
; %bb.16:                               ;   in Loop: Header=BB366_11 Depth=2
	v_mov_b32_e32 v1, v0
	ds_store_b64 v19, v[0:1]
; %bb.17:                               ;   in Loop: Header=BB366_11 Depth=2
	s_wait_alu 0xfffe
	s_and_not1_saveexec_b32 s3, s3
	s_cbranch_execz .LBB366_10
; %bb.18:                               ;   in Loop: Header=BB366_11 Depth=2
	flat_load_b64 v[34:35], v[14:15]
	s_wait_loadcnt_dscnt 0x0
	ds_store_b64 v19, v[34:35]
	s_branch .LBB366_10
.LBB366_19:                             ;   in Loop: Header=BB366_8 Depth=1
	s_wait_loadcnt 0x0
	v_add_co_u32 v1, vcc_lo, v10, s0
	s_wait_alu 0xfffd
	v_add_co_ci_u32_e64 v12, null, s1, v11, vcc_lo
	s_delay_alu instid0(VALU_DEP_2) | instskip(SKIP_1) | instid1(VALU_DEP_2)
	v_add_co_u32 v13, vcc_lo, v1, v2
	s_wait_alu 0xfffd
	v_add_co_ci_u32_e64 v14, null, v12, v3, vcc_lo
	s_and_saveexec_b32 s2, s26
	s_cbranch_execz .LBB366_24
; %bb.20:                               ;   in Loop: Header=BB366_8 Depth=1
	v_mul_f32_e32 v11, s4, v32
	v_mul_f32_e32 v10, s5, v32
	s_and_b32 vcc_lo, exec_lo, s9
	s_mov_b32 s3, -1
	s_delay_alu instid0(VALU_DEP_2) | instskip(NEXT) | instid1(VALU_DEP_2)
	v_fmac_f32_e32 v11, s5, v33
	v_fma_f32 v10, v33, s4, -v10
	s_wait_alu 0xfffe
	s_cbranch_vccz .LBB366_22
; %bb.21:                               ;   in Loop: Header=BB366_8 Depth=1
	v_add_co_u32 v32, vcc_lo, v13, v6
	s_wait_alu 0xfffd
	v_add_co_ci_u32_e64 v33, null, v14, v7, vcc_lo
	s_mov_b32 s3, 0
	flat_load_b64 v[34:35], v[32:33]
	s_wait_loadcnt_dscnt 0x0
	v_mul_f32_e32 v15, s15, v35
	v_mul_f32_e32 v35, s14, v35
	s_delay_alu instid0(VALU_DEP_2) | instskip(NEXT) | instid1(VALU_DEP_1)
	v_fma_f32 v15, v34, s14, -v15
	v_dual_fmac_f32 v35, s15, v34 :: v_dual_add_f32 v34, v10, v15
	s_delay_alu instid0(VALU_DEP_1)
	v_add_f32_e32 v35, v11, v35
	flat_store_b64 v[32:33], v[34:35]
.LBB366_22:                             ;   in Loop: Header=BB366_8 Depth=1
	s_wait_alu 0xfffe
	s_and_not1_b32 vcc_lo, exec_lo, s3
	s_wait_alu 0xfffe
	s_cbranch_vccnz .LBB366_24
; %bb.23:                               ;   in Loop: Header=BB366_8 Depth=1
	v_add_co_u32 v32, vcc_lo, v13, v6
	s_wait_alu 0xfffd
	v_add_co_ci_u32_e64 v33, null, v14, v7, vcc_lo
	flat_store_b64 v[32:33], v[10:11]
.LBB366_24:                             ;   in Loop: Header=BB366_8 Depth=1
	s_wait_alu 0xfffe
	s_or_b32 exec_lo, exec_lo, s2
	s_and_saveexec_b32 s2, s27
	s_cbranch_execz .LBB366_29
; %bb.25:                               ;   in Loop: Header=BB366_8 Depth=1
	v_mul_f32_e32 v11, s4, v31
	v_mul_f32_e32 v10, s5, v31
	s_and_not1_b32 vcc_lo, exec_lo, s9
	s_mov_b32 s3, -1
	s_delay_alu instid0(VALU_DEP_2) | instskip(NEXT) | instid1(VALU_DEP_2)
	v_fmac_f32_e32 v11, s5, v30
	v_fma_f32 v10, v30, s4, -v10
	s_wait_alu 0xfffe
	s_cbranch_vccnz .LBB366_27
; %bb.26:                               ;   in Loop: Header=BB366_8 Depth=1
	v_add_co_u32 v30, vcc_lo, v13, v8
	s_wait_alu 0xfffd
	v_add_co_ci_u32_e64 v31, null, v14, v9, vcc_lo
	s_mov_b32 s3, 0
	flat_load_b64 v[32:33], v[30:31]
	s_wait_loadcnt_dscnt 0x0
	v_mul_f32_e32 v15, s15, v33
	s_delay_alu instid0(VALU_DEP_1) | instskip(SKIP_1) | instid1(VALU_DEP_1)
	v_fma_f32 v15, v32, s14, -v15
	v_mul_f32_e32 v33, s14, v33
	v_dual_fmac_f32 v33, s15, v32 :: v_dual_add_f32 v32, v10, v15
	s_delay_alu instid0(VALU_DEP_1)
	v_add_f32_e32 v33, v11, v33
	flat_store_b64 v[30:31], v[32:33]
.LBB366_27:                             ;   in Loop: Header=BB366_8 Depth=1
	s_wait_alu 0xfffe
	s_and_not1_b32 vcc_lo, exec_lo, s3
	s_wait_alu 0xfffe
	s_cbranch_vccnz .LBB366_29
; %bb.28:                               ;   in Loop: Header=BB366_8 Depth=1
	v_add_co_u32 v13, vcc_lo, v13, v8
	s_wait_alu 0xfffd
	v_add_co_ci_u32_e64 v14, null, v14, v9, vcc_lo
	flat_store_b64 v[13:14], v[10:11]
.LBB366_29:                             ;   in Loop: Header=BB366_8 Depth=1
	s_wait_alu 0xfffe
	s_or_b32 exec_lo, exec_lo, s2
	v_add_co_u32 v1, vcc_lo, v1, v4
	s_wait_alu 0xfffd
	v_add_co_ci_u32_e64 v12, null, v12, v5, vcc_lo
	s_and_saveexec_b32 s2, s18
	s_cbranch_execz .LBB366_34
; %bb.30:                               ;   in Loop: Header=BB366_8 Depth=1
	v_mul_f32_e32 v11, s4, v29
	v_mul_f32_e32 v10, s5, v29
	s_and_not1_b32 vcc_lo, exec_lo, s9
	s_mov_b32 s3, -1
	s_delay_alu instid0(VALU_DEP_2) | instskip(NEXT) | instid1(VALU_DEP_2)
	v_fmac_f32_e32 v11, s5, v28
	v_fma_f32 v10, v28, s4, -v10
	s_wait_alu 0xfffe
	s_cbranch_vccnz .LBB366_32
; %bb.31:                               ;   in Loop: Header=BB366_8 Depth=1
	v_add_co_u32 v13, vcc_lo, v1, v6
	s_wait_alu 0xfffd
	v_add_co_ci_u32_e64 v14, null, v12, v7, vcc_lo
	s_mov_b32 s3, 0
	flat_load_b64 v[28:29], v[13:14]
	s_wait_loadcnt_dscnt 0x0
	v_mul_f32_e32 v15, s15, v29
	s_delay_alu instid0(VALU_DEP_1) | instskip(SKIP_1) | instid1(VALU_DEP_1)
	v_fma_f32 v15, v28, s14, -v15
	v_mul_f32_e32 v29, s14, v29
	v_dual_fmac_f32 v29, s15, v28 :: v_dual_add_f32 v28, v10, v15
	s_delay_alu instid0(VALU_DEP_1)
	v_add_f32_e32 v29, v11, v29
	flat_store_b64 v[13:14], v[28:29]
.LBB366_32:                             ;   in Loop: Header=BB366_8 Depth=1
	s_wait_alu 0xfffe
	s_and_not1_b32 vcc_lo, exec_lo, s3
	s_wait_alu 0xfffe
	s_cbranch_vccnz .LBB366_34
; %bb.33:                               ;   in Loop: Header=BB366_8 Depth=1
	v_add_co_u32 v13, vcc_lo, v1, v6
	s_wait_alu 0xfffd
	v_add_co_ci_u32_e64 v14, null, v12, v7, vcc_lo
	flat_store_b64 v[13:14], v[10:11]
.LBB366_34:                             ;   in Loop: Header=BB366_8 Depth=1
	s_wait_alu 0xfffe
	s_or_b32 exec_lo, exec_lo, s2
	s_and_saveexec_b32 s2, s20
	s_cbranch_execz .LBB366_7
; %bb.35:                               ;   in Loop: Header=BB366_8 Depth=1
	v_mul_f32_e32 v11, s4, v26
	v_mul_f32_e32 v10, s5, v26
	s_and_not1_b32 vcc_lo, exec_lo, s9
	s_mov_b32 s3, -1
	s_delay_alu instid0(VALU_DEP_2) | instskip(NEXT) | instid1(VALU_DEP_2)
	v_fmac_f32_e32 v11, s5, v27
	v_fma_f32 v10, v27, s4, -v10
	s_wait_alu 0xfffe
	s_cbranch_vccnz .LBB366_37
; %bb.36:                               ;   in Loop: Header=BB366_8 Depth=1
	v_add_co_u32 v13, vcc_lo, v1, v8
	s_wait_alu 0xfffd
	v_add_co_ci_u32_e64 v14, null, v12, v9, vcc_lo
	s_mov_b32 s3, 0
	flat_load_b64 v[26:27], v[13:14]
	s_wait_loadcnt_dscnt 0x0
	v_mul_f32_e32 v15, s15, v27
	v_mul_f32_e32 v27, s14, v27
	s_delay_alu instid0(VALU_DEP_2) | instskip(NEXT) | instid1(VALU_DEP_1)
	v_fma_f32 v15, v26, s14, -v15
	v_dual_fmac_f32 v27, s15, v26 :: v_dual_add_f32 v26, v10, v15
	s_delay_alu instid0(VALU_DEP_1)
	v_add_f32_e32 v27, v11, v27
	flat_store_b64 v[13:14], v[26:27]
.LBB366_37:                             ;   in Loop: Header=BB366_8 Depth=1
	s_wait_alu 0xfffe
	s_and_not1_b32 vcc_lo, exec_lo, s3
	s_wait_alu 0xfffe
	s_cbranch_vccnz .LBB366_7
; %bb.38:                               ;   in Loop: Header=BB366_8 Depth=1
	v_add_co_u32 v13, vcc_lo, v1, v8
	s_wait_alu 0xfffd
	v_add_co_ci_u32_e64 v14, null, v12, v9, vcc_lo
	flat_store_b64 v[13:14], v[10:11]
	s_branch .LBB366_7
.LBB366_39:
	s_endpgm
	.section	.rodata,"a",@progbits
	.p2align	6, 0x0
	.amdhsa_kernel _ZL29rocblas_internal_gemmt_kernelIiLi16ELi32ELi8ELc67ELc78ELc85ELb1ELb0E19rocblas_complex_numIfEPKS1_PKS3_PKPS1_EviT_T9_T10_S9_lSB_S9_lSA_T11_S9_li
		.amdhsa_group_segment_fixed_size 4096
		.amdhsa_private_segment_fixed_size 0
		.amdhsa_kernarg_size 100
		.amdhsa_user_sgpr_count 2
		.amdhsa_user_sgpr_dispatch_ptr 0
		.amdhsa_user_sgpr_queue_ptr 0
		.amdhsa_user_sgpr_kernarg_segment_ptr 1
		.amdhsa_user_sgpr_dispatch_id 0
		.amdhsa_user_sgpr_private_segment_size 0
		.amdhsa_wavefront_size32 1
		.amdhsa_uses_dynamic_stack 0
		.amdhsa_enable_private_segment 0
		.amdhsa_system_sgpr_workgroup_id_x 1
		.amdhsa_system_sgpr_workgroup_id_y 1
		.amdhsa_system_sgpr_workgroup_id_z 1
		.amdhsa_system_sgpr_workgroup_info 0
		.amdhsa_system_vgpr_workitem_id 1
		.amdhsa_next_free_vgpr 71
		.amdhsa_next_free_sgpr 35
		.amdhsa_reserve_vcc 1
		.amdhsa_float_round_mode_32 0
		.amdhsa_float_round_mode_16_64 0
		.amdhsa_float_denorm_mode_32 3
		.amdhsa_float_denorm_mode_16_64 3
		.amdhsa_fp16_overflow 0
		.amdhsa_workgroup_processor_mode 1
		.amdhsa_memory_ordered 1
		.amdhsa_forward_progress 1
		.amdhsa_inst_pref_size 26
		.amdhsa_round_robin_scheduling 0
		.amdhsa_exception_fp_ieee_invalid_op 0
		.amdhsa_exception_fp_denorm_src 0
		.amdhsa_exception_fp_ieee_div_zero 0
		.amdhsa_exception_fp_ieee_overflow 0
		.amdhsa_exception_fp_ieee_underflow 0
		.amdhsa_exception_fp_ieee_inexact 0
		.amdhsa_exception_int_div_zero 0
	.end_amdhsa_kernel
	.section	.text._ZL29rocblas_internal_gemmt_kernelIiLi16ELi32ELi8ELc67ELc78ELc85ELb1ELb0E19rocblas_complex_numIfEPKS1_PKS3_PKPS1_EviT_T9_T10_S9_lSB_S9_lSA_T11_S9_li,"axG",@progbits,_ZL29rocblas_internal_gemmt_kernelIiLi16ELi32ELi8ELc67ELc78ELc85ELb1ELb0E19rocblas_complex_numIfEPKS1_PKS3_PKPS1_EviT_T9_T10_S9_lSB_S9_lSA_T11_S9_li,comdat
.Lfunc_end366:
	.size	_ZL29rocblas_internal_gemmt_kernelIiLi16ELi32ELi8ELc67ELc78ELc85ELb1ELb0E19rocblas_complex_numIfEPKS1_PKS3_PKPS1_EviT_T9_T10_S9_lSB_S9_lSA_T11_S9_li, .Lfunc_end366-_ZL29rocblas_internal_gemmt_kernelIiLi16ELi32ELi8ELc67ELc78ELc85ELb1ELb0E19rocblas_complex_numIfEPKS1_PKS3_PKPS1_EviT_T9_T10_S9_lSB_S9_lSA_T11_S9_li
                                        ; -- End function
	.set _ZL29rocblas_internal_gemmt_kernelIiLi16ELi32ELi8ELc67ELc78ELc85ELb1ELb0E19rocblas_complex_numIfEPKS1_PKS3_PKPS1_EviT_T9_T10_S9_lSB_S9_lSA_T11_S9_li.num_vgpr, 71
	.set _ZL29rocblas_internal_gemmt_kernelIiLi16ELi32ELi8ELc67ELc78ELc85ELb1ELb0E19rocblas_complex_numIfEPKS1_PKS3_PKPS1_EviT_T9_T10_S9_lSB_S9_lSA_T11_S9_li.num_agpr, 0
	.set _ZL29rocblas_internal_gemmt_kernelIiLi16ELi32ELi8ELc67ELc78ELc85ELb1ELb0E19rocblas_complex_numIfEPKS1_PKS3_PKPS1_EviT_T9_T10_S9_lSB_S9_lSA_T11_S9_li.numbered_sgpr, 35
	.set _ZL29rocblas_internal_gemmt_kernelIiLi16ELi32ELi8ELc67ELc78ELc85ELb1ELb0E19rocblas_complex_numIfEPKS1_PKS3_PKPS1_EviT_T9_T10_S9_lSB_S9_lSA_T11_S9_li.num_named_barrier, 0
	.set _ZL29rocblas_internal_gemmt_kernelIiLi16ELi32ELi8ELc67ELc78ELc85ELb1ELb0E19rocblas_complex_numIfEPKS1_PKS3_PKPS1_EviT_T9_T10_S9_lSB_S9_lSA_T11_S9_li.private_seg_size, 0
	.set _ZL29rocblas_internal_gemmt_kernelIiLi16ELi32ELi8ELc67ELc78ELc85ELb1ELb0E19rocblas_complex_numIfEPKS1_PKS3_PKPS1_EviT_T9_T10_S9_lSB_S9_lSA_T11_S9_li.uses_vcc, 1
	.set _ZL29rocblas_internal_gemmt_kernelIiLi16ELi32ELi8ELc67ELc78ELc85ELb1ELb0E19rocblas_complex_numIfEPKS1_PKS3_PKPS1_EviT_T9_T10_S9_lSB_S9_lSA_T11_S9_li.uses_flat_scratch, 0
	.set _ZL29rocblas_internal_gemmt_kernelIiLi16ELi32ELi8ELc67ELc78ELc85ELb1ELb0E19rocblas_complex_numIfEPKS1_PKS3_PKPS1_EviT_T9_T10_S9_lSB_S9_lSA_T11_S9_li.has_dyn_sized_stack, 0
	.set _ZL29rocblas_internal_gemmt_kernelIiLi16ELi32ELi8ELc67ELc78ELc85ELb1ELb0E19rocblas_complex_numIfEPKS1_PKS3_PKPS1_EviT_T9_T10_S9_lSB_S9_lSA_T11_S9_li.has_recursion, 0
	.set _ZL29rocblas_internal_gemmt_kernelIiLi16ELi32ELi8ELc67ELc78ELc85ELb1ELb0E19rocblas_complex_numIfEPKS1_PKS3_PKPS1_EviT_T9_T10_S9_lSB_S9_lSA_T11_S9_li.has_indirect_call, 0
	.section	.AMDGPU.csdata,"",@progbits
; Kernel info:
; codeLenInByte = 3208
; TotalNumSgprs: 37
; NumVgprs: 71
; ScratchSize: 0
; MemoryBound: 1
; FloatMode: 240
; IeeeMode: 1
; LDSByteSize: 4096 bytes/workgroup (compile time only)
; SGPRBlocks: 0
; VGPRBlocks: 8
; NumSGPRsForWavesPerEU: 37
; NumVGPRsForWavesPerEU: 71
; Occupancy: 16
; WaveLimiterHint : 1
; COMPUTE_PGM_RSRC2:SCRATCH_EN: 0
; COMPUTE_PGM_RSRC2:USER_SGPR: 2
; COMPUTE_PGM_RSRC2:TRAP_HANDLER: 0
; COMPUTE_PGM_RSRC2:TGID_X_EN: 1
; COMPUTE_PGM_RSRC2:TGID_Y_EN: 1
; COMPUTE_PGM_RSRC2:TGID_Z_EN: 1
; COMPUTE_PGM_RSRC2:TIDIG_COMP_CNT: 1
	.section	.text._ZL29rocblas_internal_gemmt_kernelIiLi16ELi32ELi8ELc67ELc84ELc85ELb1ELb0E19rocblas_complex_numIfEPKS1_PKS3_PKPS1_EviT_T9_T10_S9_lSB_S9_lSA_T11_S9_li,"axG",@progbits,_ZL29rocblas_internal_gemmt_kernelIiLi16ELi32ELi8ELc67ELc84ELc85ELb1ELb0E19rocblas_complex_numIfEPKS1_PKS3_PKPS1_EviT_T9_T10_S9_lSB_S9_lSA_T11_S9_li,comdat
	.globl	_ZL29rocblas_internal_gemmt_kernelIiLi16ELi32ELi8ELc67ELc84ELc85ELb1ELb0E19rocblas_complex_numIfEPKS1_PKS3_PKPS1_EviT_T9_T10_S9_lSB_S9_lSA_T11_S9_li ; -- Begin function _ZL29rocblas_internal_gemmt_kernelIiLi16ELi32ELi8ELc67ELc84ELc85ELb1ELb0E19rocblas_complex_numIfEPKS1_PKS3_PKPS1_EviT_T9_T10_S9_lSB_S9_lSA_T11_S9_li
	.p2align	8
	.type	_ZL29rocblas_internal_gemmt_kernelIiLi16ELi32ELi8ELc67ELc84ELc85ELb1ELb0E19rocblas_complex_numIfEPKS1_PKS3_PKPS1_EviT_T9_T10_S9_lSB_S9_lSA_T11_S9_li,@function
_ZL29rocblas_internal_gemmt_kernelIiLi16ELi32ELi8ELc67ELc84ELc85ELb1ELb0E19rocblas_complex_numIfEPKS1_PKS3_PKPS1_EviT_T9_T10_S9_lSB_S9_lSA_T11_S9_li: ; @_ZL29rocblas_internal_gemmt_kernelIiLi16ELi32ELi8ELc67ELc84ELc85ELb1ELb0E19rocblas_complex_numIfEPKS1_PKS3_PKPS1_EviT_T9_T10_S9_lSB_S9_lSA_T11_S9_li
; %bb.0:
	s_load_b128 s[12:15], s[0:1], 0x38
	s_wait_kmcnt 0x0
	s_load_b64 s[14:15], s[14:15], 0x0
	s_clause 0x1
	s_load_b128 s[4:7], s[0:1], 0x8
	s_load_b64 s[20:21], s[0:1], 0x0
	s_wait_kmcnt 0x0
	s_load_b64 s[4:5], s[4:5], 0x0
	s_cmp_eq_f32 s14, 1.0
	s_cselect_b32 s3, -1, 0
	s_and_b32 s2, s15, 0x7fffffff
	s_delay_alu instid0(SALU_CYCLE_1) | instskip(SKIP_1) | instid1(SALU_CYCLE_1)
	s_cmp_eq_u32 s2, 0
	s_cselect_b32 s2, -1, 0
	s_and_b32 s8, s3, s2
	s_mov_b32 s3, 0
	s_and_not1_b32 vcc_lo, exec_lo, s8
	s_mov_b32 s8, -1
	s_cbranch_vccnz .LBB367_4
; %bb.1:
	s_cmp_lg_u32 s21, 0
	s_cbranch_scc0 .LBB367_3
; %bb.2:
	s_wait_kmcnt 0x0
	s_cmp_neq_f32 s4, 0
	s_cselect_b32 s3, -1, 0
	s_cmp_neq_f32 s5, 0
	s_cselect_b32 s8, -1, 0
	s_delay_alu instid0(SALU_CYCLE_1)
	s_or_b32 s3, s3, s8
.LBB367_3:
	s_delay_alu instid0(SALU_CYCLE_1)
	s_mov_b32 s8, s3
.LBB367_4:
	s_delay_alu instid0(SALU_CYCLE_1)
	s_and_b32 vcc_lo, exec_lo, s8
	s_cbranch_vccz .LBB367_39
; %bb.5:
	s_load_b32 s19, s[0:1], 0x60
	s_lshr_b32 s22, ttmp7, 16
	s_wait_kmcnt 0x0
	s_cmp_ge_u32 s22, s19
	s_cbranch_scc1 .LBB367_39
; %bb.6:
	s_clause 0x2
	s_load_b32 s24, s[0:1], 0x30
	s_load_b32 s30, s[0:1], 0x18
	s_load_b128 s[8:11], s[0:1], 0x20
	v_and_b32_e32 v1, 0x3ff, v0
	v_bfe_u32 v2, v0, 10, 10
	v_and_b32_e32 v16, 7, v0
	s_clause 0x1
	s_load_b96 s[16:18], s[0:1], 0x48
	s_load_b64 s[26:27], s[0:1], 0x58
	s_lshl_b32 s1, ttmp7, 5
	s_lshl_b32 s0, ttmp9, 5
	v_lshl_add_u32 v0, v2, 4, v1
	s_and_b32 s1, s1, 0x1fffe0
	v_lshlrev_b32_e32 v17, 3, v1
	v_add_nc_u32_e32 v6, s0, v1
	v_lshlrev_b32_e32 v3, 3, v16
	v_and_b32_e32 v1, 31, v0
	v_lshrrev_b32_e32 v4, 3, v0
	v_lshrrev_b32_e32 v18, 5, v0
	v_add_nc_u32_e32 v8, 16, v6
	v_lshl_add_u32 v21, v2, 6, 0x800
	v_or_b32_e32 v0, s0, v1
	s_wait_kmcnt 0x0
	s_ashr_i32 s25, s24, 31
	s_cmp_neq_f32 s4, 0
	v_lshlrev_b32_e32 v1, 3, v1
	v_lshl_or_b32 v3, v4, 6, v3
	v_add_nc_u32_e32 v5, s1, v4
	s_cselect_b32 s3, -1, 0
	s_cmp_neq_f32 s5, 0
	v_lshl_or_b32 v19, v18, 8, v1
	v_add_nc_u32_e32 v1, s1, v2
	v_add_nc_u32_e32 v20, 0x800, v3
	s_cselect_b32 s28, -1, 0
	v_mad_co_i64_i32 v[3:4], null, s30, v0, 0
	s_or_b32 s31, s3, s28
	s_cmp_gt_i32 s21, 0
	v_cmp_gt_i32_e64 s1, s20, v1
	s_cselect_b32 s33, -1, 0
	s_cmp_neq_f32 s14, 0
	v_cmp_le_i32_e64 s3, v8, v1
	v_add_nc_u32_e32 v10, 16, v1
	v_lshlrev_b64_e32 v[3:4], 3, v[3:4]
	s_cselect_b32 s34, -1, 0
	s_xor_b32 s35, s2, -1
	v_cmp_le_i32_e64 s2, v6, v1
	s_and_b32 s29, s1, s3
	v_cmp_le_i32_e64 s3, v8, v10
	v_mad_co_i64_i32 v[12:13], null, s24, v16, 0
	s_and_b32 s28, s1, s2
	v_cmp_gt_i32_e64 s1, s20, v10
	v_cmp_le_i32_e64 s2, v6, v10
	v_cmp_gt_i32_e32 vcc_lo, s20, v0
	v_cmp_gt_i32_e64 s0, s20, v5
	v_mad_co_i64_i32 v[1:2], null, v1, s18, 0
	v_mad_co_i64_i32 v[10:11], null, v10, s18, 0
	s_and_b32 s18, s1, s2
	s_and_b32 s20, s1, s3
	s_lshl_b64 s[2:3], s[8:9], 3
	v_lshlrev_b32_e32 v14, 3, v18
	v_add_co_u32 v15, s1, v3, s2
	s_wait_alu 0xf1ff
	v_add_co_ci_u32_e64 v22, null, s3, v4, s1
	v_lshlrev_b64_e32 v[3:4], 3, v[12:13]
	s_delay_alu instid0(VALU_DEP_3)
	v_add_co_u32 v12, s1, v15, v14
	s_lshl_b64 s[2:3], s[12:13], 3
	s_wait_alu 0xf1ff
	v_add_co_ci_u32_e64 v22, null, 0, v22, s1
	v_lshlrev_b32_e32 v5, 3, v5
	s_wait_alu 0xfffe
	v_add_co_u32 v3, s1, v3, s2
	v_ashrrev_i32_e32 v7, 31, v6
	v_ashrrev_i32_e32 v9, 31, v8
	s_wait_alu 0xf1ff
	v_add_co_ci_u32_e64 v4, null, s3, v4, s1
	v_add_co_u32 v24, s1, v3, v5
	v_lshlrev_b64_e32 v[2:3], 3, v[1:2]
	s_wait_alu 0xf1ff
	s_delay_alu instid0(VALU_DEP_3)
	v_add_co_ci_u32_e64 v25, null, 0, v4, s1
	v_lshlrev_b64_e32 v[4:5], 3, v[10:11]
	v_lshlrev_b64_e32 v[6:7], 3, v[6:7]
	;; [unrolled: 1-line block ×3, first 2 shown]
	v_mov_b32_e32 v0, 0
	v_or_b32_e32 v23, 4, v12
	s_mov_b32 s23, 0
	s_lshl_b64 s[2:3], s[24:25], 6
	s_and_b32 s12, s31, s33
	s_or_b32 s13, s34, s35
	s_xor_b32 s24, vcc_lo, -1
	s_xor_b32 s25, s0, -1
	s_lshl_b64 s[0:1], s[26:27], 3
	s_branch .LBB367_8
.LBB367_7:                              ;   in Loop: Header=BB367_8 Depth=1
	s_wait_alu 0xfffe
	s_or_b32 exec_lo, exec_lo, s8
	s_add_co_i32 s22, s22, 0x10000
	s_delay_alu instid0(SALU_CYCLE_1)
	s_cmp_lt_u32 s22, s19
	s_cbranch_scc0 .LBB367_39
.LBB367_8:                              ; =>This Loop Header: Depth=1
                                        ;     Child Loop BB367_11 Depth 2
	s_lshl_b64 s[8:9], s[22:23], 3
	v_dual_mov_b32 v33, v0 :: v_dual_mov_b32 v32, v0
	s_wait_alu 0xfffe
	s_add_nc_u64 s[26:27], s[16:17], s[8:9]
	v_dual_mov_b32 v30, v0 :: v_dual_mov_b32 v31, v0
	global_load_b64 v[10:11], v0, s[26:27]
	v_dual_mov_b32 v28, v0 :: v_dual_mov_b32 v29, v0
	v_dual_mov_b32 v27, v0 :: v_dual_mov_b32 v26, v0
	s_and_not1_b32 vcc_lo, exec_lo, s12
	s_wait_alu 0xfffe
	s_cbranch_vccnz .LBB367_19
; %bb.9:                                ;   in Loop: Header=BB367_8 Depth=1
	s_add_nc_u64 s[26:27], s[6:7], s[8:9]
	s_add_nc_u64 s[8:9], s[10:11], s[8:9]
	s_clause 0x1
	global_load_b64 v[12:13], v0, s[26:27]
	global_load_b64 v[14:15], v0, s[8:9]
	v_dual_mov_b32 v26, 0 :: v_dual_mov_b32 v27, 0
	v_dual_mov_b32 v29, 0 :: v_dual_mov_b32 v28, 0
	;; [unrolled: 1-line block ×4, first 2 shown]
	s_mov_b32 s8, 0
	s_wait_loadcnt 0x1
	v_add_co_u32 v12, vcc_lo, v12, v23
	s_wait_alu 0xfffd
	v_add_co_ci_u32_e64 v13, null, v13, v22, vcc_lo
	s_wait_loadcnt 0x0
	v_add_co_u32 v14, vcc_lo, v14, v24
	s_wait_alu 0xfffd
	v_add_co_ci_u32_e64 v15, null, v15, v25, vcc_lo
	s_branch .LBB367_11
.LBB367_10:                             ;   in Loop: Header=BB367_11 Depth=2
	s_wait_alu 0xfffe
	s_or_b32 exec_lo, exec_lo, s9
	s_wait_dscnt 0x0
	s_barrier_signal -1
	s_barrier_wait -1
	global_inv scope:SCOPE_SE
	ds_load_b128 v[34:37], v21
	ds_load_2addr_b64 v[38:41], v17 offset1:16
	ds_load_b128 v[42:45], v21 offset:1024
	ds_load_b128 v[46:49], v21 offset:16
	;; [unrolled: 1-line block ×4, first 2 shown]
	ds_load_2addr_b64 v[58:61], v17 offset0:32 offset1:48
	ds_load_b128 v[62:65], v21 offset:1040
	v_add_co_u32 v12, vcc_lo, v12, 64
	s_wait_alu 0xfffd
	v_add_co_ci_u32_e64 v13, null, 0, v13, vcc_lo
	v_add_co_u32 v14, vcc_lo, v14, s2
	s_wait_alu 0xfffd
	v_add_co_ci_u32_e64 v15, null, s3, v15, vcc_lo
	s_add_co_i32 s8, s8, 8
	s_wait_alu 0xfffe
	s_cmp_lt_i32 s8, s21
	s_wait_dscnt 0x6
	v_dual_mul_f32 v1, v35, v39 :: v_dual_mul_f32 v68, v34, v41
	v_dual_mul_f32 v66, v34, v39 :: v_dual_mul_f32 v67, v35, v41
	s_wait_dscnt 0x5
	v_mul_f32_e32 v70, v43, v41
	s_delay_alu instid0(VALU_DEP_3) | instskip(SKIP_3) | instid1(VALU_DEP_4)
	v_fma_f32 v1, v34, v38, -v1
	v_dual_mul_f32 v41, v42, v41 :: v_dual_fmac_f32 v68, v35, v40
	v_fmac_f32_e32 v66, v35, v38
	v_fma_f32 v34, v34, v40, -v67
	v_add_f32_e32 v1, v33, v1
	v_mul_f32_e32 v69, v43, v39
	s_delay_alu instid0(VALU_DEP_4) | instskip(NEXT) | instid1(VALU_DEP_4)
	v_dual_mul_f32 v39, v42, v39 :: v_dual_add_f32 v32, v32, v66
	v_add_f32_e32 v33, v30, v34
	v_fmac_f32_e32 v41, v43, v40
	s_delay_alu instid0(VALU_DEP_4) | instskip(NEXT) | instid1(VALU_DEP_4)
	v_fma_f32 v35, v42, v38, -v69
	v_fmac_f32_e32 v39, v43, v38
	v_fma_f32 v38, v42, v40, -v70
	s_wait_dscnt 0x1
	v_dual_mul_f32 v40, v36, v59 :: v_dual_add_f32 v31, v31, v68
	v_mul_f32_e32 v42, v37, v61
	v_add_f32_e32 v34, v28, v35
	v_dual_add_f32 v35, v29, v39 :: v_dual_add_f32 v38, v27, v38
	ds_load_2addr_b64 v[27:30], v17 offset0:64 offset1:80
	v_fmac_f32_e32 v40, v37, v58
	v_dual_mul_f32 v39, v37, v59 :: v_dual_add_f32 v26, v26, v41
	v_mul_f32_e32 v41, v36, v61
	s_delay_alu instid0(VALU_DEP_3) | instskip(NEXT) | instid1(VALU_DEP_3)
	v_add_f32_e32 v40, v32, v40
	v_fma_f32 v39, v36, v58, -v39
	v_fma_f32 v36, v36, v60, -v42
	v_mul_f32_e32 v32, v44, v59
	s_delay_alu instid0(VALU_DEP_3) | instskip(SKIP_1) | instid1(VALU_DEP_4)
	v_add_f32_e32 v1, v1, v39
	v_mul_f32_e32 v39, v45, v59
	v_add_f32_e32 v36, v33, v36
	v_fmac_f32_e32 v41, v37, v60
	v_mul_f32_e32 v37, v45, v61
	v_fmac_f32_e32 v32, v45, v58
	v_fma_f32 v33, v44, v58, -v39
	s_delay_alu instid0(VALU_DEP_4) | instskip(SKIP_4) | instid1(VALU_DEP_3)
	v_add_f32_e32 v39, v31, v41
	v_mul_f32_e32 v41, v44, v61
	v_fma_f32 v31, v44, v60, -v37
	s_wait_dscnt 0x0
	v_dual_add_f32 v42, v34, v33 :: v_dual_mul_f32 v33, v47, v28
	v_dual_mul_f32 v44, v47, v30 :: v_dual_fmac_f32 v41, v45, v60
	v_mul_f32_e32 v37, v46, v28
	v_add_f32_e32 v38, v38, v31
	s_delay_alu instid0(VALU_DEP_3) | instskip(SKIP_3) | instid1(VALU_DEP_2)
	v_add_f32_e32 v41, v26, v41
	v_mul_f32_e32 v26, v46, v30
	v_fma_f32 v43, v46, v27, -v33
	v_fmac_f32_e32 v37, v47, v27
	v_dual_fmac_f32 v26, v47, v29 :: v_dual_add_f32 v1, v1, v43
	v_fma_f32 v43, v46, v29, -v44
	v_add_f32_e32 v35, v35, v32
	ds_load_2addr_b64 v[31:34], v17 offset0:96 offset1:112
	v_dual_add_f32 v37, v40, v37 :: v_dual_mul_f32 v40, v63, v28
	v_mul_f32_e32 v28, v62, v28
	v_dual_add_f32 v36, v36, v43 :: v_dual_mul_f32 v43, v63, v30
	v_mul_f32_e32 v30, v62, v30
	s_delay_alu instid0(VALU_DEP_4) | instskip(NEXT) | instid1(VALU_DEP_4)
	v_fma_f32 v40, v62, v27, -v40
	v_fmac_f32_e32 v28, v63, v27
	v_add_f32_e32 v39, v39, v26
	v_fma_f32 v26, v62, v29, -v43
	v_fmac_f32_e32 v30, v63, v29
	v_add_f32_e32 v40, v42, v40
	s_delay_alu instid0(VALU_DEP_3)
	v_dual_add_f32 v42, v35, v28 :: v_dual_add_f32 v43, v38, v26
	ds_load_2addr_b64 v[26:29], v17 offset0:128 offset1:144
	s_wait_dscnt 0x1
	v_mul_f32_e32 v35, v49, v32
	v_mul_f32_e32 v38, v48, v32
	;; [unrolled: 1-line block ×4, first 2 shown]
	s_delay_alu instid0(VALU_DEP_4) | instskip(NEXT) | instid1(VALU_DEP_4)
	v_fma_f32 v35, v48, v31, -v35
	v_fmac_f32_e32 v38, v49, v31
	s_delay_alu instid0(VALU_DEP_2) | instskip(SKIP_1) | instid1(VALU_DEP_3)
	v_add_f32_e32 v1, v1, v35
	v_mul_f32_e32 v35, v65, v32
	v_dual_mul_f32 v32, v64, v32 :: v_dual_add_f32 v45, v37, v38
	s_delay_alu instid0(VALU_DEP_2) | instskip(NEXT) | instid1(VALU_DEP_2)
	v_fma_f32 v46, v64, v31, -v35
	v_fmac_f32_e32 v32, v65, v31
	s_wait_dscnt 0x0
	v_mul_f32_e32 v31, v51, v27
	v_fma_f32 v44, v48, v33, -v44
	v_add_f32_e32 v41, v41, v30
	v_mul_f32_e32 v30, v48, v34
	v_mul_f32_e32 v58, v50, v29
	s_delay_alu instid0(VALU_DEP_4) | instskip(SKIP_2) | instid1(VALU_DEP_1)
	v_add_f32_e32 v44, v36, v44
	ds_load_b128 v[35:38], v21 offset:1056
	v_dual_fmac_f32 v30, v49, v33 :: v_dual_mul_f32 v49, v50, v27
	v_add_f32_e32 v48, v39, v30
	v_fma_f32 v30, v64, v33, -v47
	v_fma_f32 v39, v50, v26, -v31
	v_mul_f32_e32 v34, v64, v34
	v_fmac_f32_e32 v49, v51, v26
	v_add_f32_e32 v46, v40, v46
	v_add_f32_e32 v43, v43, v30
	;; [unrolled: 1-line block ×4, first 2 shown]
	v_fmac_f32_e32 v34, v65, v33
	ds_load_2addr_b64 v[30:33], v17 offset0:160 offset1:176
	v_mul_f32_e32 v40, v51, v29
	v_add_f32_e32 v45, v45, v49
	v_add_f32_e32 v34, v41, v34
	s_delay_alu instid0(VALU_DEP_3)
	v_fma_f32 v50, v50, v28, -v40
	ds_load_b128 v[39:42], v21 offset:1072
	s_wait_dscnt 0x2
	v_mul_f32_e32 v59, v36, v27
	v_dual_mul_f32 v27, v35, v27 :: v_dual_add_f32 v44, v44, v50
	v_fmac_f32_e32 v58, v51, v28
	v_mul_f32_e32 v50, v36, v29
	s_delay_alu instid0(VALU_DEP_4) | instskip(NEXT) | instid1(VALU_DEP_4)
	v_fma_f32 v49, v35, v26, -v59
	v_fmac_f32_e32 v27, v36, v26
	s_delay_alu instid0(VALU_DEP_4) | instskip(SKIP_1) | instid1(VALU_DEP_3)
	v_dual_mul_f32 v51, v35, v29 :: v_dual_add_f32 v48, v48, v58
	s_wait_dscnt 0x1
	v_dual_add_f32 v46, v46, v49 :: v_dual_mul_f32 v29, v53, v31
	v_fma_f32 v26, v35, v28, -v50
	v_add_f32_e32 v35, v47, v27
	v_fmac_f32_e32 v51, v36, v28
	v_mul_f32_e32 v36, v52, v31
	v_fma_f32 v47, v52, v30, -v29
	v_add_f32_e32 v43, v43, v26
	ds_load_2addr_b64 v[26:29], v17 offset0:192 offset1:208
	v_fmac_f32_e32 v36, v53, v30
	v_dual_mul_f32 v49, v53, v33 :: v_dual_add_f32 v50, v34, v51
	v_dual_add_f32 v1, v1, v47 :: v_dual_mul_f32 v34, v52, v33
	s_delay_alu instid0(VALU_DEP_3) | instskip(NEXT) | instid1(VALU_DEP_3)
	v_dual_add_f32 v45, v45, v36 :: v_dual_mul_f32 v36, v38, v31
	v_fma_f32 v47, v52, v32, -v49
	s_delay_alu instid0(VALU_DEP_3) | instskip(NEXT) | instid1(VALU_DEP_3)
	v_fmac_f32_e32 v34, v53, v32
	v_fma_f32 v36, v37, v30, -v36
	s_delay_alu instid0(VALU_DEP_3) | instskip(SKIP_1) | instid1(VALU_DEP_3)
	v_dual_add_f32 v44, v44, v47 :: v_dual_mul_f32 v47, v38, v33
	v_mul_f32_e32 v31, v37, v31
	v_dual_mul_f32 v33, v37, v33 :: v_dual_add_f32 v46, v46, v36
	s_delay_alu instid0(VALU_DEP_2) | instskip(SKIP_2) | instid1(VALU_DEP_4)
	v_fmac_f32_e32 v31, v38, v30
	v_add_f32_e32 v30, v48, v34
	v_fma_f32 v34, v37, v32, -v47
	v_fmac_f32_e32 v33, v38, v32
	s_wait_dscnt 0x0
	v_mul_f32_e32 v38, v54, v27
	v_dual_add_f32 v31, v35, v31 :: v_dual_mul_f32 v48, v54, v29
	v_add_f32_e32 v32, v43, v34
	ds_load_2addr_b64 v[34:37], v17 offset0:224 offset1:240
	v_dual_add_f32 v33, v50, v33 :: v_dual_fmac_f32 v38, v55, v26
	v_mul_f32_e32 v47, v55, v27
	v_fmac_f32_e32 v48, v55, v28
	s_wait_loadcnt_dscnt 0x0
	s_barrier_signal -1
	v_add_f32_e32 v38, v45, v38
	v_fma_f32 v43, v54, v26, -v47
	v_mul_f32_e32 v47, v55, v29
	v_mul_f32_e32 v45, v40, v29
	;; [unrolled: 1-line block ×3, first 2 shown]
	s_barrier_wait -1
	v_add_f32_e32 v1, v1, v43
	v_fma_f32 v47, v54, v28, -v47
	v_mul_f32_e32 v43, v40, v27
	v_fmac_f32_e32 v29, v40, v28
	global_inv scope:SCOPE_SE
	v_dual_add_f32 v44, v44, v47 :: v_dual_add_f32 v47, v30, v48
	v_fma_f32 v30, v39, v28, -v45
	v_mul_f32_e32 v27, v39, v27
	s_delay_alu instid0(VALU_DEP_1) | instskip(NEXT) | instid1(VALU_DEP_3)
	v_fmac_f32_e32 v27, v40, v26
	v_add_f32_e32 v40, v32, v30
	v_mul_f32_e32 v30, v57, v37
	v_fma_f32 v43, v39, v26, -v43
	v_mul_f32_e32 v39, v57, v35
	s_delay_alu instid0(VALU_DEP_2) | instskip(NEXT) | instid1(VALU_DEP_2)
	v_add_f32_e32 v26, v46, v43
	v_fma_f32 v28, v56, v34, -v39
	v_add_f32_e32 v39, v33, v29
	v_mul_f32_e32 v29, v41, v35
	s_delay_alu instid0(VALU_DEP_3) | instskip(SKIP_2) | instid1(VALU_DEP_2)
	v_add_f32_e32 v33, v1, v28
	v_fma_f32 v1, v56, v36, -v30
	v_mul_f32_e32 v28, v42, v35
	v_dual_fmac_f32 v29, v42, v34 :: v_dual_add_f32 v30, v44, v1
	s_delay_alu instid0(VALU_DEP_2) | instskip(SKIP_2) | instid1(VALU_DEP_2)
	v_fma_f32 v1, v41, v34, -v28
	v_mul_f32_e32 v43, v56, v35
	v_mul_f32_e32 v35, v42, v37
	v_dual_add_f32 v28, v26, v1 :: v_dual_fmac_f32 v43, v57, v34
	s_delay_alu instid0(VALU_DEP_2) | instskip(NEXT) | instid1(VALU_DEP_2)
	v_fma_f32 v34, v41, v36, -v35
	v_add_f32_e32 v32, v38, v43
	v_add_f32_e32 v27, v31, v27
	v_mul_f32_e32 v31, v56, v37
	v_mul_f32_e32 v37, v41, v37
	s_delay_alu instid0(VALU_DEP_3) | instskip(NEXT) | instid1(VALU_DEP_3)
	v_add_f32_e32 v29, v27, v29
	v_fmac_f32_e32 v31, v57, v36
	s_delay_alu instid0(VALU_DEP_3) | instskip(SKIP_1) | instid1(VALU_DEP_3)
	v_fmac_f32_e32 v37, v42, v36
	v_add_f32_e32 v27, v40, v34
	v_add_f32_e32 v31, v47, v31
	s_delay_alu instid0(VALU_DEP_3)
	v_add_f32_e32 v26, v39, v37
	s_cbranch_scc0 .LBB367_19
.LBB367_11:                             ;   Parent Loop BB367_8 Depth=1
                                        ; =>  This Inner Loop Header: Depth=2
	s_wait_alu 0xfffe
	v_add_nc_u32_e32 v1, s8, v18
	s_delay_alu instid0(VALU_DEP_1) | instskip(SKIP_3) | instid1(SALU_CYCLE_1)
	v_cmp_le_i32_e32 vcc_lo, s21, v1
	s_or_b32 s9, s24, vcc_lo
	s_wait_alu 0xfffe
	s_and_saveexec_b32 s26, s9
	s_xor_b32 s9, exec_lo, s26
; %bb.12:                               ;   in Loop: Header=BB367_11 Depth=2
	ds_store_b32 v19, v0
; %bb.13:                               ;   in Loop: Header=BB367_11 Depth=2
	s_wait_alu 0xfffe
	s_or_saveexec_b32 s9, s9
	v_mov_b32_e32 v1, 0
	s_wait_alu 0xfffe
	s_xor_b32 exec_lo, exec_lo, s9
	s_cbranch_execz .LBB367_15
; %bb.14:                               ;   in Loop: Header=BB367_11 Depth=2
	flat_load_b64 v[34:35], v[12:13] offset:-4
	s_wait_loadcnt_dscnt 0x0
	v_xor_b32_e32 v1, 0x80000000, v35
	ds_store_b32 v19, v34
.LBB367_15:                             ;   in Loop: Header=BB367_11 Depth=2
	s_or_b32 exec_lo, exec_lo, s9
	v_add_nc_u32_e32 v34, s8, v16
	ds_store_b32 v19, v1 offset:4
	v_cmp_le_i32_e32 vcc_lo, s21, v34
	s_or_b32 s9, vcc_lo, s25
	s_wait_alu 0xfffe
	s_and_saveexec_b32 s26, s9
	s_delay_alu instid0(SALU_CYCLE_1)
	s_xor_b32 s9, exec_lo, s26
; %bb.16:                               ;   in Loop: Header=BB367_11 Depth=2
	v_mov_b32_e32 v1, v0
	ds_store_b64 v20, v[0:1]
; %bb.17:                               ;   in Loop: Header=BB367_11 Depth=2
	s_wait_alu 0xfffe
	s_and_not1_saveexec_b32 s9, s9
	s_cbranch_execz .LBB367_10
; %bb.18:                               ;   in Loop: Header=BB367_11 Depth=2
	flat_load_b64 v[34:35], v[14:15]
	s_wait_loadcnt_dscnt 0x0
	ds_store_b64 v20, v[34:35]
	s_branch .LBB367_10
.LBB367_19:                             ;   in Loop: Header=BB367_8 Depth=1
	s_wait_loadcnt 0x0
	s_wait_alu 0xfffe
	v_add_co_u32 v1, vcc_lo, v10, s0
	s_wait_alu 0xfffd
	v_add_co_ci_u32_e64 v12, null, s1, v11, vcc_lo
	s_delay_alu instid0(VALU_DEP_2) | instskip(SKIP_1) | instid1(VALU_DEP_2)
	v_add_co_u32 v13, vcc_lo, v1, v2
	s_wait_alu 0xfffd
	v_add_co_ci_u32_e64 v14, null, v12, v3, vcc_lo
	s_and_saveexec_b32 s8, s28
	s_cbranch_execz .LBB367_24
; %bb.20:                               ;   in Loop: Header=BB367_8 Depth=1
	v_mul_f32_e32 v11, s4, v32
	v_mul_f32_e32 v10, s5, v32
	s_and_b32 vcc_lo, exec_lo, s13
	s_mov_b32 s9, -1
	s_delay_alu instid0(VALU_DEP_2) | instskip(NEXT) | instid1(VALU_DEP_2)
	v_fmac_f32_e32 v11, s5, v33
	v_fma_f32 v10, v33, s4, -v10
	s_wait_alu 0xfffe
	s_cbranch_vccz .LBB367_22
; %bb.21:                               ;   in Loop: Header=BB367_8 Depth=1
	v_add_co_u32 v32, vcc_lo, v13, v6
	s_wait_alu 0xfffd
	v_add_co_ci_u32_e64 v33, null, v14, v7, vcc_lo
	s_mov_b32 s9, 0
	flat_load_b64 v[34:35], v[32:33]
	s_wait_loadcnt_dscnt 0x0
	v_mul_f32_e32 v15, s15, v35
	v_mul_f32_e32 v35, s14, v35
	s_delay_alu instid0(VALU_DEP_2) | instskip(NEXT) | instid1(VALU_DEP_1)
	v_fma_f32 v15, v34, s14, -v15
	v_dual_fmac_f32 v35, s15, v34 :: v_dual_add_f32 v34, v10, v15
	s_delay_alu instid0(VALU_DEP_1)
	v_add_f32_e32 v35, v11, v35
	flat_store_b64 v[32:33], v[34:35]
.LBB367_22:                             ;   in Loop: Header=BB367_8 Depth=1
	s_wait_alu 0xfffe
	s_and_not1_b32 vcc_lo, exec_lo, s9
	s_wait_alu 0xfffe
	s_cbranch_vccnz .LBB367_24
; %bb.23:                               ;   in Loop: Header=BB367_8 Depth=1
	v_add_co_u32 v32, vcc_lo, v13, v6
	s_wait_alu 0xfffd
	v_add_co_ci_u32_e64 v33, null, v14, v7, vcc_lo
	flat_store_b64 v[32:33], v[10:11]
.LBB367_24:                             ;   in Loop: Header=BB367_8 Depth=1
	s_wait_alu 0xfffe
	s_or_b32 exec_lo, exec_lo, s8
	s_and_saveexec_b32 s8, s29
	s_cbranch_execz .LBB367_29
; %bb.25:                               ;   in Loop: Header=BB367_8 Depth=1
	v_mul_f32_e32 v11, s4, v31
	v_mul_f32_e32 v10, s5, v31
	s_and_not1_b32 vcc_lo, exec_lo, s13
	s_mov_b32 s9, -1
	s_delay_alu instid0(VALU_DEP_2) | instskip(NEXT) | instid1(VALU_DEP_2)
	v_fmac_f32_e32 v11, s5, v30
	v_fma_f32 v10, v30, s4, -v10
	s_wait_alu 0xfffe
	s_cbranch_vccnz .LBB367_27
; %bb.26:                               ;   in Loop: Header=BB367_8 Depth=1
	v_add_co_u32 v30, vcc_lo, v13, v8
	s_wait_alu 0xfffd
	v_add_co_ci_u32_e64 v31, null, v14, v9, vcc_lo
	s_mov_b32 s9, 0
	flat_load_b64 v[32:33], v[30:31]
	s_wait_loadcnt_dscnt 0x0
	v_mul_f32_e32 v15, s15, v33
	s_delay_alu instid0(VALU_DEP_1) | instskip(SKIP_1) | instid1(VALU_DEP_1)
	v_fma_f32 v15, v32, s14, -v15
	v_mul_f32_e32 v33, s14, v33
	v_dual_fmac_f32 v33, s15, v32 :: v_dual_add_f32 v32, v10, v15
	s_delay_alu instid0(VALU_DEP_1)
	v_add_f32_e32 v33, v11, v33
	flat_store_b64 v[30:31], v[32:33]
.LBB367_27:                             ;   in Loop: Header=BB367_8 Depth=1
	s_wait_alu 0xfffe
	s_and_not1_b32 vcc_lo, exec_lo, s9
	s_wait_alu 0xfffe
	s_cbranch_vccnz .LBB367_29
; %bb.28:                               ;   in Loop: Header=BB367_8 Depth=1
	v_add_co_u32 v13, vcc_lo, v13, v8
	s_wait_alu 0xfffd
	v_add_co_ci_u32_e64 v14, null, v14, v9, vcc_lo
	flat_store_b64 v[13:14], v[10:11]
.LBB367_29:                             ;   in Loop: Header=BB367_8 Depth=1
	s_wait_alu 0xfffe
	s_or_b32 exec_lo, exec_lo, s8
	v_add_co_u32 v1, vcc_lo, v1, v4
	s_wait_alu 0xfffd
	v_add_co_ci_u32_e64 v12, null, v12, v5, vcc_lo
	s_and_saveexec_b32 s8, s18
	s_cbranch_execz .LBB367_34
; %bb.30:                               ;   in Loop: Header=BB367_8 Depth=1
	v_mul_f32_e32 v11, s4, v29
	v_mul_f32_e32 v10, s5, v29
	s_and_not1_b32 vcc_lo, exec_lo, s13
	s_mov_b32 s9, -1
	s_delay_alu instid0(VALU_DEP_2) | instskip(NEXT) | instid1(VALU_DEP_2)
	v_fmac_f32_e32 v11, s5, v28
	v_fma_f32 v10, v28, s4, -v10
	s_wait_alu 0xfffe
	s_cbranch_vccnz .LBB367_32
; %bb.31:                               ;   in Loop: Header=BB367_8 Depth=1
	v_add_co_u32 v13, vcc_lo, v1, v6
	s_wait_alu 0xfffd
	v_add_co_ci_u32_e64 v14, null, v12, v7, vcc_lo
	s_mov_b32 s9, 0
	flat_load_b64 v[28:29], v[13:14]
	s_wait_loadcnt_dscnt 0x0
	v_mul_f32_e32 v15, s15, v29
	s_delay_alu instid0(VALU_DEP_1) | instskip(SKIP_1) | instid1(VALU_DEP_1)
	v_fma_f32 v15, v28, s14, -v15
	v_mul_f32_e32 v29, s14, v29
	v_dual_fmac_f32 v29, s15, v28 :: v_dual_add_f32 v28, v10, v15
	s_delay_alu instid0(VALU_DEP_1)
	v_add_f32_e32 v29, v11, v29
	flat_store_b64 v[13:14], v[28:29]
.LBB367_32:                             ;   in Loop: Header=BB367_8 Depth=1
	s_wait_alu 0xfffe
	s_and_not1_b32 vcc_lo, exec_lo, s9
	s_wait_alu 0xfffe
	s_cbranch_vccnz .LBB367_34
; %bb.33:                               ;   in Loop: Header=BB367_8 Depth=1
	v_add_co_u32 v13, vcc_lo, v1, v6
	s_wait_alu 0xfffd
	v_add_co_ci_u32_e64 v14, null, v12, v7, vcc_lo
	flat_store_b64 v[13:14], v[10:11]
.LBB367_34:                             ;   in Loop: Header=BB367_8 Depth=1
	s_wait_alu 0xfffe
	s_or_b32 exec_lo, exec_lo, s8
	s_and_saveexec_b32 s8, s20
	s_cbranch_execz .LBB367_7
; %bb.35:                               ;   in Loop: Header=BB367_8 Depth=1
	v_mul_f32_e32 v11, s4, v26
	v_mul_f32_e32 v10, s5, v26
	s_and_not1_b32 vcc_lo, exec_lo, s13
	s_mov_b32 s9, -1
	s_delay_alu instid0(VALU_DEP_2) | instskip(NEXT) | instid1(VALU_DEP_2)
	v_fmac_f32_e32 v11, s5, v27
	v_fma_f32 v10, v27, s4, -v10
	s_wait_alu 0xfffe
	s_cbranch_vccnz .LBB367_37
; %bb.36:                               ;   in Loop: Header=BB367_8 Depth=1
	v_add_co_u32 v13, vcc_lo, v1, v8
	s_wait_alu 0xfffd
	v_add_co_ci_u32_e64 v14, null, v12, v9, vcc_lo
	s_mov_b32 s9, 0
	flat_load_b64 v[26:27], v[13:14]
	s_wait_loadcnt_dscnt 0x0
	v_mul_f32_e32 v15, s15, v27
	v_mul_f32_e32 v27, s14, v27
	s_delay_alu instid0(VALU_DEP_2) | instskip(NEXT) | instid1(VALU_DEP_1)
	v_fma_f32 v15, v26, s14, -v15
	v_dual_fmac_f32 v27, s15, v26 :: v_dual_add_f32 v26, v10, v15
	s_delay_alu instid0(VALU_DEP_1)
	v_add_f32_e32 v27, v11, v27
	flat_store_b64 v[13:14], v[26:27]
.LBB367_37:                             ;   in Loop: Header=BB367_8 Depth=1
	s_wait_alu 0xfffe
	s_and_not1_b32 vcc_lo, exec_lo, s9
	s_wait_alu 0xfffe
	s_cbranch_vccnz .LBB367_7
; %bb.38:                               ;   in Loop: Header=BB367_8 Depth=1
	v_add_co_u32 v13, vcc_lo, v1, v8
	s_wait_alu 0xfffd
	v_add_co_ci_u32_e64 v14, null, v12, v9, vcc_lo
	flat_store_b64 v[13:14], v[10:11]
	s_branch .LBB367_7
.LBB367_39:
	s_endpgm
	.section	.rodata,"a",@progbits
	.p2align	6, 0x0
	.amdhsa_kernel _ZL29rocblas_internal_gemmt_kernelIiLi16ELi32ELi8ELc67ELc84ELc85ELb1ELb0E19rocblas_complex_numIfEPKS1_PKS3_PKPS1_EviT_T9_T10_S9_lSB_S9_lSA_T11_S9_li
		.amdhsa_group_segment_fixed_size 4096
		.amdhsa_private_segment_fixed_size 0
		.amdhsa_kernarg_size 100
		.amdhsa_user_sgpr_count 2
		.amdhsa_user_sgpr_dispatch_ptr 0
		.amdhsa_user_sgpr_queue_ptr 0
		.amdhsa_user_sgpr_kernarg_segment_ptr 1
		.amdhsa_user_sgpr_dispatch_id 0
		.amdhsa_user_sgpr_private_segment_size 0
		.amdhsa_wavefront_size32 1
		.amdhsa_uses_dynamic_stack 0
		.amdhsa_enable_private_segment 0
		.amdhsa_system_sgpr_workgroup_id_x 1
		.amdhsa_system_sgpr_workgroup_id_y 1
		.amdhsa_system_sgpr_workgroup_id_z 1
		.amdhsa_system_sgpr_workgroup_info 0
		.amdhsa_system_vgpr_workitem_id 1
		.amdhsa_next_free_vgpr 71
		.amdhsa_next_free_sgpr 36
		.amdhsa_reserve_vcc 1
		.amdhsa_float_round_mode_32 0
		.amdhsa_float_round_mode_16_64 0
		.amdhsa_float_denorm_mode_32 3
		.amdhsa_float_denorm_mode_16_64 3
		.amdhsa_fp16_overflow 0
		.amdhsa_workgroup_processor_mode 1
		.amdhsa_memory_ordered 1
		.amdhsa_forward_progress 1
		.amdhsa_inst_pref_size 26
		.amdhsa_round_robin_scheduling 0
		.amdhsa_exception_fp_ieee_invalid_op 0
		.amdhsa_exception_fp_denorm_src 0
		.amdhsa_exception_fp_ieee_div_zero 0
		.amdhsa_exception_fp_ieee_overflow 0
		.amdhsa_exception_fp_ieee_underflow 0
		.amdhsa_exception_fp_ieee_inexact 0
		.amdhsa_exception_int_div_zero 0
	.end_amdhsa_kernel
	.section	.text._ZL29rocblas_internal_gemmt_kernelIiLi16ELi32ELi8ELc67ELc84ELc85ELb1ELb0E19rocblas_complex_numIfEPKS1_PKS3_PKPS1_EviT_T9_T10_S9_lSB_S9_lSA_T11_S9_li,"axG",@progbits,_ZL29rocblas_internal_gemmt_kernelIiLi16ELi32ELi8ELc67ELc84ELc85ELb1ELb0E19rocblas_complex_numIfEPKS1_PKS3_PKPS1_EviT_T9_T10_S9_lSB_S9_lSA_T11_S9_li,comdat
.Lfunc_end367:
	.size	_ZL29rocblas_internal_gemmt_kernelIiLi16ELi32ELi8ELc67ELc84ELc85ELb1ELb0E19rocblas_complex_numIfEPKS1_PKS3_PKPS1_EviT_T9_T10_S9_lSB_S9_lSA_T11_S9_li, .Lfunc_end367-_ZL29rocblas_internal_gemmt_kernelIiLi16ELi32ELi8ELc67ELc84ELc85ELb1ELb0E19rocblas_complex_numIfEPKS1_PKS3_PKPS1_EviT_T9_T10_S9_lSB_S9_lSA_T11_S9_li
                                        ; -- End function
	.set _ZL29rocblas_internal_gemmt_kernelIiLi16ELi32ELi8ELc67ELc84ELc85ELb1ELb0E19rocblas_complex_numIfEPKS1_PKS3_PKPS1_EviT_T9_T10_S9_lSB_S9_lSA_T11_S9_li.num_vgpr, 71
	.set _ZL29rocblas_internal_gemmt_kernelIiLi16ELi32ELi8ELc67ELc84ELc85ELb1ELb0E19rocblas_complex_numIfEPKS1_PKS3_PKPS1_EviT_T9_T10_S9_lSB_S9_lSA_T11_S9_li.num_agpr, 0
	.set _ZL29rocblas_internal_gemmt_kernelIiLi16ELi32ELi8ELc67ELc84ELc85ELb1ELb0E19rocblas_complex_numIfEPKS1_PKS3_PKPS1_EviT_T9_T10_S9_lSB_S9_lSA_T11_S9_li.numbered_sgpr, 36
	.set _ZL29rocblas_internal_gemmt_kernelIiLi16ELi32ELi8ELc67ELc84ELc85ELb1ELb0E19rocblas_complex_numIfEPKS1_PKS3_PKPS1_EviT_T9_T10_S9_lSB_S9_lSA_T11_S9_li.num_named_barrier, 0
	.set _ZL29rocblas_internal_gemmt_kernelIiLi16ELi32ELi8ELc67ELc84ELc85ELb1ELb0E19rocblas_complex_numIfEPKS1_PKS3_PKPS1_EviT_T9_T10_S9_lSB_S9_lSA_T11_S9_li.private_seg_size, 0
	.set _ZL29rocblas_internal_gemmt_kernelIiLi16ELi32ELi8ELc67ELc84ELc85ELb1ELb0E19rocblas_complex_numIfEPKS1_PKS3_PKPS1_EviT_T9_T10_S9_lSB_S9_lSA_T11_S9_li.uses_vcc, 1
	.set _ZL29rocblas_internal_gemmt_kernelIiLi16ELi32ELi8ELc67ELc84ELc85ELb1ELb0E19rocblas_complex_numIfEPKS1_PKS3_PKPS1_EviT_T9_T10_S9_lSB_S9_lSA_T11_S9_li.uses_flat_scratch, 0
	.set _ZL29rocblas_internal_gemmt_kernelIiLi16ELi32ELi8ELc67ELc84ELc85ELb1ELb0E19rocblas_complex_numIfEPKS1_PKS3_PKPS1_EviT_T9_T10_S9_lSB_S9_lSA_T11_S9_li.has_dyn_sized_stack, 0
	.set _ZL29rocblas_internal_gemmt_kernelIiLi16ELi32ELi8ELc67ELc84ELc85ELb1ELb0E19rocblas_complex_numIfEPKS1_PKS3_PKPS1_EviT_T9_T10_S9_lSB_S9_lSA_T11_S9_li.has_recursion, 0
	.set _ZL29rocblas_internal_gemmt_kernelIiLi16ELi32ELi8ELc67ELc84ELc85ELb1ELb0E19rocblas_complex_numIfEPKS1_PKS3_PKPS1_EviT_T9_T10_S9_lSB_S9_lSA_T11_S9_li.has_indirect_call, 0
	.section	.AMDGPU.csdata,"",@progbits
; Kernel info:
; codeLenInByte = 3224
; TotalNumSgprs: 38
; NumVgprs: 71
; ScratchSize: 0
; MemoryBound: 1
; FloatMode: 240
; IeeeMode: 1
; LDSByteSize: 4096 bytes/workgroup (compile time only)
; SGPRBlocks: 0
; VGPRBlocks: 8
; NumSGPRsForWavesPerEU: 38
; NumVGPRsForWavesPerEU: 71
; Occupancy: 16
; WaveLimiterHint : 1
; COMPUTE_PGM_RSRC2:SCRATCH_EN: 0
; COMPUTE_PGM_RSRC2:USER_SGPR: 2
; COMPUTE_PGM_RSRC2:TRAP_HANDLER: 0
; COMPUTE_PGM_RSRC2:TGID_X_EN: 1
; COMPUTE_PGM_RSRC2:TGID_Y_EN: 1
; COMPUTE_PGM_RSRC2:TGID_Z_EN: 1
; COMPUTE_PGM_RSRC2:TIDIG_COMP_CNT: 1
	.section	.text._ZL29rocblas_internal_gemmt_kernelIiLi16ELi32ELi8ELc67ELc67ELc85ELb1ELb1E19rocblas_complex_numIfEPKS1_PKS3_PKPS1_EviT_T9_T10_S9_lSB_S9_lSA_T11_S9_li,"axG",@progbits,_ZL29rocblas_internal_gemmt_kernelIiLi16ELi32ELi8ELc67ELc67ELc85ELb1ELb1E19rocblas_complex_numIfEPKS1_PKS3_PKPS1_EviT_T9_T10_S9_lSB_S9_lSA_T11_S9_li,comdat
	.globl	_ZL29rocblas_internal_gemmt_kernelIiLi16ELi32ELi8ELc67ELc67ELc85ELb1ELb1E19rocblas_complex_numIfEPKS1_PKS3_PKPS1_EviT_T9_T10_S9_lSB_S9_lSA_T11_S9_li ; -- Begin function _ZL29rocblas_internal_gemmt_kernelIiLi16ELi32ELi8ELc67ELc67ELc85ELb1ELb1E19rocblas_complex_numIfEPKS1_PKS3_PKPS1_EviT_T9_T10_S9_lSB_S9_lSA_T11_S9_li
	.p2align	8
	.type	_ZL29rocblas_internal_gemmt_kernelIiLi16ELi32ELi8ELc67ELc67ELc85ELb1ELb1E19rocblas_complex_numIfEPKS1_PKS3_PKPS1_EviT_T9_T10_S9_lSB_S9_lSA_T11_S9_li,@function
_ZL29rocblas_internal_gemmt_kernelIiLi16ELi32ELi8ELc67ELc67ELc85ELb1ELb1E19rocblas_complex_numIfEPKS1_PKS3_PKPS1_EviT_T9_T10_S9_lSB_S9_lSA_T11_S9_li: ; @_ZL29rocblas_internal_gemmt_kernelIiLi16ELi32ELi8ELc67ELc67ELc85ELb1ELb1E19rocblas_complex_numIfEPKS1_PKS3_PKPS1_EviT_T9_T10_S9_lSB_S9_lSA_T11_S9_li
; %bb.0:
	s_load_b128 s[12:15], s[0:1], 0x38
	s_wait_kmcnt 0x0
	s_load_b64 s[14:15], s[14:15], 0x0
	s_clause 0x1
	s_load_b128 s[4:7], s[0:1], 0x8
	s_load_b64 s[20:21], s[0:1], 0x0
	s_wait_kmcnt 0x0
	s_load_b64 s[4:5], s[4:5], 0x0
	s_cmp_eq_f32 s14, 1.0
	s_cselect_b32 s2, -1, 0
	s_and_b32 s3, s15, 0x7fffffff
	s_delay_alu instid0(SALU_CYCLE_1) | instskip(SKIP_1) | instid1(SALU_CYCLE_1)
	s_cmp_eq_u32 s3, 0
	s_cselect_b32 s3, -1, 0
	s_and_b32 s8, s2, s3
	s_mov_b32 s2, 0
	s_and_not1_b32 vcc_lo, exec_lo, s8
	s_mov_b32 s8, -1
	s_cbranch_vccnz .LBB368_4
; %bb.1:
	s_cmp_lg_u32 s21, 0
	s_cbranch_scc0 .LBB368_3
; %bb.2:
	s_wait_kmcnt 0x0
	s_cmp_neq_f32 s4, 0
	s_cselect_b32 s2, -1, 0
	s_cmp_neq_f32 s5, 0
	s_cselect_b32 s8, -1, 0
	s_delay_alu instid0(SALU_CYCLE_1)
	s_or_b32 s2, s2, s8
.LBB368_3:
	s_delay_alu instid0(SALU_CYCLE_1)
	s_mov_b32 s8, s2
.LBB368_4:
	s_delay_alu instid0(SALU_CYCLE_1)
	s_and_b32 vcc_lo, exec_lo, s8
	s_cbranch_vccz .LBB368_39
; %bb.5:
	s_load_b32 s19, s[0:1], 0x60
	s_lshr_b32 s22, ttmp7, 16
	s_wait_kmcnt 0x0
	s_cmp_ge_u32 s22, s19
	s_cbranch_scc1 .LBB368_39
; %bb.6:
	s_clause 0x2
	s_load_b32 s24, s[0:1], 0x30
	s_load_b32 s30, s[0:1], 0x18
	s_load_b128 s[8:11], s[0:1], 0x20
	v_dual_mov_b32 v20, 0 :: v_dual_and_b32 v1, 0x3ff, v0
	v_bfe_u32 v2, v0, 10, 10
	v_and_b32_e32 v14, 7, v0
	s_clause 0x1
	s_load_b96 s[16:18], s[0:1], 0x48
	s_load_b64 s[26:27], s[0:1], 0x58
	s_lshl_b32 s1, ttmp7, 5
	s_lshl_b32 s0, ttmp9, 5
	v_lshl_add_u32 v0, v2, 4, v1
	s_and_b32 s1, s1, 0x1fffe0
	v_lshlrev_b32_e32 v3, 3, v14
	v_add_nc_u32_e32 v7, s1, v2
	v_add_nc_u32_e32 v4, s0, v1
	v_lshrrev_b32_e32 v6, 3, v0
	v_and_b32_e32 v5, 31, v0
	v_lshl_add_u32 v19, v2, 6, 0x800
	v_add_nc_u32_e32 v10, 16, v7
	v_lshrrev_b32_e32 v15, 5, v0
	s_wait_kmcnt 0x0
	s_ashr_i32 s25, s24, 31
	s_cmp_neq_f32 s4, 0
	v_add_nc_u32_e32 v12, s1, v6
	v_or_b32_e32 v8, s0, v5
	v_lshl_or_b32 v3, v6, 6, v3
	s_cselect_b32 s1, -1, 0
	s_cmp_neq_f32 s5, 0
	v_add_nc_u32_e32 v6, 16, v4
	v_cmp_gt_i32_e32 vcc_lo, s20, v8
	v_add_nc_u32_e32 v17, 0x800, v3
	s_cselect_b32 s2, -1, 0
	v_mad_co_i64_i32 v[2:3], null, s30, v8, 0
	s_wait_alu 0xfffe
	s_or_b32 s31, s1, s2
	s_cmp_gt_i32 s21, 0
	v_cmp_gt_i32_e64 s1, s20, v7
	s_cselect_b32 s33, -1, 0
	s_cmp_neq_f32 s14, 0
	v_cmp_le_i32_e64 s2, v4, v7
	v_mad_co_i64_i32 v[8:9], null, s24, v14, 0
	s_cselect_b32 s34, -1, 0
	s_xor_b32 s35, s3, -1
	v_cmp_le_i32_e64 s3, v6, v7
	v_lshlrev_b32_e32 v0, 3, v5
	s_and_b32 s28, s1, s2
	v_cmp_le_i32_e64 s2, v4, v10
	v_lshlrev_b64_e32 v[2:3], 3, v[2:3]
	s_and_b32 s29, s1, s3
	v_cmp_gt_i32_e64 s1, s20, v10
	v_cmp_le_i32_e64 s3, v6, v10
	v_lshl_or_b32 v16, v15, 8, v0
	v_cmp_gt_i32_e64 s0, s20, v12
	v_lshlrev_b32_e32 v18, 3, v1
	v_mad_co_i64_i32 v[0:1], null, v7, s18, 0
	v_mad_co_i64_i32 v[10:11], null, v10, s18, 0
	s_and_b32 s18, s1, s2
	s_and_b32 s20, s1, s3
	s_lshl_b64 s[2:3], s[8:9], 3
	v_lshlrev_b64_e32 v[8:9], 3, v[8:9]
	v_add_co_u32 v2, s1, v2, s2
	s_wait_alu 0xf1ff
	v_add_co_ci_u32_e64 v3, null, s3, v3, s1
	s_lshl_b64 s[2:3], s[12:13], 3
	v_lshlrev_b32_e32 v12, 3, v12
	s_wait_alu 0xfffe
	v_add_co_u32 v8, s1, v8, s2
	v_lshlrev_b32_e32 v13, 3, v15
	v_ashrrev_i32_e32 v5, 31, v4
	v_ashrrev_i32_e32 v7, 31, v6
	s_wait_alu 0xf1ff
	v_add_co_ci_u32_e64 v9, null, s3, v9, s1
	v_add_co_u32 v8, s1, v8, v12
	v_add_co_u32 v21, s2, v2, v13
	s_wait_alu 0xf1ff
	v_add_co_ci_u32_e64 v22, null, 0, v3, s2
	v_lshlrev_b64_e32 v[0:1], 3, v[0:1]
	v_lshlrev_b64_e32 v[2:3], 3, v[10:11]
	;; [unrolled: 1-line block ×4, first 2 shown]
	v_add_co_ci_u32_e64 v23, null, 0, v9, s1
	v_or_b32_e32 v24, 4, v8
	s_mov_b32 s23, 0
	s_lshl_b64 s[2:3], s[24:25], 6
	s_and_b32 s12, s31, s33
	s_or_b32 s13, s34, s35
	s_xor_b32 s24, vcc_lo, -1
	s_xor_b32 s25, s0, -1
	s_lshl_b64 s[0:1], s[26:27], 3
	s_branch .LBB368_8
.LBB368_7:                              ;   in Loop: Header=BB368_8 Depth=1
	s_wait_alu 0xfffe
	s_or_b32 exec_lo, exec_lo, s8
	s_add_co_i32 s22, s22, 0x10000
	s_delay_alu instid0(SALU_CYCLE_1)
	s_cmp_lt_u32 s22, s19
	s_cbranch_scc0 .LBB368_39
.LBB368_8:                              ; =>This Loop Header: Depth=1
                                        ;     Child Loop BB368_11 Depth 2
	s_lshl_b64 s[8:9], s[22:23], 3
	v_dual_mov_b32 v32, 0 :: v_dual_mov_b32 v31, 0
	s_wait_alu 0xfffe
	s_add_nc_u64 s[26:27], s[16:17], s[8:9]
	v_dual_mov_b32 v29, 0 :: v_dual_mov_b32 v30, 0
	global_load_b64 v[8:9], v20, s[26:27]
	v_dual_mov_b32 v27, 0 :: v_dual_mov_b32 v28, 0
	v_dual_mov_b32 v26, 0 :: v_dual_mov_b32 v25, 0
	s_and_not1_b32 vcc_lo, exec_lo, s12
	s_wait_alu 0xfffe
	s_cbranch_vccnz .LBB368_19
; %bb.9:                                ;   in Loop: Header=BB368_8 Depth=1
	s_add_nc_u64 s[26:27], s[6:7], s[8:9]
	s_add_nc_u64 s[8:9], s[10:11], s[8:9]
	s_clause 0x1
	global_load_b64 v[10:11], v20, s[26:27]
	global_load_b64 v[12:13], v20, s[8:9]
	v_dual_mov_b32 v25, 0 :: v_dual_mov_b32 v26, 0
	v_dual_mov_b32 v28, 0 :: v_dual_mov_b32 v27, 0
	;; [unrolled: 1-line block ×4, first 2 shown]
	s_mov_b32 s8, 0
	s_wait_loadcnt 0x1
	v_add_co_u32 v10, vcc_lo, v10, v21
	s_wait_alu 0xfffd
	v_add_co_ci_u32_e64 v11, null, v11, v22, vcc_lo
	s_wait_loadcnt 0x0
	v_add_co_u32 v12, vcc_lo, v12, v24
	s_wait_alu 0xfffd
	v_add_co_ci_u32_e64 v13, null, v13, v23, vcc_lo
	s_branch .LBB368_11
.LBB368_10:                             ;   in Loop: Header=BB368_11 Depth=2
	s_or_b32 exec_lo, exec_lo, s9
	ds_store_b32 v17, v33 offset:4
	s_wait_dscnt 0x0
	s_barrier_signal -1
	s_barrier_wait -1
	global_inv scope:SCOPE_SE
	ds_load_b128 v[33:36], v19
	ds_load_2addr_b64 v[37:40], v18 offset1:16
	ds_load_b128 v[41:44], v19 offset:1024
	ds_load_b128 v[45:48], v19 offset:16
	;; [unrolled: 1-line block ×4, first 2 shown]
	ds_load_2addr_b64 v[57:60], v18 offset0:32 offset1:48
	ds_load_b128 v[61:64], v19 offset:1040
	v_add_co_u32 v10, vcc_lo, v10, 64
	s_wait_alu 0xfffd
	v_add_co_ci_u32_e64 v11, null, 0, v11, vcc_lo
	v_add_co_u32 v12, vcc_lo, v12, s2
	s_wait_alu 0xfffd
	v_add_co_ci_u32_e64 v13, null, s3, v13, vcc_lo
	s_add_co_i32 s8, s8, 8
	s_wait_alu 0xfffe
	s_cmp_lt_i32 s8, s21
	s_wait_dscnt 0x6
	v_dual_mul_f32 v65, v34, v38 :: v_dual_mul_f32 v68, v33, v40
	v_dual_mul_f32 v66, v33, v38 :: v_dual_mul_f32 v67, v34, v40
	s_wait_dscnt 0x5
	v_mul_f32_e32 v69, v42, v38
	s_delay_alu instid0(VALU_DEP_3) | instskip(NEXT) | instid1(VALU_DEP_3)
	v_fma_f32 v65, v33, v37, -v65
	v_fmac_f32_e32 v66, v34, v37
	v_mul_f32_e32 v70, v42, v40
	v_fma_f32 v33, v33, v39, -v67
	v_mul_f32_e32 v40, v41, v40
	s_delay_alu instid0(VALU_DEP_4) | instskip(SKIP_1) | instid1(VALU_DEP_4)
	v_dual_fmac_f32 v68, v34, v39 :: v_dual_add_f32 v31, v31, v66
	v_fma_f32 v34, v41, v37, -v69
	v_add_f32_e32 v33, v29, v33
	v_fma_f32 v29, v41, v39, -v70
	v_mul_f32_e32 v38, v41, v38
	v_fmac_f32_e32 v40, v42, v39
	v_add_f32_e32 v34, v27, v34
	s_wait_dscnt 0x1
	v_mul_f32_e32 v41, v35, v58
	v_add_f32_e32 v39, v26, v29
	v_fmac_f32_e32 v38, v42, v37
	v_add_f32_e32 v30, v30, v68
	v_dual_add_f32 v32, v32, v65 :: v_dual_add_f32 v25, v25, v40
	v_fmac_f32_e32 v41, v36, v57
	s_delay_alu instid0(VALU_DEP_4)
	v_add_f32_e32 v37, v28, v38
	ds_load_2addr_b64 v[26:29], v18 offset0:64 offset1:80
	v_mul_f32_e32 v38, v36, v58
	v_dual_mul_f32 v42, v36, v60 :: v_dual_add_f32 v41, v31, v41
	v_mul_f32_e32 v31, v43, v58
	v_mul_f32_e32 v40, v35, v60
	s_delay_alu instid0(VALU_DEP_4) | instskip(NEXT) | instid1(VALU_DEP_3)
	v_fma_f32 v38, v35, v57, -v38
	v_fmac_f32_e32 v31, v44, v57
	s_delay_alu instid0(VALU_DEP_3) | instskip(NEXT) | instid1(VALU_DEP_3)
	v_fmac_f32_e32 v40, v36, v59
	v_add_f32_e32 v38, v32, v38
	v_fma_f32 v32, v35, v59, -v42
	v_mul_f32_e32 v35, v44, v58
	v_add_f32_e32 v37, v37, v31
	s_delay_alu instid0(VALU_DEP_3) | instskip(NEXT) | instid1(VALU_DEP_3)
	v_add_f32_e32 v36, v33, v32
	v_fma_f32 v32, v43, v57, -v35
	s_wait_dscnt 0x0
	v_dual_mul_f32 v33, v44, v60 :: v_dual_mul_f32 v42, v45, v27
	v_add_f32_e32 v35, v30, v40
	v_mul_f32_e32 v40, v43, v60
	v_add_f32_e32 v34, v34, v32
	s_delay_alu instid0(VALU_DEP_4) | instskip(SKIP_3) | instid1(VALU_DEP_4)
	v_fma_f32 v30, v43, v59, -v33
	v_fmac_f32_e32 v42, v46, v26
	v_mul_f32_e32 v32, v46, v27
	v_fmac_f32_e32 v40, v44, v59
	v_dual_mul_f32 v44, v46, v29 :: v_dual_add_f32 v39, v39, v30
	s_delay_alu instid0(VALU_DEP_4) | instskip(NEXT) | instid1(VALU_DEP_4)
	v_add_f32_e32 v41, v41, v42
	v_fma_f32 v43, v45, v26, -v32
	ds_load_2addr_b64 v[30:33], v18 offset0:96 offset1:112
	v_add_f32_e32 v40, v25, v40
	v_dual_mul_f32 v25, v45, v29 :: v_dual_mul_f32 v42, v62, v27
	v_add_f32_e32 v38, v38, v43
	v_mul_f32_e32 v27, v61, v27
	v_fma_f32 v43, v45, v28, -v44
	s_delay_alu instid0(VALU_DEP_4) | instskip(NEXT) | instid1(VALU_DEP_2)
	v_fmac_f32_e32 v25, v46, v28
	v_dual_fmac_f32 v27, v62, v26 :: v_dual_add_f32 v36, v36, v43
	v_mul_f32_e32 v43, v62, v29
	v_mul_f32_e32 v29, v61, v29
	s_delay_alu instid0(VALU_DEP_4) | instskip(NEXT) | instid1(VALU_DEP_3)
	v_add_f32_e32 v44, v35, v25
	v_fma_f32 v25, v61, v28, -v43
	s_delay_alu instid0(VALU_DEP_3)
	v_fmac_f32_e32 v29, v62, v28
	v_add_f32_e32 v43, v37, v27
	s_wait_dscnt 0x0
	v_mul_f32_e32 v37, v48, v33
	v_add_f32_e32 v39, v39, v25
	v_dual_mul_f32 v35, v47, v31 :: v_dual_add_f32 v40, v40, v29
	v_mul_f32_e32 v29, v47, v33
	s_delay_alu instid0(VALU_DEP_4) | instskip(NEXT) | instid1(VALU_DEP_3)
	v_fma_f32 v37, v47, v32, -v37
	v_fmac_f32_e32 v35, v48, v30
	v_fma_f32 v42, v61, v26, -v42
	ds_load_2addr_b64 v[25:28], v18 offset0:128 offset1:144
	v_dual_add_f32 v46, v36, v37 :: v_dual_add_f32 v45, v41, v35
	v_add_f32_e32 v42, v34, v42
	v_mul_f32_e32 v34, v48, v31
	v_fmac_f32_e32 v29, v48, v32
	s_delay_alu instid0(VALU_DEP_2) | instskip(SKIP_1) | instid1(VALU_DEP_3)
	v_fma_f32 v34, v47, v30, -v34
	v_mul_f32_e32 v47, v64, v33
	v_add_f32_e32 v44, v44, v29
	s_delay_alu instid0(VALU_DEP_3) | instskip(NEXT) | instid1(VALU_DEP_3)
	v_dual_mul_f32 v33, v63, v33 :: v_dual_add_f32 v38, v38, v34
	v_fma_f32 v29, v63, v32, -v47
	v_mul_f32_e32 v34, v64, v31
	v_mul_f32_e32 v31, v63, v31
	s_wait_dscnt 0x0
	v_dual_fmac_f32 v33, v64, v32 :: v_dual_mul_f32 v48, v49, v26
	v_add_f32_e32 v47, v39, v29
	v_fma_f32 v41, v63, v30, -v34
	ds_load_b128 v[34:37], v19 offset:1056
	v_dual_fmac_f32 v31, v64, v30 :: v_dual_fmac_f32 v48, v50, v25
	v_dual_mul_f32 v30, v50, v26 :: v_dual_add_f32 v33, v40, v33
	s_delay_alu instid0(VALU_DEP_2) | instskip(SKIP_1) | instid1(VALU_DEP_3)
	v_dual_mul_f32 v58, v49, v28 :: v_dual_add_f32 v43, v43, v31
	v_add_f32_e32 v42, v42, v41
	v_fma_f32 v39, v49, v25, -v30
	ds_load_2addr_b64 v[29:32], v18 offset0:160 offset1:176
	v_dual_add_f32 v45, v45, v48 :: v_dual_fmac_f32 v58, v50, v27
	v_mul_f32_e32 v41, v50, v28
	s_delay_alu instid0(VALU_DEP_2) | instskip(NEXT) | instid1(VALU_DEP_2)
	v_dual_add_f32 v57, v38, v39 :: v_dual_add_f32 v44, v44, v58
	v_fma_f32 v49, v49, v27, -v41
	ds_load_b128 v[38:41], v19 offset:1072
	s_wait_dscnt 0x2
	v_mul_f32_e32 v59, v35, v26
	v_mul_f32_e32 v26, v34, v26
	v_dual_add_f32 v46, v46, v49 :: v_dual_mul_f32 v49, v35, v28
	v_mul_f32_e32 v50, v34, v28
	s_delay_alu instid0(VALU_DEP_4) | instskip(NEXT) | instid1(VALU_DEP_4)
	v_fma_f32 v48, v34, v25, -v59
	v_fmac_f32_e32 v26, v35, v25
	s_delay_alu instid0(VALU_DEP_4)
	v_fma_f32 v25, v34, v27, -v49
	s_wait_dscnt 0x1
	v_mul_f32_e32 v28, v52, v30
	v_fmac_f32_e32 v50, v35, v27
	v_dual_mul_f32 v35, v51, v30 :: v_dual_add_f32 v42, v42, v48
	v_add_f32_e32 v34, v43, v26
	v_add_f32_e32 v43, v47, v25
	v_fma_f32 v47, v51, v29, -v28
	ds_load_2addr_b64 v[25:28], v18 offset0:192 offset1:208
	v_fmac_f32_e32 v35, v52, v29
	v_add_f32_e32 v47, v57, v47
	s_delay_alu instid0(VALU_DEP_2) | instskip(SKIP_3) | instid1(VALU_DEP_3)
	v_add_f32_e32 v45, v45, v35
	v_dual_mul_f32 v35, v37, v30 :: v_dual_mul_f32 v48, v52, v32
	v_add_f32_e32 v49, v33, v50
	v_dual_mul_f32 v33, v51, v32 :: v_dual_mul_f32 v30, v36, v30
	v_fma_f32 v35, v36, v29, -v35
	s_delay_alu instid0(VALU_DEP_4) | instskip(NEXT) | instid1(VALU_DEP_3)
	v_fma_f32 v48, v51, v31, -v48
	v_dual_fmac_f32 v33, v52, v31 :: v_dual_fmac_f32 v30, v37, v29
	s_delay_alu instid0(VALU_DEP_3) | instskip(NEXT) | instid1(VALU_DEP_3)
	v_add_f32_e32 v42, v42, v35
	v_add_f32_e32 v46, v46, v48
	s_delay_alu instid0(VALU_DEP_3) | instskip(NEXT) | instid1(VALU_DEP_1)
	v_dual_mul_f32 v48, v37, v32 :: v_dual_add_f32 v29, v44, v33
	v_fma_f32 v33, v36, v31, -v48
	v_mul_f32_e32 v32, v36, v32
	s_wait_dscnt 0x0
	v_mul_f32_e32 v48, v53, v28
	s_delay_alu instid0(VALU_DEP_2) | instskip(NEXT) | instid1(VALU_DEP_2)
	v_dual_fmac_f32 v32, v37, v31 :: v_dual_add_f32 v31, v43, v33
	v_fmac_f32_e32 v48, v54, v27
	v_mul_f32_e32 v44, v54, v26
	v_mul_f32_e32 v37, v53, v26
	s_delay_alu instid0(VALU_DEP_2) | instskip(SKIP_1) | instid1(VALU_DEP_3)
	v_fma_f32 v43, v53, v25, -v44
	v_mul_f32_e32 v44, v54, v28
	v_dual_fmac_f32 v37, v54, v25 :: v_dual_add_f32 v32, v49, v32
	s_delay_alu instid0(VALU_DEP_3) | instskip(NEXT) | instid1(VALU_DEP_2)
	v_dual_add_f32 v43, v47, v43 :: v_dual_add_f32 v30, v34, v30
	v_add_f32_e32 v37, v45, v37
	ds_load_2addr_b64 v[33:36], v18 offset0:224 offset1:240
	v_mul_f32_e32 v47, v39, v26
	v_mul_f32_e32 v26, v38, v26
	v_fma_f32 v44, v53, v27, -v44
	s_wait_loadcnt_dscnt 0x0
	s_barrier_signal -1
	v_fma_f32 v45, v38, v25, -v47
	v_dual_fmac_f32 v26, v39, v25 :: v_dual_add_f32 v47, v29, v48
	s_barrier_wait -1
	global_inv scope:SCOPE_SE
	v_dual_add_f32 v25, v42, v45 :: v_dual_mul_f32 v42, v55, v34
	s_delay_alu instid0(VALU_DEP_1) | instskip(SKIP_3) | instid1(VALU_DEP_2)
	v_fmac_f32_e32 v42, v56, v33
	v_add_f32_e32 v44, v46, v44
	v_mul_f32_e32 v46, v39, v28
	v_mul_f32_e32 v28, v38, v28
	v_fma_f32 v29, v38, v27, -v46
	v_mul_f32_e32 v38, v56, v34
	s_delay_alu instid0(VALU_DEP_3) | instskip(NEXT) | instid1(VALU_DEP_3)
	v_fmac_f32_e32 v28, v39, v27
	v_add_f32_e32 v39, v31, v29
	s_delay_alu instid0(VALU_DEP_3) | instskip(SKIP_1) | instid1(VALU_DEP_4)
	v_fma_f32 v27, v55, v33, -v38
	v_mul_f32_e32 v29, v56, v36
	v_dual_add_f32 v38, v32, v28 :: v_dual_add_f32 v31, v37, v42
	v_mul_f32_e32 v28, v41, v34
	s_delay_alu instid0(VALU_DEP_4) | instskip(NEXT) | instid1(VALU_DEP_4)
	v_add_f32_e32 v32, v43, v27
	v_fma_f32 v27, v55, v35, -v29
	v_dual_mul_f32 v34, v40, v34 :: v_dual_mul_f32 v37, v41, v36
	v_add_f32_e32 v26, v30, v26
	v_mul_f32_e32 v30, v55, v36
	v_mul_f32_e32 v36, v40, v36
	v_add_f32_e32 v29, v44, v27
	v_fma_f32 v27, v40, v33, -v28
	v_fmac_f32_e32 v34, v41, v33
	v_fmac_f32_e32 v30, v56, v35
	v_fma_f32 v33, v40, v35, -v37
	v_fmac_f32_e32 v36, v41, v35
	s_delay_alu instid0(VALU_DEP_4) | instskip(NEXT) | instid1(VALU_DEP_4)
	v_dual_add_f32 v27, v25, v27 :: v_dual_add_f32 v28, v26, v34
	v_add_f32_e32 v30, v47, v30
	s_delay_alu instid0(VALU_DEP_3)
	v_dual_add_f32 v26, v39, v33 :: v_dual_add_f32 v25, v38, v36
	s_cbranch_scc0 .LBB368_19
.LBB368_11:                             ;   Parent Loop BB368_8 Depth=1
                                        ; =>  This Inner Loop Header: Depth=2
	s_wait_alu 0xfffe
	v_add_nc_u32_e32 v33, s8, v15
	s_delay_alu instid0(VALU_DEP_1) | instskip(SKIP_3) | instid1(SALU_CYCLE_1)
	v_cmp_le_i32_e32 vcc_lo, s21, v33
	s_or_b32 s9, s24, vcc_lo
	s_wait_alu 0xfffe
	s_and_saveexec_b32 s26, s9
	s_xor_b32 s9, exec_lo, s26
; %bb.12:                               ;   in Loop: Header=BB368_11 Depth=2
	ds_store_b32 v16, v20
; %bb.13:                               ;   in Loop: Header=BB368_11 Depth=2
	s_wait_alu 0xfffe
	s_or_saveexec_b32 s9, s9
	v_mov_b32_e32 v33, 0
	s_wait_alu 0xfffe
	s_xor_b32 exec_lo, exec_lo, s9
	s_cbranch_execz .LBB368_15
; %bb.14:                               ;   in Loop: Header=BB368_11 Depth=2
	flat_load_b64 v[34:35], v[10:11]
	s_wait_loadcnt_dscnt 0x0
	v_xor_b32_e32 v33, 0x80000000, v35
	ds_store_b32 v16, v34
.LBB368_15:                             ;   in Loop: Header=BB368_11 Depth=2
	s_or_b32 exec_lo, exec_lo, s9
	v_add_nc_u32_e32 v34, s8, v14
	ds_store_b32 v16, v33 offset:4
	v_cmp_le_i32_e32 vcc_lo, s21, v34
	s_or_b32 s9, vcc_lo, s25
	s_wait_alu 0xfffe
	s_and_saveexec_b32 s26, s9
	s_delay_alu instid0(SALU_CYCLE_1)
	s_xor_b32 s9, exec_lo, s26
; %bb.16:                               ;   in Loop: Header=BB368_11 Depth=2
	ds_store_b32 v17, v20
; %bb.17:                               ;   in Loop: Header=BB368_11 Depth=2
	s_wait_alu 0xfffe
	s_or_saveexec_b32 s9, s9
	v_mov_b32_e32 v33, 0
	s_wait_alu 0xfffe
	s_xor_b32 exec_lo, exec_lo, s9
	s_cbranch_execz .LBB368_10
; %bb.18:                               ;   in Loop: Header=BB368_11 Depth=2
	flat_load_b64 v[34:35], v[12:13] offset:-4
	s_wait_loadcnt_dscnt 0x0
	v_xor_b32_e32 v33, 0x80000000, v35
	ds_store_b32 v17, v34
	s_branch .LBB368_10
.LBB368_19:                             ;   in Loop: Header=BB368_8 Depth=1
	s_wait_loadcnt 0x0
	s_wait_alu 0xfffe
	v_add_co_u32 v10, vcc_lo, v8, s0
	s_wait_alu 0xfffd
	v_add_co_ci_u32_e64 v11, null, s1, v9, vcc_lo
	s_delay_alu instid0(VALU_DEP_2) | instskip(SKIP_1) | instid1(VALU_DEP_2)
	v_add_co_u32 v12, vcc_lo, v10, v0
	s_wait_alu 0xfffd
	v_add_co_ci_u32_e64 v13, null, v11, v1, vcc_lo
	s_and_saveexec_b32 s8, s28
	s_cbranch_execz .LBB368_24
; %bb.20:                               ;   in Loop: Header=BB368_8 Depth=1
	v_mul_f32_e32 v9, s4, v31
	v_mul_f32_e32 v8, s5, v31
	s_and_b32 vcc_lo, exec_lo, s13
	s_mov_b32 s9, -1
	s_delay_alu instid0(VALU_DEP_2) | instskip(NEXT) | instid1(VALU_DEP_2)
	v_fmac_f32_e32 v9, s5, v32
	v_fma_f32 v8, v32, s4, -v8
	s_wait_alu 0xfffe
	s_cbranch_vccz .LBB368_22
; %bb.21:                               ;   in Loop: Header=BB368_8 Depth=1
	v_add_co_u32 v31, vcc_lo, v12, v4
	s_wait_alu 0xfffd
	v_add_co_ci_u32_e64 v32, null, v13, v5, vcc_lo
	s_mov_b32 s9, 0
	flat_load_b64 v[33:34], v[31:32]
	s_wait_loadcnt_dscnt 0x0
	v_mul_f32_e32 v35, s15, v34
	v_mul_f32_e32 v34, s14, v34
	s_delay_alu instid0(VALU_DEP_1) | instskip(NEXT) | instid1(VALU_DEP_3)
	v_fmac_f32_e32 v34, s15, v33
	v_fma_f32 v35, v33, s14, -v35
	s_delay_alu instid0(VALU_DEP_1)
	v_dual_add_f32 v34, v9, v34 :: v_dual_add_f32 v33, v8, v35
	flat_store_b64 v[31:32], v[33:34]
.LBB368_22:                             ;   in Loop: Header=BB368_8 Depth=1
	s_wait_alu 0xfffe
	s_and_not1_b32 vcc_lo, exec_lo, s9
	s_wait_alu 0xfffe
	s_cbranch_vccnz .LBB368_24
; %bb.23:                               ;   in Loop: Header=BB368_8 Depth=1
	v_add_co_u32 v31, vcc_lo, v12, v4
	s_wait_alu 0xfffd
	v_add_co_ci_u32_e64 v32, null, v13, v5, vcc_lo
	flat_store_b64 v[31:32], v[8:9]
.LBB368_24:                             ;   in Loop: Header=BB368_8 Depth=1
	s_wait_alu 0xfffe
	s_or_b32 exec_lo, exec_lo, s8
	s_and_saveexec_b32 s8, s29
	s_cbranch_execz .LBB368_29
; %bb.25:                               ;   in Loop: Header=BB368_8 Depth=1
	v_mul_f32_e32 v9, s4, v30
	v_mul_f32_e32 v8, s5, v30
	s_and_not1_b32 vcc_lo, exec_lo, s13
	s_mov_b32 s9, -1
	s_delay_alu instid0(VALU_DEP_2) | instskip(NEXT) | instid1(VALU_DEP_2)
	v_fmac_f32_e32 v9, s5, v29
	v_fma_f32 v8, v29, s4, -v8
	s_wait_alu 0xfffe
	s_cbranch_vccnz .LBB368_27
; %bb.26:                               ;   in Loop: Header=BB368_8 Depth=1
	v_add_co_u32 v29, vcc_lo, v12, v6
	s_wait_alu 0xfffd
	v_add_co_ci_u32_e64 v30, null, v13, v7, vcc_lo
	s_mov_b32 s9, 0
	flat_load_b64 v[31:32], v[29:30]
	s_wait_loadcnt_dscnt 0x0
	v_mul_f32_e32 v33, s15, v32
	v_mul_f32_e32 v32, s14, v32
	s_delay_alu instid0(VALU_DEP_1) | instskip(NEXT) | instid1(VALU_DEP_3)
	v_fmac_f32_e32 v32, s15, v31
	v_fma_f32 v33, v31, s14, -v33
	s_delay_alu instid0(VALU_DEP_1)
	v_dual_add_f32 v32, v9, v32 :: v_dual_add_f32 v31, v8, v33
	flat_store_b64 v[29:30], v[31:32]
.LBB368_27:                             ;   in Loop: Header=BB368_8 Depth=1
	s_wait_alu 0xfffe
	s_and_not1_b32 vcc_lo, exec_lo, s9
	s_wait_alu 0xfffe
	s_cbranch_vccnz .LBB368_29
; %bb.28:                               ;   in Loop: Header=BB368_8 Depth=1
	v_add_co_u32 v12, vcc_lo, v12, v6
	s_wait_alu 0xfffd
	v_add_co_ci_u32_e64 v13, null, v13, v7, vcc_lo
	flat_store_b64 v[12:13], v[8:9]
.LBB368_29:                             ;   in Loop: Header=BB368_8 Depth=1
	s_wait_alu 0xfffe
	s_or_b32 exec_lo, exec_lo, s8
	v_add_co_u32 v10, vcc_lo, v10, v2
	s_wait_alu 0xfffd
	v_add_co_ci_u32_e64 v11, null, v11, v3, vcc_lo
	s_and_saveexec_b32 s8, s18
	s_cbranch_execz .LBB368_34
; %bb.30:                               ;   in Loop: Header=BB368_8 Depth=1
	v_mul_f32_e32 v9, s4, v28
	v_mul_f32_e32 v8, s5, v28
	s_and_not1_b32 vcc_lo, exec_lo, s13
	s_mov_b32 s9, -1
	s_delay_alu instid0(VALU_DEP_2) | instskip(NEXT) | instid1(VALU_DEP_2)
	v_fmac_f32_e32 v9, s5, v27
	v_fma_f32 v8, v27, s4, -v8
	s_wait_alu 0xfffe
	s_cbranch_vccnz .LBB368_32
; %bb.31:                               ;   in Loop: Header=BB368_8 Depth=1
	v_add_co_u32 v12, vcc_lo, v10, v4
	s_wait_alu 0xfffd
	v_add_co_ci_u32_e64 v13, null, v11, v5, vcc_lo
	s_mov_b32 s9, 0
	flat_load_b64 v[27:28], v[12:13]
	s_wait_loadcnt_dscnt 0x0
	v_mul_f32_e32 v29, s15, v28
	v_mul_f32_e32 v28, s14, v28
	s_delay_alu instid0(VALU_DEP_1) | instskip(NEXT) | instid1(VALU_DEP_3)
	v_fmac_f32_e32 v28, s15, v27
	v_fma_f32 v29, v27, s14, -v29
	s_delay_alu instid0(VALU_DEP_1)
	v_dual_add_f32 v28, v9, v28 :: v_dual_add_f32 v27, v8, v29
	flat_store_b64 v[12:13], v[27:28]
.LBB368_32:                             ;   in Loop: Header=BB368_8 Depth=1
	s_wait_alu 0xfffe
	s_and_not1_b32 vcc_lo, exec_lo, s9
	s_wait_alu 0xfffe
	s_cbranch_vccnz .LBB368_34
; %bb.33:                               ;   in Loop: Header=BB368_8 Depth=1
	v_add_co_u32 v12, vcc_lo, v10, v4
	s_wait_alu 0xfffd
	v_add_co_ci_u32_e64 v13, null, v11, v5, vcc_lo
	flat_store_b64 v[12:13], v[8:9]
.LBB368_34:                             ;   in Loop: Header=BB368_8 Depth=1
	s_wait_alu 0xfffe
	s_or_b32 exec_lo, exec_lo, s8
	s_and_saveexec_b32 s8, s20
	s_cbranch_execz .LBB368_7
; %bb.35:                               ;   in Loop: Header=BB368_8 Depth=1
	v_mul_f32_e32 v9, s4, v25
	v_mul_f32_e32 v8, s5, v25
	s_and_not1_b32 vcc_lo, exec_lo, s13
	s_mov_b32 s9, -1
	s_delay_alu instid0(VALU_DEP_2) | instskip(NEXT) | instid1(VALU_DEP_2)
	v_fmac_f32_e32 v9, s5, v26
	v_fma_f32 v8, v26, s4, -v8
	s_wait_alu 0xfffe
	s_cbranch_vccnz .LBB368_37
; %bb.36:                               ;   in Loop: Header=BB368_8 Depth=1
	v_add_co_u32 v12, vcc_lo, v10, v6
	s_wait_alu 0xfffd
	v_add_co_ci_u32_e64 v13, null, v11, v7, vcc_lo
	s_mov_b32 s9, 0
	flat_load_b64 v[25:26], v[12:13]
	s_wait_loadcnt_dscnt 0x0
	v_mul_f32_e32 v27, s15, v26
	v_mul_f32_e32 v26, s14, v26
	s_delay_alu instid0(VALU_DEP_1) | instskip(NEXT) | instid1(VALU_DEP_3)
	v_fmac_f32_e32 v26, s15, v25
	v_fma_f32 v27, v25, s14, -v27
	s_delay_alu instid0(VALU_DEP_1)
	v_dual_add_f32 v26, v9, v26 :: v_dual_add_f32 v25, v8, v27
	flat_store_b64 v[12:13], v[25:26]
.LBB368_37:                             ;   in Loop: Header=BB368_8 Depth=1
	s_wait_alu 0xfffe
	s_and_not1_b32 vcc_lo, exec_lo, s9
	s_wait_alu 0xfffe
	s_cbranch_vccnz .LBB368_7
; %bb.38:                               ;   in Loop: Header=BB368_8 Depth=1
	v_add_co_u32 v10, vcc_lo, v10, v6
	s_wait_alu 0xfffd
	v_add_co_ci_u32_e64 v11, null, v11, v7, vcc_lo
	flat_store_b64 v[10:11], v[8:9]
	s_branch .LBB368_7
.LBB368_39:
	s_endpgm
	.section	.rodata,"a",@progbits
	.p2align	6, 0x0
	.amdhsa_kernel _ZL29rocblas_internal_gemmt_kernelIiLi16ELi32ELi8ELc67ELc67ELc85ELb1ELb1E19rocblas_complex_numIfEPKS1_PKS3_PKPS1_EviT_T9_T10_S9_lSB_S9_lSA_T11_S9_li
		.amdhsa_group_segment_fixed_size 4096
		.amdhsa_private_segment_fixed_size 0
		.amdhsa_kernarg_size 100
		.amdhsa_user_sgpr_count 2
		.amdhsa_user_sgpr_dispatch_ptr 0
		.amdhsa_user_sgpr_queue_ptr 0
		.amdhsa_user_sgpr_kernarg_segment_ptr 1
		.amdhsa_user_sgpr_dispatch_id 0
		.amdhsa_user_sgpr_private_segment_size 0
		.amdhsa_wavefront_size32 1
		.amdhsa_uses_dynamic_stack 0
		.amdhsa_enable_private_segment 0
		.amdhsa_system_sgpr_workgroup_id_x 1
		.amdhsa_system_sgpr_workgroup_id_y 1
		.amdhsa_system_sgpr_workgroup_id_z 1
		.amdhsa_system_sgpr_workgroup_info 0
		.amdhsa_system_vgpr_workitem_id 1
		.amdhsa_next_free_vgpr 71
		.amdhsa_next_free_sgpr 36
		.amdhsa_reserve_vcc 1
		.amdhsa_float_round_mode_32 0
		.amdhsa_float_round_mode_16_64 0
		.amdhsa_float_denorm_mode_32 3
		.amdhsa_float_denorm_mode_16_64 3
		.amdhsa_fp16_overflow 0
		.amdhsa_workgroup_processor_mode 1
		.amdhsa_memory_ordered 1
		.amdhsa_forward_progress 1
		.amdhsa_inst_pref_size 26
		.amdhsa_round_robin_scheduling 0
		.amdhsa_exception_fp_ieee_invalid_op 0
		.amdhsa_exception_fp_denorm_src 0
		.amdhsa_exception_fp_ieee_div_zero 0
		.amdhsa_exception_fp_ieee_overflow 0
		.amdhsa_exception_fp_ieee_underflow 0
		.amdhsa_exception_fp_ieee_inexact 0
		.amdhsa_exception_int_div_zero 0
	.end_amdhsa_kernel
	.section	.text._ZL29rocblas_internal_gemmt_kernelIiLi16ELi32ELi8ELc67ELc67ELc85ELb1ELb1E19rocblas_complex_numIfEPKS1_PKS3_PKPS1_EviT_T9_T10_S9_lSB_S9_lSA_T11_S9_li,"axG",@progbits,_ZL29rocblas_internal_gemmt_kernelIiLi16ELi32ELi8ELc67ELc67ELc85ELb1ELb1E19rocblas_complex_numIfEPKS1_PKS3_PKPS1_EviT_T9_T10_S9_lSB_S9_lSA_T11_S9_li,comdat
.Lfunc_end368:
	.size	_ZL29rocblas_internal_gemmt_kernelIiLi16ELi32ELi8ELc67ELc67ELc85ELb1ELb1E19rocblas_complex_numIfEPKS1_PKS3_PKPS1_EviT_T9_T10_S9_lSB_S9_lSA_T11_S9_li, .Lfunc_end368-_ZL29rocblas_internal_gemmt_kernelIiLi16ELi32ELi8ELc67ELc67ELc85ELb1ELb1E19rocblas_complex_numIfEPKS1_PKS3_PKPS1_EviT_T9_T10_S9_lSB_S9_lSA_T11_S9_li
                                        ; -- End function
	.set _ZL29rocblas_internal_gemmt_kernelIiLi16ELi32ELi8ELc67ELc67ELc85ELb1ELb1E19rocblas_complex_numIfEPKS1_PKS3_PKPS1_EviT_T9_T10_S9_lSB_S9_lSA_T11_S9_li.num_vgpr, 71
	.set _ZL29rocblas_internal_gemmt_kernelIiLi16ELi32ELi8ELc67ELc67ELc85ELb1ELb1E19rocblas_complex_numIfEPKS1_PKS3_PKPS1_EviT_T9_T10_S9_lSB_S9_lSA_T11_S9_li.num_agpr, 0
	.set _ZL29rocblas_internal_gemmt_kernelIiLi16ELi32ELi8ELc67ELc67ELc85ELb1ELb1E19rocblas_complex_numIfEPKS1_PKS3_PKPS1_EviT_T9_T10_S9_lSB_S9_lSA_T11_S9_li.numbered_sgpr, 36
	.set _ZL29rocblas_internal_gemmt_kernelIiLi16ELi32ELi8ELc67ELc67ELc85ELb1ELb1E19rocblas_complex_numIfEPKS1_PKS3_PKPS1_EviT_T9_T10_S9_lSB_S9_lSA_T11_S9_li.num_named_barrier, 0
	.set _ZL29rocblas_internal_gemmt_kernelIiLi16ELi32ELi8ELc67ELc67ELc85ELb1ELb1E19rocblas_complex_numIfEPKS1_PKS3_PKPS1_EviT_T9_T10_S9_lSB_S9_lSA_T11_S9_li.private_seg_size, 0
	.set _ZL29rocblas_internal_gemmt_kernelIiLi16ELi32ELi8ELc67ELc67ELc85ELb1ELb1E19rocblas_complex_numIfEPKS1_PKS3_PKPS1_EviT_T9_T10_S9_lSB_S9_lSA_T11_S9_li.uses_vcc, 1
	.set _ZL29rocblas_internal_gemmt_kernelIiLi16ELi32ELi8ELc67ELc67ELc85ELb1ELb1E19rocblas_complex_numIfEPKS1_PKS3_PKPS1_EviT_T9_T10_S9_lSB_S9_lSA_T11_S9_li.uses_flat_scratch, 0
	.set _ZL29rocblas_internal_gemmt_kernelIiLi16ELi32ELi8ELc67ELc67ELc85ELb1ELb1E19rocblas_complex_numIfEPKS1_PKS3_PKPS1_EviT_T9_T10_S9_lSB_S9_lSA_T11_S9_li.has_dyn_sized_stack, 0
	.set _ZL29rocblas_internal_gemmt_kernelIiLi16ELi32ELi8ELc67ELc67ELc85ELb1ELb1E19rocblas_complex_numIfEPKS1_PKS3_PKPS1_EviT_T9_T10_S9_lSB_S9_lSA_T11_S9_li.has_recursion, 0
	.set _ZL29rocblas_internal_gemmt_kernelIiLi16ELi32ELi8ELc67ELc67ELc85ELb1ELb1E19rocblas_complex_numIfEPKS1_PKS3_PKPS1_EviT_T9_T10_S9_lSB_S9_lSA_T11_S9_li.has_indirect_call, 0
	.section	.AMDGPU.csdata,"",@progbits
; Kernel info:
; codeLenInByte = 3248
; TotalNumSgprs: 38
; NumVgprs: 71
; ScratchSize: 0
; MemoryBound: 0
; FloatMode: 240
; IeeeMode: 1
; LDSByteSize: 4096 bytes/workgroup (compile time only)
; SGPRBlocks: 0
; VGPRBlocks: 8
; NumSGPRsForWavesPerEU: 38
; NumVGPRsForWavesPerEU: 71
; Occupancy: 16
; WaveLimiterHint : 1
; COMPUTE_PGM_RSRC2:SCRATCH_EN: 0
; COMPUTE_PGM_RSRC2:USER_SGPR: 2
; COMPUTE_PGM_RSRC2:TRAP_HANDLER: 0
; COMPUTE_PGM_RSRC2:TGID_X_EN: 1
; COMPUTE_PGM_RSRC2:TGID_Y_EN: 1
; COMPUTE_PGM_RSRC2:TGID_Z_EN: 1
; COMPUTE_PGM_RSRC2:TIDIG_COMP_CNT: 1
	.section	.text._ZL29rocblas_internal_gemmt_kernelIiLi16ELi32ELi8ELc78ELc78ELc76ELb0ELb0E19rocblas_complex_numIfEPKS1_PKS3_PKPS1_EviT_T9_T10_S9_lSB_S9_lSA_T11_S9_li,"axG",@progbits,_ZL29rocblas_internal_gemmt_kernelIiLi16ELi32ELi8ELc78ELc78ELc76ELb0ELb0E19rocblas_complex_numIfEPKS1_PKS3_PKPS1_EviT_T9_T10_S9_lSB_S9_lSA_T11_S9_li,comdat
	.globl	_ZL29rocblas_internal_gemmt_kernelIiLi16ELi32ELi8ELc78ELc78ELc76ELb0ELb0E19rocblas_complex_numIfEPKS1_PKS3_PKPS1_EviT_T9_T10_S9_lSB_S9_lSA_T11_S9_li ; -- Begin function _ZL29rocblas_internal_gemmt_kernelIiLi16ELi32ELi8ELc78ELc78ELc76ELb0ELb0E19rocblas_complex_numIfEPKS1_PKS3_PKPS1_EviT_T9_T10_S9_lSB_S9_lSA_T11_S9_li
	.p2align	8
	.type	_ZL29rocblas_internal_gemmt_kernelIiLi16ELi32ELi8ELc78ELc78ELc76ELb0ELb0E19rocblas_complex_numIfEPKS1_PKS3_PKPS1_EviT_T9_T10_S9_lSB_S9_lSA_T11_S9_li,@function
_ZL29rocblas_internal_gemmt_kernelIiLi16ELi32ELi8ELc78ELc78ELc76ELb0ELb0E19rocblas_complex_numIfEPKS1_PKS3_PKPS1_EviT_T9_T10_S9_lSB_S9_lSA_T11_S9_li: ; @_ZL29rocblas_internal_gemmt_kernelIiLi16ELi32ELi8ELc78ELc78ELc76ELb0ELb0E19rocblas_complex_numIfEPKS1_PKS3_PKPS1_EviT_T9_T10_S9_lSB_S9_lSA_T11_S9_li
; %bb.0:
	s_load_b128 s[12:15], s[0:1], 0x38
	s_wait_kmcnt 0x0
	s_load_b64 s[14:15], s[14:15], 0x0
	s_clause 0x1
	s_load_b128 s[4:7], s[0:1], 0x8
	s_load_b64 s[20:21], s[0:1], 0x0
	s_wait_kmcnt 0x0
	s_load_b64 s[22:23], s[4:5], 0x0
	s_cmp_eq_f32 s14, 1.0
	s_cselect_b32 s2, -1, 0
	s_and_b32 s3, s15, 0x7fffffff
	s_delay_alu instid0(SALU_CYCLE_1) | instskip(SKIP_1) | instid1(SALU_CYCLE_1)
	s_cmp_eq_u32 s3, 0
	s_cselect_b32 s3, -1, 0
	s_and_b32 s4, s2, s3
	s_mov_b32 s2, 0
	s_and_not1_b32 vcc_lo, exec_lo, s4
	s_mov_b32 s4, -1
	s_cbranch_vccnz .LBB369_4
; %bb.1:
	s_cmp_lg_u32 s21, 0
	s_cbranch_scc0 .LBB369_3
; %bb.2:
	s_wait_kmcnt 0x0
	s_cmp_neq_f32 s22, 0
	s_cselect_b32 s2, -1, 0
	s_cmp_neq_f32 s23, 0
	s_cselect_b32 s4, -1, 0
	s_delay_alu instid0(SALU_CYCLE_1)
	s_or_b32 s2, s2, s4
.LBB369_3:
	s_delay_alu instid0(SALU_CYCLE_1)
	s_mov_b32 s4, s2
.LBB369_4:
	s_delay_alu instid0(SALU_CYCLE_1)
	s_and_b32 vcc_lo, exec_lo, s4
	s_cbranch_vccz .LBB369_39
; %bb.5:
	s_load_b32 s19, s[0:1], 0x60
	s_lshr_b32 s24, ttmp7, 16
	s_wait_kmcnt 0x0
	s_cmp_ge_u32 s24, s19
	s_cbranch_scc1 .LBB369_39
; %bb.6:
	s_load_b32 s28, s[0:1], 0x18
	v_and_b32_e32 v1, 0x3ff, v0
	v_bfe_u32 v2, v0, 10, 10
	s_clause 0x3
	s_load_b128 s[8:11], s[0:1], 0x20
	s_load_b32 s5, s[0:1], 0x30
	s_load_b96 s[16:18], s[0:1], 0x48
	s_load_b64 s[26:27], s[0:1], 0x58
	s_lshl_b32 s1, ttmp7, 5
	v_and_b32_e32 v16, 7, v0
	s_lshl_b32 s0, ttmp9, 5
	v_lshl_add_u32 v0, v2, 4, v1
	s_and_b32 s1, s1, 0x1fffe0
	v_lshlrev_b32_e32 v17, 3, v1
	v_lshl_add_u32 v18, v2, 6, 0x800
	v_add_nc_u32_e32 v6, s0, v1
	v_add_nc_u32_e32 v1, s1, v2
	v_and_b32_e32 v2, 31, v0
	v_lshlrev_b32_e32 v14, 3, v16
	v_lshrrev_b32_e32 v3, 3, v0
	v_lshrrev_b32_e32 v19, 5, v0
	v_add_nc_u32_e32 v8, 16, v6
	v_or_b32_e32 v0, s0, v2
	v_lshlrev_b32_e32 v2, 3, v2
	s_wait_kmcnt 0x0
	s_ashr_i32 s29, s28, 31
	s_cmp_neq_f32 s22, 0
	v_add_nc_u32_e32 v12, s1, v3
	v_lshl_or_b32 v3, v3, 6, v14
	v_cmp_le_i32_e64 s1, v1, v6
	s_cselect_b32 s2, -1, 0
	s_cmp_neq_f32 s23, 0
	v_mad_co_i64_i32 v[4:5], null, v19, s28, 0
	v_lshl_or_b32 v20, v19, 8, v2
	s_cselect_b32 s0, -1, 0
	v_add_nc_u32_e32 v21, 0x800, v3
	s_wait_alu 0xfffe
	s_or_b32 s33, s2, s0
	s_cmp_gt_i32 s21, 0
	v_cmp_gt_i32_e64 s2, s20, v6
	s_cselect_b32 s34, -1, 0
	s_cmp_neq_f32 s14, 0
	v_mad_co_i64_i32 v[2:3], null, v1, s18, 0
	v_cmp_gt_i32_e32 vcc_lo, s20, v0
	s_cselect_b32 s35, -1, 0
	s_xor_b32 s36, s3, -1
	s_and_b32 s30, s1, s2
	v_cmp_le_i32_e64 s1, v1, v8
	v_add_nc_u32_e32 v1, 16, v1
	v_cmp_gt_i32_e64 s3, s20, v8
	v_cmp_gt_i32_e64 s0, s20, v12
	v_lshlrev_b64_e32 v[4:5], 3, v[4:5]
	v_mad_co_i64_i32 v[12:13], null, s5, v12, 0
	v_cmp_le_i32_e64 s4, v1, v6
	s_and_b32 s20, s1, s3
	v_cmp_le_i32_e64 s1, v1, v8
	v_mad_co_i64_i32 v[10:11], null, v1, s18, 0
	v_ashrrev_i32_e32 v1, 31, v0
	s_and_b32 s18, s4, s2
	s_delay_alu instid0(VALU_DEP_3)
	s_and_b32 s31, s1, s3
	s_lshl_b64 s[2:3], s[8:9], 3
	s_lshl_b64 s[4:5], s[12:13], 3
	v_lshlrev_b64_e32 v[0:1], 3, v[0:1]
	v_add_co_u32 v15, s1, v4, s2
	s_wait_alu 0xf1ff
	v_add_co_ci_u32_e64 v23, null, s3, v5, s1
	v_lshlrev_b64_e32 v[4:5], 3, v[12:13]
	s_delay_alu instid0(VALU_DEP_3) | instskip(SKIP_1) | instid1(VALU_DEP_3)
	v_add_co_u32 v22, s1, v15, v0
	s_wait_alu 0xf1ff
	v_add_co_ci_u32_e64 v23, null, v23, v1, s1
	v_ashrrev_i32_e32 v7, 31, v6
	s_wait_alu 0xfffe
	v_add_co_u32 v1, s1, v4, s4
	v_ashrrev_i32_e32 v9, 31, v8
	s_wait_alu 0xf1ff
	v_add_co_ci_u32_e64 v4, null, s5, v5, s1
	s_delay_alu instid0(VALU_DEP_3) | instskip(SKIP_2) | instid1(VALU_DEP_3)
	v_add_co_u32 v24, s1, v1, v14
	v_lshlrev_b64_e32 v[2:3], 3, v[2:3]
	s_wait_alu 0xf1ff
	v_add_co_ci_u32_e64 v25, null, 0, v4, s1
	v_lshlrev_b64_e32 v[4:5], 3, v[10:11]
	v_lshlrev_b64_e32 v[6:7], 3, v[6:7]
	;; [unrolled: 1-line block ×3, first 2 shown]
	v_mov_b32_e32 v0, 0
	s_mov_b32 s25, 0
	s_lshl_b64 s[2:3], s[28:29], 6
	s_and_b32 s8, s33, s34
	s_or_b32 s9, s35, s36
	s_xor_b32 s12, vcc_lo, -1
	s_xor_b32 s13, s0, -1
	s_lshl_b64 s[0:1], s[26:27], 3
	s_branch .LBB369_8
.LBB369_7:                              ;   in Loop: Header=BB369_8 Depth=1
	s_wait_alu 0xfffe
	s_or_b32 exec_lo, exec_lo, s4
	s_add_co_i32 s24, s24, 0x10000
	s_delay_alu instid0(SALU_CYCLE_1)
	s_cmp_lt_u32 s24, s19
	s_cbranch_scc0 .LBB369_39
.LBB369_8:                              ; =>This Loop Header: Depth=1
                                        ;     Child Loop BB369_11 Depth 2
	s_lshl_b64 s[4:5], s[24:25], 3
	v_dual_mov_b32 v33, v0 :: v_dual_mov_b32 v32, v0
	s_wait_alu 0xfffe
	s_add_nc_u64 s[26:27], s[16:17], s[4:5]
	v_dual_mov_b32 v30, v0 :: v_dual_mov_b32 v31, v0
	global_load_b64 v[10:11], v0, s[26:27]
	v_dual_mov_b32 v28, v0 :: v_dual_mov_b32 v29, v0
	v_dual_mov_b32 v27, v0 :: v_dual_mov_b32 v26, v0
	s_and_not1_b32 vcc_lo, exec_lo, s8
	s_wait_alu 0xfffe
	s_cbranch_vccnz .LBB369_19
; %bb.9:                                ;   in Loop: Header=BB369_8 Depth=1
	s_add_nc_u64 s[26:27], s[6:7], s[4:5]
	s_add_nc_u64 s[4:5], s[10:11], s[4:5]
	s_clause 0x1
	global_load_b64 v[12:13], v0, s[26:27]
	global_load_b64 v[14:15], v0, s[4:5]
	v_dual_mov_b32 v26, 0 :: v_dual_mov_b32 v27, 0
	v_dual_mov_b32 v29, 0 :: v_dual_mov_b32 v28, 0
	;; [unrolled: 1-line block ×4, first 2 shown]
	s_mov_b32 s4, 0
	s_wait_loadcnt 0x1
	v_add_co_u32 v12, vcc_lo, v12, v22
	s_wait_alu 0xfffd
	v_add_co_ci_u32_e64 v13, null, v13, v23, vcc_lo
	s_wait_loadcnt 0x0
	v_add_co_u32 v14, vcc_lo, v14, v24
	s_wait_alu 0xfffd
	v_add_co_ci_u32_e64 v15, null, v15, v25, vcc_lo
	s_branch .LBB369_11
.LBB369_10:                             ;   in Loop: Header=BB369_11 Depth=2
	s_wait_alu 0xfffe
	s_or_b32 exec_lo, exec_lo, s5
	s_wait_dscnt 0x0
	s_barrier_signal -1
	s_barrier_wait -1
	global_inv scope:SCOPE_SE
	ds_load_b128 v[34:37], v18
	ds_load_2addr_b64 v[38:41], v17 offset1:16
	ds_load_b128 v[42:45], v18 offset:1024
	ds_load_b128 v[46:49], v18 offset:16
	ds_load_b128 v[50:53], v18 offset:32
	ds_load_b128 v[54:57], v18 offset:48
	ds_load_2addr_b64 v[58:61], v17 offset0:32 offset1:48
	ds_load_b128 v[62:65], v18 offset:1040
	v_add_co_u32 v12, vcc_lo, v12, s2
	s_wait_alu 0xfffd
	v_add_co_ci_u32_e64 v13, null, s3, v13, vcc_lo
	v_add_co_u32 v14, vcc_lo, v14, 64
	s_wait_alu 0xfffd
	v_add_co_ci_u32_e64 v15, null, 0, v15, vcc_lo
	s_add_co_i32 s4, s4, 8
	s_wait_alu 0xfffe
	s_cmp_lt_i32 s4, s21
	s_wait_dscnt 0x6
	v_dual_mul_f32 v1, v35, v39 :: v_dual_mul_f32 v68, v34, v41
	v_dual_mul_f32 v66, v34, v39 :: v_dual_mul_f32 v67, v35, v41
	s_wait_dscnt 0x5
	v_mul_f32_e32 v70, v43, v41
	s_delay_alu instid0(VALU_DEP_3) | instskip(SKIP_3) | instid1(VALU_DEP_4)
	v_fma_f32 v1, v34, v38, -v1
	v_dual_mul_f32 v41, v42, v41 :: v_dual_fmac_f32 v68, v35, v40
	v_fmac_f32_e32 v66, v35, v38
	v_fma_f32 v34, v34, v40, -v67
	v_add_f32_e32 v1, v33, v1
	v_mul_f32_e32 v69, v43, v39
	s_delay_alu instid0(VALU_DEP_4) | instskip(NEXT) | instid1(VALU_DEP_4)
	v_dual_mul_f32 v39, v42, v39 :: v_dual_add_f32 v32, v32, v66
	v_add_f32_e32 v33, v30, v34
	v_fmac_f32_e32 v41, v43, v40
	s_delay_alu instid0(VALU_DEP_4) | instskip(NEXT) | instid1(VALU_DEP_4)
	v_fma_f32 v35, v42, v38, -v69
	v_fmac_f32_e32 v39, v43, v38
	v_fma_f32 v38, v42, v40, -v70
	s_wait_dscnt 0x1
	v_dual_mul_f32 v40, v36, v59 :: v_dual_add_f32 v31, v31, v68
	v_mul_f32_e32 v42, v37, v61
	v_add_f32_e32 v34, v28, v35
	v_dual_add_f32 v35, v29, v39 :: v_dual_add_f32 v38, v27, v38
	ds_load_2addr_b64 v[27:30], v17 offset0:64 offset1:80
	v_fmac_f32_e32 v40, v37, v58
	v_dual_mul_f32 v39, v37, v59 :: v_dual_add_f32 v26, v26, v41
	v_mul_f32_e32 v41, v36, v61
	s_delay_alu instid0(VALU_DEP_3) | instskip(NEXT) | instid1(VALU_DEP_3)
	v_add_f32_e32 v40, v32, v40
	v_fma_f32 v39, v36, v58, -v39
	v_fma_f32 v36, v36, v60, -v42
	v_mul_f32_e32 v32, v44, v59
	s_delay_alu instid0(VALU_DEP_3) | instskip(SKIP_1) | instid1(VALU_DEP_4)
	v_add_f32_e32 v1, v1, v39
	v_mul_f32_e32 v39, v45, v59
	v_add_f32_e32 v36, v33, v36
	v_fmac_f32_e32 v41, v37, v60
	v_mul_f32_e32 v37, v45, v61
	v_fmac_f32_e32 v32, v45, v58
	v_fma_f32 v33, v44, v58, -v39
	s_delay_alu instid0(VALU_DEP_4) | instskip(SKIP_4) | instid1(VALU_DEP_3)
	v_add_f32_e32 v39, v31, v41
	v_mul_f32_e32 v41, v44, v61
	v_fma_f32 v31, v44, v60, -v37
	s_wait_dscnt 0x0
	v_dual_add_f32 v42, v34, v33 :: v_dual_mul_f32 v33, v47, v28
	v_dual_mul_f32 v44, v47, v30 :: v_dual_fmac_f32 v41, v45, v60
	v_mul_f32_e32 v37, v46, v28
	v_add_f32_e32 v38, v38, v31
	s_delay_alu instid0(VALU_DEP_3) | instskip(SKIP_3) | instid1(VALU_DEP_2)
	v_add_f32_e32 v41, v26, v41
	v_mul_f32_e32 v26, v46, v30
	v_fma_f32 v43, v46, v27, -v33
	v_fmac_f32_e32 v37, v47, v27
	v_dual_fmac_f32 v26, v47, v29 :: v_dual_add_f32 v1, v1, v43
	v_fma_f32 v43, v46, v29, -v44
	v_add_f32_e32 v35, v35, v32
	ds_load_2addr_b64 v[31:34], v17 offset0:96 offset1:112
	v_dual_add_f32 v37, v40, v37 :: v_dual_mul_f32 v40, v63, v28
	v_mul_f32_e32 v28, v62, v28
	v_dual_add_f32 v36, v36, v43 :: v_dual_mul_f32 v43, v63, v30
	v_mul_f32_e32 v30, v62, v30
	s_delay_alu instid0(VALU_DEP_4) | instskip(NEXT) | instid1(VALU_DEP_4)
	v_fma_f32 v40, v62, v27, -v40
	v_fmac_f32_e32 v28, v63, v27
	v_add_f32_e32 v39, v39, v26
	v_fma_f32 v26, v62, v29, -v43
	v_fmac_f32_e32 v30, v63, v29
	v_add_f32_e32 v40, v42, v40
	s_delay_alu instid0(VALU_DEP_3)
	v_dual_add_f32 v42, v35, v28 :: v_dual_add_f32 v43, v38, v26
	ds_load_2addr_b64 v[26:29], v17 offset0:128 offset1:144
	s_wait_dscnt 0x1
	v_mul_f32_e32 v35, v49, v32
	v_mul_f32_e32 v38, v48, v32
	;; [unrolled: 1-line block ×4, first 2 shown]
	s_delay_alu instid0(VALU_DEP_4) | instskip(NEXT) | instid1(VALU_DEP_4)
	v_fma_f32 v35, v48, v31, -v35
	v_fmac_f32_e32 v38, v49, v31
	s_delay_alu instid0(VALU_DEP_2) | instskip(SKIP_1) | instid1(VALU_DEP_3)
	v_add_f32_e32 v1, v1, v35
	v_mul_f32_e32 v35, v65, v32
	v_dual_mul_f32 v32, v64, v32 :: v_dual_add_f32 v45, v37, v38
	s_delay_alu instid0(VALU_DEP_2) | instskip(NEXT) | instid1(VALU_DEP_2)
	v_fma_f32 v46, v64, v31, -v35
	v_fmac_f32_e32 v32, v65, v31
	s_wait_dscnt 0x0
	v_mul_f32_e32 v31, v51, v27
	v_fma_f32 v44, v48, v33, -v44
	v_add_f32_e32 v41, v41, v30
	v_mul_f32_e32 v30, v48, v34
	v_mul_f32_e32 v58, v50, v29
	s_delay_alu instid0(VALU_DEP_4) | instskip(SKIP_2) | instid1(VALU_DEP_1)
	v_add_f32_e32 v44, v36, v44
	ds_load_b128 v[35:38], v18 offset:1056
	v_dual_fmac_f32 v30, v49, v33 :: v_dual_mul_f32 v49, v50, v27
	v_add_f32_e32 v48, v39, v30
	v_fma_f32 v30, v64, v33, -v47
	v_fma_f32 v39, v50, v26, -v31
	v_mul_f32_e32 v34, v64, v34
	v_fmac_f32_e32 v49, v51, v26
	v_add_f32_e32 v46, v40, v46
	v_add_f32_e32 v43, v43, v30
	;; [unrolled: 1-line block ×4, first 2 shown]
	v_fmac_f32_e32 v34, v65, v33
	ds_load_2addr_b64 v[30:33], v17 offset0:160 offset1:176
	v_mul_f32_e32 v40, v51, v29
	v_add_f32_e32 v45, v45, v49
	v_add_f32_e32 v34, v41, v34
	s_delay_alu instid0(VALU_DEP_3)
	v_fma_f32 v50, v50, v28, -v40
	ds_load_b128 v[39:42], v18 offset:1072
	s_wait_dscnt 0x2
	v_mul_f32_e32 v59, v36, v27
	v_dual_mul_f32 v27, v35, v27 :: v_dual_add_f32 v44, v44, v50
	v_fmac_f32_e32 v58, v51, v28
	v_mul_f32_e32 v50, v36, v29
	s_delay_alu instid0(VALU_DEP_4) | instskip(NEXT) | instid1(VALU_DEP_4)
	v_fma_f32 v49, v35, v26, -v59
	v_fmac_f32_e32 v27, v36, v26
	s_delay_alu instid0(VALU_DEP_4) | instskip(SKIP_1) | instid1(VALU_DEP_3)
	v_dual_mul_f32 v51, v35, v29 :: v_dual_add_f32 v48, v48, v58
	s_wait_dscnt 0x1
	v_dual_add_f32 v46, v46, v49 :: v_dual_mul_f32 v29, v53, v31
	v_fma_f32 v26, v35, v28, -v50
	v_add_f32_e32 v35, v47, v27
	v_fmac_f32_e32 v51, v36, v28
	v_mul_f32_e32 v36, v52, v31
	v_fma_f32 v47, v52, v30, -v29
	v_add_f32_e32 v43, v43, v26
	ds_load_2addr_b64 v[26:29], v17 offset0:192 offset1:208
	v_fmac_f32_e32 v36, v53, v30
	v_dual_mul_f32 v49, v53, v33 :: v_dual_add_f32 v50, v34, v51
	v_dual_add_f32 v1, v1, v47 :: v_dual_mul_f32 v34, v52, v33
	s_delay_alu instid0(VALU_DEP_3) | instskip(NEXT) | instid1(VALU_DEP_3)
	v_dual_add_f32 v45, v45, v36 :: v_dual_mul_f32 v36, v38, v31
	v_fma_f32 v47, v52, v32, -v49
	s_delay_alu instid0(VALU_DEP_3) | instskip(NEXT) | instid1(VALU_DEP_3)
	v_fmac_f32_e32 v34, v53, v32
	v_fma_f32 v36, v37, v30, -v36
	s_delay_alu instid0(VALU_DEP_3) | instskip(SKIP_1) | instid1(VALU_DEP_3)
	v_dual_add_f32 v44, v44, v47 :: v_dual_mul_f32 v47, v38, v33
	v_mul_f32_e32 v31, v37, v31
	v_dual_mul_f32 v33, v37, v33 :: v_dual_add_f32 v46, v46, v36
	s_delay_alu instid0(VALU_DEP_2) | instskip(SKIP_2) | instid1(VALU_DEP_4)
	v_fmac_f32_e32 v31, v38, v30
	v_add_f32_e32 v30, v48, v34
	v_fma_f32 v34, v37, v32, -v47
	v_fmac_f32_e32 v33, v38, v32
	s_wait_dscnt 0x0
	v_mul_f32_e32 v38, v54, v27
	v_dual_add_f32 v31, v35, v31 :: v_dual_mul_f32 v48, v54, v29
	v_add_f32_e32 v32, v43, v34
	ds_load_2addr_b64 v[34:37], v17 offset0:224 offset1:240
	v_dual_add_f32 v33, v50, v33 :: v_dual_fmac_f32 v38, v55, v26
	v_mul_f32_e32 v47, v55, v27
	v_fmac_f32_e32 v48, v55, v28
	s_wait_loadcnt_dscnt 0x0
	s_barrier_signal -1
	v_add_f32_e32 v38, v45, v38
	v_fma_f32 v43, v54, v26, -v47
	v_mul_f32_e32 v47, v55, v29
	v_mul_f32_e32 v45, v40, v29
	;; [unrolled: 1-line block ×3, first 2 shown]
	s_barrier_wait -1
	v_add_f32_e32 v1, v1, v43
	v_fma_f32 v47, v54, v28, -v47
	v_mul_f32_e32 v43, v40, v27
	v_fmac_f32_e32 v29, v40, v28
	global_inv scope:SCOPE_SE
	v_dual_add_f32 v44, v44, v47 :: v_dual_add_f32 v47, v30, v48
	v_fma_f32 v30, v39, v28, -v45
	v_mul_f32_e32 v27, v39, v27
	s_delay_alu instid0(VALU_DEP_1) | instskip(NEXT) | instid1(VALU_DEP_3)
	v_fmac_f32_e32 v27, v40, v26
	v_add_f32_e32 v40, v32, v30
	v_mul_f32_e32 v30, v57, v37
	v_fma_f32 v43, v39, v26, -v43
	v_mul_f32_e32 v39, v57, v35
	s_delay_alu instid0(VALU_DEP_2) | instskip(NEXT) | instid1(VALU_DEP_2)
	v_add_f32_e32 v26, v46, v43
	v_fma_f32 v28, v56, v34, -v39
	v_add_f32_e32 v39, v33, v29
	v_mul_f32_e32 v29, v41, v35
	s_delay_alu instid0(VALU_DEP_3) | instskip(SKIP_2) | instid1(VALU_DEP_2)
	v_add_f32_e32 v33, v1, v28
	v_fma_f32 v1, v56, v36, -v30
	v_mul_f32_e32 v28, v42, v35
	v_dual_fmac_f32 v29, v42, v34 :: v_dual_add_f32 v30, v44, v1
	s_delay_alu instid0(VALU_DEP_2) | instskip(SKIP_2) | instid1(VALU_DEP_2)
	v_fma_f32 v1, v41, v34, -v28
	v_mul_f32_e32 v43, v56, v35
	v_mul_f32_e32 v35, v42, v37
	v_dual_add_f32 v28, v26, v1 :: v_dual_fmac_f32 v43, v57, v34
	s_delay_alu instid0(VALU_DEP_2) | instskip(NEXT) | instid1(VALU_DEP_2)
	v_fma_f32 v34, v41, v36, -v35
	v_add_f32_e32 v32, v38, v43
	v_add_f32_e32 v27, v31, v27
	v_mul_f32_e32 v31, v56, v37
	v_mul_f32_e32 v37, v41, v37
	s_delay_alu instid0(VALU_DEP_3) | instskip(NEXT) | instid1(VALU_DEP_3)
	v_add_f32_e32 v29, v27, v29
	v_fmac_f32_e32 v31, v57, v36
	s_delay_alu instid0(VALU_DEP_3) | instskip(SKIP_1) | instid1(VALU_DEP_3)
	v_fmac_f32_e32 v37, v42, v36
	v_add_f32_e32 v27, v40, v34
	v_add_f32_e32 v31, v47, v31
	s_delay_alu instid0(VALU_DEP_3)
	v_add_f32_e32 v26, v39, v37
	s_cbranch_scc0 .LBB369_19
.LBB369_11:                             ;   Parent Loop BB369_8 Depth=1
                                        ; =>  This Inner Loop Header: Depth=2
	s_wait_alu 0xfffe
	v_add_nc_u32_e32 v1, s4, v19
	s_delay_alu instid0(VALU_DEP_1) | instskip(SKIP_3) | instid1(SALU_CYCLE_1)
	v_cmp_le_i32_e32 vcc_lo, s21, v1
	s_or_b32 s5, s12, vcc_lo
	s_wait_alu 0xfffe
	s_and_saveexec_b32 s26, s5
	s_xor_b32 s5, exec_lo, s26
; %bb.12:                               ;   in Loop: Header=BB369_11 Depth=2
	v_mov_b32_e32 v1, v0
	ds_store_b64 v20, v[0:1]
; %bb.13:                               ;   in Loop: Header=BB369_11 Depth=2
	s_wait_alu 0xfffe
	s_and_not1_saveexec_b32 s5, s5
	s_cbranch_execz .LBB369_15
; %bb.14:                               ;   in Loop: Header=BB369_11 Depth=2
	flat_load_b64 v[34:35], v[12:13]
	s_wait_loadcnt_dscnt 0x0
	ds_store_b64 v20, v[34:35]
.LBB369_15:                             ;   in Loop: Header=BB369_11 Depth=2
	s_wait_alu 0xfffe
	s_or_b32 exec_lo, exec_lo, s5
	v_add_nc_u32_e32 v1, s4, v16
	s_delay_alu instid0(VALU_DEP_1) | instskip(SKIP_3) | instid1(SALU_CYCLE_1)
	v_cmp_le_i32_e32 vcc_lo, s21, v1
	s_or_b32 s5, vcc_lo, s13
	s_wait_alu 0xfffe
	s_and_saveexec_b32 s26, s5
	s_xor_b32 s5, exec_lo, s26
; %bb.16:                               ;   in Loop: Header=BB369_11 Depth=2
	v_mov_b32_e32 v1, v0
	ds_store_b64 v21, v[0:1]
; %bb.17:                               ;   in Loop: Header=BB369_11 Depth=2
	s_wait_alu 0xfffe
	s_and_not1_saveexec_b32 s5, s5
	s_cbranch_execz .LBB369_10
; %bb.18:                               ;   in Loop: Header=BB369_11 Depth=2
	flat_load_b64 v[34:35], v[14:15]
	s_wait_loadcnt_dscnt 0x0
	ds_store_b64 v21, v[34:35]
	s_branch .LBB369_10
.LBB369_19:                             ;   in Loop: Header=BB369_8 Depth=1
	s_wait_loadcnt 0x0
	v_add_co_u32 v1, vcc_lo, v10, s0
	s_wait_alu 0xfffd
	v_add_co_ci_u32_e64 v12, null, s1, v11, vcc_lo
	s_delay_alu instid0(VALU_DEP_2) | instskip(SKIP_1) | instid1(VALU_DEP_2)
	v_add_co_u32 v13, vcc_lo, v1, v2
	s_wait_alu 0xfffd
	v_add_co_ci_u32_e64 v14, null, v12, v3, vcc_lo
	s_and_saveexec_b32 s4, s30
	s_cbranch_execz .LBB369_24
; %bb.20:                               ;   in Loop: Header=BB369_8 Depth=1
	v_mul_f32_e32 v11, s22, v32
	v_mul_f32_e32 v10, s23, v32
	s_and_b32 vcc_lo, exec_lo, s9
	s_mov_b32 s5, -1
	s_delay_alu instid0(VALU_DEP_2) | instskip(NEXT) | instid1(VALU_DEP_2)
	v_fmac_f32_e32 v11, s23, v33
	v_fma_f32 v10, v33, s22, -v10
	s_wait_alu 0xfffe
	s_cbranch_vccz .LBB369_22
; %bb.21:                               ;   in Loop: Header=BB369_8 Depth=1
	v_add_co_u32 v32, vcc_lo, v13, v6
	s_wait_alu 0xfffd
	v_add_co_ci_u32_e64 v33, null, v14, v7, vcc_lo
	s_mov_b32 s5, 0
	flat_load_b64 v[34:35], v[32:33]
	s_wait_loadcnt_dscnt 0x0
	v_mul_f32_e32 v15, s15, v35
	v_mul_f32_e32 v35, s14, v35
	s_delay_alu instid0(VALU_DEP_2) | instskip(NEXT) | instid1(VALU_DEP_1)
	v_fma_f32 v15, v34, s14, -v15
	v_dual_fmac_f32 v35, s15, v34 :: v_dual_add_f32 v34, v10, v15
	s_delay_alu instid0(VALU_DEP_1)
	v_add_f32_e32 v35, v11, v35
	flat_store_b64 v[32:33], v[34:35]
.LBB369_22:                             ;   in Loop: Header=BB369_8 Depth=1
	s_wait_alu 0xfffe
	s_and_not1_b32 vcc_lo, exec_lo, s5
	s_wait_alu 0xfffe
	s_cbranch_vccnz .LBB369_24
; %bb.23:                               ;   in Loop: Header=BB369_8 Depth=1
	v_add_co_u32 v32, vcc_lo, v13, v6
	s_wait_alu 0xfffd
	v_add_co_ci_u32_e64 v33, null, v14, v7, vcc_lo
	flat_store_b64 v[32:33], v[10:11]
.LBB369_24:                             ;   in Loop: Header=BB369_8 Depth=1
	s_wait_alu 0xfffe
	s_or_b32 exec_lo, exec_lo, s4
	s_and_saveexec_b32 s4, s20
	s_cbranch_execz .LBB369_29
; %bb.25:                               ;   in Loop: Header=BB369_8 Depth=1
	v_mul_f32_e32 v11, s22, v31
	v_mul_f32_e32 v10, s23, v31
	s_and_not1_b32 vcc_lo, exec_lo, s9
	s_mov_b32 s5, -1
	s_delay_alu instid0(VALU_DEP_2) | instskip(NEXT) | instid1(VALU_DEP_2)
	v_fmac_f32_e32 v11, s23, v30
	v_fma_f32 v10, v30, s22, -v10
	s_wait_alu 0xfffe
	s_cbranch_vccnz .LBB369_27
; %bb.26:                               ;   in Loop: Header=BB369_8 Depth=1
	v_add_co_u32 v30, vcc_lo, v13, v8
	s_wait_alu 0xfffd
	v_add_co_ci_u32_e64 v31, null, v14, v9, vcc_lo
	s_mov_b32 s5, 0
	flat_load_b64 v[32:33], v[30:31]
	s_wait_loadcnt_dscnt 0x0
	v_mul_f32_e32 v15, s15, v33
	s_delay_alu instid0(VALU_DEP_1) | instskip(SKIP_1) | instid1(VALU_DEP_1)
	v_fma_f32 v15, v32, s14, -v15
	v_mul_f32_e32 v33, s14, v33
	v_dual_fmac_f32 v33, s15, v32 :: v_dual_add_f32 v32, v10, v15
	s_delay_alu instid0(VALU_DEP_1)
	v_add_f32_e32 v33, v11, v33
	flat_store_b64 v[30:31], v[32:33]
.LBB369_27:                             ;   in Loop: Header=BB369_8 Depth=1
	s_wait_alu 0xfffe
	s_and_not1_b32 vcc_lo, exec_lo, s5
	s_wait_alu 0xfffe
	s_cbranch_vccnz .LBB369_29
; %bb.28:                               ;   in Loop: Header=BB369_8 Depth=1
	v_add_co_u32 v13, vcc_lo, v13, v8
	s_wait_alu 0xfffd
	v_add_co_ci_u32_e64 v14, null, v14, v9, vcc_lo
	flat_store_b64 v[13:14], v[10:11]
.LBB369_29:                             ;   in Loop: Header=BB369_8 Depth=1
	s_wait_alu 0xfffe
	s_or_b32 exec_lo, exec_lo, s4
	v_add_co_u32 v1, vcc_lo, v1, v4
	s_wait_alu 0xfffd
	v_add_co_ci_u32_e64 v12, null, v12, v5, vcc_lo
	s_and_saveexec_b32 s4, s18
	s_cbranch_execz .LBB369_34
; %bb.30:                               ;   in Loop: Header=BB369_8 Depth=1
	v_mul_f32_e32 v11, s22, v29
	v_mul_f32_e32 v10, s23, v29
	s_and_not1_b32 vcc_lo, exec_lo, s9
	s_mov_b32 s5, -1
	s_delay_alu instid0(VALU_DEP_2) | instskip(NEXT) | instid1(VALU_DEP_2)
	v_fmac_f32_e32 v11, s23, v28
	v_fma_f32 v10, v28, s22, -v10
	s_wait_alu 0xfffe
	s_cbranch_vccnz .LBB369_32
; %bb.31:                               ;   in Loop: Header=BB369_8 Depth=1
	v_add_co_u32 v13, vcc_lo, v1, v6
	s_wait_alu 0xfffd
	v_add_co_ci_u32_e64 v14, null, v12, v7, vcc_lo
	s_mov_b32 s5, 0
	flat_load_b64 v[28:29], v[13:14]
	s_wait_loadcnt_dscnt 0x0
	v_mul_f32_e32 v15, s15, v29
	s_delay_alu instid0(VALU_DEP_1) | instskip(SKIP_1) | instid1(VALU_DEP_1)
	v_fma_f32 v15, v28, s14, -v15
	v_mul_f32_e32 v29, s14, v29
	v_dual_fmac_f32 v29, s15, v28 :: v_dual_add_f32 v28, v10, v15
	s_delay_alu instid0(VALU_DEP_1)
	v_add_f32_e32 v29, v11, v29
	flat_store_b64 v[13:14], v[28:29]
.LBB369_32:                             ;   in Loop: Header=BB369_8 Depth=1
	s_wait_alu 0xfffe
	s_and_not1_b32 vcc_lo, exec_lo, s5
	s_wait_alu 0xfffe
	s_cbranch_vccnz .LBB369_34
; %bb.33:                               ;   in Loop: Header=BB369_8 Depth=1
	v_add_co_u32 v13, vcc_lo, v1, v6
	s_wait_alu 0xfffd
	v_add_co_ci_u32_e64 v14, null, v12, v7, vcc_lo
	flat_store_b64 v[13:14], v[10:11]
.LBB369_34:                             ;   in Loop: Header=BB369_8 Depth=1
	s_wait_alu 0xfffe
	s_or_b32 exec_lo, exec_lo, s4
	s_and_saveexec_b32 s4, s31
	s_cbranch_execz .LBB369_7
; %bb.35:                               ;   in Loop: Header=BB369_8 Depth=1
	v_mul_f32_e32 v11, s22, v26
	v_mul_f32_e32 v10, s23, v26
	s_and_not1_b32 vcc_lo, exec_lo, s9
	s_mov_b32 s5, -1
	s_delay_alu instid0(VALU_DEP_2) | instskip(NEXT) | instid1(VALU_DEP_2)
	v_fmac_f32_e32 v11, s23, v27
	v_fma_f32 v10, v27, s22, -v10
	s_wait_alu 0xfffe
	s_cbranch_vccnz .LBB369_37
; %bb.36:                               ;   in Loop: Header=BB369_8 Depth=1
	v_add_co_u32 v13, vcc_lo, v1, v8
	s_wait_alu 0xfffd
	v_add_co_ci_u32_e64 v14, null, v12, v9, vcc_lo
	s_mov_b32 s5, 0
	flat_load_b64 v[26:27], v[13:14]
	s_wait_loadcnt_dscnt 0x0
	v_mul_f32_e32 v15, s15, v27
	v_mul_f32_e32 v27, s14, v27
	s_delay_alu instid0(VALU_DEP_2) | instskip(NEXT) | instid1(VALU_DEP_1)
	v_fma_f32 v15, v26, s14, -v15
	v_dual_fmac_f32 v27, s15, v26 :: v_dual_add_f32 v26, v10, v15
	s_delay_alu instid0(VALU_DEP_1)
	v_add_f32_e32 v27, v11, v27
	flat_store_b64 v[13:14], v[26:27]
.LBB369_37:                             ;   in Loop: Header=BB369_8 Depth=1
	s_wait_alu 0xfffe
	s_and_not1_b32 vcc_lo, exec_lo, s5
	s_wait_alu 0xfffe
	s_cbranch_vccnz .LBB369_7
; %bb.38:                               ;   in Loop: Header=BB369_8 Depth=1
	v_add_co_u32 v13, vcc_lo, v1, v8
	s_wait_alu 0xfffd
	v_add_co_ci_u32_e64 v14, null, v12, v9, vcc_lo
	flat_store_b64 v[13:14], v[10:11]
	s_branch .LBB369_7
.LBB369_39:
	s_endpgm
	.section	.rodata,"a",@progbits
	.p2align	6, 0x0
	.amdhsa_kernel _ZL29rocblas_internal_gemmt_kernelIiLi16ELi32ELi8ELc78ELc78ELc76ELb0ELb0E19rocblas_complex_numIfEPKS1_PKS3_PKPS1_EviT_T9_T10_S9_lSB_S9_lSA_T11_S9_li
		.amdhsa_group_segment_fixed_size 4096
		.amdhsa_private_segment_fixed_size 0
		.amdhsa_kernarg_size 100
		.amdhsa_user_sgpr_count 2
		.amdhsa_user_sgpr_dispatch_ptr 0
		.amdhsa_user_sgpr_queue_ptr 0
		.amdhsa_user_sgpr_kernarg_segment_ptr 1
		.amdhsa_user_sgpr_dispatch_id 0
		.amdhsa_user_sgpr_private_segment_size 0
		.amdhsa_wavefront_size32 1
		.amdhsa_uses_dynamic_stack 0
		.amdhsa_enable_private_segment 0
		.amdhsa_system_sgpr_workgroup_id_x 1
		.amdhsa_system_sgpr_workgroup_id_y 1
		.amdhsa_system_sgpr_workgroup_id_z 1
		.amdhsa_system_sgpr_workgroup_info 0
		.amdhsa_system_vgpr_workitem_id 1
		.amdhsa_next_free_vgpr 71
		.amdhsa_next_free_sgpr 37
		.amdhsa_reserve_vcc 1
		.amdhsa_float_round_mode_32 0
		.amdhsa_float_round_mode_16_64 0
		.amdhsa_float_denorm_mode_32 3
		.amdhsa_float_denorm_mode_16_64 3
		.amdhsa_fp16_overflow 0
		.amdhsa_workgroup_processor_mode 1
		.amdhsa_memory_ordered 1
		.amdhsa_forward_progress 1
		.amdhsa_inst_pref_size 25
		.amdhsa_round_robin_scheduling 0
		.amdhsa_exception_fp_ieee_invalid_op 0
		.amdhsa_exception_fp_denorm_src 0
		.amdhsa_exception_fp_ieee_div_zero 0
		.amdhsa_exception_fp_ieee_overflow 0
		.amdhsa_exception_fp_ieee_underflow 0
		.amdhsa_exception_fp_ieee_inexact 0
		.amdhsa_exception_int_div_zero 0
	.end_amdhsa_kernel
	.section	.text._ZL29rocblas_internal_gemmt_kernelIiLi16ELi32ELi8ELc78ELc78ELc76ELb0ELb0E19rocblas_complex_numIfEPKS1_PKS3_PKPS1_EviT_T9_T10_S9_lSB_S9_lSA_T11_S9_li,"axG",@progbits,_ZL29rocblas_internal_gemmt_kernelIiLi16ELi32ELi8ELc78ELc78ELc76ELb0ELb0E19rocblas_complex_numIfEPKS1_PKS3_PKPS1_EviT_T9_T10_S9_lSB_S9_lSA_T11_S9_li,comdat
.Lfunc_end369:
	.size	_ZL29rocblas_internal_gemmt_kernelIiLi16ELi32ELi8ELc78ELc78ELc76ELb0ELb0E19rocblas_complex_numIfEPKS1_PKS3_PKPS1_EviT_T9_T10_S9_lSB_S9_lSA_T11_S9_li, .Lfunc_end369-_ZL29rocblas_internal_gemmt_kernelIiLi16ELi32ELi8ELc78ELc78ELc76ELb0ELb0E19rocblas_complex_numIfEPKS1_PKS3_PKPS1_EviT_T9_T10_S9_lSB_S9_lSA_T11_S9_li
                                        ; -- End function
	.set _ZL29rocblas_internal_gemmt_kernelIiLi16ELi32ELi8ELc78ELc78ELc76ELb0ELb0E19rocblas_complex_numIfEPKS1_PKS3_PKPS1_EviT_T9_T10_S9_lSB_S9_lSA_T11_S9_li.num_vgpr, 71
	.set _ZL29rocblas_internal_gemmt_kernelIiLi16ELi32ELi8ELc78ELc78ELc76ELb0ELb0E19rocblas_complex_numIfEPKS1_PKS3_PKPS1_EviT_T9_T10_S9_lSB_S9_lSA_T11_S9_li.num_agpr, 0
	.set _ZL29rocblas_internal_gemmt_kernelIiLi16ELi32ELi8ELc78ELc78ELc76ELb0ELb0E19rocblas_complex_numIfEPKS1_PKS3_PKPS1_EviT_T9_T10_S9_lSB_S9_lSA_T11_S9_li.numbered_sgpr, 37
	.set _ZL29rocblas_internal_gemmt_kernelIiLi16ELi32ELi8ELc78ELc78ELc76ELb0ELb0E19rocblas_complex_numIfEPKS1_PKS3_PKPS1_EviT_T9_T10_S9_lSB_S9_lSA_T11_S9_li.num_named_barrier, 0
	.set _ZL29rocblas_internal_gemmt_kernelIiLi16ELi32ELi8ELc78ELc78ELc76ELb0ELb0E19rocblas_complex_numIfEPKS1_PKS3_PKPS1_EviT_T9_T10_S9_lSB_S9_lSA_T11_S9_li.private_seg_size, 0
	.set _ZL29rocblas_internal_gemmt_kernelIiLi16ELi32ELi8ELc78ELc78ELc76ELb0ELb0E19rocblas_complex_numIfEPKS1_PKS3_PKPS1_EviT_T9_T10_S9_lSB_S9_lSA_T11_S9_li.uses_vcc, 1
	.set _ZL29rocblas_internal_gemmt_kernelIiLi16ELi32ELi8ELc78ELc78ELc76ELb0ELb0E19rocblas_complex_numIfEPKS1_PKS3_PKPS1_EviT_T9_T10_S9_lSB_S9_lSA_T11_S9_li.uses_flat_scratch, 0
	.set _ZL29rocblas_internal_gemmt_kernelIiLi16ELi32ELi8ELc78ELc78ELc76ELb0ELb0E19rocblas_complex_numIfEPKS1_PKS3_PKPS1_EviT_T9_T10_S9_lSB_S9_lSA_T11_S9_li.has_dyn_sized_stack, 0
	.set _ZL29rocblas_internal_gemmt_kernelIiLi16ELi32ELi8ELc78ELc78ELc76ELb0ELb0E19rocblas_complex_numIfEPKS1_PKS3_PKPS1_EviT_T9_T10_S9_lSB_S9_lSA_T11_S9_li.has_recursion, 0
	.set _ZL29rocblas_internal_gemmt_kernelIiLi16ELi32ELi8ELc78ELc78ELc76ELb0ELb0E19rocblas_complex_numIfEPKS1_PKS3_PKPS1_EviT_T9_T10_S9_lSB_S9_lSA_T11_S9_li.has_indirect_call, 0
	.section	.AMDGPU.csdata,"",@progbits
; Kernel info:
; codeLenInByte = 3200
; TotalNumSgprs: 39
; NumVgprs: 71
; ScratchSize: 0
; MemoryBound: 1
; FloatMode: 240
; IeeeMode: 1
; LDSByteSize: 4096 bytes/workgroup (compile time only)
; SGPRBlocks: 0
; VGPRBlocks: 8
; NumSGPRsForWavesPerEU: 39
; NumVGPRsForWavesPerEU: 71
; Occupancy: 16
; WaveLimiterHint : 1
; COMPUTE_PGM_RSRC2:SCRATCH_EN: 0
; COMPUTE_PGM_RSRC2:USER_SGPR: 2
; COMPUTE_PGM_RSRC2:TRAP_HANDLER: 0
; COMPUTE_PGM_RSRC2:TGID_X_EN: 1
; COMPUTE_PGM_RSRC2:TGID_Y_EN: 1
; COMPUTE_PGM_RSRC2:TGID_Z_EN: 1
; COMPUTE_PGM_RSRC2:TIDIG_COMP_CNT: 1
	.section	.text._ZL29rocblas_internal_gemmt_kernelIiLi16ELi32ELi8ELc78ELc84ELc76ELb0ELb0E19rocblas_complex_numIfEPKS1_PKS3_PKPS1_EviT_T9_T10_S9_lSB_S9_lSA_T11_S9_li,"axG",@progbits,_ZL29rocblas_internal_gemmt_kernelIiLi16ELi32ELi8ELc78ELc84ELc76ELb0ELb0E19rocblas_complex_numIfEPKS1_PKS3_PKPS1_EviT_T9_T10_S9_lSB_S9_lSA_T11_S9_li,comdat
	.globl	_ZL29rocblas_internal_gemmt_kernelIiLi16ELi32ELi8ELc78ELc84ELc76ELb0ELb0E19rocblas_complex_numIfEPKS1_PKS3_PKPS1_EviT_T9_T10_S9_lSB_S9_lSA_T11_S9_li ; -- Begin function _ZL29rocblas_internal_gemmt_kernelIiLi16ELi32ELi8ELc78ELc84ELc76ELb0ELb0E19rocblas_complex_numIfEPKS1_PKS3_PKPS1_EviT_T9_T10_S9_lSB_S9_lSA_T11_S9_li
	.p2align	8
	.type	_ZL29rocblas_internal_gemmt_kernelIiLi16ELi32ELi8ELc78ELc84ELc76ELb0ELb0E19rocblas_complex_numIfEPKS1_PKS3_PKPS1_EviT_T9_T10_S9_lSB_S9_lSA_T11_S9_li,@function
_ZL29rocblas_internal_gemmt_kernelIiLi16ELi32ELi8ELc78ELc84ELc76ELb0ELb0E19rocblas_complex_numIfEPKS1_PKS3_PKPS1_EviT_T9_T10_S9_lSB_S9_lSA_T11_S9_li: ; @_ZL29rocblas_internal_gemmt_kernelIiLi16ELi32ELi8ELc78ELc84ELc76ELb0ELb0E19rocblas_complex_numIfEPKS1_PKS3_PKPS1_EviT_T9_T10_S9_lSB_S9_lSA_T11_S9_li
; %bb.0:
	s_load_b128 s[12:15], s[0:1], 0x38
	s_wait_kmcnt 0x0
	s_load_b64 s[14:15], s[14:15], 0x0
	s_clause 0x1
	s_load_b128 s[4:7], s[0:1], 0x8
	s_load_b64 s[20:21], s[0:1], 0x0
	s_wait_kmcnt 0x0
	s_load_b64 s[22:23], s[4:5], 0x0
	s_cmp_eq_f32 s14, 1.0
	s_cselect_b32 s2, -1, 0
	s_and_b32 s3, s15, 0x7fffffff
	s_delay_alu instid0(SALU_CYCLE_1) | instskip(SKIP_1) | instid1(SALU_CYCLE_1)
	s_cmp_eq_u32 s3, 0
	s_cselect_b32 s3, -1, 0
	s_and_b32 s4, s2, s3
	s_mov_b32 s2, 0
	s_and_not1_b32 vcc_lo, exec_lo, s4
	s_mov_b32 s4, -1
	s_cbranch_vccnz .LBB370_4
; %bb.1:
	s_cmp_lg_u32 s21, 0
	s_cbranch_scc0 .LBB370_3
; %bb.2:
	s_wait_kmcnt 0x0
	s_cmp_neq_f32 s22, 0
	s_cselect_b32 s2, -1, 0
	s_cmp_neq_f32 s23, 0
	s_cselect_b32 s4, -1, 0
	s_delay_alu instid0(SALU_CYCLE_1)
	s_or_b32 s2, s2, s4
.LBB370_3:
	s_delay_alu instid0(SALU_CYCLE_1)
	s_mov_b32 s4, s2
.LBB370_4:
	s_delay_alu instid0(SALU_CYCLE_1)
	s_and_b32 vcc_lo, exec_lo, s4
	s_cbranch_vccz .LBB370_39
; %bb.5:
	s_load_b32 s19, s[0:1], 0x60
	s_lshr_b32 s24, ttmp7, 16
	s_wait_kmcnt 0x0
	s_cmp_ge_u32 s24, s19
	s_cbranch_scc1 .LBB370_39
; %bb.6:
	s_clause 0x2
	s_load_b32 s30, s[0:1], 0x18
	s_load_b32 s26, s[0:1], 0x30
	s_load_b128 s[8:11], s[0:1], 0x20
	v_and_b32_e32 v1, 0x3ff, v0
	v_bfe_u32 v2, v0, 10, 10
	v_and_b32_e32 v16, 7, v0
	s_clause 0x1
	s_load_b96 s[16:18], s[0:1], 0x48
	s_load_b64 s[28:29], s[0:1], 0x58
	s_lshl_b32 s1, ttmp7, 5
	s_lshl_b32 s0, ttmp9, 5
	v_lshl_add_u32 v0, v2, 4, v1
	s_and_b32 s1, s1, 0x1fffe0
	v_add_nc_u32_e32 v6, s0, v1
	v_lshlrev_b32_e32 v3, 3, v16
	v_add_nc_u32_e32 v4, s1, v2
	v_and_b32_e32 v5, 31, v0
	v_lshrrev_b32_e32 v7, 3, v0
	v_lshrrev_b32_e32 v17, 5, v0
	v_cmp_gt_i32_e64 s2, s20, v6
	v_add_nc_u32_e32 v8, 16, v6
	v_or_b32_e32 v0, s0, v5
	s_wait_kmcnt 0x0
	s_ashr_i32 s31, s30, 31
	s_ashr_i32 s27, s26, 31
	s_cmp_neq_f32 s22, 0
	v_add_nc_u32_e32 v14, s1, v7
	v_lshlrev_b32_e32 v5, 3, v5
	v_lshl_or_b32 v3, v7, 6, v3
	s_cselect_b32 s0, -1, 0
	s_cmp_neq_f32 s23, 0
	v_lshlrev_b32_e32 v20, 3, v1
	v_lshl_or_b32 v18, v17, 8, v5
	v_add_nc_u32_e32 v19, 0x800, v3
	s_cselect_b32 s1, -1, 0
	v_lshl_add_u32 v21, v2, 6, 0x800
	s_wait_alu 0xfffe
	s_or_b32 s35, s0, s1
	s_cmp_gt_i32 s21, 0
	v_cmp_le_i32_e64 s1, v4, v6
	s_cselect_b32 s36, -1, 0
	s_cmp_neq_f32 s14, 0
	v_mad_co_i64_i32 v[2:3], null, v4, s18, 0
	v_add_nc_u32_e32 v1, 16, v4
	s_cselect_b32 s37, -1, 0
	s_and_b32 s33, s1, s2
	v_cmp_le_i32_e64 s1, v4, v8
	v_mad_co_i64_i32 v[4:5], null, v17, s30, 0
	s_xor_b32 s38, s3, -1
	v_cmp_gt_i32_e64 s3, s20, v8
	v_cmp_gt_i32_e32 vcc_lo, s20, v0
	v_cmp_gt_i32_e64 s0, s20, v14
	v_cmp_le_i32_e64 s4, v1, v6
	v_mad_co_i64_i32 v[12:13], null, s26, v16, 0
	s_and_b32 s20, s1, s3
	v_cmp_le_i32_e64 s1, v1, v8
	v_lshlrev_b64_e32 v[4:5], 3, v[4:5]
	v_mad_co_i64_i32 v[10:11], null, v1, s18, 0
	v_ashrrev_i32_e32 v1, 31, v0
	s_and_b32 s18, s4, s2
	s_and_b32 s34, s1, s3
	s_lshl_b64 s[2:3], s[8:9], 3
	s_lshl_b64 s[4:5], s[12:13], 3
	v_lshlrev_b64_e32 v[0:1], 3, v[0:1]
	v_add_co_u32 v15, s1, v4, s2
	s_wait_alu 0xf1ff
	v_add_co_ci_u32_e64 v23, null, s3, v5, s1
	v_lshlrev_b64_e32 v[4:5], 3, v[12:13]
	s_delay_alu instid0(VALU_DEP_3) | instskip(SKIP_1) | instid1(VALU_DEP_3)
	v_add_co_u32 v22, s1, v15, v0
	s_wait_alu 0xf1ff
	v_add_co_ci_u32_e64 v23, null, v23, v1, s1
	v_lshlrev_b32_e32 v1, 3, v14
	s_delay_alu instid0(VALU_DEP_4)
	v_add_co_u32 v4, s1, v4, s4
	v_ashrrev_i32_e32 v7, 31, v6
	v_ashrrev_i32_e32 v9, 31, v8
	s_wait_alu 0xf1ff
	v_add_co_ci_u32_e64 v5, null, s5, v5, s1
	v_add_co_u32 v24, s1, v4, v1
	v_lshlrev_b64_e32 v[2:3], 3, v[2:3]
	s_wait_alu 0xf1ff
	s_delay_alu instid0(VALU_DEP_3)
	v_add_co_ci_u32_e64 v25, null, 0, v5, s1
	v_lshlrev_b64_e32 v[4:5], 3, v[10:11]
	v_lshlrev_b64_e32 v[6:7], 3, v[6:7]
	;; [unrolled: 1-line block ×3, first 2 shown]
	v_mov_b32_e32 v0, 0
	s_mov_b32 s25, 0
	s_lshl_b64 s[2:3], s[30:31], 6
	s_lshl_b64 s[4:5], s[26:27], 6
	s_and_b32 s12, s35, s36
	s_or_b32 s13, s37, s38
	s_xor_b32 s26, vcc_lo, -1
	s_xor_b32 s27, s0, -1
	s_lshl_b64 s[0:1], s[28:29], 3
	s_branch .LBB370_8
.LBB370_7:                              ;   in Loop: Header=BB370_8 Depth=1
	s_wait_alu 0xfffe
	s_or_b32 exec_lo, exec_lo, s8
	s_add_co_i32 s24, s24, 0x10000
	s_delay_alu instid0(SALU_CYCLE_1)
	s_cmp_lt_u32 s24, s19
	s_cbranch_scc0 .LBB370_39
.LBB370_8:                              ; =>This Loop Header: Depth=1
                                        ;     Child Loop BB370_11 Depth 2
	s_lshl_b64 s[8:9], s[24:25], 3
	v_dual_mov_b32 v33, v0 :: v_dual_mov_b32 v32, v0
	s_wait_alu 0xfffe
	s_add_nc_u64 s[28:29], s[16:17], s[8:9]
	v_dual_mov_b32 v30, v0 :: v_dual_mov_b32 v31, v0
	global_load_b64 v[10:11], v0, s[28:29]
	v_dual_mov_b32 v28, v0 :: v_dual_mov_b32 v29, v0
	v_dual_mov_b32 v27, v0 :: v_dual_mov_b32 v26, v0
	s_and_not1_b32 vcc_lo, exec_lo, s12
	s_wait_alu 0xfffe
	s_cbranch_vccnz .LBB370_19
; %bb.9:                                ;   in Loop: Header=BB370_8 Depth=1
	s_add_nc_u64 s[28:29], s[6:7], s[8:9]
	s_add_nc_u64 s[8:9], s[10:11], s[8:9]
	s_clause 0x1
	global_load_b64 v[12:13], v0, s[28:29]
	global_load_b64 v[14:15], v0, s[8:9]
	v_dual_mov_b32 v26, 0 :: v_dual_mov_b32 v27, 0
	v_dual_mov_b32 v29, 0 :: v_dual_mov_b32 v28, 0
	;; [unrolled: 1-line block ×4, first 2 shown]
	s_mov_b32 s8, 0
	s_wait_loadcnt 0x1
	v_add_co_u32 v12, vcc_lo, v12, v22
	s_wait_alu 0xfffd
	v_add_co_ci_u32_e64 v13, null, v13, v23, vcc_lo
	s_wait_loadcnt 0x0
	v_add_co_u32 v14, vcc_lo, v14, v24
	s_wait_alu 0xfffd
	v_add_co_ci_u32_e64 v15, null, v15, v25, vcc_lo
	s_branch .LBB370_11
.LBB370_10:                             ;   in Loop: Header=BB370_11 Depth=2
	s_wait_alu 0xfffe
	s_or_b32 exec_lo, exec_lo, s9
	s_wait_dscnt 0x0
	s_barrier_signal -1
	s_barrier_wait -1
	global_inv scope:SCOPE_SE
	ds_load_b128 v[34:37], v21
	ds_load_2addr_b64 v[38:41], v20 offset1:16
	ds_load_b128 v[42:45], v21 offset:1024
	ds_load_b128 v[46:49], v21 offset:16
	;; [unrolled: 1-line block ×4, first 2 shown]
	ds_load_2addr_b64 v[58:61], v20 offset0:32 offset1:48
	ds_load_b128 v[62:65], v21 offset:1040
	v_add_co_u32 v12, vcc_lo, v12, s2
	s_wait_alu 0xfffd
	v_add_co_ci_u32_e64 v13, null, s3, v13, vcc_lo
	v_add_co_u32 v14, vcc_lo, v14, s4
	s_wait_alu 0xfffd
	v_add_co_ci_u32_e64 v15, null, s5, v15, vcc_lo
	s_add_co_i32 s8, s8, 8
	s_wait_alu 0xfffe
	s_cmp_lt_i32 s8, s21
	s_wait_dscnt 0x6
	v_dual_mul_f32 v1, v35, v39 :: v_dual_mul_f32 v68, v34, v41
	v_dual_mul_f32 v66, v34, v39 :: v_dual_mul_f32 v67, v35, v41
	s_wait_dscnt 0x5
	v_mul_f32_e32 v70, v43, v41
	s_delay_alu instid0(VALU_DEP_3) | instskip(SKIP_3) | instid1(VALU_DEP_4)
	v_fma_f32 v1, v34, v38, -v1
	v_dual_mul_f32 v41, v42, v41 :: v_dual_fmac_f32 v68, v35, v40
	v_fmac_f32_e32 v66, v35, v38
	v_fma_f32 v34, v34, v40, -v67
	v_add_f32_e32 v1, v33, v1
	v_mul_f32_e32 v69, v43, v39
	s_delay_alu instid0(VALU_DEP_4) | instskip(NEXT) | instid1(VALU_DEP_4)
	v_dual_mul_f32 v39, v42, v39 :: v_dual_add_f32 v32, v32, v66
	v_add_f32_e32 v33, v30, v34
	v_fmac_f32_e32 v41, v43, v40
	s_delay_alu instid0(VALU_DEP_4) | instskip(NEXT) | instid1(VALU_DEP_4)
	v_fma_f32 v35, v42, v38, -v69
	v_fmac_f32_e32 v39, v43, v38
	v_fma_f32 v38, v42, v40, -v70
	s_wait_dscnt 0x1
	v_dual_mul_f32 v40, v36, v59 :: v_dual_add_f32 v31, v31, v68
	v_mul_f32_e32 v42, v37, v61
	v_add_f32_e32 v34, v28, v35
	v_dual_add_f32 v35, v29, v39 :: v_dual_add_f32 v38, v27, v38
	ds_load_2addr_b64 v[27:30], v20 offset0:64 offset1:80
	v_fmac_f32_e32 v40, v37, v58
	v_dual_mul_f32 v39, v37, v59 :: v_dual_add_f32 v26, v26, v41
	v_mul_f32_e32 v41, v36, v61
	s_delay_alu instid0(VALU_DEP_3) | instskip(NEXT) | instid1(VALU_DEP_3)
	v_add_f32_e32 v40, v32, v40
	v_fma_f32 v39, v36, v58, -v39
	v_fma_f32 v36, v36, v60, -v42
	v_mul_f32_e32 v32, v44, v59
	s_delay_alu instid0(VALU_DEP_3) | instskip(SKIP_1) | instid1(VALU_DEP_4)
	v_add_f32_e32 v1, v1, v39
	v_mul_f32_e32 v39, v45, v59
	v_add_f32_e32 v36, v33, v36
	v_fmac_f32_e32 v41, v37, v60
	v_mul_f32_e32 v37, v45, v61
	v_fmac_f32_e32 v32, v45, v58
	v_fma_f32 v33, v44, v58, -v39
	s_delay_alu instid0(VALU_DEP_4) | instskip(SKIP_4) | instid1(VALU_DEP_3)
	v_add_f32_e32 v39, v31, v41
	v_mul_f32_e32 v41, v44, v61
	v_fma_f32 v31, v44, v60, -v37
	s_wait_dscnt 0x0
	v_dual_add_f32 v42, v34, v33 :: v_dual_mul_f32 v33, v47, v28
	v_dual_mul_f32 v44, v47, v30 :: v_dual_fmac_f32 v41, v45, v60
	v_mul_f32_e32 v37, v46, v28
	v_add_f32_e32 v38, v38, v31
	s_delay_alu instid0(VALU_DEP_3) | instskip(SKIP_3) | instid1(VALU_DEP_2)
	v_add_f32_e32 v41, v26, v41
	v_mul_f32_e32 v26, v46, v30
	v_fma_f32 v43, v46, v27, -v33
	v_fmac_f32_e32 v37, v47, v27
	v_dual_fmac_f32 v26, v47, v29 :: v_dual_add_f32 v1, v1, v43
	v_fma_f32 v43, v46, v29, -v44
	v_add_f32_e32 v35, v35, v32
	ds_load_2addr_b64 v[31:34], v20 offset0:96 offset1:112
	v_dual_add_f32 v37, v40, v37 :: v_dual_mul_f32 v40, v63, v28
	v_mul_f32_e32 v28, v62, v28
	v_dual_add_f32 v36, v36, v43 :: v_dual_mul_f32 v43, v63, v30
	v_mul_f32_e32 v30, v62, v30
	s_delay_alu instid0(VALU_DEP_4) | instskip(NEXT) | instid1(VALU_DEP_4)
	v_fma_f32 v40, v62, v27, -v40
	v_fmac_f32_e32 v28, v63, v27
	v_add_f32_e32 v39, v39, v26
	v_fma_f32 v26, v62, v29, -v43
	v_fmac_f32_e32 v30, v63, v29
	v_add_f32_e32 v40, v42, v40
	s_delay_alu instid0(VALU_DEP_3)
	v_dual_add_f32 v42, v35, v28 :: v_dual_add_f32 v43, v38, v26
	ds_load_2addr_b64 v[26:29], v20 offset0:128 offset1:144
	s_wait_dscnt 0x1
	v_mul_f32_e32 v35, v49, v32
	v_mul_f32_e32 v38, v48, v32
	;; [unrolled: 1-line block ×4, first 2 shown]
	s_delay_alu instid0(VALU_DEP_4) | instskip(NEXT) | instid1(VALU_DEP_4)
	v_fma_f32 v35, v48, v31, -v35
	v_fmac_f32_e32 v38, v49, v31
	s_delay_alu instid0(VALU_DEP_2) | instskip(SKIP_1) | instid1(VALU_DEP_3)
	v_add_f32_e32 v1, v1, v35
	v_mul_f32_e32 v35, v65, v32
	v_dual_mul_f32 v32, v64, v32 :: v_dual_add_f32 v45, v37, v38
	s_delay_alu instid0(VALU_DEP_2) | instskip(NEXT) | instid1(VALU_DEP_2)
	v_fma_f32 v46, v64, v31, -v35
	v_fmac_f32_e32 v32, v65, v31
	s_wait_dscnt 0x0
	v_mul_f32_e32 v31, v51, v27
	v_fma_f32 v44, v48, v33, -v44
	v_add_f32_e32 v41, v41, v30
	v_mul_f32_e32 v30, v48, v34
	v_mul_f32_e32 v58, v50, v29
	s_delay_alu instid0(VALU_DEP_4) | instskip(SKIP_2) | instid1(VALU_DEP_1)
	v_add_f32_e32 v44, v36, v44
	ds_load_b128 v[35:38], v21 offset:1056
	v_dual_fmac_f32 v30, v49, v33 :: v_dual_mul_f32 v49, v50, v27
	v_add_f32_e32 v48, v39, v30
	v_fma_f32 v30, v64, v33, -v47
	v_fma_f32 v39, v50, v26, -v31
	v_mul_f32_e32 v34, v64, v34
	v_fmac_f32_e32 v49, v51, v26
	v_add_f32_e32 v46, v40, v46
	v_add_f32_e32 v43, v43, v30
	;; [unrolled: 1-line block ×4, first 2 shown]
	v_fmac_f32_e32 v34, v65, v33
	ds_load_2addr_b64 v[30:33], v20 offset0:160 offset1:176
	v_mul_f32_e32 v40, v51, v29
	v_add_f32_e32 v45, v45, v49
	v_add_f32_e32 v34, v41, v34
	s_delay_alu instid0(VALU_DEP_3)
	v_fma_f32 v50, v50, v28, -v40
	ds_load_b128 v[39:42], v21 offset:1072
	s_wait_dscnt 0x2
	v_mul_f32_e32 v59, v36, v27
	v_dual_mul_f32 v27, v35, v27 :: v_dual_add_f32 v44, v44, v50
	v_fmac_f32_e32 v58, v51, v28
	v_mul_f32_e32 v50, v36, v29
	s_delay_alu instid0(VALU_DEP_4) | instskip(NEXT) | instid1(VALU_DEP_4)
	v_fma_f32 v49, v35, v26, -v59
	v_fmac_f32_e32 v27, v36, v26
	s_delay_alu instid0(VALU_DEP_4) | instskip(SKIP_1) | instid1(VALU_DEP_3)
	v_dual_mul_f32 v51, v35, v29 :: v_dual_add_f32 v48, v48, v58
	s_wait_dscnt 0x1
	v_dual_add_f32 v46, v46, v49 :: v_dual_mul_f32 v29, v53, v31
	v_fma_f32 v26, v35, v28, -v50
	v_add_f32_e32 v35, v47, v27
	v_fmac_f32_e32 v51, v36, v28
	v_mul_f32_e32 v36, v52, v31
	v_fma_f32 v47, v52, v30, -v29
	v_add_f32_e32 v43, v43, v26
	ds_load_2addr_b64 v[26:29], v20 offset0:192 offset1:208
	v_fmac_f32_e32 v36, v53, v30
	v_dual_mul_f32 v49, v53, v33 :: v_dual_add_f32 v50, v34, v51
	v_dual_add_f32 v1, v1, v47 :: v_dual_mul_f32 v34, v52, v33
	s_delay_alu instid0(VALU_DEP_3) | instskip(NEXT) | instid1(VALU_DEP_3)
	v_dual_add_f32 v45, v45, v36 :: v_dual_mul_f32 v36, v38, v31
	v_fma_f32 v47, v52, v32, -v49
	s_delay_alu instid0(VALU_DEP_3) | instskip(NEXT) | instid1(VALU_DEP_3)
	v_fmac_f32_e32 v34, v53, v32
	v_fma_f32 v36, v37, v30, -v36
	s_delay_alu instid0(VALU_DEP_3) | instskip(SKIP_1) | instid1(VALU_DEP_3)
	v_dual_add_f32 v44, v44, v47 :: v_dual_mul_f32 v47, v38, v33
	v_mul_f32_e32 v31, v37, v31
	v_dual_mul_f32 v33, v37, v33 :: v_dual_add_f32 v46, v46, v36
	s_delay_alu instid0(VALU_DEP_2) | instskip(SKIP_2) | instid1(VALU_DEP_4)
	v_fmac_f32_e32 v31, v38, v30
	v_add_f32_e32 v30, v48, v34
	v_fma_f32 v34, v37, v32, -v47
	v_fmac_f32_e32 v33, v38, v32
	s_wait_dscnt 0x0
	v_mul_f32_e32 v38, v54, v27
	v_dual_add_f32 v31, v35, v31 :: v_dual_mul_f32 v48, v54, v29
	v_add_f32_e32 v32, v43, v34
	ds_load_2addr_b64 v[34:37], v20 offset0:224 offset1:240
	v_dual_add_f32 v33, v50, v33 :: v_dual_fmac_f32 v38, v55, v26
	v_mul_f32_e32 v47, v55, v27
	v_fmac_f32_e32 v48, v55, v28
	s_wait_loadcnt_dscnt 0x0
	s_barrier_signal -1
	v_add_f32_e32 v38, v45, v38
	v_fma_f32 v43, v54, v26, -v47
	v_mul_f32_e32 v47, v55, v29
	v_mul_f32_e32 v45, v40, v29
	;; [unrolled: 1-line block ×3, first 2 shown]
	s_barrier_wait -1
	v_add_f32_e32 v1, v1, v43
	v_fma_f32 v47, v54, v28, -v47
	v_mul_f32_e32 v43, v40, v27
	v_fmac_f32_e32 v29, v40, v28
	global_inv scope:SCOPE_SE
	v_dual_add_f32 v44, v44, v47 :: v_dual_add_f32 v47, v30, v48
	v_fma_f32 v30, v39, v28, -v45
	v_mul_f32_e32 v27, v39, v27
	s_delay_alu instid0(VALU_DEP_1) | instskip(NEXT) | instid1(VALU_DEP_3)
	v_fmac_f32_e32 v27, v40, v26
	v_add_f32_e32 v40, v32, v30
	v_mul_f32_e32 v30, v57, v37
	v_fma_f32 v43, v39, v26, -v43
	v_mul_f32_e32 v39, v57, v35
	s_delay_alu instid0(VALU_DEP_2) | instskip(NEXT) | instid1(VALU_DEP_2)
	v_add_f32_e32 v26, v46, v43
	v_fma_f32 v28, v56, v34, -v39
	v_add_f32_e32 v39, v33, v29
	v_mul_f32_e32 v29, v41, v35
	s_delay_alu instid0(VALU_DEP_3) | instskip(SKIP_2) | instid1(VALU_DEP_2)
	v_add_f32_e32 v33, v1, v28
	v_fma_f32 v1, v56, v36, -v30
	v_mul_f32_e32 v28, v42, v35
	v_dual_fmac_f32 v29, v42, v34 :: v_dual_add_f32 v30, v44, v1
	s_delay_alu instid0(VALU_DEP_2) | instskip(SKIP_2) | instid1(VALU_DEP_2)
	v_fma_f32 v1, v41, v34, -v28
	v_mul_f32_e32 v43, v56, v35
	v_mul_f32_e32 v35, v42, v37
	v_dual_add_f32 v28, v26, v1 :: v_dual_fmac_f32 v43, v57, v34
	s_delay_alu instid0(VALU_DEP_2) | instskip(NEXT) | instid1(VALU_DEP_2)
	v_fma_f32 v34, v41, v36, -v35
	v_add_f32_e32 v32, v38, v43
	v_add_f32_e32 v27, v31, v27
	v_mul_f32_e32 v31, v56, v37
	v_mul_f32_e32 v37, v41, v37
	s_delay_alu instid0(VALU_DEP_3) | instskip(NEXT) | instid1(VALU_DEP_3)
	v_add_f32_e32 v29, v27, v29
	v_fmac_f32_e32 v31, v57, v36
	s_delay_alu instid0(VALU_DEP_3) | instskip(SKIP_1) | instid1(VALU_DEP_3)
	v_fmac_f32_e32 v37, v42, v36
	v_add_f32_e32 v27, v40, v34
	v_add_f32_e32 v31, v47, v31
	s_delay_alu instid0(VALU_DEP_3)
	v_add_f32_e32 v26, v39, v37
	s_cbranch_scc0 .LBB370_19
.LBB370_11:                             ;   Parent Loop BB370_8 Depth=1
                                        ; =>  This Inner Loop Header: Depth=2
	s_wait_alu 0xfffe
	v_add_nc_u32_e32 v1, s8, v17
	s_delay_alu instid0(VALU_DEP_1) | instskip(SKIP_3) | instid1(SALU_CYCLE_1)
	v_cmp_le_i32_e32 vcc_lo, s21, v1
	s_or_b32 s9, s26, vcc_lo
	s_wait_alu 0xfffe
	s_and_saveexec_b32 s28, s9
	s_xor_b32 s9, exec_lo, s28
; %bb.12:                               ;   in Loop: Header=BB370_11 Depth=2
	v_mov_b32_e32 v1, v0
	ds_store_b64 v18, v[0:1]
; %bb.13:                               ;   in Loop: Header=BB370_11 Depth=2
	s_wait_alu 0xfffe
	s_and_not1_saveexec_b32 s9, s9
	s_cbranch_execz .LBB370_15
; %bb.14:                               ;   in Loop: Header=BB370_11 Depth=2
	flat_load_b64 v[34:35], v[12:13]
	s_wait_loadcnt_dscnt 0x0
	ds_store_b64 v18, v[34:35]
.LBB370_15:                             ;   in Loop: Header=BB370_11 Depth=2
	s_wait_alu 0xfffe
	s_or_b32 exec_lo, exec_lo, s9
	v_add_nc_u32_e32 v1, s8, v16
	s_delay_alu instid0(VALU_DEP_1) | instskip(SKIP_3) | instid1(SALU_CYCLE_1)
	v_cmp_le_i32_e32 vcc_lo, s21, v1
	s_or_b32 s9, vcc_lo, s27
	s_wait_alu 0xfffe
	s_and_saveexec_b32 s28, s9
	s_xor_b32 s9, exec_lo, s28
; %bb.16:                               ;   in Loop: Header=BB370_11 Depth=2
	v_mov_b32_e32 v1, v0
	ds_store_b64 v19, v[0:1]
; %bb.17:                               ;   in Loop: Header=BB370_11 Depth=2
	s_wait_alu 0xfffe
	s_and_not1_saveexec_b32 s9, s9
	s_cbranch_execz .LBB370_10
; %bb.18:                               ;   in Loop: Header=BB370_11 Depth=2
	flat_load_b64 v[34:35], v[14:15]
	s_wait_loadcnt_dscnt 0x0
	ds_store_b64 v19, v[34:35]
	s_branch .LBB370_10
.LBB370_19:                             ;   in Loop: Header=BB370_8 Depth=1
	s_wait_loadcnt 0x0
	s_wait_alu 0xfffe
	v_add_co_u32 v1, vcc_lo, v10, s0
	s_wait_alu 0xfffd
	v_add_co_ci_u32_e64 v12, null, s1, v11, vcc_lo
	s_delay_alu instid0(VALU_DEP_2) | instskip(SKIP_1) | instid1(VALU_DEP_2)
	v_add_co_u32 v13, vcc_lo, v1, v2
	s_wait_alu 0xfffd
	v_add_co_ci_u32_e64 v14, null, v12, v3, vcc_lo
	s_and_saveexec_b32 s8, s33
	s_cbranch_execz .LBB370_24
; %bb.20:                               ;   in Loop: Header=BB370_8 Depth=1
	v_mul_f32_e32 v11, s22, v32
	v_mul_f32_e32 v10, s23, v32
	s_and_b32 vcc_lo, exec_lo, s13
	s_mov_b32 s9, -1
	s_delay_alu instid0(VALU_DEP_2) | instskip(NEXT) | instid1(VALU_DEP_2)
	v_fmac_f32_e32 v11, s23, v33
	v_fma_f32 v10, v33, s22, -v10
	s_wait_alu 0xfffe
	s_cbranch_vccz .LBB370_22
; %bb.21:                               ;   in Loop: Header=BB370_8 Depth=1
	v_add_co_u32 v32, vcc_lo, v13, v6
	s_wait_alu 0xfffd
	v_add_co_ci_u32_e64 v33, null, v14, v7, vcc_lo
	s_mov_b32 s9, 0
	flat_load_b64 v[34:35], v[32:33]
	s_wait_loadcnt_dscnt 0x0
	v_mul_f32_e32 v15, s15, v35
	v_mul_f32_e32 v35, s14, v35
	s_delay_alu instid0(VALU_DEP_2) | instskip(NEXT) | instid1(VALU_DEP_1)
	v_fma_f32 v15, v34, s14, -v15
	v_dual_fmac_f32 v35, s15, v34 :: v_dual_add_f32 v34, v10, v15
	s_delay_alu instid0(VALU_DEP_1)
	v_add_f32_e32 v35, v11, v35
	flat_store_b64 v[32:33], v[34:35]
.LBB370_22:                             ;   in Loop: Header=BB370_8 Depth=1
	s_wait_alu 0xfffe
	s_and_not1_b32 vcc_lo, exec_lo, s9
	s_wait_alu 0xfffe
	s_cbranch_vccnz .LBB370_24
; %bb.23:                               ;   in Loop: Header=BB370_8 Depth=1
	v_add_co_u32 v32, vcc_lo, v13, v6
	s_wait_alu 0xfffd
	v_add_co_ci_u32_e64 v33, null, v14, v7, vcc_lo
	flat_store_b64 v[32:33], v[10:11]
.LBB370_24:                             ;   in Loop: Header=BB370_8 Depth=1
	s_wait_alu 0xfffe
	s_or_b32 exec_lo, exec_lo, s8
	s_and_saveexec_b32 s8, s20
	s_cbranch_execz .LBB370_29
; %bb.25:                               ;   in Loop: Header=BB370_8 Depth=1
	v_mul_f32_e32 v11, s22, v31
	v_mul_f32_e32 v10, s23, v31
	s_and_not1_b32 vcc_lo, exec_lo, s13
	s_mov_b32 s9, -1
	s_delay_alu instid0(VALU_DEP_2) | instskip(NEXT) | instid1(VALU_DEP_2)
	v_fmac_f32_e32 v11, s23, v30
	v_fma_f32 v10, v30, s22, -v10
	s_wait_alu 0xfffe
	s_cbranch_vccnz .LBB370_27
; %bb.26:                               ;   in Loop: Header=BB370_8 Depth=1
	v_add_co_u32 v30, vcc_lo, v13, v8
	s_wait_alu 0xfffd
	v_add_co_ci_u32_e64 v31, null, v14, v9, vcc_lo
	s_mov_b32 s9, 0
	flat_load_b64 v[32:33], v[30:31]
	s_wait_loadcnt_dscnt 0x0
	v_mul_f32_e32 v15, s15, v33
	s_delay_alu instid0(VALU_DEP_1) | instskip(SKIP_1) | instid1(VALU_DEP_1)
	v_fma_f32 v15, v32, s14, -v15
	v_mul_f32_e32 v33, s14, v33
	v_dual_fmac_f32 v33, s15, v32 :: v_dual_add_f32 v32, v10, v15
	s_delay_alu instid0(VALU_DEP_1)
	v_add_f32_e32 v33, v11, v33
	flat_store_b64 v[30:31], v[32:33]
.LBB370_27:                             ;   in Loop: Header=BB370_8 Depth=1
	s_wait_alu 0xfffe
	s_and_not1_b32 vcc_lo, exec_lo, s9
	s_wait_alu 0xfffe
	s_cbranch_vccnz .LBB370_29
; %bb.28:                               ;   in Loop: Header=BB370_8 Depth=1
	v_add_co_u32 v13, vcc_lo, v13, v8
	s_wait_alu 0xfffd
	v_add_co_ci_u32_e64 v14, null, v14, v9, vcc_lo
	flat_store_b64 v[13:14], v[10:11]
.LBB370_29:                             ;   in Loop: Header=BB370_8 Depth=1
	s_wait_alu 0xfffe
	s_or_b32 exec_lo, exec_lo, s8
	v_add_co_u32 v1, vcc_lo, v1, v4
	s_wait_alu 0xfffd
	v_add_co_ci_u32_e64 v12, null, v12, v5, vcc_lo
	s_and_saveexec_b32 s8, s18
	s_cbranch_execz .LBB370_34
; %bb.30:                               ;   in Loop: Header=BB370_8 Depth=1
	v_mul_f32_e32 v11, s22, v29
	v_mul_f32_e32 v10, s23, v29
	s_and_not1_b32 vcc_lo, exec_lo, s13
	s_mov_b32 s9, -1
	s_delay_alu instid0(VALU_DEP_2) | instskip(NEXT) | instid1(VALU_DEP_2)
	v_fmac_f32_e32 v11, s23, v28
	v_fma_f32 v10, v28, s22, -v10
	s_wait_alu 0xfffe
	s_cbranch_vccnz .LBB370_32
; %bb.31:                               ;   in Loop: Header=BB370_8 Depth=1
	v_add_co_u32 v13, vcc_lo, v1, v6
	s_wait_alu 0xfffd
	v_add_co_ci_u32_e64 v14, null, v12, v7, vcc_lo
	s_mov_b32 s9, 0
	flat_load_b64 v[28:29], v[13:14]
	s_wait_loadcnt_dscnt 0x0
	v_mul_f32_e32 v15, s15, v29
	s_delay_alu instid0(VALU_DEP_1) | instskip(SKIP_1) | instid1(VALU_DEP_1)
	v_fma_f32 v15, v28, s14, -v15
	v_mul_f32_e32 v29, s14, v29
	v_dual_fmac_f32 v29, s15, v28 :: v_dual_add_f32 v28, v10, v15
	s_delay_alu instid0(VALU_DEP_1)
	v_add_f32_e32 v29, v11, v29
	flat_store_b64 v[13:14], v[28:29]
.LBB370_32:                             ;   in Loop: Header=BB370_8 Depth=1
	s_wait_alu 0xfffe
	s_and_not1_b32 vcc_lo, exec_lo, s9
	s_wait_alu 0xfffe
	s_cbranch_vccnz .LBB370_34
; %bb.33:                               ;   in Loop: Header=BB370_8 Depth=1
	v_add_co_u32 v13, vcc_lo, v1, v6
	s_wait_alu 0xfffd
	v_add_co_ci_u32_e64 v14, null, v12, v7, vcc_lo
	flat_store_b64 v[13:14], v[10:11]
.LBB370_34:                             ;   in Loop: Header=BB370_8 Depth=1
	s_wait_alu 0xfffe
	s_or_b32 exec_lo, exec_lo, s8
	s_and_saveexec_b32 s8, s34
	s_cbranch_execz .LBB370_7
; %bb.35:                               ;   in Loop: Header=BB370_8 Depth=1
	v_mul_f32_e32 v11, s22, v26
	v_mul_f32_e32 v10, s23, v26
	s_and_not1_b32 vcc_lo, exec_lo, s13
	s_mov_b32 s9, -1
	s_delay_alu instid0(VALU_DEP_2) | instskip(NEXT) | instid1(VALU_DEP_2)
	v_fmac_f32_e32 v11, s23, v27
	v_fma_f32 v10, v27, s22, -v10
	s_wait_alu 0xfffe
	s_cbranch_vccnz .LBB370_37
; %bb.36:                               ;   in Loop: Header=BB370_8 Depth=1
	v_add_co_u32 v13, vcc_lo, v1, v8
	s_wait_alu 0xfffd
	v_add_co_ci_u32_e64 v14, null, v12, v9, vcc_lo
	s_mov_b32 s9, 0
	flat_load_b64 v[26:27], v[13:14]
	s_wait_loadcnt_dscnt 0x0
	v_mul_f32_e32 v15, s15, v27
	v_mul_f32_e32 v27, s14, v27
	s_delay_alu instid0(VALU_DEP_2) | instskip(NEXT) | instid1(VALU_DEP_1)
	v_fma_f32 v15, v26, s14, -v15
	v_dual_fmac_f32 v27, s15, v26 :: v_dual_add_f32 v26, v10, v15
	s_delay_alu instid0(VALU_DEP_1)
	v_add_f32_e32 v27, v11, v27
	flat_store_b64 v[13:14], v[26:27]
.LBB370_37:                             ;   in Loop: Header=BB370_8 Depth=1
	s_wait_alu 0xfffe
	s_and_not1_b32 vcc_lo, exec_lo, s9
	s_wait_alu 0xfffe
	s_cbranch_vccnz .LBB370_7
; %bb.38:                               ;   in Loop: Header=BB370_8 Depth=1
	v_add_co_u32 v13, vcc_lo, v1, v8
	s_wait_alu 0xfffd
	v_add_co_ci_u32_e64 v14, null, v12, v9, vcc_lo
	flat_store_b64 v[13:14], v[10:11]
	s_branch .LBB370_7
.LBB370_39:
	s_endpgm
	.section	.rodata,"a",@progbits
	.p2align	6, 0x0
	.amdhsa_kernel _ZL29rocblas_internal_gemmt_kernelIiLi16ELi32ELi8ELc78ELc84ELc76ELb0ELb0E19rocblas_complex_numIfEPKS1_PKS3_PKPS1_EviT_T9_T10_S9_lSB_S9_lSA_T11_S9_li
		.amdhsa_group_segment_fixed_size 4096
		.amdhsa_private_segment_fixed_size 0
		.amdhsa_kernarg_size 100
		.amdhsa_user_sgpr_count 2
		.amdhsa_user_sgpr_dispatch_ptr 0
		.amdhsa_user_sgpr_queue_ptr 0
		.amdhsa_user_sgpr_kernarg_segment_ptr 1
		.amdhsa_user_sgpr_dispatch_id 0
		.amdhsa_user_sgpr_private_segment_size 0
		.amdhsa_wavefront_size32 1
		.amdhsa_uses_dynamic_stack 0
		.amdhsa_enable_private_segment 0
		.amdhsa_system_sgpr_workgroup_id_x 1
		.amdhsa_system_sgpr_workgroup_id_y 1
		.amdhsa_system_sgpr_workgroup_id_z 1
		.amdhsa_system_sgpr_workgroup_info 0
		.amdhsa_system_vgpr_workitem_id 1
		.amdhsa_next_free_vgpr 71
		.amdhsa_next_free_sgpr 39
		.amdhsa_reserve_vcc 1
		.amdhsa_float_round_mode_32 0
		.amdhsa_float_round_mode_16_64 0
		.amdhsa_float_denorm_mode_32 3
		.amdhsa_float_denorm_mode_16_64 3
		.amdhsa_fp16_overflow 0
		.amdhsa_workgroup_processor_mode 1
		.amdhsa_memory_ordered 1
		.amdhsa_forward_progress 1
		.amdhsa_inst_pref_size 26
		.amdhsa_round_robin_scheduling 0
		.amdhsa_exception_fp_ieee_invalid_op 0
		.amdhsa_exception_fp_denorm_src 0
		.amdhsa_exception_fp_ieee_div_zero 0
		.amdhsa_exception_fp_ieee_overflow 0
		.amdhsa_exception_fp_ieee_underflow 0
		.amdhsa_exception_fp_ieee_inexact 0
		.amdhsa_exception_int_div_zero 0
	.end_amdhsa_kernel
	.section	.text._ZL29rocblas_internal_gemmt_kernelIiLi16ELi32ELi8ELc78ELc84ELc76ELb0ELb0E19rocblas_complex_numIfEPKS1_PKS3_PKPS1_EviT_T9_T10_S9_lSB_S9_lSA_T11_S9_li,"axG",@progbits,_ZL29rocblas_internal_gemmt_kernelIiLi16ELi32ELi8ELc78ELc84ELc76ELb0ELb0E19rocblas_complex_numIfEPKS1_PKS3_PKPS1_EviT_T9_T10_S9_lSB_S9_lSA_T11_S9_li,comdat
.Lfunc_end370:
	.size	_ZL29rocblas_internal_gemmt_kernelIiLi16ELi32ELi8ELc78ELc84ELc76ELb0ELb0E19rocblas_complex_numIfEPKS1_PKS3_PKPS1_EviT_T9_T10_S9_lSB_S9_lSA_T11_S9_li, .Lfunc_end370-_ZL29rocblas_internal_gemmt_kernelIiLi16ELi32ELi8ELc78ELc84ELc76ELb0ELb0E19rocblas_complex_numIfEPKS1_PKS3_PKPS1_EviT_T9_T10_S9_lSB_S9_lSA_T11_S9_li
                                        ; -- End function
	.set _ZL29rocblas_internal_gemmt_kernelIiLi16ELi32ELi8ELc78ELc84ELc76ELb0ELb0E19rocblas_complex_numIfEPKS1_PKS3_PKPS1_EviT_T9_T10_S9_lSB_S9_lSA_T11_S9_li.num_vgpr, 71
	.set _ZL29rocblas_internal_gemmt_kernelIiLi16ELi32ELi8ELc78ELc84ELc76ELb0ELb0E19rocblas_complex_numIfEPKS1_PKS3_PKPS1_EviT_T9_T10_S9_lSB_S9_lSA_T11_S9_li.num_agpr, 0
	.set _ZL29rocblas_internal_gemmt_kernelIiLi16ELi32ELi8ELc78ELc84ELc76ELb0ELb0E19rocblas_complex_numIfEPKS1_PKS3_PKPS1_EviT_T9_T10_S9_lSB_S9_lSA_T11_S9_li.numbered_sgpr, 39
	.set _ZL29rocblas_internal_gemmt_kernelIiLi16ELi32ELi8ELc78ELc84ELc76ELb0ELb0E19rocblas_complex_numIfEPKS1_PKS3_PKPS1_EviT_T9_T10_S9_lSB_S9_lSA_T11_S9_li.num_named_barrier, 0
	.set _ZL29rocblas_internal_gemmt_kernelIiLi16ELi32ELi8ELc78ELc84ELc76ELb0ELb0E19rocblas_complex_numIfEPKS1_PKS3_PKPS1_EviT_T9_T10_S9_lSB_S9_lSA_T11_S9_li.private_seg_size, 0
	.set _ZL29rocblas_internal_gemmt_kernelIiLi16ELi32ELi8ELc78ELc84ELc76ELb0ELb0E19rocblas_complex_numIfEPKS1_PKS3_PKPS1_EviT_T9_T10_S9_lSB_S9_lSA_T11_S9_li.uses_vcc, 1
	.set _ZL29rocblas_internal_gemmt_kernelIiLi16ELi32ELi8ELc78ELc84ELc76ELb0ELb0E19rocblas_complex_numIfEPKS1_PKS3_PKPS1_EviT_T9_T10_S9_lSB_S9_lSA_T11_S9_li.uses_flat_scratch, 0
	.set _ZL29rocblas_internal_gemmt_kernelIiLi16ELi32ELi8ELc78ELc84ELc76ELb0ELb0E19rocblas_complex_numIfEPKS1_PKS3_PKPS1_EviT_T9_T10_S9_lSB_S9_lSA_T11_S9_li.has_dyn_sized_stack, 0
	.set _ZL29rocblas_internal_gemmt_kernelIiLi16ELi32ELi8ELc78ELc84ELc76ELb0ELb0E19rocblas_complex_numIfEPKS1_PKS3_PKPS1_EviT_T9_T10_S9_lSB_S9_lSA_T11_S9_li.has_recursion, 0
	.set _ZL29rocblas_internal_gemmt_kernelIiLi16ELi32ELi8ELc78ELc84ELc76ELb0ELb0E19rocblas_complex_numIfEPKS1_PKS3_PKPS1_EviT_T9_T10_S9_lSB_S9_lSA_T11_S9_li.has_indirect_call, 0
	.section	.AMDGPU.csdata,"",@progbits
; Kernel info:
; codeLenInByte = 3216
; TotalNumSgprs: 41
; NumVgprs: 71
; ScratchSize: 0
; MemoryBound: 1
; FloatMode: 240
; IeeeMode: 1
; LDSByteSize: 4096 bytes/workgroup (compile time only)
; SGPRBlocks: 0
; VGPRBlocks: 8
; NumSGPRsForWavesPerEU: 41
; NumVGPRsForWavesPerEU: 71
; Occupancy: 16
; WaveLimiterHint : 1
; COMPUTE_PGM_RSRC2:SCRATCH_EN: 0
; COMPUTE_PGM_RSRC2:USER_SGPR: 2
; COMPUTE_PGM_RSRC2:TRAP_HANDLER: 0
; COMPUTE_PGM_RSRC2:TGID_X_EN: 1
; COMPUTE_PGM_RSRC2:TGID_Y_EN: 1
; COMPUTE_PGM_RSRC2:TGID_Z_EN: 1
; COMPUTE_PGM_RSRC2:TIDIG_COMP_CNT: 1
	.section	.text._ZL29rocblas_internal_gemmt_kernelIiLi16ELi32ELi8ELc78ELc67ELc76ELb0ELb1E19rocblas_complex_numIfEPKS1_PKS3_PKPS1_EviT_T9_T10_S9_lSB_S9_lSA_T11_S9_li,"axG",@progbits,_ZL29rocblas_internal_gemmt_kernelIiLi16ELi32ELi8ELc78ELc67ELc76ELb0ELb1E19rocblas_complex_numIfEPKS1_PKS3_PKPS1_EviT_T9_T10_S9_lSB_S9_lSA_T11_S9_li,comdat
	.globl	_ZL29rocblas_internal_gemmt_kernelIiLi16ELi32ELi8ELc78ELc67ELc76ELb0ELb1E19rocblas_complex_numIfEPKS1_PKS3_PKPS1_EviT_T9_T10_S9_lSB_S9_lSA_T11_S9_li ; -- Begin function _ZL29rocblas_internal_gemmt_kernelIiLi16ELi32ELi8ELc78ELc67ELc76ELb0ELb1E19rocblas_complex_numIfEPKS1_PKS3_PKPS1_EviT_T9_T10_S9_lSB_S9_lSA_T11_S9_li
	.p2align	8
	.type	_ZL29rocblas_internal_gemmt_kernelIiLi16ELi32ELi8ELc78ELc67ELc76ELb0ELb1E19rocblas_complex_numIfEPKS1_PKS3_PKPS1_EviT_T9_T10_S9_lSB_S9_lSA_T11_S9_li,@function
_ZL29rocblas_internal_gemmt_kernelIiLi16ELi32ELi8ELc78ELc67ELc76ELb0ELb1E19rocblas_complex_numIfEPKS1_PKS3_PKPS1_EviT_T9_T10_S9_lSB_S9_lSA_T11_S9_li: ; @_ZL29rocblas_internal_gemmt_kernelIiLi16ELi32ELi8ELc78ELc67ELc76ELb0ELb1E19rocblas_complex_numIfEPKS1_PKS3_PKPS1_EviT_T9_T10_S9_lSB_S9_lSA_T11_S9_li
; %bb.0:
	s_load_b128 s[12:15], s[0:1], 0x38
	s_wait_kmcnt 0x0
	s_load_b64 s[14:15], s[14:15], 0x0
	s_clause 0x1
	s_load_b128 s[4:7], s[0:1], 0x8
	s_load_b64 s[20:21], s[0:1], 0x0
	s_wait_kmcnt 0x0
	s_load_b64 s[22:23], s[4:5], 0x0
	s_cmp_eq_f32 s14, 1.0
	s_cselect_b32 s3, -1, 0
	s_and_b32 s2, s15, 0x7fffffff
	s_delay_alu instid0(SALU_CYCLE_1) | instskip(SKIP_1) | instid1(SALU_CYCLE_1)
	s_cmp_eq_u32 s2, 0
	s_cselect_b32 s2, -1, 0
	s_and_b32 s4, s3, s2
	s_mov_b32 s3, 0
	s_and_not1_b32 vcc_lo, exec_lo, s4
	s_mov_b32 s4, -1
	s_cbranch_vccnz .LBB371_4
; %bb.1:
	s_cmp_lg_u32 s21, 0
	s_cbranch_scc0 .LBB371_3
; %bb.2:
	s_wait_kmcnt 0x0
	s_cmp_neq_f32 s22, 0
	s_cselect_b32 s3, -1, 0
	s_cmp_neq_f32 s23, 0
	s_cselect_b32 s4, -1, 0
	s_delay_alu instid0(SALU_CYCLE_1)
	s_or_b32 s3, s3, s4
.LBB371_3:
	s_delay_alu instid0(SALU_CYCLE_1)
	s_mov_b32 s4, s3
.LBB371_4:
	s_delay_alu instid0(SALU_CYCLE_1)
	s_and_b32 vcc_lo, exec_lo, s4
	s_cbranch_vccz .LBB371_39
; %bb.5:
	s_load_b32 s19, s[0:1], 0x60
	s_lshr_b32 s24, ttmp7, 16
	s_wait_kmcnt 0x0
	s_cmp_ge_u32 s24, s19
	s_cbranch_scc1 .LBB371_39
; %bb.6:
	s_clause 0x2
	s_load_b32 s28, s[0:1], 0x18
	s_load_b32 s26, s[0:1], 0x30
	s_load_b128 s[8:11], s[0:1], 0x20
	v_and_b32_e32 v1, 0x3ff, v0
	v_bfe_u32 v2, v0, 10, 10
	s_clause 0x1
	s_load_b96 s[16:18], s[0:1], 0x48
	s_load_b64 s[30:31], s[0:1], 0x58
	s_lshl_b32 s1, ttmp7, 5
	s_lshl_b32 s0, ttmp9, 5
	s_and_b32 s1, s1, 0x1fffe0
	v_and_b32_e32 v16, 7, v0
	v_lshl_add_u32 v0, v2, 4, v1
	v_add_nc_u32_e32 v6, s0, v1
	v_lshlrev_b32_e32 v20, 3, v1
	v_add_nc_u32_e32 v1, s1, v2
	v_lshlrev_b32_e32 v3, 3, v16
	v_and_b32_e32 v4, 31, v0
	v_lshrrev_b32_e32 v5, 3, v0
	v_lshrrev_b32_e32 v17, 5, v0
	v_add_nc_u32_e32 v8, 16, v6
	v_lshl_add_u32 v21, v2, 6, 0x800
	s_wait_kmcnt 0x0
	s_ashr_i32 s29, s28, 31
	s_ashr_i32 s27, s26, 31
	s_cmp_neq_f32 s22, 0
	v_or_b32_e32 v0, s0, v4
	v_lshlrev_b32_e32 v4, 3, v4
	v_lshl_or_b32 v3, v5, 6, v3
	s_cselect_b32 s3, -1, 0
	s_cmp_neq_f32 s23, 0
	v_add_nc_u32_e32 v14, s1, v5
	v_lshl_or_b32 v18, v17, 8, v4
	v_mad_co_i64_i32 v[4:5], null, v17, s28, 0
	s_cselect_b32 s4, -1, 0
	v_add_nc_u32_e32 v19, 0x800, v3
	s_or_b32 s35, s3, s4
	s_cmp_gt_i32 s21, 0
	v_cmp_le_i32_e64 s1, v1, v6
	s_cselect_b32 s36, -1, 0
	s_cmp_neq_f32 s14, 0
	v_cmp_le_i32_e64 s3, v1, v8
	v_cmp_gt_i32_e64 s4, s20, v8
	v_mad_co_i64_i32 v[2:3], null, v1, s18, 0
	s_cselect_b32 s37, -1, 0
	s_xor_b32 s38, s2, -1
	v_cmp_gt_i32_e64 s2, s20, v6
	v_add_nc_u32_e32 v1, 16, v1
	v_mad_co_i64_i32 v[10:11], null, s26, v16, 0
	v_cmp_gt_i32_e32 vcc_lo, s20, v0
	v_cmp_gt_i32_e64 s0, s20, v14
	s_and_b32 s20, s1, s2
	s_and_b32 s33, s3, s4
	v_cmp_le_i32_e64 s1, v1, v6
	v_cmp_le_i32_e64 s3, v1, v8
	v_lshlrev_b64_e32 v[4:5], 3, v[4:5]
	v_mad_co_i64_i32 v[12:13], null, v1, s18, 0
	v_ashrrev_i32_e32 v1, 31, v0
	s_and_b32 s18, s1, s2
	s_and_b32 s34, s3, s4
	s_lshl_b64 s[2:3], s[8:9], 3
	v_lshlrev_b64_e32 v[10:11], 3, v[10:11]
	v_add_co_u32 v4, s1, v4, s2
	v_lshlrev_b64_e32 v[0:1], 3, v[0:1]
	s_wait_alu 0xf1ff
	v_add_co_ci_u32_e64 v5, null, s3, v5, s1
	s_lshl_b64 s[2:3], s[12:13], 3
	v_lshlrev_b32_e32 v14, 3, v14
	s_wait_alu 0xfffe
	v_add_co_u32 v10, s1, v10, s2
	v_add_co_u32 v22, s2, v4, v0
	v_ashrrev_i32_e32 v7, 31, v6
	v_ashrrev_i32_e32 v9, 31, v8
	s_wait_alu 0xf1ff
	v_add_co_ci_u32_e64 v23, null, v5, v1, s2
	v_add_co_ci_u32_e64 v1, null, s3, v11, s1
	v_add_co_u32 v4, s1, v10, v14
	v_lshlrev_b64_e32 v[2:3], 3, v[2:3]
	v_lshlrev_b64_e32 v[6:7], 3, v[6:7]
	;; [unrolled: 1-line block ×3, first 2 shown]
	s_delay_alu instid0(VALU_DEP_4)
	v_or_b32_e32 v25, 4, v4
	v_lshlrev_b64_e32 v[4:5], 3, v[12:13]
	v_mov_b32_e32 v0, 0
	s_wait_alu 0xf1ff
	v_add_co_ci_u32_e64 v24, null, 0, v1, s1
	s_mov_b32 s25, 0
	s_lshl_b64 s[2:3], s[28:29], 6
	s_lshl_b64 s[4:5], s[26:27], 6
	s_and_b32 s12, s35, s36
	s_or_b32 s13, s37, s38
	s_xor_b32 s26, vcc_lo, -1
	s_xor_b32 s27, s0, -1
	s_lshl_b64 s[0:1], s[30:31], 3
	s_branch .LBB371_8
.LBB371_7:                              ;   in Loop: Header=BB371_8 Depth=1
	s_wait_alu 0xfffe
	s_or_b32 exec_lo, exec_lo, s8
	s_add_co_i32 s24, s24, 0x10000
	s_delay_alu instid0(SALU_CYCLE_1)
	s_cmp_lt_u32 s24, s19
	s_cbranch_scc0 .LBB371_39
.LBB371_8:                              ; =>This Loop Header: Depth=1
                                        ;     Child Loop BB371_11 Depth 2
	s_lshl_b64 s[8:9], s[24:25], 3
	v_dual_mov_b32 v33, v0 :: v_dual_mov_b32 v32, v0
	s_wait_alu 0xfffe
	s_add_nc_u64 s[28:29], s[16:17], s[8:9]
	v_dual_mov_b32 v30, v0 :: v_dual_mov_b32 v31, v0
	global_load_b64 v[10:11], v0, s[28:29]
	v_dual_mov_b32 v28, v0 :: v_dual_mov_b32 v29, v0
	v_dual_mov_b32 v27, v0 :: v_dual_mov_b32 v26, v0
	s_and_not1_b32 vcc_lo, exec_lo, s12
	s_wait_alu 0xfffe
	s_cbranch_vccnz .LBB371_19
; %bb.9:                                ;   in Loop: Header=BB371_8 Depth=1
	s_add_nc_u64 s[28:29], s[6:7], s[8:9]
	s_add_nc_u64 s[8:9], s[10:11], s[8:9]
	s_clause 0x1
	global_load_b64 v[12:13], v0, s[28:29]
	global_load_b64 v[14:15], v0, s[8:9]
	v_dual_mov_b32 v26, 0 :: v_dual_mov_b32 v27, 0
	v_dual_mov_b32 v29, 0 :: v_dual_mov_b32 v28, 0
	;; [unrolled: 1-line block ×4, first 2 shown]
	s_mov_b32 s8, 0
	s_wait_loadcnt 0x1
	v_add_co_u32 v12, vcc_lo, v12, v22
	s_wait_alu 0xfffd
	v_add_co_ci_u32_e64 v13, null, v13, v23, vcc_lo
	s_wait_loadcnt 0x0
	v_add_co_u32 v14, vcc_lo, v14, v25
	s_wait_alu 0xfffd
	v_add_co_ci_u32_e64 v15, null, v15, v24, vcc_lo
	s_branch .LBB371_11
.LBB371_10:                             ;   in Loop: Header=BB371_11 Depth=2
	s_or_b32 exec_lo, exec_lo, s9
	ds_store_b32 v19, v1 offset:4
	s_wait_dscnt 0x0
	s_barrier_signal -1
	s_barrier_wait -1
	global_inv scope:SCOPE_SE
	ds_load_b128 v[34:37], v21
	ds_load_2addr_b64 v[38:41], v20 offset1:16
	ds_load_b128 v[42:45], v21 offset:1024
	ds_load_b128 v[46:49], v21 offset:16
	;; [unrolled: 1-line block ×4, first 2 shown]
	ds_load_2addr_b64 v[58:61], v20 offset0:32 offset1:48
	ds_load_b128 v[62:65], v21 offset:1040
	v_add_co_u32 v12, vcc_lo, v12, s2
	s_wait_alu 0xfffd
	v_add_co_ci_u32_e64 v13, null, s3, v13, vcc_lo
	v_add_co_u32 v14, vcc_lo, v14, s4
	s_wait_alu 0xfffd
	v_add_co_ci_u32_e64 v15, null, s5, v15, vcc_lo
	s_add_co_i32 s8, s8, 8
	s_wait_alu 0xfffe
	s_cmp_lt_i32 s8, s21
	s_wait_dscnt 0x6
	v_dual_mul_f32 v1, v35, v39 :: v_dual_mul_f32 v68, v34, v41
	v_dual_mul_f32 v66, v34, v39 :: v_dual_mul_f32 v67, v35, v41
	s_wait_dscnt 0x5
	v_mul_f32_e32 v70, v43, v41
	s_delay_alu instid0(VALU_DEP_3) | instskip(SKIP_3) | instid1(VALU_DEP_4)
	v_fma_f32 v1, v34, v38, -v1
	v_dual_mul_f32 v41, v42, v41 :: v_dual_fmac_f32 v68, v35, v40
	v_fmac_f32_e32 v66, v35, v38
	v_fma_f32 v34, v34, v40, -v67
	v_add_f32_e32 v1, v33, v1
	v_mul_f32_e32 v69, v43, v39
	s_delay_alu instid0(VALU_DEP_4) | instskip(NEXT) | instid1(VALU_DEP_4)
	v_dual_mul_f32 v39, v42, v39 :: v_dual_add_f32 v32, v32, v66
	v_add_f32_e32 v33, v30, v34
	v_fma_f32 v30, v42, v40, -v70
	s_delay_alu instid0(VALU_DEP_4) | instskip(NEXT) | instid1(VALU_DEP_4)
	v_fma_f32 v35, v42, v38, -v69
	v_fmac_f32_e32 v39, v43, v38
	s_wait_dscnt 0x1
	v_dual_add_f32 v31, v31, v68 :: v_dual_mul_f32 v38, v37, v59
	v_dual_fmac_f32 v41, v43, v40 :: v_dual_mul_f32 v42, v37, v61
	v_add_f32_e32 v34, v28, v35
	v_add_f32_e32 v35, v29, v39
	v_dual_add_f32 v39, v27, v30 :: v_dual_mul_f32 v40, v36, v59
	ds_load_2addr_b64 v[27:30], v20 offset0:64 offset1:80
	v_fma_f32 v38, v36, v58, -v38
	v_add_f32_e32 v26, v26, v41
	v_dual_mul_f32 v41, v36, v61 :: v_dual_fmac_f32 v40, v37, v58
	v_fma_f32 v36, v36, v60, -v42
	s_delay_alu instid0(VALU_DEP_4) | instskip(SKIP_1) | instid1(VALU_DEP_4)
	v_add_f32_e32 v1, v1, v38
	v_mul_f32_e32 v38, v45, v59
	v_fmac_f32_e32 v41, v37, v60
	v_add_f32_e32 v40, v32, v40
	v_mul_f32_e32 v32, v44, v59
	v_add_f32_e32 v36, v33, v36
	v_fma_f32 v33, v44, v58, -v38
	v_mul_f32_e32 v37, v45, v61
	v_add_f32_e32 v38, v31, v41
	v_dual_mul_f32 v41, v44, v61 :: v_dual_fmac_f32 v32, v45, v58
	s_delay_alu instid0(VALU_DEP_4) | instskip(NEXT) | instid1(VALU_DEP_4)
	v_add_f32_e32 v42, v34, v33
	v_fma_f32 v31, v44, v60, -v37
	s_wait_dscnt 0x0
	v_mul_f32_e32 v33, v47, v28
	v_fmac_f32_e32 v41, v45, v60
	v_add_f32_e32 v35, v35, v32
	v_add_f32_e32 v39, v39, v31
	v_mul_f32_e32 v44, v47, v30
	v_fma_f32 v43, v46, v27, -v33
	ds_load_2addr_b64 v[31:34], v20 offset0:96 offset1:112
	v_add_f32_e32 v41, v26, v41
	v_mul_f32_e32 v26, v46, v30
	v_mul_f32_e32 v37, v46, v28
	v_add_f32_e32 v1, v1, v43
	v_fma_f32 v43, v46, v29, -v44
	s_delay_alu instid0(VALU_DEP_4) | instskip(NEXT) | instid1(VALU_DEP_4)
	v_fmac_f32_e32 v26, v47, v29
	v_fmac_f32_e32 v37, v47, v27
	s_delay_alu instid0(VALU_DEP_3) | instskip(NEXT) | instid1(VALU_DEP_2)
	v_dual_add_f32 v36, v36, v43 :: v_dual_mul_f32 v43, v63, v30
	v_dual_mul_f32 v30, v62, v30 :: v_dual_add_f32 v37, v40, v37
	v_mul_f32_e32 v40, v63, v28
	v_mul_f32_e32 v28, v62, v28
	v_add_f32_e32 v44, v38, v26
	v_fma_f32 v26, v62, v29, -v43
	s_delay_alu instid0(VALU_DEP_4) | instskip(SKIP_2) | instid1(VALU_DEP_3)
	v_fma_f32 v40, v62, v27, -v40
	s_wait_dscnt 0x0
	v_dual_fmac_f32 v28, v63, v27 :: v_dual_mul_f32 v43, v49, v34
	v_add_f32_e32 v39, v39, v26
	s_delay_alu instid0(VALU_DEP_3) | instskip(NEXT) | instid1(VALU_DEP_3)
	v_dual_mul_f32 v47, v65, v34 :: v_dual_add_f32 v40, v42, v40
	v_add_f32_e32 v42, v35, v28
	v_mul_f32_e32 v35, v49, v32
	v_fma_f32 v43, v48, v33, -v43
	s_delay_alu instid0(VALU_DEP_2)
	v_fma_f32 v35, v48, v31, -v35
	v_fmac_f32_e32 v30, v63, v29
	ds_load_2addr_b64 v[26:29], v20 offset0:128 offset1:144
	v_add_f32_e32 v43, v36, v43
	v_dual_add_f32 v1, v1, v35 :: v_dual_mul_f32 v38, v48, v32
	v_add_f32_e32 v41, v41, v30
	v_dual_mul_f32 v30, v48, v34 :: v_dual_mul_f32 v35, v65, v32
	v_mul_f32_e32 v32, v64, v32
	v_mul_f32_e32 v34, v64, v34
	s_delay_alu instid0(VALU_DEP_3) | instskip(NEXT) | instid1(VALU_DEP_4)
	v_fmac_f32_e32 v30, v49, v33
	v_fma_f32 v46, v64, v31, -v35
	s_delay_alu instid0(VALU_DEP_4) | instskip(SKIP_1) | instid1(VALU_DEP_4)
	v_fmac_f32_e32 v32, v65, v31
	v_fmac_f32_e32 v38, v49, v31
	v_add_f32_e32 v44, v44, v30
	v_fma_f32 v30, v64, v33, -v47
	s_wait_dscnt 0x0
	v_mul_f32_e32 v49, v50, v27
	v_dual_mul_f32 v31, v51, v27 :: v_dual_mul_f32 v58, v50, v29
	s_delay_alu instid0(VALU_DEP_2)
	v_fmac_f32_e32 v49, v51, v26
	v_add_f32_e32 v47, v42, v32
	v_add_f32_e32 v45, v37, v38
	ds_load_b128 v[35:38], v21 offset:1056
	v_fmac_f32_e32 v34, v65, v33
	v_add_f32_e32 v48, v39, v30
	v_fma_f32 v39, v50, v26, -v31
	v_add_f32_e32 v46, v40, v46
	ds_load_2addr_b64 v[30:33], v20 offset0:160 offset1:176
	v_mul_f32_e32 v40, v51, v29
	v_add_f32_e32 v34, v41, v34
	v_add_f32_e32 v1, v1, v39
	;; [unrolled: 1-line block ×3, first 2 shown]
	s_delay_alu instid0(VALU_DEP_4)
	v_fma_f32 v50, v50, v28, -v40
	ds_load_b128 v[39:42], v21 offset:1072
	v_add_f32_e32 v43, v43, v50
	s_wait_dscnt 0x2
	v_mul_f32_e32 v59, v36, v27
	v_mul_f32_e32 v27, v35, v27
	v_fmac_f32_e32 v58, v51, v28
	v_mul_f32_e32 v50, v36, v29
	v_mul_f32_e32 v51, v35, v29
	v_fma_f32 v49, v35, v26, -v59
	v_fmac_f32_e32 v27, v36, v26
	s_wait_dscnt 0x1
	v_dual_add_f32 v44, v44, v58 :: v_dual_mul_f32 v29, v53, v31
	v_fma_f32 v26, v35, v28, -v50
	v_fmac_f32_e32 v51, v36, v28
	v_mul_f32_e32 v36, v52, v31
	v_dual_add_f32 v46, v46, v49 :: v_dual_add_f32 v35, v47, v27
	v_mul_f32_e32 v49, v53, v33
	s_delay_alu instid0(VALU_DEP_3)
	v_fmac_f32_e32 v36, v53, v30
	v_dual_add_f32 v47, v48, v26 :: v_dual_add_f32 v50, v34, v51
	v_fma_f32 v48, v52, v30, -v29
	ds_load_2addr_b64 v[26:29], v20 offset0:192 offset1:208
	v_dual_mul_f32 v34, v52, v33 :: v_dual_add_f32 v45, v45, v36
	v_dual_mul_f32 v36, v38, v31 :: v_dual_add_f32 v1, v1, v48
	v_fma_f32 v48, v52, v32, -v49
	v_mul_f32_e32 v31, v37, v31
	s_delay_alu instid0(VALU_DEP_3) | instskip(NEXT) | instid1(VALU_DEP_3)
	v_fma_f32 v36, v37, v30, -v36
	v_dual_add_f32 v43, v43, v48 :: v_dual_mul_f32 v48, v38, v33
	s_delay_alu instid0(VALU_DEP_3) | instskip(NEXT) | instid1(VALU_DEP_1)
	v_dual_fmac_f32 v34, v53, v32 :: v_dual_fmac_f32 v31, v38, v30
	v_dual_mul_f32 v33, v37, v33 :: v_dual_add_f32 v30, v44, v34
	s_delay_alu instid0(VALU_DEP_3) | instskip(NEXT) | instid1(VALU_DEP_3)
	v_fma_f32 v34, v37, v32, -v48
	v_dual_add_f32 v44, v46, v36 :: v_dual_add_f32 v31, v35, v31
	s_wait_dscnt 0x0
	v_mul_f32_e32 v48, v54, v29
	v_dual_mul_f32 v46, v55, v27 :: v_dual_fmac_f32 v33, v38, v32
	v_add_f32_e32 v32, v47, v34
	ds_load_2addr_b64 v[34:37], v20 offset0:224 offset1:240
	v_dual_mul_f32 v38, v54, v27 :: v_dual_mul_f32 v47, v55, v29
	v_fma_f32 v46, v54, v26, -v46
	v_dual_fmac_f32 v48, v55, v28 :: v_dual_add_f32 v33, v50, v33
	s_delay_alu instid0(VALU_DEP_3) | instskip(NEXT) | instid1(VALU_DEP_4)
	v_fmac_f32_e32 v38, v55, v26
	v_fma_f32 v47, v54, v28, -v47
	s_delay_alu instid0(VALU_DEP_4) | instskip(SKIP_2) | instid1(VALU_DEP_3)
	v_dual_add_f32 v1, v1, v46 :: v_dual_mul_f32 v46, v40, v27
	v_mul_f32_e32 v27, v39, v27
	s_wait_loadcnt_dscnt 0x0
	v_add_f32_e32 v43, v43, v47
	v_dual_add_f32 v47, v30, v48 :: v_dual_add_f32 v38, v45, v38
	v_fma_f32 v45, v39, v26, -v46
	v_mul_f32_e32 v46, v40, v29
	v_fmac_f32_e32 v27, v40, v26
	v_mul_f32_e32 v29, v39, v29
	s_barrier_signal -1
	v_add_f32_e32 v26, v44, v45
	v_fma_f32 v30, v39, v28, -v46
	v_mul_f32_e32 v39, v57, v35
	v_mul_f32_e32 v44, v56, v35
	v_fmac_f32_e32 v29, v40, v28
	s_delay_alu instid0(VALU_DEP_4) | instskip(NEXT) | instid1(VALU_DEP_4)
	v_dual_add_f32 v27, v31, v27 :: v_dual_add_f32 v40, v32, v30
	v_fma_f32 v28, v56, v34, -v39
	s_delay_alu instid0(VALU_DEP_4) | instskip(NEXT) | instid1(VALU_DEP_4)
	v_fmac_f32_e32 v44, v57, v34
	v_add_f32_e32 v39, v33, v29
	v_mul_f32_e32 v31, v56, v37
	s_barrier_wait -1
	v_dual_add_f32 v33, v1, v28 :: v_dual_mul_f32 v28, v42, v35
	v_mul_f32_e32 v29, v41, v35
	v_mul_f32_e32 v30, v57, v37
	v_mul_f32_e32 v35, v42, v37
	v_dual_mul_f32 v37, v41, v37 :: v_dual_add_f32 v32, v38, v44
	s_delay_alu instid0(VALU_DEP_4) | instskip(NEXT) | instid1(VALU_DEP_4)
	v_fmac_f32_e32 v29, v42, v34
	v_fma_f32 v1, v56, v36, -v30
	global_inv scope:SCOPE_SE
	v_fmac_f32_e32 v37, v42, v36
	v_add_f32_e32 v29, v27, v29
	v_add_f32_e32 v30, v43, v1
	v_fma_f32 v1, v41, v34, -v28
	v_fmac_f32_e32 v31, v57, v36
	v_fma_f32 v34, v41, v36, -v35
	s_delay_alu instid0(VALU_DEP_2) | instskip(NEXT) | instid1(VALU_DEP_2)
	v_dual_add_f32 v28, v26, v1 :: v_dual_add_f32 v31, v47, v31
	v_dual_add_f32 v27, v40, v34 :: v_dual_add_f32 v26, v39, v37
	s_cbranch_scc0 .LBB371_19
.LBB371_11:                             ;   Parent Loop BB371_8 Depth=1
                                        ; =>  This Inner Loop Header: Depth=2
	s_wait_alu 0xfffe
	v_add_nc_u32_e32 v1, s8, v17
	s_delay_alu instid0(VALU_DEP_1)
	v_cmp_le_i32_e32 vcc_lo, s21, v1
	s_or_b32 s9, s26, vcc_lo
	s_wait_alu 0xfffe
	s_and_saveexec_b32 s28, s9
	s_wait_alu 0xfffe
	s_xor_b32 s9, exec_lo, s28
; %bb.12:                               ;   in Loop: Header=BB371_11 Depth=2
	v_mov_b32_e32 v1, v0
	ds_store_b64 v18, v[0:1]
; %bb.13:                               ;   in Loop: Header=BB371_11 Depth=2
	s_wait_alu 0xfffe
	s_and_not1_saveexec_b32 s9, s9
	s_cbranch_execz .LBB371_15
; %bb.14:                               ;   in Loop: Header=BB371_11 Depth=2
	flat_load_b64 v[34:35], v[12:13]
	s_wait_loadcnt_dscnt 0x0
	ds_store_b64 v18, v[34:35]
.LBB371_15:                             ;   in Loop: Header=BB371_11 Depth=2
	s_wait_alu 0xfffe
	s_or_b32 exec_lo, exec_lo, s9
	v_add_nc_u32_e32 v1, s8, v16
	s_delay_alu instid0(VALU_DEP_1)
	v_cmp_le_i32_e32 vcc_lo, s21, v1
	s_or_b32 s9, vcc_lo, s27
	s_wait_alu 0xfffe
	s_and_saveexec_b32 s28, s9
	s_wait_alu 0xfffe
	s_xor_b32 s9, exec_lo, s28
; %bb.16:                               ;   in Loop: Header=BB371_11 Depth=2
	ds_store_b32 v19, v0
; %bb.17:                               ;   in Loop: Header=BB371_11 Depth=2
	s_wait_alu 0xfffe
	s_or_saveexec_b32 s9, s9
	v_mov_b32_e32 v1, 0
	s_wait_alu 0xfffe
	s_xor_b32 exec_lo, exec_lo, s9
	s_cbranch_execz .LBB371_10
; %bb.18:                               ;   in Loop: Header=BB371_11 Depth=2
	flat_load_b64 v[34:35], v[14:15] offset:-4
	s_wait_loadcnt_dscnt 0x0
	v_xor_b32_e32 v1, 0x80000000, v35
	ds_store_b32 v19, v34
	s_branch .LBB371_10
.LBB371_19:                             ;   in Loop: Header=BB371_8 Depth=1
	s_wait_loadcnt 0x0
	s_wait_alu 0xfffe
	v_add_co_u32 v1, vcc_lo, v10, s0
	s_wait_alu 0xfffd
	v_add_co_ci_u32_e64 v12, null, s1, v11, vcc_lo
	s_delay_alu instid0(VALU_DEP_2) | instskip(SKIP_1) | instid1(VALU_DEP_2)
	v_add_co_u32 v13, vcc_lo, v1, v2
	s_wait_alu 0xfffd
	v_add_co_ci_u32_e64 v14, null, v12, v3, vcc_lo
	s_and_saveexec_b32 s8, s20
	s_cbranch_execz .LBB371_24
; %bb.20:                               ;   in Loop: Header=BB371_8 Depth=1
	v_mul_f32_e32 v11, s22, v32
	v_mul_f32_e32 v10, s23, v32
	s_and_b32 vcc_lo, exec_lo, s13
	s_mov_b32 s9, -1
	s_delay_alu instid0(VALU_DEP_2) | instskip(NEXT) | instid1(VALU_DEP_2)
	v_fmac_f32_e32 v11, s23, v33
	v_fma_f32 v10, v33, s22, -v10
	s_wait_alu 0xfffe
	s_cbranch_vccz .LBB371_22
; %bb.21:                               ;   in Loop: Header=BB371_8 Depth=1
	v_add_co_u32 v32, vcc_lo, v13, v6
	s_wait_alu 0xfffd
	v_add_co_ci_u32_e64 v33, null, v14, v7, vcc_lo
	s_mov_b32 s9, 0
	flat_load_b64 v[34:35], v[32:33]
	s_wait_loadcnt_dscnt 0x0
	v_mul_f32_e32 v15, s15, v35
	v_mul_f32_e32 v35, s14, v35
	s_delay_alu instid0(VALU_DEP_2) | instskip(NEXT) | instid1(VALU_DEP_1)
	v_fma_f32 v15, v34, s14, -v15
	v_dual_fmac_f32 v35, s15, v34 :: v_dual_add_f32 v34, v10, v15
	s_delay_alu instid0(VALU_DEP_1)
	v_add_f32_e32 v35, v11, v35
	flat_store_b64 v[32:33], v[34:35]
.LBB371_22:                             ;   in Loop: Header=BB371_8 Depth=1
	s_wait_alu 0xfffe
	s_and_not1_b32 vcc_lo, exec_lo, s9
	s_wait_alu 0xfffe
	s_cbranch_vccnz .LBB371_24
; %bb.23:                               ;   in Loop: Header=BB371_8 Depth=1
	v_add_co_u32 v32, vcc_lo, v13, v6
	s_wait_alu 0xfffd
	v_add_co_ci_u32_e64 v33, null, v14, v7, vcc_lo
	flat_store_b64 v[32:33], v[10:11]
.LBB371_24:                             ;   in Loop: Header=BB371_8 Depth=1
	s_wait_alu 0xfffe
	s_or_b32 exec_lo, exec_lo, s8
	s_and_saveexec_b32 s8, s33
	s_cbranch_execz .LBB371_29
; %bb.25:                               ;   in Loop: Header=BB371_8 Depth=1
	v_mul_f32_e32 v11, s22, v31
	v_mul_f32_e32 v10, s23, v31
	s_and_not1_b32 vcc_lo, exec_lo, s13
	s_mov_b32 s9, -1
	s_delay_alu instid0(VALU_DEP_2) | instskip(NEXT) | instid1(VALU_DEP_2)
	v_fmac_f32_e32 v11, s23, v30
	v_fma_f32 v10, v30, s22, -v10
	s_wait_alu 0xfffe
	s_cbranch_vccnz .LBB371_27
; %bb.26:                               ;   in Loop: Header=BB371_8 Depth=1
	v_add_co_u32 v30, vcc_lo, v13, v8
	s_wait_alu 0xfffd
	v_add_co_ci_u32_e64 v31, null, v14, v9, vcc_lo
	s_mov_b32 s9, 0
	flat_load_b64 v[32:33], v[30:31]
	s_wait_loadcnt_dscnt 0x0
	v_mul_f32_e32 v15, s15, v33
	s_delay_alu instid0(VALU_DEP_1) | instskip(SKIP_1) | instid1(VALU_DEP_1)
	v_fma_f32 v15, v32, s14, -v15
	v_mul_f32_e32 v33, s14, v33
	v_dual_fmac_f32 v33, s15, v32 :: v_dual_add_f32 v32, v10, v15
	s_delay_alu instid0(VALU_DEP_1)
	v_add_f32_e32 v33, v11, v33
	flat_store_b64 v[30:31], v[32:33]
.LBB371_27:                             ;   in Loop: Header=BB371_8 Depth=1
	s_wait_alu 0xfffe
	s_and_not1_b32 vcc_lo, exec_lo, s9
	s_wait_alu 0xfffe
	s_cbranch_vccnz .LBB371_29
; %bb.28:                               ;   in Loop: Header=BB371_8 Depth=1
	v_add_co_u32 v13, vcc_lo, v13, v8
	s_wait_alu 0xfffd
	v_add_co_ci_u32_e64 v14, null, v14, v9, vcc_lo
	flat_store_b64 v[13:14], v[10:11]
.LBB371_29:                             ;   in Loop: Header=BB371_8 Depth=1
	s_wait_alu 0xfffe
	s_or_b32 exec_lo, exec_lo, s8
	v_add_co_u32 v1, vcc_lo, v1, v4
	s_wait_alu 0xfffd
	v_add_co_ci_u32_e64 v12, null, v12, v5, vcc_lo
	s_and_saveexec_b32 s8, s18
	s_cbranch_execz .LBB371_34
; %bb.30:                               ;   in Loop: Header=BB371_8 Depth=1
	v_mul_f32_e32 v11, s22, v29
	v_mul_f32_e32 v10, s23, v29
	s_and_not1_b32 vcc_lo, exec_lo, s13
	s_mov_b32 s9, -1
	s_delay_alu instid0(VALU_DEP_2) | instskip(NEXT) | instid1(VALU_DEP_2)
	v_fmac_f32_e32 v11, s23, v28
	v_fma_f32 v10, v28, s22, -v10
	s_wait_alu 0xfffe
	s_cbranch_vccnz .LBB371_32
; %bb.31:                               ;   in Loop: Header=BB371_8 Depth=1
	v_add_co_u32 v13, vcc_lo, v1, v6
	s_wait_alu 0xfffd
	v_add_co_ci_u32_e64 v14, null, v12, v7, vcc_lo
	s_mov_b32 s9, 0
	flat_load_b64 v[28:29], v[13:14]
	s_wait_loadcnt_dscnt 0x0
	v_mul_f32_e32 v15, s15, v29
	s_delay_alu instid0(VALU_DEP_1) | instskip(SKIP_1) | instid1(VALU_DEP_1)
	v_fma_f32 v15, v28, s14, -v15
	v_mul_f32_e32 v29, s14, v29
	v_dual_fmac_f32 v29, s15, v28 :: v_dual_add_f32 v28, v10, v15
	s_delay_alu instid0(VALU_DEP_1)
	v_add_f32_e32 v29, v11, v29
	flat_store_b64 v[13:14], v[28:29]
.LBB371_32:                             ;   in Loop: Header=BB371_8 Depth=1
	s_wait_alu 0xfffe
	s_and_not1_b32 vcc_lo, exec_lo, s9
	s_wait_alu 0xfffe
	s_cbranch_vccnz .LBB371_34
; %bb.33:                               ;   in Loop: Header=BB371_8 Depth=1
	v_add_co_u32 v13, vcc_lo, v1, v6
	s_wait_alu 0xfffd
	v_add_co_ci_u32_e64 v14, null, v12, v7, vcc_lo
	flat_store_b64 v[13:14], v[10:11]
.LBB371_34:                             ;   in Loop: Header=BB371_8 Depth=1
	s_wait_alu 0xfffe
	s_or_b32 exec_lo, exec_lo, s8
	s_and_saveexec_b32 s8, s34
	s_cbranch_execz .LBB371_7
; %bb.35:                               ;   in Loop: Header=BB371_8 Depth=1
	v_mul_f32_e32 v11, s22, v26
	v_mul_f32_e32 v10, s23, v26
	s_and_not1_b32 vcc_lo, exec_lo, s13
	s_mov_b32 s9, -1
	s_delay_alu instid0(VALU_DEP_2) | instskip(NEXT) | instid1(VALU_DEP_2)
	v_fmac_f32_e32 v11, s23, v27
	v_fma_f32 v10, v27, s22, -v10
	s_wait_alu 0xfffe
	s_cbranch_vccnz .LBB371_37
; %bb.36:                               ;   in Loop: Header=BB371_8 Depth=1
	v_add_co_u32 v13, vcc_lo, v1, v8
	s_wait_alu 0xfffd
	v_add_co_ci_u32_e64 v14, null, v12, v9, vcc_lo
	s_mov_b32 s9, 0
	flat_load_b64 v[26:27], v[13:14]
	s_wait_loadcnt_dscnt 0x0
	v_mul_f32_e32 v15, s15, v27
	v_mul_f32_e32 v27, s14, v27
	s_delay_alu instid0(VALU_DEP_2) | instskip(NEXT) | instid1(VALU_DEP_1)
	v_fma_f32 v15, v26, s14, -v15
	v_dual_fmac_f32 v27, s15, v26 :: v_dual_add_f32 v26, v10, v15
	s_delay_alu instid0(VALU_DEP_1)
	v_add_f32_e32 v27, v11, v27
	flat_store_b64 v[13:14], v[26:27]
.LBB371_37:                             ;   in Loop: Header=BB371_8 Depth=1
	s_wait_alu 0xfffe
	s_and_not1_b32 vcc_lo, exec_lo, s9
	s_wait_alu 0xfffe
	s_cbranch_vccnz .LBB371_7
; %bb.38:                               ;   in Loop: Header=BB371_8 Depth=1
	v_add_co_u32 v13, vcc_lo, v1, v8
	s_wait_alu 0xfffd
	v_add_co_ci_u32_e64 v14, null, v12, v9, vcc_lo
	flat_store_b64 v[13:14], v[10:11]
	s_branch .LBB371_7
.LBB371_39:
	s_endpgm
	.section	.rodata,"a",@progbits
	.p2align	6, 0x0
	.amdhsa_kernel _ZL29rocblas_internal_gemmt_kernelIiLi16ELi32ELi8ELc78ELc67ELc76ELb0ELb1E19rocblas_complex_numIfEPKS1_PKS3_PKPS1_EviT_T9_T10_S9_lSB_S9_lSA_T11_S9_li
		.amdhsa_group_segment_fixed_size 4096
		.amdhsa_private_segment_fixed_size 0
		.amdhsa_kernarg_size 100
		.amdhsa_user_sgpr_count 2
		.amdhsa_user_sgpr_dispatch_ptr 0
		.amdhsa_user_sgpr_queue_ptr 0
		.amdhsa_user_sgpr_kernarg_segment_ptr 1
		.amdhsa_user_sgpr_dispatch_id 0
		.amdhsa_user_sgpr_private_segment_size 0
		.amdhsa_wavefront_size32 1
		.amdhsa_uses_dynamic_stack 0
		.amdhsa_enable_private_segment 0
		.amdhsa_system_sgpr_workgroup_id_x 1
		.amdhsa_system_sgpr_workgroup_id_y 1
		.amdhsa_system_sgpr_workgroup_id_z 1
		.amdhsa_system_sgpr_workgroup_info 0
		.amdhsa_system_vgpr_workitem_id 1
		.amdhsa_next_free_vgpr 71
		.amdhsa_next_free_sgpr 39
		.amdhsa_reserve_vcc 1
		.amdhsa_float_round_mode_32 0
		.amdhsa_float_round_mode_16_64 0
		.amdhsa_float_denorm_mode_32 3
		.amdhsa_float_denorm_mode_16_64 3
		.amdhsa_fp16_overflow 0
		.amdhsa_workgroup_processor_mode 1
		.amdhsa_memory_ordered 1
		.amdhsa_forward_progress 1
		.amdhsa_inst_pref_size 26
		.amdhsa_round_robin_scheduling 0
		.amdhsa_exception_fp_ieee_invalid_op 0
		.amdhsa_exception_fp_denorm_src 0
		.amdhsa_exception_fp_ieee_div_zero 0
		.amdhsa_exception_fp_ieee_overflow 0
		.amdhsa_exception_fp_ieee_underflow 0
		.amdhsa_exception_fp_ieee_inexact 0
		.amdhsa_exception_int_div_zero 0
	.end_amdhsa_kernel
	.section	.text._ZL29rocblas_internal_gemmt_kernelIiLi16ELi32ELi8ELc78ELc67ELc76ELb0ELb1E19rocblas_complex_numIfEPKS1_PKS3_PKPS1_EviT_T9_T10_S9_lSB_S9_lSA_T11_S9_li,"axG",@progbits,_ZL29rocblas_internal_gemmt_kernelIiLi16ELi32ELi8ELc78ELc67ELc76ELb0ELb1E19rocblas_complex_numIfEPKS1_PKS3_PKPS1_EviT_T9_T10_S9_lSB_S9_lSA_T11_S9_li,comdat
.Lfunc_end371:
	.size	_ZL29rocblas_internal_gemmt_kernelIiLi16ELi32ELi8ELc78ELc67ELc76ELb0ELb1E19rocblas_complex_numIfEPKS1_PKS3_PKPS1_EviT_T9_T10_S9_lSB_S9_lSA_T11_S9_li, .Lfunc_end371-_ZL29rocblas_internal_gemmt_kernelIiLi16ELi32ELi8ELc78ELc67ELc76ELb0ELb1E19rocblas_complex_numIfEPKS1_PKS3_PKPS1_EviT_T9_T10_S9_lSB_S9_lSA_T11_S9_li
                                        ; -- End function
	.set _ZL29rocblas_internal_gemmt_kernelIiLi16ELi32ELi8ELc78ELc67ELc76ELb0ELb1E19rocblas_complex_numIfEPKS1_PKS3_PKPS1_EviT_T9_T10_S9_lSB_S9_lSA_T11_S9_li.num_vgpr, 71
	.set _ZL29rocblas_internal_gemmt_kernelIiLi16ELi32ELi8ELc78ELc67ELc76ELb0ELb1E19rocblas_complex_numIfEPKS1_PKS3_PKPS1_EviT_T9_T10_S9_lSB_S9_lSA_T11_S9_li.num_agpr, 0
	.set _ZL29rocblas_internal_gemmt_kernelIiLi16ELi32ELi8ELc78ELc67ELc76ELb0ELb1E19rocblas_complex_numIfEPKS1_PKS3_PKPS1_EviT_T9_T10_S9_lSB_S9_lSA_T11_S9_li.numbered_sgpr, 39
	.set _ZL29rocblas_internal_gemmt_kernelIiLi16ELi32ELi8ELc78ELc67ELc76ELb0ELb1E19rocblas_complex_numIfEPKS1_PKS3_PKPS1_EviT_T9_T10_S9_lSB_S9_lSA_T11_S9_li.num_named_barrier, 0
	.set _ZL29rocblas_internal_gemmt_kernelIiLi16ELi32ELi8ELc78ELc67ELc76ELb0ELb1E19rocblas_complex_numIfEPKS1_PKS3_PKPS1_EviT_T9_T10_S9_lSB_S9_lSA_T11_S9_li.private_seg_size, 0
	.set _ZL29rocblas_internal_gemmt_kernelIiLi16ELi32ELi8ELc78ELc67ELc76ELb0ELb1E19rocblas_complex_numIfEPKS1_PKS3_PKPS1_EviT_T9_T10_S9_lSB_S9_lSA_T11_S9_li.uses_vcc, 1
	.set _ZL29rocblas_internal_gemmt_kernelIiLi16ELi32ELi8ELc78ELc67ELc76ELb0ELb1E19rocblas_complex_numIfEPKS1_PKS3_PKPS1_EviT_T9_T10_S9_lSB_S9_lSA_T11_S9_li.uses_flat_scratch, 0
	.set _ZL29rocblas_internal_gemmt_kernelIiLi16ELi32ELi8ELc78ELc67ELc76ELb0ELb1E19rocblas_complex_numIfEPKS1_PKS3_PKPS1_EviT_T9_T10_S9_lSB_S9_lSA_T11_S9_li.has_dyn_sized_stack, 0
	.set _ZL29rocblas_internal_gemmt_kernelIiLi16ELi32ELi8ELc78ELc67ELc76ELb0ELb1E19rocblas_complex_numIfEPKS1_PKS3_PKPS1_EviT_T9_T10_S9_lSB_S9_lSA_T11_S9_li.has_recursion, 0
	.set _ZL29rocblas_internal_gemmt_kernelIiLi16ELi32ELi8ELc78ELc67ELc76ELb0ELb1E19rocblas_complex_numIfEPKS1_PKS3_PKPS1_EviT_T9_T10_S9_lSB_S9_lSA_T11_S9_li.has_indirect_call, 0
	.section	.AMDGPU.csdata,"",@progbits
; Kernel info:
; codeLenInByte = 3220
; TotalNumSgprs: 41
; NumVgprs: 71
; ScratchSize: 0
; MemoryBound: 1
; FloatMode: 240
; IeeeMode: 1
; LDSByteSize: 4096 bytes/workgroup (compile time only)
; SGPRBlocks: 0
; VGPRBlocks: 8
; NumSGPRsForWavesPerEU: 41
; NumVGPRsForWavesPerEU: 71
; Occupancy: 16
; WaveLimiterHint : 1
; COMPUTE_PGM_RSRC2:SCRATCH_EN: 0
; COMPUTE_PGM_RSRC2:USER_SGPR: 2
; COMPUTE_PGM_RSRC2:TRAP_HANDLER: 0
; COMPUTE_PGM_RSRC2:TGID_X_EN: 1
; COMPUTE_PGM_RSRC2:TGID_Y_EN: 1
; COMPUTE_PGM_RSRC2:TGID_Z_EN: 1
; COMPUTE_PGM_RSRC2:TIDIG_COMP_CNT: 1
	.section	.text._ZL29rocblas_internal_gemmt_kernelIiLi16ELi32ELi8ELc84ELc78ELc76ELb0ELb0E19rocblas_complex_numIfEPKS1_PKS3_PKPS1_EviT_T9_T10_S9_lSB_S9_lSA_T11_S9_li,"axG",@progbits,_ZL29rocblas_internal_gemmt_kernelIiLi16ELi32ELi8ELc84ELc78ELc76ELb0ELb0E19rocblas_complex_numIfEPKS1_PKS3_PKPS1_EviT_T9_T10_S9_lSB_S9_lSA_T11_S9_li,comdat
	.globl	_ZL29rocblas_internal_gemmt_kernelIiLi16ELi32ELi8ELc84ELc78ELc76ELb0ELb0E19rocblas_complex_numIfEPKS1_PKS3_PKPS1_EviT_T9_T10_S9_lSB_S9_lSA_T11_S9_li ; -- Begin function _ZL29rocblas_internal_gemmt_kernelIiLi16ELi32ELi8ELc84ELc78ELc76ELb0ELb0E19rocblas_complex_numIfEPKS1_PKS3_PKPS1_EviT_T9_T10_S9_lSB_S9_lSA_T11_S9_li
	.p2align	8
	.type	_ZL29rocblas_internal_gemmt_kernelIiLi16ELi32ELi8ELc84ELc78ELc76ELb0ELb0E19rocblas_complex_numIfEPKS1_PKS3_PKPS1_EviT_T9_T10_S9_lSB_S9_lSA_T11_S9_li,@function
_ZL29rocblas_internal_gemmt_kernelIiLi16ELi32ELi8ELc84ELc78ELc76ELb0ELb0E19rocblas_complex_numIfEPKS1_PKS3_PKPS1_EviT_T9_T10_S9_lSB_S9_lSA_T11_S9_li: ; @_ZL29rocblas_internal_gemmt_kernelIiLi16ELi32ELi8ELc84ELc78ELc76ELb0ELb0E19rocblas_complex_numIfEPKS1_PKS3_PKPS1_EviT_T9_T10_S9_lSB_S9_lSA_T11_S9_li
; %bb.0:
	s_load_b128 s[12:15], s[0:1], 0x38
	s_wait_kmcnt 0x0
	s_load_b64 s[14:15], s[14:15], 0x0
	s_clause 0x1
	s_load_b128 s[4:7], s[0:1], 0x8
	s_load_b64 s[20:21], s[0:1], 0x0
	s_wait_kmcnt 0x0
	s_load_b64 s[22:23], s[4:5], 0x0
	s_cmp_eq_f32 s14, 1.0
	s_cselect_b32 s3, -1, 0
	s_and_b32 s2, s15, 0x7fffffff
	s_delay_alu instid0(SALU_CYCLE_1) | instskip(SKIP_1) | instid1(SALU_CYCLE_1)
	s_cmp_eq_u32 s2, 0
	s_cselect_b32 s2, -1, 0
	s_and_b32 s4, s3, s2
	s_mov_b32 s3, 0
	s_and_not1_b32 vcc_lo, exec_lo, s4
	s_mov_b32 s4, -1
	s_cbranch_vccnz .LBB372_4
; %bb.1:
	s_cmp_lg_u32 s21, 0
	s_cbranch_scc0 .LBB372_3
; %bb.2:
	s_wait_kmcnt 0x0
	s_cmp_neq_f32 s22, 0
	s_cselect_b32 s3, -1, 0
	s_cmp_neq_f32 s23, 0
	s_cselect_b32 s4, -1, 0
	s_delay_alu instid0(SALU_CYCLE_1)
	s_or_b32 s3, s3, s4
.LBB372_3:
	s_delay_alu instid0(SALU_CYCLE_1)
	s_mov_b32 s4, s3
.LBB372_4:
	s_delay_alu instid0(SALU_CYCLE_1)
	s_and_b32 vcc_lo, exec_lo, s4
	s_cbranch_vccz .LBB372_39
; %bb.5:
	s_load_b32 s5, s[0:1], 0x60
	s_lshr_b32 s24, ttmp7, 16
	s_wait_kmcnt 0x0
	s_cmp_ge_u32 s24, s5
	s_cbranch_scc1 .LBB372_39
; %bb.6:
	v_and_b32_e32 v1, 0x3ff, v0
	v_bfe_u32 v2, v0, 10, 10
	v_and_b32_e32 v16, 7, v0
	s_lshl_b32 s3, ttmp7, 5
	s_clause 0x4
	s_load_b32 s28, s[0:1], 0x18
	s_load_b128 s[8:11], s[0:1], 0x20
	s_load_b32 s29, s[0:1], 0x30
	s_load_b96 s[16:18], s[0:1], 0x48
	s_load_b64 s[26:27], s[0:1], 0x58
	v_lshl_add_u32 v0, v2, 4, v1
	s_lshl_b32 s4, ttmp9, 5
	s_and_b32 s3, s3, 0x1fffe0
	s_cmp_neq_f32 s22, 0
	v_lshlrev_b32_e32 v14, 3, v16
	v_lshrrev_b32_e32 v17, 5, v0
	v_lshrrev_b32_e32 v3, 3, v0
	v_and_b32_e32 v0, 31, v0
	s_cselect_b32 s19, -1, 0
	s_cmp_neq_f32 s23, 0
	v_add_nc_u32_e32 v6, s4, v1
	v_add_nc_u32_e32 v5, s3, v3
	v_or_b32_e32 v4, s4, v0
	v_lshlrev_b32_e32 v0, 3, v0
	s_cselect_b32 s0, -1, 0
	v_lshl_or_b32 v3, v3, 6, v14
	s_or_b32 s30, s19, s0
	s_cmp_gt_i32 s21, 0
	v_lshl_or_b32 v18, v17, 8, v0
	v_add_nc_u32_e32 v0, s3, v2
	v_add_nc_u32_e32 v8, 16, v6
	s_cselect_b32 s31, -1, 0
	s_cmp_neq_f32 s14, 0
	v_cmp_gt_i32_e32 vcc_lo, s20, v4
	v_add_nc_u32_e32 v19, 0x800, v3
	s_wait_kmcnt 0x0
	v_mad_co_i64_i32 v[3:4], null, s28, v4, 0
	v_lshlrev_b32_e32 v20, 3, v1
	v_lshl_add_u32 v21, v2, 6, 0x800
	s_cselect_b32 s33, -1, 0
	s_xor_b32 s34, s2, -1
	v_cmp_le_i32_e64 s1, v0, v6
	v_cmp_gt_i32_e64 s2, s20, v6
	v_cmp_le_i32_e64 s3, v0, v8
	v_cmp_gt_i32_e64 s4, s20, v8
	v_mad_co_i64_i32 v[1:2], null, v0, s18, 0
	v_add_nc_u32_e32 v0, 16, v0
	v_mad_co_i64_i32 v[10:11], null, s29, v5, 0
	v_cmp_gt_i32_e64 s0, s20, v5
	s_and_b32 s19, s1, s2
	s_and_b32 s20, s3, s4
	v_cmp_le_i32_e64 s1, v0, v6
	v_cmp_le_i32_e64 s3, v0, v8
	v_lshlrev_b64_e32 v[3:4], 3, v[3:4]
	v_mad_co_i64_i32 v[12:13], null, v0, s18, 0
	s_and_b32 s18, s1, s2
	s_and_b32 s4, s3, s4
	s_lshl_b64 s[2:3], s[8:9], 3
	v_lshlrev_b64_e32 v[10:11], 3, v[10:11]
	s_wait_alu 0xfffe
	v_add_co_u32 v3, s1, v3, s2
	s_delay_alu instid0(VALU_DEP_1)
	v_add_co_ci_u32_e64 v4, null, s3, v4, s1
	v_lshlrev_b32_e32 v5, 3, v17
	s_lshl_b64 s[2:3], s[12:13], 3
	v_ashrrev_i32_e32 v7, 31, v6
	s_wait_alu 0xfffe
	v_add_co_u32 v10, s1, v10, s2
	v_ashrrev_i32_e32 v9, 31, v8
	s_wait_alu 0xf1ff
	v_add_co_ci_u32_e64 v11, null, s3, v11, s1
	v_add_co_u32 v22, s1, v3, v5
	s_wait_alu 0xf1ff
	v_add_co_ci_u32_e64 v23, null, 0, v4, s1
	v_add_co_u32 v24, s1, v10, v14
	v_lshlrev_b64_e32 v[2:3], 3, v[1:2]
	v_lshlrev_b64_e32 v[4:5], 3, v[12:13]
	;; [unrolled: 1-line block ×4, first 2 shown]
	v_mov_b32_e32 v0, 0
	s_wait_alu 0xf1ff
	v_add_co_ci_u32_e64 v25, null, 0, v11, s1
	s_mov_b32 s25, 0
	s_and_b32 s8, s30, s31
	s_or_b32 s9, s33, s34
	s_xor_b32 s12, vcc_lo, -1
	s_xor_b32 s13, s0, -1
	s_lshl_b64 s[0:1], s[26:27], 3
	s_branch .LBB372_8
.LBB372_7:                              ;   in Loop: Header=BB372_8 Depth=1
	s_wait_alu 0xfffe
	s_or_b32 exec_lo, exec_lo, s2
	s_add_co_i32 s24, s24, 0x10000
	s_delay_alu instid0(SALU_CYCLE_1)
	s_cmp_lt_u32 s24, s5
	s_cbranch_scc0 .LBB372_39
.LBB372_8:                              ; =>This Loop Header: Depth=1
                                        ;     Child Loop BB372_11 Depth 2
	s_lshl_b64 s[2:3], s[24:25], 3
	v_dual_mov_b32 v33, v0 :: v_dual_mov_b32 v32, v0
	s_wait_alu 0xfffe
	s_add_nc_u64 s[26:27], s[16:17], s[2:3]
	v_dual_mov_b32 v30, v0 :: v_dual_mov_b32 v31, v0
	global_load_b64 v[10:11], v0, s[26:27]
	v_dual_mov_b32 v28, v0 :: v_dual_mov_b32 v29, v0
	v_dual_mov_b32 v27, v0 :: v_dual_mov_b32 v26, v0
	s_and_not1_b32 vcc_lo, exec_lo, s8
	s_wait_alu 0xfffe
	s_cbranch_vccnz .LBB372_19
; %bb.9:                                ;   in Loop: Header=BB372_8 Depth=1
	s_add_nc_u64 s[26:27], s[6:7], s[2:3]
	s_add_nc_u64 s[2:3], s[10:11], s[2:3]
	s_clause 0x1
	global_load_b64 v[12:13], v0, s[26:27]
	global_load_b64 v[14:15], v0, s[2:3]
	v_dual_mov_b32 v26, 0 :: v_dual_mov_b32 v27, 0
	v_dual_mov_b32 v29, 0 :: v_dual_mov_b32 v28, 0
	;; [unrolled: 1-line block ×4, first 2 shown]
	s_mov_b32 s2, 0
	s_wait_loadcnt 0x1
	v_add_co_u32 v12, vcc_lo, v12, v22
	s_wait_alu 0xfffd
	v_add_co_ci_u32_e64 v13, null, v13, v23, vcc_lo
	s_wait_loadcnt 0x0
	v_add_co_u32 v14, vcc_lo, v14, v24
	s_wait_alu 0xfffd
	v_add_co_ci_u32_e64 v15, null, v15, v25, vcc_lo
	s_branch .LBB372_11
.LBB372_10:                             ;   in Loop: Header=BB372_11 Depth=2
	s_wait_alu 0xfffe
	s_or_b32 exec_lo, exec_lo, s3
	s_wait_dscnt 0x0
	s_barrier_signal -1
	s_barrier_wait -1
	global_inv scope:SCOPE_SE
	ds_load_b128 v[34:37], v21
	ds_load_2addr_b64 v[38:41], v20 offset1:16
	ds_load_b128 v[42:45], v21 offset:1024
	ds_load_b128 v[46:49], v21 offset:16
	;; [unrolled: 1-line block ×4, first 2 shown]
	ds_load_2addr_b64 v[58:61], v20 offset0:32 offset1:48
	ds_load_b128 v[62:65], v21 offset:1040
	v_add_co_u32 v12, vcc_lo, v12, 64
	s_wait_alu 0xfffd
	v_add_co_ci_u32_e64 v13, null, 0, v13, vcc_lo
	v_add_co_u32 v14, vcc_lo, v14, 64
	s_wait_alu 0xfffd
	v_add_co_ci_u32_e64 v15, null, 0, v15, vcc_lo
	s_add_co_i32 s2, s2, 8
	s_wait_alu 0xfffe
	s_cmp_lt_i32 s2, s21
	s_wait_dscnt 0x6
	v_dual_mul_f32 v1, v35, v39 :: v_dual_mul_f32 v68, v34, v41
	v_dual_mul_f32 v66, v34, v39 :: v_dual_mul_f32 v67, v35, v41
	s_wait_dscnt 0x5
	v_mul_f32_e32 v70, v43, v41
	s_delay_alu instid0(VALU_DEP_3) | instskip(SKIP_3) | instid1(VALU_DEP_4)
	v_fma_f32 v1, v34, v38, -v1
	v_dual_mul_f32 v41, v42, v41 :: v_dual_fmac_f32 v68, v35, v40
	v_fmac_f32_e32 v66, v35, v38
	v_fma_f32 v34, v34, v40, -v67
	v_add_f32_e32 v1, v33, v1
	v_mul_f32_e32 v69, v43, v39
	s_delay_alu instid0(VALU_DEP_4) | instskip(NEXT) | instid1(VALU_DEP_4)
	v_dual_mul_f32 v39, v42, v39 :: v_dual_add_f32 v32, v32, v66
	v_add_f32_e32 v33, v30, v34
	v_fmac_f32_e32 v41, v43, v40
	s_delay_alu instid0(VALU_DEP_4) | instskip(NEXT) | instid1(VALU_DEP_4)
	v_fma_f32 v35, v42, v38, -v69
	v_fmac_f32_e32 v39, v43, v38
	v_fma_f32 v38, v42, v40, -v70
	s_wait_dscnt 0x1
	v_dual_mul_f32 v40, v36, v59 :: v_dual_add_f32 v31, v31, v68
	v_mul_f32_e32 v42, v37, v61
	v_add_f32_e32 v34, v28, v35
	v_dual_add_f32 v35, v29, v39 :: v_dual_add_f32 v38, v27, v38
	ds_load_2addr_b64 v[27:30], v20 offset0:64 offset1:80
	v_fmac_f32_e32 v40, v37, v58
	v_dual_mul_f32 v39, v37, v59 :: v_dual_add_f32 v26, v26, v41
	v_mul_f32_e32 v41, v36, v61
	s_delay_alu instid0(VALU_DEP_3) | instskip(NEXT) | instid1(VALU_DEP_3)
	v_add_f32_e32 v40, v32, v40
	v_fma_f32 v39, v36, v58, -v39
	v_fma_f32 v36, v36, v60, -v42
	v_mul_f32_e32 v32, v44, v59
	s_delay_alu instid0(VALU_DEP_3) | instskip(SKIP_1) | instid1(VALU_DEP_4)
	v_add_f32_e32 v1, v1, v39
	v_mul_f32_e32 v39, v45, v59
	v_add_f32_e32 v36, v33, v36
	v_fmac_f32_e32 v41, v37, v60
	v_mul_f32_e32 v37, v45, v61
	v_fmac_f32_e32 v32, v45, v58
	v_fma_f32 v33, v44, v58, -v39
	s_delay_alu instid0(VALU_DEP_4) | instskip(SKIP_4) | instid1(VALU_DEP_3)
	v_add_f32_e32 v39, v31, v41
	v_mul_f32_e32 v41, v44, v61
	v_fma_f32 v31, v44, v60, -v37
	s_wait_dscnt 0x0
	v_dual_add_f32 v42, v34, v33 :: v_dual_mul_f32 v33, v47, v28
	v_dual_mul_f32 v44, v47, v30 :: v_dual_fmac_f32 v41, v45, v60
	v_mul_f32_e32 v37, v46, v28
	v_add_f32_e32 v38, v38, v31
	s_delay_alu instid0(VALU_DEP_3) | instskip(SKIP_3) | instid1(VALU_DEP_2)
	v_add_f32_e32 v41, v26, v41
	v_mul_f32_e32 v26, v46, v30
	v_fma_f32 v43, v46, v27, -v33
	v_fmac_f32_e32 v37, v47, v27
	v_dual_fmac_f32 v26, v47, v29 :: v_dual_add_f32 v1, v1, v43
	v_fma_f32 v43, v46, v29, -v44
	v_add_f32_e32 v35, v35, v32
	ds_load_2addr_b64 v[31:34], v20 offset0:96 offset1:112
	v_dual_add_f32 v37, v40, v37 :: v_dual_mul_f32 v40, v63, v28
	v_mul_f32_e32 v28, v62, v28
	v_dual_add_f32 v36, v36, v43 :: v_dual_mul_f32 v43, v63, v30
	v_mul_f32_e32 v30, v62, v30
	s_delay_alu instid0(VALU_DEP_4) | instskip(NEXT) | instid1(VALU_DEP_4)
	v_fma_f32 v40, v62, v27, -v40
	v_fmac_f32_e32 v28, v63, v27
	v_add_f32_e32 v39, v39, v26
	v_fma_f32 v26, v62, v29, -v43
	v_fmac_f32_e32 v30, v63, v29
	v_add_f32_e32 v40, v42, v40
	s_delay_alu instid0(VALU_DEP_3)
	v_dual_add_f32 v42, v35, v28 :: v_dual_add_f32 v43, v38, v26
	ds_load_2addr_b64 v[26:29], v20 offset0:128 offset1:144
	s_wait_dscnt 0x1
	v_mul_f32_e32 v35, v49, v32
	v_mul_f32_e32 v38, v48, v32
	;; [unrolled: 1-line block ×4, first 2 shown]
	s_delay_alu instid0(VALU_DEP_4) | instskip(NEXT) | instid1(VALU_DEP_4)
	v_fma_f32 v35, v48, v31, -v35
	v_fmac_f32_e32 v38, v49, v31
	s_delay_alu instid0(VALU_DEP_2) | instskip(SKIP_1) | instid1(VALU_DEP_3)
	v_add_f32_e32 v1, v1, v35
	v_mul_f32_e32 v35, v65, v32
	v_dual_mul_f32 v32, v64, v32 :: v_dual_add_f32 v45, v37, v38
	s_delay_alu instid0(VALU_DEP_2) | instskip(NEXT) | instid1(VALU_DEP_2)
	v_fma_f32 v46, v64, v31, -v35
	v_fmac_f32_e32 v32, v65, v31
	s_wait_dscnt 0x0
	v_mul_f32_e32 v31, v51, v27
	v_fma_f32 v44, v48, v33, -v44
	v_add_f32_e32 v41, v41, v30
	v_mul_f32_e32 v30, v48, v34
	v_mul_f32_e32 v58, v50, v29
	s_delay_alu instid0(VALU_DEP_4) | instskip(SKIP_2) | instid1(VALU_DEP_1)
	v_add_f32_e32 v44, v36, v44
	ds_load_b128 v[35:38], v21 offset:1056
	v_dual_fmac_f32 v30, v49, v33 :: v_dual_mul_f32 v49, v50, v27
	v_add_f32_e32 v48, v39, v30
	v_fma_f32 v30, v64, v33, -v47
	v_fma_f32 v39, v50, v26, -v31
	v_mul_f32_e32 v34, v64, v34
	v_fmac_f32_e32 v49, v51, v26
	v_add_f32_e32 v46, v40, v46
	v_add_f32_e32 v43, v43, v30
	;; [unrolled: 1-line block ×4, first 2 shown]
	v_fmac_f32_e32 v34, v65, v33
	ds_load_2addr_b64 v[30:33], v20 offset0:160 offset1:176
	v_mul_f32_e32 v40, v51, v29
	v_add_f32_e32 v45, v45, v49
	v_add_f32_e32 v34, v41, v34
	s_delay_alu instid0(VALU_DEP_3)
	v_fma_f32 v50, v50, v28, -v40
	ds_load_b128 v[39:42], v21 offset:1072
	s_wait_dscnt 0x2
	v_mul_f32_e32 v59, v36, v27
	v_dual_mul_f32 v27, v35, v27 :: v_dual_add_f32 v44, v44, v50
	v_fmac_f32_e32 v58, v51, v28
	v_mul_f32_e32 v50, v36, v29
	s_delay_alu instid0(VALU_DEP_4) | instskip(NEXT) | instid1(VALU_DEP_4)
	v_fma_f32 v49, v35, v26, -v59
	v_fmac_f32_e32 v27, v36, v26
	s_delay_alu instid0(VALU_DEP_4) | instskip(SKIP_1) | instid1(VALU_DEP_3)
	v_dual_mul_f32 v51, v35, v29 :: v_dual_add_f32 v48, v48, v58
	s_wait_dscnt 0x1
	v_dual_add_f32 v46, v46, v49 :: v_dual_mul_f32 v29, v53, v31
	v_fma_f32 v26, v35, v28, -v50
	v_add_f32_e32 v35, v47, v27
	v_fmac_f32_e32 v51, v36, v28
	v_mul_f32_e32 v36, v52, v31
	v_fma_f32 v47, v52, v30, -v29
	v_add_f32_e32 v43, v43, v26
	ds_load_2addr_b64 v[26:29], v20 offset0:192 offset1:208
	v_fmac_f32_e32 v36, v53, v30
	v_dual_mul_f32 v49, v53, v33 :: v_dual_add_f32 v50, v34, v51
	v_dual_add_f32 v1, v1, v47 :: v_dual_mul_f32 v34, v52, v33
	s_delay_alu instid0(VALU_DEP_3) | instskip(NEXT) | instid1(VALU_DEP_3)
	v_dual_add_f32 v45, v45, v36 :: v_dual_mul_f32 v36, v38, v31
	v_fma_f32 v47, v52, v32, -v49
	s_delay_alu instid0(VALU_DEP_3) | instskip(NEXT) | instid1(VALU_DEP_3)
	v_fmac_f32_e32 v34, v53, v32
	v_fma_f32 v36, v37, v30, -v36
	s_delay_alu instid0(VALU_DEP_3) | instskip(SKIP_1) | instid1(VALU_DEP_3)
	v_dual_add_f32 v44, v44, v47 :: v_dual_mul_f32 v47, v38, v33
	v_mul_f32_e32 v31, v37, v31
	v_dual_mul_f32 v33, v37, v33 :: v_dual_add_f32 v46, v46, v36
	s_delay_alu instid0(VALU_DEP_2) | instskip(SKIP_2) | instid1(VALU_DEP_4)
	v_fmac_f32_e32 v31, v38, v30
	v_add_f32_e32 v30, v48, v34
	v_fma_f32 v34, v37, v32, -v47
	v_fmac_f32_e32 v33, v38, v32
	s_wait_dscnt 0x0
	v_mul_f32_e32 v38, v54, v27
	v_dual_add_f32 v31, v35, v31 :: v_dual_mul_f32 v48, v54, v29
	v_add_f32_e32 v32, v43, v34
	ds_load_2addr_b64 v[34:37], v20 offset0:224 offset1:240
	v_dual_add_f32 v33, v50, v33 :: v_dual_fmac_f32 v38, v55, v26
	v_mul_f32_e32 v47, v55, v27
	v_fmac_f32_e32 v48, v55, v28
	s_wait_loadcnt_dscnt 0x0
	s_barrier_signal -1
	v_add_f32_e32 v38, v45, v38
	v_fma_f32 v43, v54, v26, -v47
	v_mul_f32_e32 v47, v55, v29
	v_mul_f32_e32 v45, v40, v29
	;; [unrolled: 1-line block ×3, first 2 shown]
	s_barrier_wait -1
	v_add_f32_e32 v1, v1, v43
	v_fma_f32 v47, v54, v28, -v47
	v_mul_f32_e32 v43, v40, v27
	v_fmac_f32_e32 v29, v40, v28
	global_inv scope:SCOPE_SE
	v_dual_add_f32 v44, v44, v47 :: v_dual_add_f32 v47, v30, v48
	v_fma_f32 v30, v39, v28, -v45
	v_mul_f32_e32 v27, v39, v27
	s_delay_alu instid0(VALU_DEP_1) | instskip(NEXT) | instid1(VALU_DEP_3)
	v_fmac_f32_e32 v27, v40, v26
	v_add_f32_e32 v40, v32, v30
	v_mul_f32_e32 v30, v57, v37
	v_fma_f32 v43, v39, v26, -v43
	v_mul_f32_e32 v39, v57, v35
	s_delay_alu instid0(VALU_DEP_2) | instskip(NEXT) | instid1(VALU_DEP_2)
	v_add_f32_e32 v26, v46, v43
	v_fma_f32 v28, v56, v34, -v39
	v_add_f32_e32 v39, v33, v29
	v_mul_f32_e32 v29, v41, v35
	s_delay_alu instid0(VALU_DEP_3) | instskip(SKIP_2) | instid1(VALU_DEP_2)
	v_add_f32_e32 v33, v1, v28
	v_fma_f32 v1, v56, v36, -v30
	v_mul_f32_e32 v28, v42, v35
	v_dual_fmac_f32 v29, v42, v34 :: v_dual_add_f32 v30, v44, v1
	s_delay_alu instid0(VALU_DEP_2) | instskip(SKIP_2) | instid1(VALU_DEP_2)
	v_fma_f32 v1, v41, v34, -v28
	v_mul_f32_e32 v43, v56, v35
	v_mul_f32_e32 v35, v42, v37
	v_dual_add_f32 v28, v26, v1 :: v_dual_fmac_f32 v43, v57, v34
	s_delay_alu instid0(VALU_DEP_2) | instskip(NEXT) | instid1(VALU_DEP_2)
	v_fma_f32 v34, v41, v36, -v35
	v_add_f32_e32 v32, v38, v43
	v_add_f32_e32 v27, v31, v27
	v_mul_f32_e32 v31, v56, v37
	v_mul_f32_e32 v37, v41, v37
	s_delay_alu instid0(VALU_DEP_3) | instskip(NEXT) | instid1(VALU_DEP_3)
	v_add_f32_e32 v29, v27, v29
	v_fmac_f32_e32 v31, v57, v36
	s_delay_alu instid0(VALU_DEP_3) | instskip(SKIP_1) | instid1(VALU_DEP_3)
	v_fmac_f32_e32 v37, v42, v36
	v_add_f32_e32 v27, v40, v34
	v_add_f32_e32 v31, v47, v31
	s_delay_alu instid0(VALU_DEP_3)
	v_add_f32_e32 v26, v39, v37
	s_cbranch_scc0 .LBB372_19
.LBB372_11:                             ;   Parent Loop BB372_8 Depth=1
                                        ; =>  This Inner Loop Header: Depth=2
	s_wait_alu 0xfffe
	v_add_nc_u32_e32 v1, s2, v17
	s_delay_alu instid0(VALU_DEP_1) | instskip(SKIP_3) | instid1(SALU_CYCLE_1)
	v_cmp_le_i32_e32 vcc_lo, s21, v1
	s_or_b32 s3, s12, vcc_lo
	s_wait_alu 0xfffe
	s_and_saveexec_b32 s26, s3
	s_xor_b32 s3, exec_lo, s26
; %bb.12:                               ;   in Loop: Header=BB372_11 Depth=2
	v_mov_b32_e32 v1, v0
	ds_store_b64 v18, v[0:1]
; %bb.13:                               ;   in Loop: Header=BB372_11 Depth=2
	s_wait_alu 0xfffe
	s_and_not1_saveexec_b32 s3, s3
	s_cbranch_execz .LBB372_15
; %bb.14:                               ;   in Loop: Header=BB372_11 Depth=2
	flat_load_b64 v[34:35], v[12:13]
	s_wait_loadcnt_dscnt 0x0
	ds_store_b64 v18, v[34:35]
.LBB372_15:                             ;   in Loop: Header=BB372_11 Depth=2
	s_wait_alu 0xfffe
	s_or_b32 exec_lo, exec_lo, s3
	v_add_nc_u32_e32 v1, s2, v16
	s_delay_alu instid0(VALU_DEP_1) | instskip(SKIP_3) | instid1(SALU_CYCLE_1)
	v_cmp_le_i32_e32 vcc_lo, s21, v1
	s_or_b32 s3, vcc_lo, s13
	s_wait_alu 0xfffe
	s_and_saveexec_b32 s26, s3
	s_xor_b32 s3, exec_lo, s26
; %bb.16:                               ;   in Loop: Header=BB372_11 Depth=2
	v_mov_b32_e32 v1, v0
	ds_store_b64 v19, v[0:1]
; %bb.17:                               ;   in Loop: Header=BB372_11 Depth=2
	s_wait_alu 0xfffe
	s_and_not1_saveexec_b32 s3, s3
	s_cbranch_execz .LBB372_10
; %bb.18:                               ;   in Loop: Header=BB372_11 Depth=2
	flat_load_b64 v[34:35], v[14:15]
	s_wait_loadcnt_dscnt 0x0
	ds_store_b64 v19, v[34:35]
	s_branch .LBB372_10
.LBB372_19:                             ;   in Loop: Header=BB372_8 Depth=1
	s_wait_loadcnt 0x0
	v_add_co_u32 v1, vcc_lo, v10, s0
	s_wait_alu 0xfffd
	v_add_co_ci_u32_e64 v12, null, s1, v11, vcc_lo
	s_delay_alu instid0(VALU_DEP_2) | instskip(SKIP_1) | instid1(VALU_DEP_2)
	v_add_co_u32 v13, vcc_lo, v1, v2
	s_wait_alu 0xfffd
	v_add_co_ci_u32_e64 v14, null, v12, v3, vcc_lo
	s_and_saveexec_b32 s2, s19
	s_cbranch_execz .LBB372_24
; %bb.20:                               ;   in Loop: Header=BB372_8 Depth=1
	v_mul_f32_e32 v11, s22, v32
	v_mul_f32_e32 v10, s23, v32
	s_and_b32 vcc_lo, exec_lo, s9
	s_mov_b32 s3, -1
	s_delay_alu instid0(VALU_DEP_2) | instskip(NEXT) | instid1(VALU_DEP_2)
	v_fmac_f32_e32 v11, s23, v33
	v_fma_f32 v10, v33, s22, -v10
	s_wait_alu 0xfffe
	s_cbranch_vccz .LBB372_22
; %bb.21:                               ;   in Loop: Header=BB372_8 Depth=1
	v_add_co_u32 v32, vcc_lo, v13, v6
	s_wait_alu 0xfffd
	v_add_co_ci_u32_e64 v33, null, v14, v7, vcc_lo
	s_mov_b32 s3, 0
	flat_load_b64 v[34:35], v[32:33]
	s_wait_loadcnt_dscnt 0x0
	v_mul_f32_e32 v15, s15, v35
	v_mul_f32_e32 v35, s14, v35
	s_delay_alu instid0(VALU_DEP_2) | instskip(NEXT) | instid1(VALU_DEP_1)
	v_fma_f32 v15, v34, s14, -v15
	v_dual_fmac_f32 v35, s15, v34 :: v_dual_add_f32 v34, v10, v15
	s_delay_alu instid0(VALU_DEP_1)
	v_add_f32_e32 v35, v11, v35
	flat_store_b64 v[32:33], v[34:35]
.LBB372_22:                             ;   in Loop: Header=BB372_8 Depth=1
	s_wait_alu 0xfffe
	s_and_not1_b32 vcc_lo, exec_lo, s3
	s_wait_alu 0xfffe
	s_cbranch_vccnz .LBB372_24
; %bb.23:                               ;   in Loop: Header=BB372_8 Depth=1
	v_add_co_u32 v32, vcc_lo, v13, v6
	s_wait_alu 0xfffd
	v_add_co_ci_u32_e64 v33, null, v14, v7, vcc_lo
	flat_store_b64 v[32:33], v[10:11]
.LBB372_24:                             ;   in Loop: Header=BB372_8 Depth=1
	s_wait_alu 0xfffe
	s_or_b32 exec_lo, exec_lo, s2
	s_and_saveexec_b32 s2, s20
	s_cbranch_execz .LBB372_29
; %bb.25:                               ;   in Loop: Header=BB372_8 Depth=1
	v_mul_f32_e32 v11, s22, v31
	v_mul_f32_e32 v10, s23, v31
	s_and_not1_b32 vcc_lo, exec_lo, s9
	s_mov_b32 s3, -1
	s_delay_alu instid0(VALU_DEP_2) | instskip(NEXT) | instid1(VALU_DEP_2)
	v_fmac_f32_e32 v11, s23, v30
	v_fma_f32 v10, v30, s22, -v10
	s_wait_alu 0xfffe
	s_cbranch_vccnz .LBB372_27
; %bb.26:                               ;   in Loop: Header=BB372_8 Depth=1
	v_add_co_u32 v30, vcc_lo, v13, v8
	s_wait_alu 0xfffd
	v_add_co_ci_u32_e64 v31, null, v14, v9, vcc_lo
	s_mov_b32 s3, 0
	flat_load_b64 v[32:33], v[30:31]
	s_wait_loadcnt_dscnt 0x0
	v_mul_f32_e32 v15, s15, v33
	s_delay_alu instid0(VALU_DEP_1) | instskip(SKIP_1) | instid1(VALU_DEP_1)
	v_fma_f32 v15, v32, s14, -v15
	v_mul_f32_e32 v33, s14, v33
	v_dual_fmac_f32 v33, s15, v32 :: v_dual_add_f32 v32, v10, v15
	s_delay_alu instid0(VALU_DEP_1)
	v_add_f32_e32 v33, v11, v33
	flat_store_b64 v[30:31], v[32:33]
.LBB372_27:                             ;   in Loop: Header=BB372_8 Depth=1
	s_wait_alu 0xfffe
	s_and_not1_b32 vcc_lo, exec_lo, s3
	s_wait_alu 0xfffe
	s_cbranch_vccnz .LBB372_29
; %bb.28:                               ;   in Loop: Header=BB372_8 Depth=1
	v_add_co_u32 v13, vcc_lo, v13, v8
	s_wait_alu 0xfffd
	v_add_co_ci_u32_e64 v14, null, v14, v9, vcc_lo
	flat_store_b64 v[13:14], v[10:11]
.LBB372_29:                             ;   in Loop: Header=BB372_8 Depth=1
	s_wait_alu 0xfffe
	s_or_b32 exec_lo, exec_lo, s2
	v_add_co_u32 v1, vcc_lo, v1, v4
	s_wait_alu 0xfffd
	v_add_co_ci_u32_e64 v12, null, v12, v5, vcc_lo
	s_and_saveexec_b32 s2, s18
	s_cbranch_execz .LBB372_34
; %bb.30:                               ;   in Loop: Header=BB372_8 Depth=1
	v_mul_f32_e32 v11, s22, v29
	v_mul_f32_e32 v10, s23, v29
	s_and_not1_b32 vcc_lo, exec_lo, s9
	s_mov_b32 s3, -1
	s_delay_alu instid0(VALU_DEP_2) | instskip(NEXT) | instid1(VALU_DEP_2)
	v_fmac_f32_e32 v11, s23, v28
	v_fma_f32 v10, v28, s22, -v10
	s_wait_alu 0xfffe
	s_cbranch_vccnz .LBB372_32
; %bb.31:                               ;   in Loop: Header=BB372_8 Depth=1
	v_add_co_u32 v13, vcc_lo, v1, v6
	s_wait_alu 0xfffd
	v_add_co_ci_u32_e64 v14, null, v12, v7, vcc_lo
	s_mov_b32 s3, 0
	flat_load_b64 v[28:29], v[13:14]
	s_wait_loadcnt_dscnt 0x0
	v_mul_f32_e32 v15, s15, v29
	s_delay_alu instid0(VALU_DEP_1) | instskip(SKIP_1) | instid1(VALU_DEP_1)
	v_fma_f32 v15, v28, s14, -v15
	v_mul_f32_e32 v29, s14, v29
	v_dual_fmac_f32 v29, s15, v28 :: v_dual_add_f32 v28, v10, v15
	s_delay_alu instid0(VALU_DEP_1)
	v_add_f32_e32 v29, v11, v29
	flat_store_b64 v[13:14], v[28:29]
.LBB372_32:                             ;   in Loop: Header=BB372_8 Depth=1
	s_wait_alu 0xfffe
	s_and_not1_b32 vcc_lo, exec_lo, s3
	s_wait_alu 0xfffe
	s_cbranch_vccnz .LBB372_34
; %bb.33:                               ;   in Loop: Header=BB372_8 Depth=1
	v_add_co_u32 v13, vcc_lo, v1, v6
	s_wait_alu 0xfffd
	v_add_co_ci_u32_e64 v14, null, v12, v7, vcc_lo
	flat_store_b64 v[13:14], v[10:11]
.LBB372_34:                             ;   in Loop: Header=BB372_8 Depth=1
	s_wait_alu 0xfffe
	s_or_b32 exec_lo, exec_lo, s2
	s_and_saveexec_b32 s2, s4
	s_cbranch_execz .LBB372_7
; %bb.35:                               ;   in Loop: Header=BB372_8 Depth=1
	v_mul_f32_e32 v11, s22, v26
	v_mul_f32_e32 v10, s23, v26
	s_and_not1_b32 vcc_lo, exec_lo, s9
	s_mov_b32 s3, -1
	s_delay_alu instid0(VALU_DEP_2) | instskip(NEXT) | instid1(VALU_DEP_2)
	v_fmac_f32_e32 v11, s23, v27
	v_fma_f32 v10, v27, s22, -v10
	s_wait_alu 0xfffe
	s_cbranch_vccnz .LBB372_37
; %bb.36:                               ;   in Loop: Header=BB372_8 Depth=1
	v_add_co_u32 v13, vcc_lo, v1, v8
	s_wait_alu 0xfffd
	v_add_co_ci_u32_e64 v14, null, v12, v9, vcc_lo
	s_mov_b32 s3, 0
	flat_load_b64 v[26:27], v[13:14]
	s_wait_loadcnt_dscnt 0x0
	v_mul_f32_e32 v15, s15, v27
	v_mul_f32_e32 v27, s14, v27
	s_delay_alu instid0(VALU_DEP_2) | instskip(NEXT) | instid1(VALU_DEP_1)
	v_fma_f32 v15, v26, s14, -v15
	v_dual_fmac_f32 v27, s15, v26 :: v_dual_add_f32 v26, v10, v15
	s_delay_alu instid0(VALU_DEP_1)
	v_add_f32_e32 v27, v11, v27
	flat_store_b64 v[13:14], v[26:27]
.LBB372_37:                             ;   in Loop: Header=BB372_8 Depth=1
	s_wait_alu 0xfffe
	s_and_not1_b32 vcc_lo, exec_lo, s3
	s_wait_alu 0xfffe
	s_cbranch_vccnz .LBB372_7
; %bb.38:                               ;   in Loop: Header=BB372_8 Depth=1
	v_add_co_u32 v13, vcc_lo, v1, v8
	s_wait_alu 0xfffd
	v_add_co_ci_u32_e64 v14, null, v12, v9, vcc_lo
	flat_store_b64 v[13:14], v[10:11]
	s_branch .LBB372_7
.LBB372_39:
	s_endpgm
	.section	.rodata,"a",@progbits
	.p2align	6, 0x0
	.amdhsa_kernel _ZL29rocblas_internal_gemmt_kernelIiLi16ELi32ELi8ELc84ELc78ELc76ELb0ELb0E19rocblas_complex_numIfEPKS1_PKS3_PKPS1_EviT_T9_T10_S9_lSB_S9_lSA_T11_S9_li
		.amdhsa_group_segment_fixed_size 4096
		.amdhsa_private_segment_fixed_size 0
		.amdhsa_kernarg_size 100
		.amdhsa_user_sgpr_count 2
		.amdhsa_user_sgpr_dispatch_ptr 0
		.amdhsa_user_sgpr_queue_ptr 0
		.amdhsa_user_sgpr_kernarg_segment_ptr 1
		.amdhsa_user_sgpr_dispatch_id 0
		.amdhsa_user_sgpr_private_segment_size 0
		.amdhsa_wavefront_size32 1
		.amdhsa_uses_dynamic_stack 0
		.amdhsa_enable_private_segment 0
		.amdhsa_system_sgpr_workgroup_id_x 1
		.amdhsa_system_sgpr_workgroup_id_y 1
		.amdhsa_system_sgpr_workgroup_id_z 1
		.amdhsa_system_sgpr_workgroup_info 0
		.amdhsa_system_vgpr_workitem_id 1
		.amdhsa_next_free_vgpr 71
		.amdhsa_next_free_sgpr 35
		.amdhsa_reserve_vcc 1
		.amdhsa_float_round_mode_32 0
		.amdhsa_float_round_mode_16_64 0
		.amdhsa_float_denorm_mode_32 3
		.amdhsa_float_denorm_mode_16_64 3
		.amdhsa_fp16_overflow 0
		.amdhsa_workgroup_processor_mode 1
		.amdhsa_memory_ordered 1
		.amdhsa_forward_progress 1
		.amdhsa_inst_pref_size 25
		.amdhsa_round_robin_scheduling 0
		.amdhsa_exception_fp_ieee_invalid_op 0
		.amdhsa_exception_fp_denorm_src 0
		.amdhsa_exception_fp_ieee_div_zero 0
		.amdhsa_exception_fp_ieee_overflow 0
		.amdhsa_exception_fp_ieee_underflow 0
		.amdhsa_exception_fp_ieee_inexact 0
		.amdhsa_exception_int_div_zero 0
	.end_amdhsa_kernel
	.section	.text._ZL29rocblas_internal_gemmt_kernelIiLi16ELi32ELi8ELc84ELc78ELc76ELb0ELb0E19rocblas_complex_numIfEPKS1_PKS3_PKPS1_EviT_T9_T10_S9_lSB_S9_lSA_T11_S9_li,"axG",@progbits,_ZL29rocblas_internal_gemmt_kernelIiLi16ELi32ELi8ELc84ELc78ELc76ELb0ELb0E19rocblas_complex_numIfEPKS1_PKS3_PKPS1_EviT_T9_T10_S9_lSB_S9_lSA_T11_S9_li,comdat
.Lfunc_end372:
	.size	_ZL29rocblas_internal_gemmt_kernelIiLi16ELi32ELi8ELc84ELc78ELc76ELb0ELb0E19rocblas_complex_numIfEPKS1_PKS3_PKPS1_EviT_T9_T10_S9_lSB_S9_lSA_T11_S9_li, .Lfunc_end372-_ZL29rocblas_internal_gemmt_kernelIiLi16ELi32ELi8ELc84ELc78ELc76ELb0ELb0E19rocblas_complex_numIfEPKS1_PKS3_PKPS1_EviT_T9_T10_S9_lSB_S9_lSA_T11_S9_li
                                        ; -- End function
	.set _ZL29rocblas_internal_gemmt_kernelIiLi16ELi32ELi8ELc84ELc78ELc76ELb0ELb0E19rocblas_complex_numIfEPKS1_PKS3_PKPS1_EviT_T9_T10_S9_lSB_S9_lSA_T11_S9_li.num_vgpr, 71
	.set _ZL29rocblas_internal_gemmt_kernelIiLi16ELi32ELi8ELc84ELc78ELc76ELb0ELb0E19rocblas_complex_numIfEPKS1_PKS3_PKPS1_EviT_T9_T10_S9_lSB_S9_lSA_T11_S9_li.num_agpr, 0
	.set _ZL29rocblas_internal_gemmt_kernelIiLi16ELi32ELi8ELc84ELc78ELc76ELb0ELb0E19rocblas_complex_numIfEPKS1_PKS3_PKPS1_EviT_T9_T10_S9_lSB_S9_lSA_T11_S9_li.numbered_sgpr, 35
	.set _ZL29rocblas_internal_gemmt_kernelIiLi16ELi32ELi8ELc84ELc78ELc76ELb0ELb0E19rocblas_complex_numIfEPKS1_PKS3_PKPS1_EviT_T9_T10_S9_lSB_S9_lSA_T11_S9_li.num_named_barrier, 0
	.set _ZL29rocblas_internal_gemmt_kernelIiLi16ELi32ELi8ELc84ELc78ELc76ELb0ELb0E19rocblas_complex_numIfEPKS1_PKS3_PKPS1_EviT_T9_T10_S9_lSB_S9_lSA_T11_S9_li.private_seg_size, 0
	.set _ZL29rocblas_internal_gemmt_kernelIiLi16ELi32ELi8ELc84ELc78ELc76ELb0ELb0E19rocblas_complex_numIfEPKS1_PKS3_PKPS1_EviT_T9_T10_S9_lSB_S9_lSA_T11_S9_li.uses_vcc, 1
	.set _ZL29rocblas_internal_gemmt_kernelIiLi16ELi32ELi8ELc84ELc78ELc76ELb0ELb0E19rocblas_complex_numIfEPKS1_PKS3_PKPS1_EviT_T9_T10_S9_lSB_S9_lSA_T11_S9_li.uses_flat_scratch, 0
	.set _ZL29rocblas_internal_gemmt_kernelIiLi16ELi32ELi8ELc84ELc78ELc76ELb0ELb0E19rocblas_complex_numIfEPKS1_PKS3_PKPS1_EviT_T9_T10_S9_lSB_S9_lSA_T11_S9_li.has_dyn_sized_stack, 0
	.set _ZL29rocblas_internal_gemmt_kernelIiLi16ELi32ELi8ELc84ELc78ELc76ELb0ELb0E19rocblas_complex_numIfEPKS1_PKS3_PKPS1_EviT_T9_T10_S9_lSB_S9_lSA_T11_S9_li.has_recursion, 0
	.set _ZL29rocblas_internal_gemmt_kernelIiLi16ELi32ELi8ELc84ELc78ELc76ELb0ELb0E19rocblas_complex_numIfEPKS1_PKS3_PKPS1_EviT_T9_T10_S9_lSB_S9_lSA_T11_S9_li.has_indirect_call, 0
	.section	.AMDGPU.csdata,"",@progbits
; Kernel info:
; codeLenInByte = 3176
; TotalNumSgprs: 37
; NumVgprs: 71
; ScratchSize: 0
; MemoryBound: 1
; FloatMode: 240
; IeeeMode: 1
; LDSByteSize: 4096 bytes/workgroup (compile time only)
; SGPRBlocks: 0
; VGPRBlocks: 8
; NumSGPRsForWavesPerEU: 37
; NumVGPRsForWavesPerEU: 71
; Occupancy: 16
; WaveLimiterHint : 1
; COMPUTE_PGM_RSRC2:SCRATCH_EN: 0
; COMPUTE_PGM_RSRC2:USER_SGPR: 2
; COMPUTE_PGM_RSRC2:TRAP_HANDLER: 0
; COMPUTE_PGM_RSRC2:TGID_X_EN: 1
; COMPUTE_PGM_RSRC2:TGID_Y_EN: 1
; COMPUTE_PGM_RSRC2:TGID_Z_EN: 1
; COMPUTE_PGM_RSRC2:TIDIG_COMP_CNT: 1
	.section	.text._ZL29rocblas_internal_gemmt_kernelIiLi16ELi32ELi8ELc84ELc84ELc76ELb0ELb0E19rocblas_complex_numIfEPKS1_PKS3_PKPS1_EviT_T9_T10_S9_lSB_S9_lSA_T11_S9_li,"axG",@progbits,_ZL29rocblas_internal_gemmt_kernelIiLi16ELi32ELi8ELc84ELc84ELc76ELb0ELb0E19rocblas_complex_numIfEPKS1_PKS3_PKPS1_EviT_T9_T10_S9_lSB_S9_lSA_T11_S9_li,comdat
	.globl	_ZL29rocblas_internal_gemmt_kernelIiLi16ELi32ELi8ELc84ELc84ELc76ELb0ELb0E19rocblas_complex_numIfEPKS1_PKS3_PKPS1_EviT_T9_T10_S9_lSB_S9_lSA_T11_S9_li ; -- Begin function _ZL29rocblas_internal_gemmt_kernelIiLi16ELi32ELi8ELc84ELc84ELc76ELb0ELb0E19rocblas_complex_numIfEPKS1_PKS3_PKPS1_EviT_T9_T10_S9_lSB_S9_lSA_T11_S9_li
	.p2align	8
	.type	_ZL29rocblas_internal_gemmt_kernelIiLi16ELi32ELi8ELc84ELc84ELc76ELb0ELb0E19rocblas_complex_numIfEPKS1_PKS3_PKPS1_EviT_T9_T10_S9_lSB_S9_lSA_T11_S9_li,@function
_ZL29rocblas_internal_gemmt_kernelIiLi16ELi32ELi8ELc84ELc84ELc76ELb0ELb0E19rocblas_complex_numIfEPKS1_PKS3_PKPS1_EviT_T9_T10_S9_lSB_S9_lSA_T11_S9_li: ; @_ZL29rocblas_internal_gemmt_kernelIiLi16ELi32ELi8ELc84ELc84ELc76ELb0ELb0E19rocblas_complex_numIfEPKS1_PKS3_PKPS1_EviT_T9_T10_S9_lSB_S9_lSA_T11_S9_li
; %bb.0:
	s_load_b128 s[12:15], s[0:1], 0x38
	s_wait_kmcnt 0x0
	s_load_b64 s[14:15], s[14:15], 0x0
	s_clause 0x1
	s_load_b128 s[4:7], s[0:1], 0x8
	s_load_b64 s[20:21], s[0:1], 0x0
	s_wait_kmcnt 0x0
	s_load_b64 s[22:23], s[4:5], 0x0
	s_cmp_eq_f32 s14, 1.0
	s_cselect_b32 s3, -1, 0
	s_and_b32 s2, s15, 0x7fffffff
	s_delay_alu instid0(SALU_CYCLE_1) | instskip(SKIP_1) | instid1(SALU_CYCLE_1)
	s_cmp_eq_u32 s2, 0
	s_cselect_b32 s2, -1, 0
	s_and_b32 s4, s3, s2
	s_mov_b32 s3, 0
	s_and_not1_b32 vcc_lo, exec_lo, s4
	s_mov_b32 s4, -1
	s_cbranch_vccnz .LBB373_4
; %bb.1:
	s_cmp_lg_u32 s21, 0
	s_cbranch_scc0 .LBB373_3
; %bb.2:
	s_wait_kmcnt 0x0
	s_cmp_neq_f32 s22, 0
	s_cselect_b32 s3, -1, 0
	s_cmp_neq_f32 s23, 0
	s_cselect_b32 s4, -1, 0
	s_delay_alu instid0(SALU_CYCLE_1)
	s_or_b32 s3, s3, s4
.LBB373_3:
	s_delay_alu instid0(SALU_CYCLE_1)
	s_mov_b32 s4, s3
.LBB373_4:
	s_delay_alu instid0(SALU_CYCLE_1)
	s_and_b32 vcc_lo, exec_lo, s4
	s_cbranch_vccz .LBB373_39
; %bb.5:
	s_load_b32 s19, s[0:1], 0x60
	s_lshr_b32 s24, ttmp7, 16
	s_wait_kmcnt 0x0
	s_cmp_ge_u32 s24, s19
	s_cbranch_scc1 .LBB373_39
; %bb.6:
	s_clause 0x2
	s_load_b32 s26, s[0:1], 0x30
	s_load_b32 s5, s[0:1], 0x18
	s_load_b128 s[8:11], s[0:1], 0x20
	v_and_b32_e32 v1, 0x3ff, v0
	v_bfe_u32 v2, v0, 10, 10
	v_and_b32_e32 v16, 7, v0
	s_clause 0x1
	s_load_b96 s[16:18], s[0:1], 0x48
	s_load_b64 s[28:29], s[0:1], 0x58
	s_lshl_b32 s1, ttmp7, 5
	s_lshl_b32 s0, ttmp9, 5
	v_lshl_add_u32 v0, v2, 4, v1
	s_and_b32 s1, s1, 0x1fffe0
	v_lshlrev_b32_e32 v3, 3, v16
	v_lshlrev_b32_e32 v17, 3, v1
	v_add_nc_u32_e32 v6, s0, v1
	v_lshrrev_b32_e32 v4, 3, v0
	v_and_b32_e32 v1, 31, v0
	v_lshrrev_b32_e32 v18, 5, v0
	v_lshl_add_u32 v21, v2, 6, 0x800
	v_add_nc_u32_e32 v8, 16, v6
	v_lshl_or_b32 v3, v4, 6, v3
	s_wait_kmcnt 0x0
	s_ashr_i32 s27, s26, 31
	s_cmp_neq_f32 s22, 0
	v_or_b32_e32 v0, s0, v1
	v_lshlrev_b32_e32 v1, 3, v1
	v_add_nc_u32_e32 v20, 0x800, v3
	s_cselect_b32 s3, -1, 0
	s_cmp_neq_f32 s23, 0
	v_add_nc_u32_e32 v3, s1, v2
	v_add_nc_u32_e32 v5, s1, v4
	v_lshl_or_b32 v19, v18, 8, v1
	s_cselect_b32 s4, -1, 0
	v_mad_co_i64_i32 v[10:11], null, s26, v16, 0
	s_or_b32 s33, s3, s4
	s_cmp_gt_i32 s21, 0
	v_cmp_le_i32_e64 s1, v3, v6
	s_cselect_b32 s34, -1, 0
	s_cmp_neq_f32 s14, 0
	v_cmp_le_i32_e64 s3, v3, v8
	v_mad_co_i64_i32 v[1:2], null, v3, s18, 0
	v_add_nc_u32_e32 v12, 16, v3
	v_mad_co_i64_i32 v[3:4], null, s5, v0, 0
	s_cselect_b32 s35, -1, 0
	s_xor_b32 s36, s2, -1
	v_cmp_gt_i32_e64 s2, s20, v6
	v_cmp_gt_i32_e64 s4, s20, v8
	v_cmp_gt_i32_e32 vcc_lo, s20, v0
	v_cmp_gt_i32_e64 s0, s20, v5
	v_lshlrev_b64_e32 v[3:4], 3, v[3:4]
	s_and_b32 s20, s1, s2
	s_and_b32 s30, s3, s4
	v_cmp_le_i32_e64 s1, v12, v6
	v_cmp_le_i32_e64 s3, v12, v8
	v_mad_co_i64_i32 v[12:13], null, v12, s18, 0
	v_lshlrev_b64_e32 v[10:11], 3, v[10:11]
	s_delay_alu instid0(VALU_DEP_4) | instskip(NEXT) | instid1(VALU_DEP_3)
	s_and_b32 s18, s1, s2
	s_and_b32 s31, s3, s4
	s_lshl_b64 s[2:3], s[8:9], 3
	v_lshlrev_b32_e32 v14, 3, v18
	v_add_co_u32 v3, s1, v3, s2
	s_wait_alu 0xf1ff
	v_add_co_ci_u32_e64 v4, null, s3, v4, s1
	s_lshl_b64 s[2:3], s[12:13], 3
	v_lshlrev_b32_e32 v5, 3, v5
	s_wait_alu 0xfffe
	v_add_co_u32 v10, s1, v10, s2
	v_ashrrev_i32_e32 v7, 31, v6
	v_ashrrev_i32_e32 v9, 31, v8
	s_wait_alu 0xf1ff
	v_add_co_ci_u32_e64 v11, null, s3, v11, s1
	v_add_co_u32 v22, s1, v3, v14
	s_wait_alu 0xf1ff
	v_add_co_ci_u32_e64 v23, null, 0, v4, s1
	v_add_co_u32 v24, s1, v10, v5
	v_lshlrev_b64_e32 v[2:3], 3, v[1:2]
	v_lshlrev_b64_e32 v[4:5], 3, v[12:13]
	v_lshlrev_b64_e32 v[6:7], 3, v[6:7]
	v_lshlrev_b64_e32 v[8:9], 3, v[8:9]
	v_mov_b32_e32 v0, 0
	s_wait_alu 0xf1ff
	v_add_co_ci_u32_e64 v25, null, 0, v11, s1
	s_mov_b32 s25, 0
	s_lshl_b64 s[2:3], s[26:27], 6
	s_and_b32 s8, s33, s34
	s_or_b32 s9, s35, s36
	s_xor_b32 s12, vcc_lo, -1
	s_xor_b32 s13, s0, -1
	s_lshl_b64 s[0:1], s[28:29], 3
	s_branch .LBB373_8
.LBB373_7:                              ;   in Loop: Header=BB373_8 Depth=1
	s_wait_alu 0xfffe
	s_or_b32 exec_lo, exec_lo, s4
	s_add_co_i32 s24, s24, 0x10000
	s_delay_alu instid0(SALU_CYCLE_1)
	s_cmp_lt_u32 s24, s19
	s_cbranch_scc0 .LBB373_39
.LBB373_8:                              ; =>This Loop Header: Depth=1
                                        ;     Child Loop BB373_11 Depth 2
	s_lshl_b64 s[4:5], s[24:25], 3
	v_dual_mov_b32 v33, v0 :: v_dual_mov_b32 v32, v0
	s_wait_alu 0xfffe
	s_add_nc_u64 s[26:27], s[16:17], s[4:5]
	v_dual_mov_b32 v30, v0 :: v_dual_mov_b32 v31, v0
	global_load_b64 v[10:11], v0, s[26:27]
	v_dual_mov_b32 v28, v0 :: v_dual_mov_b32 v29, v0
	v_dual_mov_b32 v27, v0 :: v_dual_mov_b32 v26, v0
	s_and_not1_b32 vcc_lo, exec_lo, s8
	s_wait_alu 0xfffe
	s_cbranch_vccnz .LBB373_19
; %bb.9:                                ;   in Loop: Header=BB373_8 Depth=1
	s_add_nc_u64 s[26:27], s[6:7], s[4:5]
	s_add_nc_u64 s[4:5], s[10:11], s[4:5]
	s_clause 0x1
	global_load_b64 v[12:13], v0, s[26:27]
	global_load_b64 v[14:15], v0, s[4:5]
	v_dual_mov_b32 v26, 0 :: v_dual_mov_b32 v27, 0
	v_dual_mov_b32 v29, 0 :: v_dual_mov_b32 v28, 0
	;; [unrolled: 1-line block ×4, first 2 shown]
	s_mov_b32 s4, 0
	s_wait_loadcnt 0x1
	v_add_co_u32 v12, vcc_lo, v12, v22
	s_wait_alu 0xfffd
	v_add_co_ci_u32_e64 v13, null, v13, v23, vcc_lo
	s_wait_loadcnt 0x0
	v_add_co_u32 v14, vcc_lo, v14, v24
	s_wait_alu 0xfffd
	v_add_co_ci_u32_e64 v15, null, v15, v25, vcc_lo
	s_branch .LBB373_11
.LBB373_10:                             ;   in Loop: Header=BB373_11 Depth=2
	s_wait_alu 0xfffe
	s_or_b32 exec_lo, exec_lo, s5
	s_wait_dscnt 0x0
	s_barrier_signal -1
	s_barrier_wait -1
	global_inv scope:SCOPE_SE
	ds_load_b128 v[34:37], v21
	ds_load_2addr_b64 v[38:41], v17 offset1:16
	ds_load_b128 v[42:45], v21 offset:1024
	ds_load_b128 v[46:49], v21 offset:16
	;; [unrolled: 1-line block ×4, first 2 shown]
	ds_load_2addr_b64 v[58:61], v17 offset0:32 offset1:48
	ds_load_b128 v[62:65], v21 offset:1040
	v_add_co_u32 v12, vcc_lo, v12, 64
	s_wait_alu 0xfffd
	v_add_co_ci_u32_e64 v13, null, 0, v13, vcc_lo
	v_add_co_u32 v14, vcc_lo, v14, s2
	s_wait_alu 0xfffd
	v_add_co_ci_u32_e64 v15, null, s3, v15, vcc_lo
	s_add_co_i32 s4, s4, 8
	s_wait_alu 0xfffe
	s_cmp_lt_i32 s4, s21
	s_wait_dscnt 0x6
	v_dual_mul_f32 v1, v35, v39 :: v_dual_mul_f32 v68, v34, v41
	v_dual_mul_f32 v66, v34, v39 :: v_dual_mul_f32 v67, v35, v41
	s_wait_dscnt 0x5
	v_mul_f32_e32 v70, v43, v41
	s_delay_alu instid0(VALU_DEP_3) | instskip(SKIP_3) | instid1(VALU_DEP_4)
	v_fma_f32 v1, v34, v38, -v1
	v_dual_mul_f32 v41, v42, v41 :: v_dual_fmac_f32 v68, v35, v40
	v_fmac_f32_e32 v66, v35, v38
	v_fma_f32 v34, v34, v40, -v67
	v_add_f32_e32 v1, v33, v1
	v_mul_f32_e32 v69, v43, v39
	s_delay_alu instid0(VALU_DEP_4) | instskip(NEXT) | instid1(VALU_DEP_4)
	v_dual_mul_f32 v39, v42, v39 :: v_dual_add_f32 v32, v32, v66
	v_add_f32_e32 v33, v30, v34
	v_fmac_f32_e32 v41, v43, v40
	s_delay_alu instid0(VALU_DEP_4) | instskip(NEXT) | instid1(VALU_DEP_4)
	v_fma_f32 v35, v42, v38, -v69
	v_fmac_f32_e32 v39, v43, v38
	v_fma_f32 v38, v42, v40, -v70
	s_wait_dscnt 0x1
	v_dual_mul_f32 v40, v36, v59 :: v_dual_add_f32 v31, v31, v68
	v_mul_f32_e32 v42, v37, v61
	v_add_f32_e32 v34, v28, v35
	v_dual_add_f32 v35, v29, v39 :: v_dual_add_f32 v38, v27, v38
	ds_load_2addr_b64 v[27:30], v17 offset0:64 offset1:80
	v_fmac_f32_e32 v40, v37, v58
	v_dual_mul_f32 v39, v37, v59 :: v_dual_add_f32 v26, v26, v41
	v_mul_f32_e32 v41, v36, v61
	s_delay_alu instid0(VALU_DEP_3) | instskip(NEXT) | instid1(VALU_DEP_3)
	v_add_f32_e32 v40, v32, v40
	v_fma_f32 v39, v36, v58, -v39
	v_fma_f32 v36, v36, v60, -v42
	v_mul_f32_e32 v32, v44, v59
	s_delay_alu instid0(VALU_DEP_3) | instskip(SKIP_1) | instid1(VALU_DEP_4)
	v_add_f32_e32 v1, v1, v39
	v_mul_f32_e32 v39, v45, v59
	v_add_f32_e32 v36, v33, v36
	v_fmac_f32_e32 v41, v37, v60
	v_mul_f32_e32 v37, v45, v61
	v_fmac_f32_e32 v32, v45, v58
	v_fma_f32 v33, v44, v58, -v39
	s_delay_alu instid0(VALU_DEP_4) | instskip(SKIP_4) | instid1(VALU_DEP_3)
	v_add_f32_e32 v39, v31, v41
	v_mul_f32_e32 v41, v44, v61
	v_fma_f32 v31, v44, v60, -v37
	s_wait_dscnt 0x0
	v_dual_add_f32 v42, v34, v33 :: v_dual_mul_f32 v33, v47, v28
	v_dual_mul_f32 v44, v47, v30 :: v_dual_fmac_f32 v41, v45, v60
	v_mul_f32_e32 v37, v46, v28
	v_add_f32_e32 v38, v38, v31
	s_delay_alu instid0(VALU_DEP_3) | instskip(SKIP_3) | instid1(VALU_DEP_2)
	v_add_f32_e32 v41, v26, v41
	v_mul_f32_e32 v26, v46, v30
	v_fma_f32 v43, v46, v27, -v33
	v_fmac_f32_e32 v37, v47, v27
	v_dual_fmac_f32 v26, v47, v29 :: v_dual_add_f32 v1, v1, v43
	v_fma_f32 v43, v46, v29, -v44
	v_add_f32_e32 v35, v35, v32
	ds_load_2addr_b64 v[31:34], v17 offset0:96 offset1:112
	v_dual_add_f32 v37, v40, v37 :: v_dual_mul_f32 v40, v63, v28
	v_mul_f32_e32 v28, v62, v28
	v_dual_add_f32 v36, v36, v43 :: v_dual_mul_f32 v43, v63, v30
	v_mul_f32_e32 v30, v62, v30
	s_delay_alu instid0(VALU_DEP_4) | instskip(NEXT) | instid1(VALU_DEP_4)
	v_fma_f32 v40, v62, v27, -v40
	v_fmac_f32_e32 v28, v63, v27
	v_add_f32_e32 v39, v39, v26
	v_fma_f32 v26, v62, v29, -v43
	v_fmac_f32_e32 v30, v63, v29
	v_add_f32_e32 v40, v42, v40
	s_delay_alu instid0(VALU_DEP_3)
	v_dual_add_f32 v42, v35, v28 :: v_dual_add_f32 v43, v38, v26
	ds_load_2addr_b64 v[26:29], v17 offset0:128 offset1:144
	s_wait_dscnt 0x1
	v_mul_f32_e32 v35, v49, v32
	v_mul_f32_e32 v38, v48, v32
	;; [unrolled: 1-line block ×4, first 2 shown]
	s_delay_alu instid0(VALU_DEP_4) | instskip(NEXT) | instid1(VALU_DEP_4)
	v_fma_f32 v35, v48, v31, -v35
	v_fmac_f32_e32 v38, v49, v31
	s_delay_alu instid0(VALU_DEP_2) | instskip(SKIP_1) | instid1(VALU_DEP_3)
	v_add_f32_e32 v1, v1, v35
	v_mul_f32_e32 v35, v65, v32
	v_dual_mul_f32 v32, v64, v32 :: v_dual_add_f32 v45, v37, v38
	s_delay_alu instid0(VALU_DEP_2) | instskip(NEXT) | instid1(VALU_DEP_2)
	v_fma_f32 v46, v64, v31, -v35
	v_fmac_f32_e32 v32, v65, v31
	s_wait_dscnt 0x0
	v_mul_f32_e32 v31, v51, v27
	v_fma_f32 v44, v48, v33, -v44
	v_add_f32_e32 v41, v41, v30
	v_mul_f32_e32 v30, v48, v34
	v_mul_f32_e32 v58, v50, v29
	s_delay_alu instid0(VALU_DEP_4) | instskip(SKIP_2) | instid1(VALU_DEP_1)
	v_add_f32_e32 v44, v36, v44
	ds_load_b128 v[35:38], v21 offset:1056
	v_dual_fmac_f32 v30, v49, v33 :: v_dual_mul_f32 v49, v50, v27
	v_add_f32_e32 v48, v39, v30
	v_fma_f32 v30, v64, v33, -v47
	v_fma_f32 v39, v50, v26, -v31
	v_mul_f32_e32 v34, v64, v34
	v_fmac_f32_e32 v49, v51, v26
	v_add_f32_e32 v46, v40, v46
	v_add_f32_e32 v43, v43, v30
	;; [unrolled: 1-line block ×4, first 2 shown]
	v_fmac_f32_e32 v34, v65, v33
	ds_load_2addr_b64 v[30:33], v17 offset0:160 offset1:176
	v_mul_f32_e32 v40, v51, v29
	v_add_f32_e32 v45, v45, v49
	v_add_f32_e32 v34, v41, v34
	s_delay_alu instid0(VALU_DEP_3)
	v_fma_f32 v50, v50, v28, -v40
	ds_load_b128 v[39:42], v21 offset:1072
	s_wait_dscnt 0x2
	v_mul_f32_e32 v59, v36, v27
	v_dual_mul_f32 v27, v35, v27 :: v_dual_add_f32 v44, v44, v50
	v_fmac_f32_e32 v58, v51, v28
	v_mul_f32_e32 v50, v36, v29
	s_delay_alu instid0(VALU_DEP_4) | instskip(NEXT) | instid1(VALU_DEP_4)
	v_fma_f32 v49, v35, v26, -v59
	v_fmac_f32_e32 v27, v36, v26
	s_delay_alu instid0(VALU_DEP_4) | instskip(SKIP_1) | instid1(VALU_DEP_3)
	v_dual_mul_f32 v51, v35, v29 :: v_dual_add_f32 v48, v48, v58
	s_wait_dscnt 0x1
	v_dual_add_f32 v46, v46, v49 :: v_dual_mul_f32 v29, v53, v31
	v_fma_f32 v26, v35, v28, -v50
	v_add_f32_e32 v35, v47, v27
	v_fmac_f32_e32 v51, v36, v28
	v_mul_f32_e32 v36, v52, v31
	v_fma_f32 v47, v52, v30, -v29
	v_add_f32_e32 v43, v43, v26
	ds_load_2addr_b64 v[26:29], v17 offset0:192 offset1:208
	v_fmac_f32_e32 v36, v53, v30
	v_dual_mul_f32 v49, v53, v33 :: v_dual_add_f32 v50, v34, v51
	v_dual_add_f32 v1, v1, v47 :: v_dual_mul_f32 v34, v52, v33
	s_delay_alu instid0(VALU_DEP_3) | instskip(NEXT) | instid1(VALU_DEP_3)
	v_dual_add_f32 v45, v45, v36 :: v_dual_mul_f32 v36, v38, v31
	v_fma_f32 v47, v52, v32, -v49
	s_delay_alu instid0(VALU_DEP_3) | instskip(NEXT) | instid1(VALU_DEP_3)
	v_fmac_f32_e32 v34, v53, v32
	v_fma_f32 v36, v37, v30, -v36
	s_delay_alu instid0(VALU_DEP_3) | instskip(SKIP_1) | instid1(VALU_DEP_3)
	v_dual_add_f32 v44, v44, v47 :: v_dual_mul_f32 v47, v38, v33
	v_mul_f32_e32 v31, v37, v31
	v_dual_mul_f32 v33, v37, v33 :: v_dual_add_f32 v46, v46, v36
	s_delay_alu instid0(VALU_DEP_2) | instskip(SKIP_2) | instid1(VALU_DEP_4)
	v_fmac_f32_e32 v31, v38, v30
	v_add_f32_e32 v30, v48, v34
	v_fma_f32 v34, v37, v32, -v47
	v_fmac_f32_e32 v33, v38, v32
	s_wait_dscnt 0x0
	v_mul_f32_e32 v38, v54, v27
	v_dual_add_f32 v31, v35, v31 :: v_dual_mul_f32 v48, v54, v29
	v_add_f32_e32 v32, v43, v34
	ds_load_2addr_b64 v[34:37], v17 offset0:224 offset1:240
	v_dual_add_f32 v33, v50, v33 :: v_dual_fmac_f32 v38, v55, v26
	v_mul_f32_e32 v47, v55, v27
	v_fmac_f32_e32 v48, v55, v28
	s_wait_loadcnt_dscnt 0x0
	s_barrier_signal -1
	v_add_f32_e32 v38, v45, v38
	v_fma_f32 v43, v54, v26, -v47
	v_mul_f32_e32 v47, v55, v29
	v_mul_f32_e32 v45, v40, v29
	;; [unrolled: 1-line block ×3, first 2 shown]
	s_barrier_wait -1
	v_add_f32_e32 v1, v1, v43
	v_fma_f32 v47, v54, v28, -v47
	v_mul_f32_e32 v43, v40, v27
	v_fmac_f32_e32 v29, v40, v28
	global_inv scope:SCOPE_SE
	v_dual_add_f32 v44, v44, v47 :: v_dual_add_f32 v47, v30, v48
	v_fma_f32 v30, v39, v28, -v45
	v_mul_f32_e32 v27, v39, v27
	s_delay_alu instid0(VALU_DEP_1) | instskip(NEXT) | instid1(VALU_DEP_3)
	v_fmac_f32_e32 v27, v40, v26
	v_add_f32_e32 v40, v32, v30
	v_mul_f32_e32 v30, v57, v37
	v_fma_f32 v43, v39, v26, -v43
	v_mul_f32_e32 v39, v57, v35
	s_delay_alu instid0(VALU_DEP_2) | instskip(NEXT) | instid1(VALU_DEP_2)
	v_add_f32_e32 v26, v46, v43
	v_fma_f32 v28, v56, v34, -v39
	v_add_f32_e32 v39, v33, v29
	v_mul_f32_e32 v29, v41, v35
	s_delay_alu instid0(VALU_DEP_3) | instskip(SKIP_2) | instid1(VALU_DEP_2)
	v_add_f32_e32 v33, v1, v28
	v_fma_f32 v1, v56, v36, -v30
	v_mul_f32_e32 v28, v42, v35
	v_dual_fmac_f32 v29, v42, v34 :: v_dual_add_f32 v30, v44, v1
	s_delay_alu instid0(VALU_DEP_2) | instskip(SKIP_2) | instid1(VALU_DEP_2)
	v_fma_f32 v1, v41, v34, -v28
	v_mul_f32_e32 v43, v56, v35
	v_mul_f32_e32 v35, v42, v37
	v_dual_add_f32 v28, v26, v1 :: v_dual_fmac_f32 v43, v57, v34
	s_delay_alu instid0(VALU_DEP_2) | instskip(NEXT) | instid1(VALU_DEP_2)
	v_fma_f32 v34, v41, v36, -v35
	v_add_f32_e32 v32, v38, v43
	v_add_f32_e32 v27, v31, v27
	v_mul_f32_e32 v31, v56, v37
	v_mul_f32_e32 v37, v41, v37
	s_delay_alu instid0(VALU_DEP_3) | instskip(NEXT) | instid1(VALU_DEP_3)
	v_add_f32_e32 v29, v27, v29
	v_fmac_f32_e32 v31, v57, v36
	s_delay_alu instid0(VALU_DEP_3) | instskip(SKIP_1) | instid1(VALU_DEP_3)
	v_fmac_f32_e32 v37, v42, v36
	v_add_f32_e32 v27, v40, v34
	v_add_f32_e32 v31, v47, v31
	s_delay_alu instid0(VALU_DEP_3)
	v_add_f32_e32 v26, v39, v37
	s_cbranch_scc0 .LBB373_19
.LBB373_11:                             ;   Parent Loop BB373_8 Depth=1
                                        ; =>  This Inner Loop Header: Depth=2
	s_wait_alu 0xfffe
	v_add_nc_u32_e32 v1, s4, v18
	s_delay_alu instid0(VALU_DEP_1)
	v_cmp_le_i32_e32 vcc_lo, s21, v1
	s_or_b32 s5, s12, vcc_lo
	s_wait_alu 0xfffe
	s_and_saveexec_b32 s26, s5
	s_wait_alu 0xfffe
	s_xor_b32 s5, exec_lo, s26
; %bb.12:                               ;   in Loop: Header=BB373_11 Depth=2
	v_mov_b32_e32 v1, v0
	ds_store_b64 v19, v[0:1]
; %bb.13:                               ;   in Loop: Header=BB373_11 Depth=2
	s_wait_alu 0xfffe
	s_and_not1_saveexec_b32 s5, s5
	s_cbranch_execz .LBB373_15
; %bb.14:                               ;   in Loop: Header=BB373_11 Depth=2
	flat_load_b64 v[34:35], v[12:13]
	s_wait_loadcnt_dscnt 0x0
	ds_store_b64 v19, v[34:35]
.LBB373_15:                             ;   in Loop: Header=BB373_11 Depth=2
	s_wait_alu 0xfffe
	s_or_b32 exec_lo, exec_lo, s5
	v_add_nc_u32_e32 v1, s4, v16
	s_delay_alu instid0(VALU_DEP_1)
	v_cmp_le_i32_e32 vcc_lo, s21, v1
	s_or_b32 s5, vcc_lo, s13
	s_wait_alu 0xfffe
	s_and_saveexec_b32 s26, s5
	s_wait_alu 0xfffe
	s_xor_b32 s5, exec_lo, s26
; %bb.16:                               ;   in Loop: Header=BB373_11 Depth=2
	v_mov_b32_e32 v1, v0
	ds_store_b64 v20, v[0:1]
; %bb.17:                               ;   in Loop: Header=BB373_11 Depth=2
	s_wait_alu 0xfffe
	s_and_not1_saveexec_b32 s5, s5
	s_cbranch_execz .LBB373_10
; %bb.18:                               ;   in Loop: Header=BB373_11 Depth=2
	flat_load_b64 v[34:35], v[14:15]
	s_wait_loadcnt_dscnt 0x0
	ds_store_b64 v20, v[34:35]
	s_branch .LBB373_10
.LBB373_19:                             ;   in Loop: Header=BB373_8 Depth=1
	s_wait_loadcnt 0x0
	v_add_co_u32 v1, vcc_lo, v10, s0
	s_wait_alu 0xfffd
	v_add_co_ci_u32_e64 v12, null, s1, v11, vcc_lo
	s_delay_alu instid0(VALU_DEP_2) | instskip(SKIP_1) | instid1(VALU_DEP_2)
	v_add_co_u32 v13, vcc_lo, v1, v2
	s_wait_alu 0xfffd
	v_add_co_ci_u32_e64 v14, null, v12, v3, vcc_lo
	s_and_saveexec_b32 s4, s20
	s_cbranch_execz .LBB373_24
; %bb.20:                               ;   in Loop: Header=BB373_8 Depth=1
	v_mul_f32_e32 v11, s22, v32
	v_mul_f32_e32 v10, s23, v32
	s_and_b32 vcc_lo, exec_lo, s9
	s_mov_b32 s5, -1
	s_delay_alu instid0(VALU_DEP_2) | instskip(NEXT) | instid1(VALU_DEP_2)
	v_fmac_f32_e32 v11, s23, v33
	v_fma_f32 v10, v33, s22, -v10
	s_wait_alu 0xfffe
	s_cbranch_vccz .LBB373_22
; %bb.21:                               ;   in Loop: Header=BB373_8 Depth=1
	v_add_co_u32 v32, vcc_lo, v13, v6
	s_wait_alu 0xfffd
	v_add_co_ci_u32_e64 v33, null, v14, v7, vcc_lo
	s_mov_b32 s5, 0
	flat_load_b64 v[34:35], v[32:33]
	s_wait_loadcnt_dscnt 0x0
	v_mul_f32_e32 v15, s15, v35
	v_mul_f32_e32 v35, s14, v35
	s_delay_alu instid0(VALU_DEP_2) | instskip(NEXT) | instid1(VALU_DEP_1)
	v_fma_f32 v15, v34, s14, -v15
	v_dual_fmac_f32 v35, s15, v34 :: v_dual_add_f32 v34, v10, v15
	s_delay_alu instid0(VALU_DEP_1)
	v_add_f32_e32 v35, v11, v35
	flat_store_b64 v[32:33], v[34:35]
.LBB373_22:                             ;   in Loop: Header=BB373_8 Depth=1
	s_wait_alu 0xfffe
	s_and_not1_b32 vcc_lo, exec_lo, s5
	s_wait_alu 0xfffe
	s_cbranch_vccnz .LBB373_24
; %bb.23:                               ;   in Loop: Header=BB373_8 Depth=1
	v_add_co_u32 v32, vcc_lo, v13, v6
	s_wait_alu 0xfffd
	v_add_co_ci_u32_e64 v33, null, v14, v7, vcc_lo
	flat_store_b64 v[32:33], v[10:11]
.LBB373_24:                             ;   in Loop: Header=BB373_8 Depth=1
	s_wait_alu 0xfffe
	s_or_b32 exec_lo, exec_lo, s4
	s_and_saveexec_b32 s4, s30
	s_cbranch_execz .LBB373_29
; %bb.25:                               ;   in Loop: Header=BB373_8 Depth=1
	v_mul_f32_e32 v11, s22, v31
	v_mul_f32_e32 v10, s23, v31
	s_and_not1_b32 vcc_lo, exec_lo, s9
	s_mov_b32 s5, -1
	s_delay_alu instid0(VALU_DEP_2) | instskip(NEXT) | instid1(VALU_DEP_2)
	v_fmac_f32_e32 v11, s23, v30
	v_fma_f32 v10, v30, s22, -v10
	s_wait_alu 0xfffe
	s_cbranch_vccnz .LBB373_27
; %bb.26:                               ;   in Loop: Header=BB373_8 Depth=1
	v_add_co_u32 v30, vcc_lo, v13, v8
	s_wait_alu 0xfffd
	v_add_co_ci_u32_e64 v31, null, v14, v9, vcc_lo
	s_mov_b32 s5, 0
	flat_load_b64 v[32:33], v[30:31]
	s_wait_loadcnt_dscnt 0x0
	v_mul_f32_e32 v15, s15, v33
	s_delay_alu instid0(VALU_DEP_1) | instskip(SKIP_1) | instid1(VALU_DEP_1)
	v_fma_f32 v15, v32, s14, -v15
	v_mul_f32_e32 v33, s14, v33
	v_dual_fmac_f32 v33, s15, v32 :: v_dual_add_f32 v32, v10, v15
	s_delay_alu instid0(VALU_DEP_1)
	v_add_f32_e32 v33, v11, v33
	flat_store_b64 v[30:31], v[32:33]
.LBB373_27:                             ;   in Loop: Header=BB373_8 Depth=1
	s_wait_alu 0xfffe
	s_and_not1_b32 vcc_lo, exec_lo, s5
	s_wait_alu 0xfffe
	s_cbranch_vccnz .LBB373_29
; %bb.28:                               ;   in Loop: Header=BB373_8 Depth=1
	v_add_co_u32 v13, vcc_lo, v13, v8
	s_wait_alu 0xfffd
	v_add_co_ci_u32_e64 v14, null, v14, v9, vcc_lo
	flat_store_b64 v[13:14], v[10:11]
.LBB373_29:                             ;   in Loop: Header=BB373_8 Depth=1
	s_wait_alu 0xfffe
	s_or_b32 exec_lo, exec_lo, s4
	v_add_co_u32 v1, vcc_lo, v1, v4
	s_wait_alu 0xfffd
	v_add_co_ci_u32_e64 v12, null, v12, v5, vcc_lo
	s_and_saveexec_b32 s4, s18
	s_cbranch_execz .LBB373_34
; %bb.30:                               ;   in Loop: Header=BB373_8 Depth=1
	v_mul_f32_e32 v11, s22, v29
	v_mul_f32_e32 v10, s23, v29
	s_and_not1_b32 vcc_lo, exec_lo, s9
	s_mov_b32 s5, -1
	s_delay_alu instid0(VALU_DEP_2) | instskip(NEXT) | instid1(VALU_DEP_2)
	v_fmac_f32_e32 v11, s23, v28
	v_fma_f32 v10, v28, s22, -v10
	s_wait_alu 0xfffe
	s_cbranch_vccnz .LBB373_32
; %bb.31:                               ;   in Loop: Header=BB373_8 Depth=1
	v_add_co_u32 v13, vcc_lo, v1, v6
	s_wait_alu 0xfffd
	v_add_co_ci_u32_e64 v14, null, v12, v7, vcc_lo
	s_mov_b32 s5, 0
	flat_load_b64 v[28:29], v[13:14]
	s_wait_loadcnt_dscnt 0x0
	v_mul_f32_e32 v15, s15, v29
	s_delay_alu instid0(VALU_DEP_1) | instskip(SKIP_1) | instid1(VALU_DEP_1)
	v_fma_f32 v15, v28, s14, -v15
	v_mul_f32_e32 v29, s14, v29
	v_dual_fmac_f32 v29, s15, v28 :: v_dual_add_f32 v28, v10, v15
	s_delay_alu instid0(VALU_DEP_1)
	v_add_f32_e32 v29, v11, v29
	flat_store_b64 v[13:14], v[28:29]
.LBB373_32:                             ;   in Loop: Header=BB373_8 Depth=1
	s_wait_alu 0xfffe
	s_and_not1_b32 vcc_lo, exec_lo, s5
	s_wait_alu 0xfffe
	s_cbranch_vccnz .LBB373_34
; %bb.33:                               ;   in Loop: Header=BB373_8 Depth=1
	v_add_co_u32 v13, vcc_lo, v1, v6
	s_wait_alu 0xfffd
	v_add_co_ci_u32_e64 v14, null, v12, v7, vcc_lo
	flat_store_b64 v[13:14], v[10:11]
.LBB373_34:                             ;   in Loop: Header=BB373_8 Depth=1
	s_wait_alu 0xfffe
	s_or_b32 exec_lo, exec_lo, s4
	s_and_saveexec_b32 s4, s31
	s_cbranch_execz .LBB373_7
; %bb.35:                               ;   in Loop: Header=BB373_8 Depth=1
	v_mul_f32_e32 v11, s22, v26
	v_mul_f32_e32 v10, s23, v26
	s_and_not1_b32 vcc_lo, exec_lo, s9
	s_mov_b32 s5, -1
	s_delay_alu instid0(VALU_DEP_2) | instskip(NEXT) | instid1(VALU_DEP_2)
	v_fmac_f32_e32 v11, s23, v27
	v_fma_f32 v10, v27, s22, -v10
	s_wait_alu 0xfffe
	s_cbranch_vccnz .LBB373_37
; %bb.36:                               ;   in Loop: Header=BB373_8 Depth=1
	v_add_co_u32 v13, vcc_lo, v1, v8
	s_wait_alu 0xfffd
	v_add_co_ci_u32_e64 v14, null, v12, v9, vcc_lo
	s_mov_b32 s5, 0
	flat_load_b64 v[26:27], v[13:14]
	s_wait_loadcnt_dscnt 0x0
	v_mul_f32_e32 v15, s15, v27
	v_mul_f32_e32 v27, s14, v27
	s_delay_alu instid0(VALU_DEP_2) | instskip(NEXT) | instid1(VALU_DEP_1)
	v_fma_f32 v15, v26, s14, -v15
	v_dual_fmac_f32 v27, s15, v26 :: v_dual_add_f32 v26, v10, v15
	s_delay_alu instid0(VALU_DEP_1)
	v_add_f32_e32 v27, v11, v27
	flat_store_b64 v[13:14], v[26:27]
.LBB373_37:                             ;   in Loop: Header=BB373_8 Depth=1
	s_wait_alu 0xfffe
	s_and_not1_b32 vcc_lo, exec_lo, s5
	s_wait_alu 0xfffe
	s_cbranch_vccnz .LBB373_7
; %bb.38:                               ;   in Loop: Header=BB373_8 Depth=1
	v_add_co_u32 v13, vcc_lo, v1, v8
	s_wait_alu 0xfffd
	v_add_co_ci_u32_e64 v14, null, v12, v9, vcc_lo
	flat_store_b64 v[13:14], v[10:11]
	s_branch .LBB373_7
.LBB373_39:
	s_endpgm
	.section	.rodata,"a",@progbits
	.p2align	6, 0x0
	.amdhsa_kernel _ZL29rocblas_internal_gemmt_kernelIiLi16ELi32ELi8ELc84ELc84ELc76ELb0ELb0E19rocblas_complex_numIfEPKS1_PKS3_PKPS1_EviT_T9_T10_S9_lSB_S9_lSA_T11_S9_li
		.amdhsa_group_segment_fixed_size 4096
		.amdhsa_private_segment_fixed_size 0
		.amdhsa_kernarg_size 100
		.amdhsa_user_sgpr_count 2
		.amdhsa_user_sgpr_dispatch_ptr 0
		.amdhsa_user_sgpr_queue_ptr 0
		.amdhsa_user_sgpr_kernarg_segment_ptr 1
		.amdhsa_user_sgpr_dispatch_id 0
		.amdhsa_user_sgpr_private_segment_size 0
		.amdhsa_wavefront_size32 1
		.amdhsa_uses_dynamic_stack 0
		.amdhsa_enable_private_segment 0
		.amdhsa_system_sgpr_workgroup_id_x 1
		.amdhsa_system_sgpr_workgroup_id_y 1
		.amdhsa_system_sgpr_workgroup_id_z 1
		.amdhsa_system_sgpr_workgroup_info 0
		.amdhsa_system_vgpr_workitem_id 1
		.amdhsa_next_free_vgpr 71
		.amdhsa_next_free_sgpr 37
		.amdhsa_reserve_vcc 1
		.amdhsa_float_round_mode_32 0
		.amdhsa_float_round_mode_16_64 0
		.amdhsa_float_denorm_mode_32 3
		.amdhsa_float_denorm_mode_16_64 3
		.amdhsa_fp16_overflow 0
		.amdhsa_workgroup_processor_mode 1
		.amdhsa_memory_ordered 1
		.amdhsa_forward_progress 1
		.amdhsa_inst_pref_size 25
		.amdhsa_round_robin_scheduling 0
		.amdhsa_exception_fp_ieee_invalid_op 0
		.amdhsa_exception_fp_denorm_src 0
		.amdhsa_exception_fp_ieee_div_zero 0
		.amdhsa_exception_fp_ieee_overflow 0
		.amdhsa_exception_fp_ieee_underflow 0
		.amdhsa_exception_fp_ieee_inexact 0
		.amdhsa_exception_int_div_zero 0
	.end_amdhsa_kernel
	.section	.text._ZL29rocblas_internal_gemmt_kernelIiLi16ELi32ELi8ELc84ELc84ELc76ELb0ELb0E19rocblas_complex_numIfEPKS1_PKS3_PKPS1_EviT_T9_T10_S9_lSB_S9_lSA_T11_S9_li,"axG",@progbits,_ZL29rocblas_internal_gemmt_kernelIiLi16ELi32ELi8ELc84ELc84ELc76ELb0ELb0E19rocblas_complex_numIfEPKS1_PKS3_PKPS1_EviT_T9_T10_S9_lSB_S9_lSA_T11_S9_li,comdat
.Lfunc_end373:
	.size	_ZL29rocblas_internal_gemmt_kernelIiLi16ELi32ELi8ELc84ELc84ELc76ELb0ELb0E19rocblas_complex_numIfEPKS1_PKS3_PKPS1_EviT_T9_T10_S9_lSB_S9_lSA_T11_S9_li, .Lfunc_end373-_ZL29rocblas_internal_gemmt_kernelIiLi16ELi32ELi8ELc84ELc84ELc76ELb0ELb0E19rocblas_complex_numIfEPKS1_PKS3_PKPS1_EviT_T9_T10_S9_lSB_S9_lSA_T11_S9_li
                                        ; -- End function
	.set _ZL29rocblas_internal_gemmt_kernelIiLi16ELi32ELi8ELc84ELc84ELc76ELb0ELb0E19rocblas_complex_numIfEPKS1_PKS3_PKPS1_EviT_T9_T10_S9_lSB_S9_lSA_T11_S9_li.num_vgpr, 71
	.set _ZL29rocblas_internal_gemmt_kernelIiLi16ELi32ELi8ELc84ELc84ELc76ELb0ELb0E19rocblas_complex_numIfEPKS1_PKS3_PKPS1_EviT_T9_T10_S9_lSB_S9_lSA_T11_S9_li.num_agpr, 0
	.set _ZL29rocblas_internal_gemmt_kernelIiLi16ELi32ELi8ELc84ELc84ELc76ELb0ELb0E19rocblas_complex_numIfEPKS1_PKS3_PKPS1_EviT_T9_T10_S9_lSB_S9_lSA_T11_S9_li.numbered_sgpr, 37
	.set _ZL29rocblas_internal_gemmt_kernelIiLi16ELi32ELi8ELc84ELc84ELc76ELb0ELb0E19rocblas_complex_numIfEPKS1_PKS3_PKPS1_EviT_T9_T10_S9_lSB_S9_lSA_T11_S9_li.num_named_barrier, 0
	.set _ZL29rocblas_internal_gemmt_kernelIiLi16ELi32ELi8ELc84ELc84ELc76ELb0ELb0E19rocblas_complex_numIfEPKS1_PKS3_PKPS1_EviT_T9_T10_S9_lSB_S9_lSA_T11_S9_li.private_seg_size, 0
	.set _ZL29rocblas_internal_gemmt_kernelIiLi16ELi32ELi8ELc84ELc84ELc76ELb0ELb0E19rocblas_complex_numIfEPKS1_PKS3_PKPS1_EviT_T9_T10_S9_lSB_S9_lSA_T11_S9_li.uses_vcc, 1
	.set _ZL29rocblas_internal_gemmt_kernelIiLi16ELi32ELi8ELc84ELc84ELc76ELb0ELb0E19rocblas_complex_numIfEPKS1_PKS3_PKPS1_EviT_T9_T10_S9_lSB_S9_lSA_T11_S9_li.uses_flat_scratch, 0
	.set _ZL29rocblas_internal_gemmt_kernelIiLi16ELi32ELi8ELc84ELc84ELc76ELb0ELb0E19rocblas_complex_numIfEPKS1_PKS3_PKPS1_EviT_T9_T10_S9_lSB_S9_lSA_T11_S9_li.has_dyn_sized_stack, 0
	.set _ZL29rocblas_internal_gemmt_kernelIiLi16ELi32ELi8ELc84ELc84ELc76ELb0ELb0E19rocblas_complex_numIfEPKS1_PKS3_PKPS1_EviT_T9_T10_S9_lSB_S9_lSA_T11_S9_li.has_recursion, 0
	.set _ZL29rocblas_internal_gemmt_kernelIiLi16ELi32ELi8ELc84ELc84ELc76ELb0ELb0E19rocblas_complex_numIfEPKS1_PKS3_PKPS1_EviT_T9_T10_S9_lSB_S9_lSA_T11_S9_li.has_indirect_call, 0
	.section	.AMDGPU.csdata,"",@progbits
; Kernel info:
; codeLenInByte = 3200
; TotalNumSgprs: 39
; NumVgprs: 71
; ScratchSize: 0
; MemoryBound: 1
; FloatMode: 240
; IeeeMode: 1
; LDSByteSize: 4096 bytes/workgroup (compile time only)
; SGPRBlocks: 0
; VGPRBlocks: 8
; NumSGPRsForWavesPerEU: 39
; NumVGPRsForWavesPerEU: 71
; Occupancy: 16
; WaveLimiterHint : 1
; COMPUTE_PGM_RSRC2:SCRATCH_EN: 0
; COMPUTE_PGM_RSRC2:USER_SGPR: 2
; COMPUTE_PGM_RSRC2:TRAP_HANDLER: 0
; COMPUTE_PGM_RSRC2:TGID_X_EN: 1
; COMPUTE_PGM_RSRC2:TGID_Y_EN: 1
; COMPUTE_PGM_RSRC2:TGID_Z_EN: 1
; COMPUTE_PGM_RSRC2:TIDIG_COMP_CNT: 1
	.section	.text._ZL29rocblas_internal_gemmt_kernelIiLi16ELi32ELi8ELc84ELc67ELc76ELb0ELb1E19rocblas_complex_numIfEPKS1_PKS3_PKPS1_EviT_T9_T10_S9_lSB_S9_lSA_T11_S9_li,"axG",@progbits,_ZL29rocblas_internal_gemmt_kernelIiLi16ELi32ELi8ELc84ELc67ELc76ELb0ELb1E19rocblas_complex_numIfEPKS1_PKS3_PKPS1_EviT_T9_T10_S9_lSB_S9_lSA_T11_S9_li,comdat
	.globl	_ZL29rocblas_internal_gemmt_kernelIiLi16ELi32ELi8ELc84ELc67ELc76ELb0ELb1E19rocblas_complex_numIfEPKS1_PKS3_PKPS1_EviT_T9_T10_S9_lSB_S9_lSA_T11_S9_li ; -- Begin function _ZL29rocblas_internal_gemmt_kernelIiLi16ELi32ELi8ELc84ELc67ELc76ELb0ELb1E19rocblas_complex_numIfEPKS1_PKS3_PKPS1_EviT_T9_T10_S9_lSB_S9_lSA_T11_S9_li
	.p2align	8
	.type	_ZL29rocblas_internal_gemmt_kernelIiLi16ELi32ELi8ELc84ELc67ELc76ELb0ELb1E19rocblas_complex_numIfEPKS1_PKS3_PKPS1_EviT_T9_T10_S9_lSB_S9_lSA_T11_S9_li,@function
_ZL29rocblas_internal_gemmt_kernelIiLi16ELi32ELi8ELc84ELc67ELc76ELb0ELb1E19rocblas_complex_numIfEPKS1_PKS3_PKPS1_EviT_T9_T10_S9_lSB_S9_lSA_T11_S9_li: ; @_ZL29rocblas_internal_gemmt_kernelIiLi16ELi32ELi8ELc84ELc67ELc76ELb0ELb1E19rocblas_complex_numIfEPKS1_PKS3_PKPS1_EviT_T9_T10_S9_lSB_S9_lSA_T11_S9_li
; %bb.0:
	s_load_b128 s[12:15], s[0:1], 0x38
	s_wait_kmcnt 0x0
	s_load_b64 s[14:15], s[14:15], 0x0
	s_clause 0x1
	s_load_b128 s[4:7], s[0:1], 0x8
	s_load_b64 s[20:21], s[0:1], 0x0
	s_wait_kmcnt 0x0
	s_load_b64 s[22:23], s[4:5], 0x0
	s_cmp_eq_f32 s14, 1.0
	s_cselect_b32 s3, -1, 0
	s_and_b32 s2, s15, 0x7fffffff
	s_delay_alu instid0(SALU_CYCLE_1) | instskip(SKIP_1) | instid1(SALU_CYCLE_1)
	s_cmp_eq_u32 s2, 0
	s_cselect_b32 s2, -1, 0
	s_and_b32 s4, s3, s2
	s_mov_b32 s3, 0
	s_and_not1_b32 vcc_lo, exec_lo, s4
	s_mov_b32 s4, -1
	s_cbranch_vccnz .LBB374_4
; %bb.1:
	s_cmp_lg_u32 s21, 0
	s_cbranch_scc0 .LBB374_3
; %bb.2:
	s_wait_kmcnt 0x0
	s_cmp_neq_f32 s22, 0
	s_cselect_b32 s3, -1, 0
	s_cmp_neq_f32 s23, 0
	s_cselect_b32 s4, -1, 0
	s_delay_alu instid0(SALU_CYCLE_1)
	s_or_b32 s3, s3, s4
.LBB374_3:
	s_delay_alu instid0(SALU_CYCLE_1)
	s_mov_b32 s4, s3
.LBB374_4:
	s_delay_alu instid0(SALU_CYCLE_1)
	s_and_b32 vcc_lo, exec_lo, s4
	s_cbranch_vccz .LBB374_39
; %bb.5:
	s_load_b32 s19, s[0:1], 0x60
	s_lshr_b32 s24, ttmp7, 16
	s_wait_kmcnt 0x0
	s_cmp_ge_u32 s24, s19
	s_cbranch_scc1 .LBB374_39
; %bb.6:
	s_clause 0x2
	s_load_b32 s26, s[0:1], 0x30
	s_load_b32 s5, s[0:1], 0x18
	s_load_b128 s[8:11], s[0:1], 0x20
	v_and_b32_e32 v1, 0x3ff, v0
	v_bfe_u32 v2, v0, 10, 10
	v_and_b32_e32 v16, 7, v0
	s_clause 0x1
	s_load_b96 s[16:18], s[0:1], 0x48
	s_load_b64 s[28:29], s[0:1], 0x58
	s_lshl_b32 s1, ttmp7, 5
	s_lshl_b32 s0, ttmp9, 5
	v_lshl_add_u32 v0, v2, 4, v1
	s_and_b32 s1, s1, 0x1fffe0
	v_lshlrev_b32_e32 v3, 3, v16
	v_lshlrev_b32_e32 v17, 3, v1
	v_add_nc_u32_e32 v6, s0, v1
	v_lshrrev_b32_e32 v4, 3, v0
	v_and_b32_e32 v1, 31, v0
	v_lshrrev_b32_e32 v18, 5, v0
	v_lshl_add_u32 v21, v2, 6, 0x800
	v_add_nc_u32_e32 v8, 16, v6
	v_lshl_or_b32 v3, v4, 6, v3
	s_wait_kmcnt 0x0
	s_ashr_i32 s27, s26, 31
	s_cmp_neq_f32 s22, 0
	v_or_b32_e32 v0, s0, v1
	v_lshlrev_b32_e32 v1, 3, v1
	v_add_nc_u32_e32 v20, 0x800, v3
	s_cselect_b32 s3, -1, 0
	s_cmp_neq_f32 s23, 0
	v_add_nc_u32_e32 v3, s1, v2
	v_add_nc_u32_e32 v5, s1, v4
	v_lshl_or_b32 v19, v18, 8, v1
	s_cselect_b32 s4, -1, 0
	v_mad_co_i64_i32 v[10:11], null, s26, v16, 0
	s_or_b32 s33, s3, s4
	s_cmp_gt_i32 s21, 0
	v_cmp_le_i32_e64 s1, v3, v6
	s_cselect_b32 s34, -1, 0
	s_cmp_neq_f32 s14, 0
	v_cmp_le_i32_e64 s3, v3, v8
	v_mad_co_i64_i32 v[1:2], null, v3, s18, 0
	v_add_nc_u32_e32 v12, 16, v3
	v_mad_co_i64_i32 v[3:4], null, s5, v0, 0
	s_cselect_b32 s35, -1, 0
	s_xor_b32 s36, s2, -1
	v_cmp_gt_i32_e64 s2, s20, v6
	v_cmp_gt_i32_e64 s4, s20, v8
	v_cmp_gt_i32_e32 vcc_lo, s20, v0
	v_cmp_gt_i32_e64 s0, s20, v5
	v_lshlrev_b64_e32 v[3:4], 3, v[3:4]
	s_and_b32 s20, s1, s2
	s_and_b32 s30, s3, s4
	v_cmp_le_i32_e64 s1, v12, v6
	v_cmp_le_i32_e64 s3, v12, v8
	v_mad_co_i64_i32 v[12:13], null, v12, s18, 0
	v_lshlrev_b64_e32 v[10:11], 3, v[10:11]
	s_delay_alu instid0(VALU_DEP_4) | instskip(NEXT) | instid1(VALU_DEP_3)
	s_and_b32 s18, s1, s2
	s_and_b32 s31, s3, s4
	s_lshl_b64 s[2:3], s[8:9], 3
	v_lshlrev_b32_e32 v5, 3, v5
	v_add_co_u32 v3, s1, v3, s2
	s_wait_alu 0xf1ff
	v_add_co_ci_u32_e64 v4, null, s3, v4, s1
	s_lshl_b64 s[2:3], s[12:13], 3
	v_lshlrev_b32_e32 v14, 3, v18
	s_wait_alu 0xfffe
	v_add_co_u32 v10, s1, v10, s2
	v_ashrrev_i32_e32 v7, 31, v6
	v_ashrrev_i32_e32 v9, 31, v8
	s_wait_alu 0xf1ff
	v_add_co_ci_u32_e64 v11, null, s3, v11, s1
	v_add_co_u32 v5, s1, v10, v5
	v_add_co_u32 v22, s2, v3, v14
	s_wait_alu 0xf1ff
	v_add_co_ci_u32_e64 v23, null, 0, v4, s2
	s_delay_alu instid0(VALU_DEP_3)
	v_or_b32_e32 v25, 4, v5
	v_lshlrev_b64_e32 v[2:3], 3, v[1:2]
	v_lshlrev_b64_e32 v[4:5], 3, v[12:13]
	;; [unrolled: 1-line block ×4, first 2 shown]
	v_mov_b32_e32 v0, 0
	v_add_co_ci_u32_e64 v24, null, 0, v11, s1
	s_mov_b32 s25, 0
	s_lshl_b64 s[2:3], s[26:27], 6
	s_and_b32 s8, s33, s34
	s_or_b32 s9, s35, s36
	s_xor_b32 s12, vcc_lo, -1
	s_xor_b32 s13, s0, -1
	s_lshl_b64 s[0:1], s[28:29], 3
	s_branch .LBB374_8
.LBB374_7:                              ;   in Loop: Header=BB374_8 Depth=1
	s_wait_alu 0xfffe
	s_or_b32 exec_lo, exec_lo, s4
	s_add_co_i32 s24, s24, 0x10000
	s_delay_alu instid0(SALU_CYCLE_1)
	s_cmp_lt_u32 s24, s19
	s_cbranch_scc0 .LBB374_39
.LBB374_8:                              ; =>This Loop Header: Depth=1
                                        ;     Child Loop BB374_11 Depth 2
	s_lshl_b64 s[4:5], s[24:25], 3
	v_dual_mov_b32 v33, v0 :: v_dual_mov_b32 v32, v0
	s_wait_alu 0xfffe
	s_add_nc_u64 s[26:27], s[16:17], s[4:5]
	v_dual_mov_b32 v30, v0 :: v_dual_mov_b32 v31, v0
	global_load_b64 v[10:11], v0, s[26:27]
	v_dual_mov_b32 v28, v0 :: v_dual_mov_b32 v29, v0
	v_dual_mov_b32 v27, v0 :: v_dual_mov_b32 v26, v0
	s_and_not1_b32 vcc_lo, exec_lo, s8
	s_wait_alu 0xfffe
	s_cbranch_vccnz .LBB374_19
; %bb.9:                                ;   in Loop: Header=BB374_8 Depth=1
	s_add_nc_u64 s[26:27], s[6:7], s[4:5]
	s_add_nc_u64 s[4:5], s[10:11], s[4:5]
	s_clause 0x1
	global_load_b64 v[12:13], v0, s[26:27]
	global_load_b64 v[14:15], v0, s[4:5]
	v_dual_mov_b32 v26, 0 :: v_dual_mov_b32 v27, 0
	v_dual_mov_b32 v29, 0 :: v_dual_mov_b32 v28, 0
	;; [unrolled: 1-line block ×4, first 2 shown]
	s_mov_b32 s4, 0
	s_wait_loadcnt 0x1
	v_add_co_u32 v12, vcc_lo, v12, v22
	s_wait_alu 0xfffd
	v_add_co_ci_u32_e64 v13, null, v13, v23, vcc_lo
	s_wait_loadcnt 0x0
	v_add_co_u32 v14, vcc_lo, v14, v25
	s_wait_alu 0xfffd
	v_add_co_ci_u32_e64 v15, null, v15, v24, vcc_lo
	s_branch .LBB374_11
.LBB374_10:                             ;   in Loop: Header=BB374_11 Depth=2
	s_or_b32 exec_lo, exec_lo, s5
	ds_store_b32 v20, v1 offset:4
	s_wait_dscnt 0x0
	s_barrier_signal -1
	s_barrier_wait -1
	global_inv scope:SCOPE_SE
	ds_load_b128 v[34:37], v21
	ds_load_2addr_b64 v[38:41], v17 offset1:16
	ds_load_b128 v[42:45], v21 offset:1024
	ds_load_b128 v[46:49], v21 offset:16
	ds_load_b128 v[50:53], v21 offset:32
	ds_load_b128 v[54:57], v21 offset:48
	ds_load_2addr_b64 v[58:61], v17 offset0:32 offset1:48
	ds_load_b128 v[62:65], v21 offset:1040
	v_add_co_u32 v12, vcc_lo, v12, 64
	s_wait_alu 0xfffd
	v_add_co_ci_u32_e64 v13, null, 0, v13, vcc_lo
	v_add_co_u32 v14, vcc_lo, v14, s2
	s_wait_alu 0xfffd
	v_add_co_ci_u32_e64 v15, null, s3, v15, vcc_lo
	s_add_co_i32 s4, s4, 8
	s_wait_alu 0xfffe
	s_cmp_lt_i32 s4, s21
	s_wait_dscnt 0x6
	v_dual_mul_f32 v1, v35, v39 :: v_dual_mul_f32 v68, v34, v41
	v_dual_mul_f32 v66, v34, v39 :: v_dual_mul_f32 v67, v35, v41
	s_wait_dscnt 0x5
	v_mul_f32_e32 v70, v43, v41
	s_delay_alu instid0(VALU_DEP_3) | instskip(SKIP_3) | instid1(VALU_DEP_4)
	v_fma_f32 v1, v34, v38, -v1
	v_dual_mul_f32 v41, v42, v41 :: v_dual_fmac_f32 v68, v35, v40
	v_fmac_f32_e32 v66, v35, v38
	v_fma_f32 v34, v34, v40, -v67
	v_add_f32_e32 v1, v33, v1
	v_mul_f32_e32 v69, v43, v39
	s_delay_alu instid0(VALU_DEP_4) | instskip(NEXT) | instid1(VALU_DEP_4)
	v_dual_mul_f32 v39, v42, v39 :: v_dual_add_f32 v32, v32, v66
	v_add_f32_e32 v33, v30, v34
	v_fma_f32 v30, v42, v40, -v70
	s_delay_alu instid0(VALU_DEP_4) | instskip(NEXT) | instid1(VALU_DEP_4)
	v_fma_f32 v35, v42, v38, -v69
	v_fmac_f32_e32 v39, v43, v38
	s_wait_dscnt 0x1
	v_dual_add_f32 v31, v31, v68 :: v_dual_mul_f32 v38, v37, v59
	v_dual_fmac_f32 v41, v43, v40 :: v_dual_mul_f32 v42, v37, v61
	v_add_f32_e32 v34, v28, v35
	v_add_f32_e32 v35, v29, v39
	v_dual_add_f32 v39, v27, v30 :: v_dual_mul_f32 v40, v36, v59
	ds_load_2addr_b64 v[27:30], v17 offset0:64 offset1:80
	v_fma_f32 v38, v36, v58, -v38
	v_add_f32_e32 v26, v26, v41
	v_dual_mul_f32 v41, v36, v61 :: v_dual_fmac_f32 v40, v37, v58
	v_fma_f32 v36, v36, v60, -v42
	s_delay_alu instid0(VALU_DEP_4) | instskip(SKIP_1) | instid1(VALU_DEP_4)
	v_add_f32_e32 v1, v1, v38
	v_mul_f32_e32 v38, v45, v59
	v_fmac_f32_e32 v41, v37, v60
	v_add_f32_e32 v40, v32, v40
	v_mul_f32_e32 v32, v44, v59
	v_add_f32_e32 v36, v33, v36
	v_fma_f32 v33, v44, v58, -v38
	v_mul_f32_e32 v37, v45, v61
	v_add_f32_e32 v38, v31, v41
	v_dual_mul_f32 v41, v44, v61 :: v_dual_fmac_f32 v32, v45, v58
	s_delay_alu instid0(VALU_DEP_4) | instskip(NEXT) | instid1(VALU_DEP_4)
	v_add_f32_e32 v42, v34, v33
	v_fma_f32 v31, v44, v60, -v37
	s_wait_dscnt 0x0
	v_mul_f32_e32 v33, v47, v28
	v_fmac_f32_e32 v41, v45, v60
	v_add_f32_e32 v35, v35, v32
	v_add_f32_e32 v39, v39, v31
	v_mul_f32_e32 v44, v47, v30
	v_fma_f32 v43, v46, v27, -v33
	ds_load_2addr_b64 v[31:34], v17 offset0:96 offset1:112
	v_add_f32_e32 v41, v26, v41
	v_mul_f32_e32 v26, v46, v30
	v_mul_f32_e32 v37, v46, v28
	v_add_f32_e32 v1, v1, v43
	v_fma_f32 v43, v46, v29, -v44
	s_delay_alu instid0(VALU_DEP_4) | instskip(NEXT) | instid1(VALU_DEP_4)
	v_fmac_f32_e32 v26, v47, v29
	v_fmac_f32_e32 v37, v47, v27
	s_delay_alu instid0(VALU_DEP_3) | instskip(NEXT) | instid1(VALU_DEP_2)
	v_dual_add_f32 v36, v36, v43 :: v_dual_mul_f32 v43, v63, v30
	v_dual_mul_f32 v30, v62, v30 :: v_dual_add_f32 v37, v40, v37
	v_mul_f32_e32 v40, v63, v28
	v_mul_f32_e32 v28, v62, v28
	v_add_f32_e32 v44, v38, v26
	v_fma_f32 v26, v62, v29, -v43
	s_delay_alu instid0(VALU_DEP_4) | instskip(SKIP_2) | instid1(VALU_DEP_3)
	v_fma_f32 v40, v62, v27, -v40
	s_wait_dscnt 0x0
	v_dual_fmac_f32 v28, v63, v27 :: v_dual_mul_f32 v43, v49, v34
	v_add_f32_e32 v39, v39, v26
	s_delay_alu instid0(VALU_DEP_3) | instskip(NEXT) | instid1(VALU_DEP_3)
	v_dual_mul_f32 v47, v65, v34 :: v_dual_add_f32 v40, v42, v40
	v_add_f32_e32 v42, v35, v28
	v_mul_f32_e32 v35, v49, v32
	v_fma_f32 v43, v48, v33, -v43
	s_delay_alu instid0(VALU_DEP_2)
	v_fma_f32 v35, v48, v31, -v35
	v_fmac_f32_e32 v30, v63, v29
	ds_load_2addr_b64 v[26:29], v17 offset0:128 offset1:144
	v_add_f32_e32 v43, v36, v43
	v_dual_add_f32 v1, v1, v35 :: v_dual_mul_f32 v38, v48, v32
	v_add_f32_e32 v41, v41, v30
	v_dual_mul_f32 v30, v48, v34 :: v_dual_mul_f32 v35, v65, v32
	v_mul_f32_e32 v32, v64, v32
	v_mul_f32_e32 v34, v64, v34
	s_delay_alu instid0(VALU_DEP_3) | instskip(NEXT) | instid1(VALU_DEP_4)
	v_fmac_f32_e32 v30, v49, v33
	v_fma_f32 v46, v64, v31, -v35
	s_delay_alu instid0(VALU_DEP_4) | instskip(SKIP_1) | instid1(VALU_DEP_4)
	v_fmac_f32_e32 v32, v65, v31
	v_fmac_f32_e32 v38, v49, v31
	v_add_f32_e32 v44, v44, v30
	v_fma_f32 v30, v64, v33, -v47
	s_wait_dscnt 0x0
	v_mul_f32_e32 v49, v50, v27
	v_dual_mul_f32 v31, v51, v27 :: v_dual_mul_f32 v58, v50, v29
	s_delay_alu instid0(VALU_DEP_2)
	v_fmac_f32_e32 v49, v51, v26
	v_add_f32_e32 v47, v42, v32
	v_add_f32_e32 v45, v37, v38
	ds_load_b128 v[35:38], v21 offset:1056
	v_fmac_f32_e32 v34, v65, v33
	v_add_f32_e32 v48, v39, v30
	v_fma_f32 v39, v50, v26, -v31
	v_add_f32_e32 v46, v40, v46
	ds_load_2addr_b64 v[30:33], v17 offset0:160 offset1:176
	v_mul_f32_e32 v40, v51, v29
	v_add_f32_e32 v34, v41, v34
	v_add_f32_e32 v1, v1, v39
	v_add_f32_e32 v45, v45, v49
	s_delay_alu instid0(VALU_DEP_4)
	v_fma_f32 v50, v50, v28, -v40
	ds_load_b128 v[39:42], v21 offset:1072
	v_add_f32_e32 v43, v43, v50
	s_wait_dscnt 0x2
	v_mul_f32_e32 v59, v36, v27
	v_mul_f32_e32 v27, v35, v27
	v_fmac_f32_e32 v58, v51, v28
	v_mul_f32_e32 v50, v36, v29
	v_mul_f32_e32 v51, v35, v29
	v_fma_f32 v49, v35, v26, -v59
	v_fmac_f32_e32 v27, v36, v26
	s_wait_dscnt 0x1
	v_dual_add_f32 v44, v44, v58 :: v_dual_mul_f32 v29, v53, v31
	v_fma_f32 v26, v35, v28, -v50
	v_fmac_f32_e32 v51, v36, v28
	v_mul_f32_e32 v36, v52, v31
	v_dual_add_f32 v46, v46, v49 :: v_dual_add_f32 v35, v47, v27
	v_mul_f32_e32 v49, v53, v33
	s_delay_alu instid0(VALU_DEP_3)
	v_fmac_f32_e32 v36, v53, v30
	v_dual_add_f32 v47, v48, v26 :: v_dual_add_f32 v50, v34, v51
	v_fma_f32 v48, v52, v30, -v29
	ds_load_2addr_b64 v[26:29], v17 offset0:192 offset1:208
	v_dual_mul_f32 v34, v52, v33 :: v_dual_add_f32 v45, v45, v36
	v_dual_mul_f32 v36, v38, v31 :: v_dual_add_f32 v1, v1, v48
	v_fma_f32 v48, v52, v32, -v49
	v_mul_f32_e32 v31, v37, v31
	s_delay_alu instid0(VALU_DEP_3) | instskip(NEXT) | instid1(VALU_DEP_3)
	v_fma_f32 v36, v37, v30, -v36
	v_dual_add_f32 v43, v43, v48 :: v_dual_mul_f32 v48, v38, v33
	s_delay_alu instid0(VALU_DEP_3) | instskip(NEXT) | instid1(VALU_DEP_1)
	v_dual_fmac_f32 v34, v53, v32 :: v_dual_fmac_f32 v31, v38, v30
	v_dual_mul_f32 v33, v37, v33 :: v_dual_add_f32 v30, v44, v34
	s_delay_alu instid0(VALU_DEP_3) | instskip(NEXT) | instid1(VALU_DEP_3)
	v_fma_f32 v34, v37, v32, -v48
	v_dual_add_f32 v44, v46, v36 :: v_dual_add_f32 v31, v35, v31
	s_wait_dscnt 0x0
	v_mul_f32_e32 v48, v54, v29
	v_dual_mul_f32 v46, v55, v27 :: v_dual_fmac_f32 v33, v38, v32
	v_add_f32_e32 v32, v47, v34
	ds_load_2addr_b64 v[34:37], v17 offset0:224 offset1:240
	v_dual_mul_f32 v38, v54, v27 :: v_dual_mul_f32 v47, v55, v29
	v_fma_f32 v46, v54, v26, -v46
	v_dual_fmac_f32 v48, v55, v28 :: v_dual_add_f32 v33, v50, v33
	s_delay_alu instid0(VALU_DEP_3) | instskip(NEXT) | instid1(VALU_DEP_4)
	v_fmac_f32_e32 v38, v55, v26
	v_fma_f32 v47, v54, v28, -v47
	s_delay_alu instid0(VALU_DEP_4) | instskip(SKIP_2) | instid1(VALU_DEP_3)
	v_dual_add_f32 v1, v1, v46 :: v_dual_mul_f32 v46, v40, v27
	v_mul_f32_e32 v27, v39, v27
	s_wait_loadcnt_dscnt 0x0
	v_add_f32_e32 v43, v43, v47
	v_dual_add_f32 v47, v30, v48 :: v_dual_add_f32 v38, v45, v38
	v_fma_f32 v45, v39, v26, -v46
	v_mul_f32_e32 v46, v40, v29
	v_fmac_f32_e32 v27, v40, v26
	v_mul_f32_e32 v29, v39, v29
	s_barrier_signal -1
	v_add_f32_e32 v26, v44, v45
	v_fma_f32 v30, v39, v28, -v46
	v_mul_f32_e32 v39, v57, v35
	v_mul_f32_e32 v44, v56, v35
	v_fmac_f32_e32 v29, v40, v28
	s_delay_alu instid0(VALU_DEP_4) | instskip(NEXT) | instid1(VALU_DEP_4)
	v_dual_add_f32 v27, v31, v27 :: v_dual_add_f32 v40, v32, v30
	v_fma_f32 v28, v56, v34, -v39
	s_delay_alu instid0(VALU_DEP_4) | instskip(NEXT) | instid1(VALU_DEP_4)
	v_fmac_f32_e32 v44, v57, v34
	v_add_f32_e32 v39, v33, v29
	v_mul_f32_e32 v31, v56, v37
	s_barrier_wait -1
	v_dual_add_f32 v33, v1, v28 :: v_dual_mul_f32 v28, v42, v35
	v_mul_f32_e32 v29, v41, v35
	v_mul_f32_e32 v30, v57, v37
	;; [unrolled: 1-line block ×3, first 2 shown]
	v_dual_mul_f32 v37, v41, v37 :: v_dual_add_f32 v32, v38, v44
	s_delay_alu instid0(VALU_DEP_4) | instskip(NEXT) | instid1(VALU_DEP_4)
	v_fmac_f32_e32 v29, v42, v34
	v_fma_f32 v1, v56, v36, -v30
	global_inv scope:SCOPE_SE
	v_fmac_f32_e32 v37, v42, v36
	v_add_f32_e32 v29, v27, v29
	v_add_f32_e32 v30, v43, v1
	v_fma_f32 v1, v41, v34, -v28
	v_fmac_f32_e32 v31, v57, v36
	v_fma_f32 v34, v41, v36, -v35
	s_delay_alu instid0(VALU_DEP_2) | instskip(NEXT) | instid1(VALU_DEP_2)
	v_dual_add_f32 v28, v26, v1 :: v_dual_add_f32 v31, v47, v31
	v_dual_add_f32 v27, v40, v34 :: v_dual_add_f32 v26, v39, v37
	s_cbranch_scc0 .LBB374_19
.LBB374_11:                             ;   Parent Loop BB374_8 Depth=1
                                        ; =>  This Inner Loop Header: Depth=2
	s_wait_alu 0xfffe
	v_add_nc_u32_e32 v1, s4, v18
	s_delay_alu instid0(VALU_DEP_1)
	v_cmp_le_i32_e32 vcc_lo, s21, v1
	s_or_b32 s5, s12, vcc_lo
	s_wait_alu 0xfffe
	s_and_saveexec_b32 s26, s5
	s_wait_alu 0xfffe
	s_xor_b32 s5, exec_lo, s26
; %bb.12:                               ;   in Loop: Header=BB374_11 Depth=2
	v_mov_b32_e32 v1, v0
	ds_store_b64 v19, v[0:1]
; %bb.13:                               ;   in Loop: Header=BB374_11 Depth=2
	s_wait_alu 0xfffe
	s_and_not1_saveexec_b32 s5, s5
	s_cbranch_execz .LBB374_15
; %bb.14:                               ;   in Loop: Header=BB374_11 Depth=2
	flat_load_b64 v[34:35], v[12:13]
	s_wait_loadcnt_dscnt 0x0
	ds_store_b64 v19, v[34:35]
.LBB374_15:                             ;   in Loop: Header=BB374_11 Depth=2
	s_wait_alu 0xfffe
	s_or_b32 exec_lo, exec_lo, s5
	v_add_nc_u32_e32 v1, s4, v16
	s_delay_alu instid0(VALU_DEP_1)
	v_cmp_le_i32_e32 vcc_lo, s21, v1
	s_or_b32 s5, vcc_lo, s13
	s_wait_alu 0xfffe
	s_and_saveexec_b32 s26, s5
	s_wait_alu 0xfffe
	s_xor_b32 s5, exec_lo, s26
; %bb.16:                               ;   in Loop: Header=BB374_11 Depth=2
	ds_store_b32 v20, v0
; %bb.17:                               ;   in Loop: Header=BB374_11 Depth=2
	s_wait_alu 0xfffe
	s_or_saveexec_b32 s5, s5
	v_mov_b32_e32 v1, 0
	s_wait_alu 0xfffe
	s_xor_b32 exec_lo, exec_lo, s5
	s_cbranch_execz .LBB374_10
; %bb.18:                               ;   in Loop: Header=BB374_11 Depth=2
	flat_load_b64 v[34:35], v[14:15] offset:-4
	s_wait_loadcnt_dscnt 0x0
	v_xor_b32_e32 v1, 0x80000000, v35
	ds_store_b32 v20, v34
	s_branch .LBB374_10
.LBB374_19:                             ;   in Loop: Header=BB374_8 Depth=1
	s_wait_loadcnt 0x0
	v_add_co_u32 v1, vcc_lo, v10, s0
	s_wait_alu 0xfffd
	v_add_co_ci_u32_e64 v12, null, s1, v11, vcc_lo
	s_delay_alu instid0(VALU_DEP_2) | instskip(SKIP_1) | instid1(VALU_DEP_2)
	v_add_co_u32 v13, vcc_lo, v1, v2
	s_wait_alu 0xfffd
	v_add_co_ci_u32_e64 v14, null, v12, v3, vcc_lo
	s_and_saveexec_b32 s4, s20
	s_cbranch_execz .LBB374_24
; %bb.20:                               ;   in Loop: Header=BB374_8 Depth=1
	v_mul_f32_e32 v11, s22, v32
	v_mul_f32_e32 v10, s23, v32
	s_and_b32 vcc_lo, exec_lo, s9
	s_mov_b32 s5, -1
	s_delay_alu instid0(VALU_DEP_2) | instskip(NEXT) | instid1(VALU_DEP_2)
	v_fmac_f32_e32 v11, s23, v33
	v_fma_f32 v10, v33, s22, -v10
	s_wait_alu 0xfffe
	s_cbranch_vccz .LBB374_22
; %bb.21:                               ;   in Loop: Header=BB374_8 Depth=1
	v_add_co_u32 v32, vcc_lo, v13, v6
	s_wait_alu 0xfffd
	v_add_co_ci_u32_e64 v33, null, v14, v7, vcc_lo
	s_mov_b32 s5, 0
	flat_load_b64 v[34:35], v[32:33]
	s_wait_loadcnt_dscnt 0x0
	v_mul_f32_e32 v15, s15, v35
	v_mul_f32_e32 v35, s14, v35
	s_delay_alu instid0(VALU_DEP_2) | instskip(NEXT) | instid1(VALU_DEP_1)
	v_fma_f32 v15, v34, s14, -v15
	v_dual_fmac_f32 v35, s15, v34 :: v_dual_add_f32 v34, v10, v15
	s_delay_alu instid0(VALU_DEP_1)
	v_add_f32_e32 v35, v11, v35
	flat_store_b64 v[32:33], v[34:35]
.LBB374_22:                             ;   in Loop: Header=BB374_8 Depth=1
	s_wait_alu 0xfffe
	s_and_not1_b32 vcc_lo, exec_lo, s5
	s_wait_alu 0xfffe
	s_cbranch_vccnz .LBB374_24
; %bb.23:                               ;   in Loop: Header=BB374_8 Depth=1
	v_add_co_u32 v32, vcc_lo, v13, v6
	s_wait_alu 0xfffd
	v_add_co_ci_u32_e64 v33, null, v14, v7, vcc_lo
	flat_store_b64 v[32:33], v[10:11]
.LBB374_24:                             ;   in Loop: Header=BB374_8 Depth=1
	s_wait_alu 0xfffe
	s_or_b32 exec_lo, exec_lo, s4
	s_and_saveexec_b32 s4, s30
	s_cbranch_execz .LBB374_29
; %bb.25:                               ;   in Loop: Header=BB374_8 Depth=1
	v_mul_f32_e32 v11, s22, v31
	v_mul_f32_e32 v10, s23, v31
	s_and_not1_b32 vcc_lo, exec_lo, s9
	s_mov_b32 s5, -1
	s_delay_alu instid0(VALU_DEP_2) | instskip(NEXT) | instid1(VALU_DEP_2)
	v_fmac_f32_e32 v11, s23, v30
	v_fma_f32 v10, v30, s22, -v10
	s_wait_alu 0xfffe
	s_cbranch_vccnz .LBB374_27
; %bb.26:                               ;   in Loop: Header=BB374_8 Depth=1
	v_add_co_u32 v30, vcc_lo, v13, v8
	s_wait_alu 0xfffd
	v_add_co_ci_u32_e64 v31, null, v14, v9, vcc_lo
	s_mov_b32 s5, 0
	flat_load_b64 v[32:33], v[30:31]
	s_wait_loadcnt_dscnt 0x0
	v_mul_f32_e32 v15, s15, v33
	s_delay_alu instid0(VALU_DEP_1) | instskip(SKIP_1) | instid1(VALU_DEP_1)
	v_fma_f32 v15, v32, s14, -v15
	v_mul_f32_e32 v33, s14, v33
	v_dual_fmac_f32 v33, s15, v32 :: v_dual_add_f32 v32, v10, v15
	s_delay_alu instid0(VALU_DEP_1)
	v_add_f32_e32 v33, v11, v33
	flat_store_b64 v[30:31], v[32:33]
.LBB374_27:                             ;   in Loop: Header=BB374_8 Depth=1
	s_wait_alu 0xfffe
	s_and_not1_b32 vcc_lo, exec_lo, s5
	s_wait_alu 0xfffe
	s_cbranch_vccnz .LBB374_29
; %bb.28:                               ;   in Loop: Header=BB374_8 Depth=1
	v_add_co_u32 v13, vcc_lo, v13, v8
	s_wait_alu 0xfffd
	v_add_co_ci_u32_e64 v14, null, v14, v9, vcc_lo
	flat_store_b64 v[13:14], v[10:11]
.LBB374_29:                             ;   in Loop: Header=BB374_8 Depth=1
	s_wait_alu 0xfffe
	s_or_b32 exec_lo, exec_lo, s4
	v_add_co_u32 v1, vcc_lo, v1, v4
	s_wait_alu 0xfffd
	v_add_co_ci_u32_e64 v12, null, v12, v5, vcc_lo
	s_and_saveexec_b32 s4, s18
	s_cbranch_execz .LBB374_34
; %bb.30:                               ;   in Loop: Header=BB374_8 Depth=1
	v_mul_f32_e32 v11, s22, v29
	v_mul_f32_e32 v10, s23, v29
	s_and_not1_b32 vcc_lo, exec_lo, s9
	s_mov_b32 s5, -1
	s_delay_alu instid0(VALU_DEP_2) | instskip(NEXT) | instid1(VALU_DEP_2)
	v_fmac_f32_e32 v11, s23, v28
	v_fma_f32 v10, v28, s22, -v10
	s_wait_alu 0xfffe
	s_cbranch_vccnz .LBB374_32
; %bb.31:                               ;   in Loop: Header=BB374_8 Depth=1
	v_add_co_u32 v13, vcc_lo, v1, v6
	s_wait_alu 0xfffd
	v_add_co_ci_u32_e64 v14, null, v12, v7, vcc_lo
	s_mov_b32 s5, 0
	flat_load_b64 v[28:29], v[13:14]
	s_wait_loadcnt_dscnt 0x0
	v_mul_f32_e32 v15, s15, v29
	s_delay_alu instid0(VALU_DEP_1) | instskip(SKIP_1) | instid1(VALU_DEP_1)
	v_fma_f32 v15, v28, s14, -v15
	v_mul_f32_e32 v29, s14, v29
	v_dual_fmac_f32 v29, s15, v28 :: v_dual_add_f32 v28, v10, v15
	s_delay_alu instid0(VALU_DEP_1)
	v_add_f32_e32 v29, v11, v29
	flat_store_b64 v[13:14], v[28:29]
.LBB374_32:                             ;   in Loop: Header=BB374_8 Depth=1
	s_wait_alu 0xfffe
	s_and_not1_b32 vcc_lo, exec_lo, s5
	s_wait_alu 0xfffe
	s_cbranch_vccnz .LBB374_34
; %bb.33:                               ;   in Loop: Header=BB374_8 Depth=1
	v_add_co_u32 v13, vcc_lo, v1, v6
	s_wait_alu 0xfffd
	v_add_co_ci_u32_e64 v14, null, v12, v7, vcc_lo
	flat_store_b64 v[13:14], v[10:11]
.LBB374_34:                             ;   in Loop: Header=BB374_8 Depth=1
	s_wait_alu 0xfffe
	s_or_b32 exec_lo, exec_lo, s4
	s_and_saveexec_b32 s4, s31
	s_cbranch_execz .LBB374_7
; %bb.35:                               ;   in Loop: Header=BB374_8 Depth=1
	v_mul_f32_e32 v11, s22, v26
	v_mul_f32_e32 v10, s23, v26
	s_and_not1_b32 vcc_lo, exec_lo, s9
	s_mov_b32 s5, -1
	s_delay_alu instid0(VALU_DEP_2) | instskip(NEXT) | instid1(VALU_DEP_2)
	v_fmac_f32_e32 v11, s23, v27
	v_fma_f32 v10, v27, s22, -v10
	s_wait_alu 0xfffe
	s_cbranch_vccnz .LBB374_37
; %bb.36:                               ;   in Loop: Header=BB374_8 Depth=1
	v_add_co_u32 v13, vcc_lo, v1, v8
	s_wait_alu 0xfffd
	v_add_co_ci_u32_e64 v14, null, v12, v9, vcc_lo
	s_mov_b32 s5, 0
	flat_load_b64 v[26:27], v[13:14]
	s_wait_loadcnt_dscnt 0x0
	v_mul_f32_e32 v15, s15, v27
	v_mul_f32_e32 v27, s14, v27
	s_delay_alu instid0(VALU_DEP_2) | instskip(NEXT) | instid1(VALU_DEP_1)
	v_fma_f32 v15, v26, s14, -v15
	v_dual_fmac_f32 v27, s15, v26 :: v_dual_add_f32 v26, v10, v15
	s_delay_alu instid0(VALU_DEP_1)
	v_add_f32_e32 v27, v11, v27
	flat_store_b64 v[13:14], v[26:27]
.LBB374_37:                             ;   in Loop: Header=BB374_8 Depth=1
	s_wait_alu 0xfffe
	s_and_not1_b32 vcc_lo, exec_lo, s5
	s_wait_alu 0xfffe
	s_cbranch_vccnz .LBB374_7
; %bb.38:                               ;   in Loop: Header=BB374_8 Depth=1
	v_add_co_u32 v13, vcc_lo, v1, v8
	s_wait_alu 0xfffd
	v_add_co_ci_u32_e64 v14, null, v12, v9, vcc_lo
	flat_store_b64 v[13:14], v[10:11]
	s_branch .LBB374_7
.LBB374_39:
	s_endpgm
	.section	.rodata,"a",@progbits
	.p2align	6, 0x0
	.amdhsa_kernel _ZL29rocblas_internal_gemmt_kernelIiLi16ELi32ELi8ELc84ELc67ELc76ELb0ELb1E19rocblas_complex_numIfEPKS1_PKS3_PKPS1_EviT_T9_T10_S9_lSB_S9_lSA_T11_S9_li
		.amdhsa_group_segment_fixed_size 4096
		.amdhsa_private_segment_fixed_size 0
		.amdhsa_kernarg_size 100
		.amdhsa_user_sgpr_count 2
		.amdhsa_user_sgpr_dispatch_ptr 0
		.amdhsa_user_sgpr_queue_ptr 0
		.amdhsa_user_sgpr_kernarg_segment_ptr 1
		.amdhsa_user_sgpr_dispatch_id 0
		.amdhsa_user_sgpr_private_segment_size 0
		.amdhsa_wavefront_size32 1
		.amdhsa_uses_dynamic_stack 0
		.amdhsa_enable_private_segment 0
		.amdhsa_system_sgpr_workgroup_id_x 1
		.amdhsa_system_sgpr_workgroup_id_y 1
		.amdhsa_system_sgpr_workgroup_id_z 1
		.amdhsa_system_sgpr_workgroup_info 0
		.amdhsa_system_vgpr_workitem_id 1
		.amdhsa_next_free_vgpr 71
		.amdhsa_next_free_sgpr 37
		.amdhsa_reserve_vcc 1
		.amdhsa_float_round_mode_32 0
		.amdhsa_float_round_mode_16_64 0
		.amdhsa_float_denorm_mode_32 3
		.amdhsa_float_denorm_mode_16_64 3
		.amdhsa_fp16_overflow 0
		.amdhsa_workgroup_processor_mode 1
		.amdhsa_memory_ordered 1
		.amdhsa_forward_progress 1
		.amdhsa_inst_pref_size 26
		.amdhsa_round_robin_scheduling 0
		.amdhsa_exception_fp_ieee_invalid_op 0
		.amdhsa_exception_fp_denorm_src 0
		.amdhsa_exception_fp_ieee_div_zero 0
		.amdhsa_exception_fp_ieee_overflow 0
		.amdhsa_exception_fp_ieee_underflow 0
		.amdhsa_exception_fp_ieee_inexact 0
		.amdhsa_exception_int_div_zero 0
	.end_amdhsa_kernel
	.section	.text._ZL29rocblas_internal_gemmt_kernelIiLi16ELi32ELi8ELc84ELc67ELc76ELb0ELb1E19rocblas_complex_numIfEPKS1_PKS3_PKPS1_EviT_T9_T10_S9_lSB_S9_lSA_T11_S9_li,"axG",@progbits,_ZL29rocblas_internal_gemmt_kernelIiLi16ELi32ELi8ELc84ELc67ELc76ELb0ELb1E19rocblas_complex_numIfEPKS1_PKS3_PKPS1_EviT_T9_T10_S9_lSB_S9_lSA_T11_S9_li,comdat
.Lfunc_end374:
	.size	_ZL29rocblas_internal_gemmt_kernelIiLi16ELi32ELi8ELc84ELc67ELc76ELb0ELb1E19rocblas_complex_numIfEPKS1_PKS3_PKPS1_EviT_T9_T10_S9_lSB_S9_lSA_T11_S9_li, .Lfunc_end374-_ZL29rocblas_internal_gemmt_kernelIiLi16ELi32ELi8ELc84ELc67ELc76ELb0ELb1E19rocblas_complex_numIfEPKS1_PKS3_PKPS1_EviT_T9_T10_S9_lSB_S9_lSA_T11_S9_li
                                        ; -- End function
	.set _ZL29rocblas_internal_gemmt_kernelIiLi16ELi32ELi8ELc84ELc67ELc76ELb0ELb1E19rocblas_complex_numIfEPKS1_PKS3_PKPS1_EviT_T9_T10_S9_lSB_S9_lSA_T11_S9_li.num_vgpr, 71
	.set _ZL29rocblas_internal_gemmt_kernelIiLi16ELi32ELi8ELc84ELc67ELc76ELb0ELb1E19rocblas_complex_numIfEPKS1_PKS3_PKPS1_EviT_T9_T10_S9_lSB_S9_lSA_T11_S9_li.num_agpr, 0
	.set _ZL29rocblas_internal_gemmt_kernelIiLi16ELi32ELi8ELc84ELc67ELc76ELb0ELb1E19rocblas_complex_numIfEPKS1_PKS3_PKPS1_EviT_T9_T10_S9_lSB_S9_lSA_T11_S9_li.numbered_sgpr, 37
	.set _ZL29rocblas_internal_gemmt_kernelIiLi16ELi32ELi8ELc84ELc67ELc76ELb0ELb1E19rocblas_complex_numIfEPKS1_PKS3_PKPS1_EviT_T9_T10_S9_lSB_S9_lSA_T11_S9_li.num_named_barrier, 0
	.set _ZL29rocblas_internal_gemmt_kernelIiLi16ELi32ELi8ELc84ELc67ELc76ELb0ELb1E19rocblas_complex_numIfEPKS1_PKS3_PKPS1_EviT_T9_T10_S9_lSB_S9_lSA_T11_S9_li.private_seg_size, 0
	.set _ZL29rocblas_internal_gemmt_kernelIiLi16ELi32ELi8ELc84ELc67ELc76ELb0ELb1E19rocblas_complex_numIfEPKS1_PKS3_PKPS1_EviT_T9_T10_S9_lSB_S9_lSA_T11_S9_li.uses_vcc, 1
	.set _ZL29rocblas_internal_gemmt_kernelIiLi16ELi32ELi8ELc84ELc67ELc76ELb0ELb1E19rocblas_complex_numIfEPKS1_PKS3_PKPS1_EviT_T9_T10_S9_lSB_S9_lSA_T11_S9_li.uses_flat_scratch, 0
	.set _ZL29rocblas_internal_gemmt_kernelIiLi16ELi32ELi8ELc84ELc67ELc76ELb0ELb1E19rocblas_complex_numIfEPKS1_PKS3_PKPS1_EviT_T9_T10_S9_lSB_S9_lSA_T11_S9_li.has_dyn_sized_stack, 0
	.set _ZL29rocblas_internal_gemmt_kernelIiLi16ELi32ELi8ELc84ELc67ELc76ELb0ELb1E19rocblas_complex_numIfEPKS1_PKS3_PKPS1_EviT_T9_T10_S9_lSB_S9_lSA_T11_S9_li.has_recursion, 0
	.set _ZL29rocblas_internal_gemmt_kernelIiLi16ELi32ELi8ELc84ELc67ELc76ELb0ELb1E19rocblas_complex_numIfEPKS1_PKS3_PKPS1_EviT_T9_T10_S9_lSB_S9_lSA_T11_S9_li.has_indirect_call, 0
	.section	.AMDGPU.csdata,"",@progbits
; Kernel info:
; codeLenInByte = 3208
; TotalNumSgprs: 39
; NumVgprs: 71
; ScratchSize: 0
; MemoryBound: 1
; FloatMode: 240
; IeeeMode: 1
; LDSByteSize: 4096 bytes/workgroup (compile time only)
; SGPRBlocks: 0
; VGPRBlocks: 8
; NumSGPRsForWavesPerEU: 39
; NumVGPRsForWavesPerEU: 71
; Occupancy: 16
; WaveLimiterHint : 1
; COMPUTE_PGM_RSRC2:SCRATCH_EN: 0
; COMPUTE_PGM_RSRC2:USER_SGPR: 2
; COMPUTE_PGM_RSRC2:TRAP_HANDLER: 0
; COMPUTE_PGM_RSRC2:TGID_X_EN: 1
; COMPUTE_PGM_RSRC2:TGID_Y_EN: 1
; COMPUTE_PGM_RSRC2:TGID_Z_EN: 1
; COMPUTE_PGM_RSRC2:TIDIG_COMP_CNT: 1
	.section	.text._ZL29rocblas_internal_gemmt_kernelIiLi16ELi32ELi8ELc67ELc78ELc76ELb1ELb0E19rocblas_complex_numIfEPKS1_PKS3_PKPS1_EviT_T9_T10_S9_lSB_S9_lSA_T11_S9_li,"axG",@progbits,_ZL29rocblas_internal_gemmt_kernelIiLi16ELi32ELi8ELc67ELc78ELc76ELb1ELb0E19rocblas_complex_numIfEPKS1_PKS3_PKPS1_EviT_T9_T10_S9_lSB_S9_lSA_T11_S9_li,comdat
	.globl	_ZL29rocblas_internal_gemmt_kernelIiLi16ELi32ELi8ELc67ELc78ELc76ELb1ELb0E19rocblas_complex_numIfEPKS1_PKS3_PKPS1_EviT_T9_T10_S9_lSB_S9_lSA_T11_S9_li ; -- Begin function _ZL29rocblas_internal_gemmt_kernelIiLi16ELi32ELi8ELc67ELc78ELc76ELb1ELb0E19rocblas_complex_numIfEPKS1_PKS3_PKPS1_EviT_T9_T10_S9_lSB_S9_lSA_T11_S9_li
	.p2align	8
	.type	_ZL29rocblas_internal_gemmt_kernelIiLi16ELi32ELi8ELc67ELc78ELc76ELb1ELb0E19rocblas_complex_numIfEPKS1_PKS3_PKPS1_EviT_T9_T10_S9_lSB_S9_lSA_T11_S9_li,@function
_ZL29rocblas_internal_gemmt_kernelIiLi16ELi32ELi8ELc67ELc78ELc76ELb1ELb0E19rocblas_complex_numIfEPKS1_PKS3_PKPS1_EviT_T9_T10_S9_lSB_S9_lSA_T11_S9_li: ; @_ZL29rocblas_internal_gemmt_kernelIiLi16ELi32ELi8ELc67ELc78ELc76ELb1ELb0E19rocblas_complex_numIfEPKS1_PKS3_PKPS1_EviT_T9_T10_S9_lSB_S9_lSA_T11_S9_li
; %bb.0:
	s_load_b128 s[12:15], s[0:1], 0x38
	s_wait_kmcnt 0x0
	s_load_b64 s[14:15], s[14:15], 0x0
	s_clause 0x1
	s_load_b128 s[4:7], s[0:1], 0x8
	s_load_b64 s[20:21], s[0:1], 0x0
	s_wait_kmcnt 0x0
	s_load_b64 s[22:23], s[4:5], 0x0
	s_cmp_eq_f32 s14, 1.0
	s_cselect_b32 s3, -1, 0
	s_and_b32 s2, s15, 0x7fffffff
	s_delay_alu instid0(SALU_CYCLE_1) | instskip(SKIP_1) | instid1(SALU_CYCLE_1)
	s_cmp_eq_u32 s2, 0
	s_cselect_b32 s2, -1, 0
	s_and_b32 s4, s3, s2
	s_mov_b32 s3, 0
	s_and_not1_b32 vcc_lo, exec_lo, s4
	s_mov_b32 s4, -1
	s_cbranch_vccnz .LBB375_4
; %bb.1:
	s_cmp_lg_u32 s21, 0
	s_cbranch_scc0 .LBB375_3
; %bb.2:
	s_wait_kmcnt 0x0
	s_cmp_neq_f32 s22, 0
	s_cselect_b32 s3, -1, 0
	s_cmp_neq_f32 s23, 0
	s_cselect_b32 s4, -1, 0
	s_delay_alu instid0(SALU_CYCLE_1)
	s_or_b32 s3, s3, s4
.LBB375_3:
	s_delay_alu instid0(SALU_CYCLE_1)
	s_mov_b32 s4, s3
.LBB375_4:
	s_delay_alu instid0(SALU_CYCLE_1)
	s_and_b32 vcc_lo, exec_lo, s4
	s_cbranch_vccz .LBB375_39
; %bb.5:
	s_load_b32 s5, s[0:1], 0x60
	s_lshr_b32 s24, ttmp7, 16
	s_wait_kmcnt 0x0
	s_cmp_ge_u32 s24, s5
	s_cbranch_scc1 .LBB375_39
; %bb.6:
	v_and_b32_e32 v1, 0x3ff, v0
	v_bfe_u32 v2, v0, 10, 10
	v_and_b32_e32 v16, 7, v0
	s_lshl_b32 s3, ttmp7, 5
	s_clause 0x4
	s_load_b32 s28, s[0:1], 0x18
	s_load_b128 s[8:11], s[0:1], 0x20
	s_load_b32 s29, s[0:1], 0x30
	s_load_b96 s[16:18], s[0:1], 0x48
	s_load_b64 s[26:27], s[0:1], 0x58
	v_lshl_add_u32 v0, v2, 4, v1
	s_lshl_b32 s4, ttmp9, 5
	s_and_b32 s3, s3, 0x1fffe0
	s_cmp_neq_f32 s22, 0
	v_lshlrev_b32_e32 v14, 3, v16
	v_lshrrev_b32_e32 v17, 5, v0
	v_lshrrev_b32_e32 v3, 3, v0
	v_and_b32_e32 v0, 31, v0
	s_cselect_b32 s19, -1, 0
	s_cmp_neq_f32 s23, 0
	v_add_nc_u32_e32 v6, s4, v1
	v_add_nc_u32_e32 v5, s3, v3
	v_or_b32_e32 v4, s4, v0
	v_lshlrev_b32_e32 v0, 3, v0
	s_cselect_b32 s0, -1, 0
	v_lshl_or_b32 v3, v3, 6, v14
	s_or_b32 s30, s19, s0
	s_cmp_gt_i32 s21, 0
	v_lshl_or_b32 v18, v17, 8, v0
	v_add_nc_u32_e32 v0, s3, v2
	v_add_nc_u32_e32 v8, 16, v6
	s_cselect_b32 s31, -1, 0
	s_cmp_neq_f32 s14, 0
	v_cmp_gt_i32_e32 vcc_lo, s20, v4
	v_add_nc_u32_e32 v19, 0x800, v3
	s_wait_kmcnt 0x0
	v_mad_co_i64_i32 v[3:4], null, s28, v4, 0
	v_lshlrev_b32_e32 v20, 3, v1
	v_lshl_add_u32 v21, v2, 6, 0x800
	s_cselect_b32 s33, -1, 0
	s_xor_b32 s34, s2, -1
	v_cmp_le_i32_e64 s1, v0, v6
	v_cmp_gt_i32_e64 s2, s20, v6
	v_cmp_le_i32_e64 s3, v0, v8
	v_cmp_gt_i32_e64 s4, s20, v8
	v_mad_co_i64_i32 v[1:2], null, v0, s18, 0
	v_add_nc_u32_e32 v0, 16, v0
	v_cmp_gt_i32_e64 s0, s20, v5
	s_and_b32 s19, s1, s2
	s_and_b32 s20, s3, s4
	v_lshlrev_b64_e32 v[3:4], 3, v[3:4]
	v_cmp_le_i32_e64 s1, v0, v6
	v_cmp_le_i32_e64 s3, v0, v8
	v_mad_co_i64_i32 v[12:13], null, s29, v5, 0
	v_mad_co_i64_i32 v[10:11], null, v0, s18, 0
	s_and_b32 s18, s1, s2
	s_and_b32 s4, s3, s4
	s_lshl_b64 s[2:3], s[8:9], 3
	v_lshlrev_b32_e32 v5, 3, v17
	s_wait_alu 0xfffe
	v_add_co_u32 v15, s1, v3, s2
	s_delay_alu instid0(VALU_DEP_1) | instskip(SKIP_1) | instid1(VALU_DEP_3)
	v_add_co_ci_u32_e64 v22, null, s3, v4, s1
	v_lshlrev_b64_e32 v[3:4], 3, v[12:13]
	v_add_co_u32 v5, s1, v15, v5
	s_lshl_b64 s[2:3], s[12:13], 3
	s_wait_alu 0xf1ff
	v_add_co_ci_u32_e64 v22, null, 0, v22, s1
	s_wait_alu 0xfffe
	v_add_co_u32 v3, s1, v3, s2
	v_ashrrev_i32_e32 v7, 31, v6
	v_ashrrev_i32_e32 v9, 31, v8
	s_wait_alu 0xf1ff
	v_add_co_ci_u32_e64 v4, null, s3, v4, s1
	v_add_co_u32 v24, s1, v3, v14
	v_or_b32_e32 v23, 4, v5
	s_wait_alu 0xf1ff
	s_delay_alu instid0(VALU_DEP_3)
	v_add_co_ci_u32_e64 v25, null, 0, v4, s1
	v_lshlrev_b64_e32 v[2:3], 3, v[1:2]
	v_lshlrev_b64_e32 v[4:5], 3, v[10:11]
	;; [unrolled: 1-line block ×4, first 2 shown]
	v_mov_b32_e32 v0, 0
	s_mov_b32 s25, 0
	s_and_b32 s8, s30, s31
	s_or_b32 s9, s33, s34
	s_xor_b32 s12, vcc_lo, -1
	s_xor_b32 s13, s0, -1
	s_lshl_b64 s[0:1], s[26:27], 3
	s_branch .LBB375_8
.LBB375_7:                              ;   in Loop: Header=BB375_8 Depth=1
	s_wait_alu 0xfffe
	s_or_b32 exec_lo, exec_lo, s2
	s_add_co_i32 s24, s24, 0x10000
	s_delay_alu instid0(SALU_CYCLE_1)
	s_cmp_lt_u32 s24, s5
	s_cbranch_scc0 .LBB375_39
.LBB375_8:                              ; =>This Loop Header: Depth=1
                                        ;     Child Loop BB375_11 Depth 2
	s_lshl_b64 s[2:3], s[24:25], 3
	v_dual_mov_b32 v33, v0 :: v_dual_mov_b32 v32, v0
	s_wait_alu 0xfffe
	s_add_nc_u64 s[26:27], s[16:17], s[2:3]
	v_dual_mov_b32 v30, v0 :: v_dual_mov_b32 v31, v0
	global_load_b64 v[10:11], v0, s[26:27]
	v_dual_mov_b32 v28, v0 :: v_dual_mov_b32 v29, v0
	v_dual_mov_b32 v27, v0 :: v_dual_mov_b32 v26, v0
	s_and_not1_b32 vcc_lo, exec_lo, s8
	s_wait_alu 0xfffe
	s_cbranch_vccnz .LBB375_19
; %bb.9:                                ;   in Loop: Header=BB375_8 Depth=1
	s_add_nc_u64 s[26:27], s[6:7], s[2:3]
	s_add_nc_u64 s[2:3], s[10:11], s[2:3]
	s_clause 0x1
	global_load_b64 v[12:13], v0, s[26:27]
	global_load_b64 v[14:15], v0, s[2:3]
	v_dual_mov_b32 v26, 0 :: v_dual_mov_b32 v27, 0
	v_dual_mov_b32 v29, 0 :: v_dual_mov_b32 v28, 0
	;; [unrolled: 1-line block ×4, first 2 shown]
	s_mov_b32 s2, 0
	s_wait_loadcnt 0x1
	v_add_co_u32 v12, vcc_lo, v12, v23
	s_wait_alu 0xfffd
	v_add_co_ci_u32_e64 v13, null, v13, v22, vcc_lo
	s_wait_loadcnt 0x0
	v_add_co_u32 v14, vcc_lo, v14, v24
	s_wait_alu 0xfffd
	v_add_co_ci_u32_e64 v15, null, v15, v25, vcc_lo
	s_branch .LBB375_11
.LBB375_10:                             ;   in Loop: Header=BB375_11 Depth=2
	s_wait_alu 0xfffe
	s_or_b32 exec_lo, exec_lo, s3
	s_wait_dscnt 0x0
	s_barrier_signal -1
	s_barrier_wait -1
	global_inv scope:SCOPE_SE
	ds_load_b128 v[34:37], v21
	ds_load_2addr_b64 v[38:41], v20 offset1:16
	ds_load_b128 v[42:45], v21 offset:1024
	ds_load_b128 v[46:49], v21 offset:16
	;; [unrolled: 1-line block ×4, first 2 shown]
	ds_load_2addr_b64 v[58:61], v20 offset0:32 offset1:48
	ds_load_b128 v[62:65], v21 offset:1040
	v_add_co_u32 v12, vcc_lo, v12, 64
	s_wait_alu 0xfffd
	v_add_co_ci_u32_e64 v13, null, 0, v13, vcc_lo
	v_add_co_u32 v14, vcc_lo, v14, 64
	s_wait_alu 0xfffd
	v_add_co_ci_u32_e64 v15, null, 0, v15, vcc_lo
	s_add_co_i32 s2, s2, 8
	s_wait_alu 0xfffe
	s_cmp_lt_i32 s2, s21
	s_wait_dscnt 0x6
	v_dual_mul_f32 v1, v35, v39 :: v_dual_mul_f32 v68, v34, v41
	v_dual_mul_f32 v66, v34, v39 :: v_dual_mul_f32 v67, v35, v41
	s_wait_dscnt 0x5
	v_mul_f32_e32 v70, v43, v41
	s_delay_alu instid0(VALU_DEP_3) | instskip(SKIP_3) | instid1(VALU_DEP_4)
	v_fma_f32 v1, v34, v38, -v1
	v_dual_mul_f32 v41, v42, v41 :: v_dual_fmac_f32 v68, v35, v40
	v_fmac_f32_e32 v66, v35, v38
	v_fma_f32 v34, v34, v40, -v67
	v_add_f32_e32 v1, v33, v1
	v_mul_f32_e32 v69, v43, v39
	s_delay_alu instid0(VALU_DEP_4) | instskip(NEXT) | instid1(VALU_DEP_4)
	v_dual_mul_f32 v39, v42, v39 :: v_dual_add_f32 v32, v32, v66
	v_add_f32_e32 v33, v30, v34
	v_fmac_f32_e32 v41, v43, v40
	s_delay_alu instid0(VALU_DEP_4) | instskip(NEXT) | instid1(VALU_DEP_4)
	v_fma_f32 v35, v42, v38, -v69
	v_fmac_f32_e32 v39, v43, v38
	v_fma_f32 v38, v42, v40, -v70
	s_wait_dscnt 0x1
	v_dual_mul_f32 v40, v36, v59 :: v_dual_add_f32 v31, v31, v68
	v_mul_f32_e32 v42, v37, v61
	v_add_f32_e32 v34, v28, v35
	v_dual_add_f32 v35, v29, v39 :: v_dual_add_f32 v38, v27, v38
	ds_load_2addr_b64 v[27:30], v20 offset0:64 offset1:80
	v_fmac_f32_e32 v40, v37, v58
	v_dual_mul_f32 v39, v37, v59 :: v_dual_add_f32 v26, v26, v41
	v_mul_f32_e32 v41, v36, v61
	s_delay_alu instid0(VALU_DEP_3) | instskip(NEXT) | instid1(VALU_DEP_3)
	v_add_f32_e32 v40, v32, v40
	v_fma_f32 v39, v36, v58, -v39
	v_fma_f32 v36, v36, v60, -v42
	v_mul_f32_e32 v32, v44, v59
	s_delay_alu instid0(VALU_DEP_3) | instskip(SKIP_1) | instid1(VALU_DEP_4)
	v_add_f32_e32 v1, v1, v39
	v_mul_f32_e32 v39, v45, v59
	v_add_f32_e32 v36, v33, v36
	v_fmac_f32_e32 v41, v37, v60
	v_mul_f32_e32 v37, v45, v61
	v_fmac_f32_e32 v32, v45, v58
	v_fma_f32 v33, v44, v58, -v39
	s_delay_alu instid0(VALU_DEP_4) | instskip(SKIP_4) | instid1(VALU_DEP_3)
	v_add_f32_e32 v39, v31, v41
	v_mul_f32_e32 v41, v44, v61
	v_fma_f32 v31, v44, v60, -v37
	s_wait_dscnt 0x0
	v_dual_add_f32 v42, v34, v33 :: v_dual_mul_f32 v33, v47, v28
	v_dual_mul_f32 v44, v47, v30 :: v_dual_fmac_f32 v41, v45, v60
	v_mul_f32_e32 v37, v46, v28
	v_add_f32_e32 v38, v38, v31
	s_delay_alu instid0(VALU_DEP_3) | instskip(SKIP_3) | instid1(VALU_DEP_2)
	v_add_f32_e32 v41, v26, v41
	v_mul_f32_e32 v26, v46, v30
	v_fma_f32 v43, v46, v27, -v33
	v_fmac_f32_e32 v37, v47, v27
	v_dual_fmac_f32 v26, v47, v29 :: v_dual_add_f32 v1, v1, v43
	v_fma_f32 v43, v46, v29, -v44
	v_add_f32_e32 v35, v35, v32
	ds_load_2addr_b64 v[31:34], v20 offset0:96 offset1:112
	v_dual_add_f32 v37, v40, v37 :: v_dual_mul_f32 v40, v63, v28
	v_mul_f32_e32 v28, v62, v28
	v_dual_add_f32 v36, v36, v43 :: v_dual_mul_f32 v43, v63, v30
	v_mul_f32_e32 v30, v62, v30
	s_delay_alu instid0(VALU_DEP_4) | instskip(NEXT) | instid1(VALU_DEP_4)
	v_fma_f32 v40, v62, v27, -v40
	v_fmac_f32_e32 v28, v63, v27
	v_add_f32_e32 v39, v39, v26
	v_fma_f32 v26, v62, v29, -v43
	v_fmac_f32_e32 v30, v63, v29
	v_add_f32_e32 v40, v42, v40
	s_delay_alu instid0(VALU_DEP_3)
	v_dual_add_f32 v42, v35, v28 :: v_dual_add_f32 v43, v38, v26
	ds_load_2addr_b64 v[26:29], v20 offset0:128 offset1:144
	s_wait_dscnt 0x1
	v_mul_f32_e32 v35, v49, v32
	v_mul_f32_e32 v38, v48, v32
	;; [unrolled: 1-line block ×4, first 2 shown]
	s_delay_alu instid0(VALU_DEP_4) | instskip(NEXT) | instid1(VALU_DEP_4)
	v_fma_f32 v35, v48, v31, -v35
	v_fmac_f32_e32 v38, v49, v31
	s_delay_alu instid0(VALU_DEP_2) | instskip(SKIP_1) | instid1(VALU_DEP_3)
	v_add_f32_e32 v1, v1, v35
	v_mul_f32_e32 v35, v65, v32
	v_dual_mul_f32 v32, v64, v32 :: v_dual_add_f32 v45, v37, v38
	s_delay_alu instid0(VALU_DEP_2) | instskip(NEXT) | instid1(VALU_DEP_2)
	v_fma_f32 v46, v64, v31, -v35
	v_fmac_f32_e32 v32, v65, v31
	s_wait_dscnt 0x0
	v_mul_f32_e32 v31, v51, v27
	v_fma_f32 v44, v48, v33, -v44
	v_add_f32_e32 v41, v41, v30
	v_mul_f32_e32 v30, v48, v34
	v_mul_f32_e32 v58, v50, v29
	s_delay_alu instid0(VALU_DEP_4) | instskip(SKIP_2) | instid1(VALU_DEP_1)
	v_add_f32_e32 v44, v36, v44
	ds_load_b128 v[35:38], v21 offset:1056
	v_dual_fmac_f32 v30, v49, v33 :: v_dual_mul_f32 v49, v50, v27
	v_add_f32_e32 v48, v39, v30
	v_fma_f32 v30, v64, v33, -v47
	v_fma_f32 v39, v50, v26, -v31
	v_mul_f32_e32 v34, v64, v34
	v_fmac_f32_e32 v49, v51, v26
	v_add_f32_e32 v46, v40, v46
	v_add_f32_e32 v43, v43, v30
	;; [unrolled: 1-line block ×4, first 2 shown]
	v_fmac_f32_e32 v34, v65, v33
	ds_load_2addr_b64 v[30:33], v20 offset0:160 offset1:176
	v_mul_f32_e32 v40, v51, v29
	v_add_f32_e32 v45, v45, v49
	v_add_f32_e32 v34, v41, v34
	s_delay_alu instid0(VALU_DEP_3)
	v_fma_f32 v50, v50, v28, -v40
	ds_load_b128 v[39:42], v21 offset:1072
	s_wait_dscnt 0x2
	v_mul_f32_e32 v59, v36, v27
	v_dual_mul_f32 v27, v35, v27 :: v_dual_add_f32 v44, v44, v50
	v_fmac_f32_e32 v58, v51, v28
	v_mul_f32_e32 v50, v36, v29
	s_delay_alu instid0(VALU_DEP_4) | instskip(NEXT) | instid1(VALU_DEP_4)
	v_fma_f32 v49, v35, v26, -v59
	v_fmac_f32_e32 v27, v36, v26
	s_delay_alu instid0(VALU_DEP_4) | instskip(SKIP_1) | instid1(VALU_DEP_3)
	v_dual_mul_f32 v51, v35, v29 :: v_dual_add_f32 v48, v48, v58
	s_wait_dscnt 0x1
	v_dual_add_f32 v46, v46, v49 :: v_dual_mul_f32 v29, v53, v31
	v_fma_f32 v26, v35, v28, -v50
	v_add_f32_e32 v35, v47, v27
	v_fmac_f32_e32 v51, v36, v28
	v_mul_f32_e32 v36, v52, v31
	v_fma_f32 v47, v52, v30, -v29
	v_add_f32_e32 v43, v43, v26
	ds_load_2addr_b64 v[26:29], v20 offset0:192 offset1:208
	v_fmac_f32_e32 v36, v53, v30
	v_dual_mul_f32 v49, v53, v33 :: v_dual_add_f32 v50, v34, v51
	v_dual_add_f32 v1, v1, v47 :: v_dual_mul_f32 v34, v52, v33
	s_delay_alu instid0(VALU_DEP_3) | instskip(NEXT) | instid1(VALU_DEP_3)
	v_dual_add_f32 v45, v45, v36 :: v_dual_mul_f32 v36, v38, v31
	v_fma_f32 v47, v52, v32, -v49
	s_delay_alu instid0(VALU_DEP_3) | instskip(NEXT) | instid1(VALU_DEP_3)
	v_fmac_f32_e32 v34, v53, v32
	v_fma_f32 v36, v37, v30, -v36
	s_delay_alu instid0(VALU_DEP_3) | instskip(SKIP_1) | instid1(VALU_DEP_3)
	v_dual_add_f32 v44, v44, v47 :: v_dual_mul_f32 v47, v38, v33
	v_mul_f32_e32 v31, v37, v31
	v_dual_mul_f32 v33, v37, v33 :: v_dual_add_f32 v46, v46, v36
	s_delay_alu instid0(VALU_DEP_2) | instskip(SKIP_2) | instid1(VALU_DEP_4)
	v_fmac_f32_e32 v31, v38, v30
	v_add_f32_e32 v30, v48, v34
	v_fma_f32 v34, v37, v32, -v47
	v_fmac_f32_e32 v33, v38, v32
	s_wait_dscnt 0x0
	v_mul_f32_e32 v38, v54, v27
	v_dual_add_f32 v31, v35, v31 :: v_dual_mul_f32 v48, v54, v29
	v_add_f32_e32 v32, v43, v34
	ds_load_2addr_b64 v[34:37], v20 offset0:224 offset1:240
	v_dual_add_f32 v33, v50, v33 :: v_dual_fmac_f32 v38, v55, v26
	v_mul_f32_e32 v47, v55, v27
	v_fmac_f32_e32 v48, v55, v28
	s_wait_loadcnt_dscnt 0x0
	s_barrier_signal -1
	v_add_f32_e32 v38, v45, v38
	v_fma_f32 v43, v54, v26, -v47
	v_mul_f32_e32 v47, v55, v29
	v_mul_f32_e32 v45, v40, v29
	;; [unrolled: 1-line block ×3, first 2 shown]
	s_barrier_wait -1
	v_add_f32_e32 v1, v1, v43
	v_fma_f32 v47, v54, v28, -v47
	v_mul_f32_e32 v43, v40, v27
	v_fmac_f32_e32 v29, v40, v28
	global_inv scope:SCOPE_SE
	v_dual_add_f32 v44, v44, v47 :: v_dual_add_f32 v47, v30, v48
	v_fma_f32 v30, v39, v28, -v45
	v_mul_f32_e32 v27, v39, v27
	s_delay_alu instid0(VALU_DEP_1) | instskip(NEXT) | instid1(VALU_DEP_3)
	v_fmac_f32_e32 v27, v40, v26
	v_add_f32_e32 v40, v32, v30
	v_mul_f32_e32 v30, v57, v37
	v_fma_f32 v43, v39, v26, -v43
	v_mul_f32_e32 v39, v57, v35
	s_delay_alu instid0(VALU_DEP_2) | instskip(NEXT) | instid1(VALU_DEP_2)
	v_add_f32_e32 v26, v46, v43
	v_fma_f32 v28, v56, v34, -v39
	v_add_f32_e32 v39, v33, v29
	v_mul_f32_e32 v29, v41, v35
	s_delay_alu instid0(VALU_DEP_3) | instskip(SKIP_2) | instid1(VALU_DEP_2)
	v_add_f32_e32 v33, v1, v28
	v_fma_f32 v1, v56, v36, -v30
	v_mul_f32_e32 v28, v42, v35
	v_dual_fmac_f32 v29, v42, v34 :: v_dual_add_f32 v30, v44, v1
	s_delay_alu instid0(VALU_DEP_2) | instskip(SKIP_2) | instid1(VALU_DEP_2)
	v_fma_f32 v1, v41, v34, -v28
	v_mul_f32_e32 v43, v56, v35
	v_mul_f32_e32 v35, v42, v37
	v_dual_add_f32 v28, v26, v1 :: v_dual_fmac_f32 v43, v57, v34
	s_delay_alu instid0(VALU_DEP_2) | instskip(NEXT) | instid1(VALU_DEP_2)
	v_fma_f32 v34, v41, v36, -v35
	v_add_f32_e32 v32, v38, v43
	v_add_f32_e32 v27, v31, v27
	v_mul_f32_e32 v31, v56, v37
	v_mul_f32_e32 v37, v41, v37
	s_delay_alu instid0(VALU_DEP_3) | instskip(NEXT) | instid1(VALU_DEP_3)
	v_add_f32_e32 v29, v27, v29
	v_fmac_f32_e32 v31, v57, v36
	s_delay_alu instid0(VALU_DEP_3) | instskip(SKIP_1) | instid1(VALU_DEP_3)
	v_fmac_f32_e32 v37, v42, v36
	v_add_f32_e32 v27, v40, v34
	v_add_f32_e32 v31, v47, v31
	s_delay_alu instid0(VALU_DEP_3)
	v_add_f32_e32 v26, v39, v37
	s_cbranch_scc0 .LBB375_19
.LBB375_11:                             ;   Parent Loop BB375_8 Depth=1
                                        ; =>  This Inner Loop Header: Depth=2
	s_wait_alu 0xfffe
	v_add_nc_u32_e32 v1, s2, v17
	s_delay_alu instid0(VALU_DEP_1) | instskip(SKIP_3) | instid1(SALU_CYCLE_1)
	v_cmp_le_i32_e32 vcc_lo, s21, v1
	s_or_b32 s3, s12, vcc_lo
	s_wait_alu 0xfffe
	s_and_saveexec_b32 s26, s3
	s_xor_b32 s3, exec_lo, s26
; %bb.12:                               ;   in Loop: Header=BB375_11 Depth=2
	ds_store_b32 v18, v0
; %bb.13:                               ;   in Loop: Header=BB375_11 Depth=2
	s_wait_alu 0xfffe
	s_or_saveexec_b32 s3, s3
	v_mov_b32_e32 v1, 0
	s_wait_alu 0xfffe
	s_xor_b32 exec_lo, exec_lo, s3
	s_cbranch_execz .LBB375_15
; %bb.14:                               ;   in Loop: Header=BB375_11 Depth=2
	flat_load_b64 v[34:35], v[12:13] offset:-4
	s_wait_loadcnt_dscnt 0x0
	v_xor_b32_e32 v1, 0x80000000, v35
	ds_store_b32 v18, v34
.LBB375_15:                             ;   in Loop: Header=BB375_11 Depth=2
	s_or_b32 exec_lo, exec_lo, s3
	v_add_nc_u32_e32 v34, s2, v16
	ds_store_b32 v18, v1 offset:4
	v_cmp_le_i32_e32 vcc_lo, s21, v34
	s_or_b32 s3, vcc_lo, s13
	s_wait_alu 0xfffe
	s_and_saveexec_b32 s26, s3
	s_delay_alu instid0(SALU_CYCLE_1)
	s_xor_b32 s3, exec_lo, s26
; %bb.16:                               ;   in Loop: Header=BB375_11 Depth=2
	v_mov_b32_e32 v1, v0
	ds_store_b64 v19, v[0:1]
; %bb.17:                               ;   in Loop: Header=BB375_11 Depth=2
	s_wait_alu 0xfffe
	s_and_not1_saveexec_b32 s3, s3
	s_cbranch_execz .LBB375_10
; %bb.18:                               ;   in Loop: Header=BB375_11 Depth=2
	flat_load_b64 v[34:35], v[14:15]
	s_wait_loadcnt_dscnt 0x0
	ds_store_b64 v19, v[34:35]
	s_branch .LBB375_10
.LBB375_19:                             ;   in Loop: Header=BB375_8 Depth=1
	s_wait_loadcnt 0x0
	v_add_co_u32 v1, vcc_lo, v10, s0
	s_wait_alu 0xfffd
	v_add_co_ci_u32_e64 v12, null, s1, v11, vcc_lo
	s_delay_alu instid0(VALU_DEP_2) | instskip(SKIP_1) | instid1(VALU_DEP_2)
	v_add_co_u32 v13, vcc_lo, v1, v2
	s_wait_alu 0xfffd
	v_add_co_ci_u32_e64 v14, null, v12, v3, vcc_lo
	s_and_saveexec_b32 s2, s19
	s_cbranch_execz .LBB375_24
; %bb.20:                               ;   in Loop: Header=BB375_8 Depth=1
	v_mul_f32_e32 v11, s22, v32
	v_mul_f32_e32 v10, s23, v32
	s_and_b32 vcc_lo, exec_lo, s9
	s_mov_b32 s3, -1
	s_delay_alu instid0(VALU_DEP_2) | instskip(NEXT) | instid1(VALU_DEP_2)
	v_fmac_f32_e32 v11, s23, v33
	v_fma_f32 v10, v33, s22, -v10
	s_wait_alu 0xfffe
	s_cbranch_vccz .LBB375_22
; %bb.21:                               ;   in Loop: Header=BB375_8 Depth=1
	v_add_co_u32 v32, vcc_lo, v13, v6
	s_wait_alu 0xfffd
	v_add_co_ci_u32_e64 v33, null, v14, v7, vcc_lo
	s_mov_b32 s3, 0
	flat_load_b64 v[34:35], v[32:33]
	s_wait_loadcnt_dscnt 0x0
	v_mul_f32_e32 v15, s15, v35
	v_mul_f32_e32 v35, s14, v35
	s_delay_alu instid0(VALU_DEP_2) | instskip(NEXT) | instid1(VALU_DEP_1)
	v_fma_f32 v15, v34, s14, -v15
	v_dual_fmac_f32 v35, s15, v34 :: v_dual_add_f32 v34, v10, v15
	s_delay_alu instid0(VALU_DEP_1)
	v_add_f32_e32 v35, v11, v35
	flat_store_b64 v[32:33], v[34:35]
.LBB375_22:                             ;   in Loop: Header=BB375_8 Depth=1
	s_wait_alu 0xfffe
	s_and_not1_b32 vcc_lo, exec_lo, s3
	s_wait_alu 0xfffe
	s_cbranch_vccnz .LBB375_24
; %bb.23:                               ;   in Loop: Header=BB375_8 Depth=1
	v_add_co_u32 v32, vcc_lo, v13, v6
	s_wait_alu 0xfffd
	v_add_co_ci_u32_e64 v33, null, v14, v7, vcc_lo
	flat_store_b64 v[32:33], v[10:11]
.LBB375_24:                             ;   in Loop: Header=BB375_8 Depth=1
	s_wait_alu 0xfffe
	s_or_b32 exec_lo, exec_lo, s2
	s_and_saveexec_b32 s2, s20
	s_cbranch_execz .LBB375_29
; %bb.25:                               ;   in Loop: Header=BB375_8 Depth=1
	v_mul_f32_e32 v11, s22, v31
	v_mul_f32_e32 v10, s23, v31
	s_and_not1_b32 vcc_lo, exec_lo, s9
	s_mov_b32 s3, -1
	s_delay_alu instid0(VALU_DEP_2) | instskip(NEXT) | instid1(VALU_DEP_2)
	v_fmac_f32_e32 v11, s23, v30
	v_fma_f32 v10, v30, s22, -v10
	s_wait_alu 0xfffe
	s_cbranch_vccnz .LBB375_27
; %bb.26:                               ;   in Loop: Header=BB375_8 Depth=1
	v_add_co_u32 v30, vcc_lo, v13, v8
	s_wait_alu 0xfffd
	v_add_co_ci_u32_e64 v31, null, v14, v9, vcc_lo
	s_mov_b32 s3, 0
	flat_load_b64 v[32:33], v[30:31]
	s_wait_loadcnt_dscnt 0x0
	v_mul_f32_e32 v15, s15, v33
	s_delay_alu instid0(VALU_DEP_1) | instskip(SKIP_1) | instid1(VALU_DEP_1)
	v_fma_f32 v15, v32, s14, -v15
	v_mul_f32_e32 v33, s14, v33
	v_dual_fmac_f32 v33, s15, v32 :: v_dual_add_f32 v32, v10, v15
	s_delay_alu instid0(VALU_DEP_1)
	v_add_f32_e32 v33, v11, v33
	flat_store_b64 v[30:31], v[32:33]
.LBB375_27:                             ;   in Loop: Header=BB375_8 Depth=1
	s_wait_alu 0xfffe
	s_and_not1_b32 vcc_lo, exec_lo, s3
	s_wait_alu 0xfffe
	s_cbranch_vccnz .LBB375_29
; %bb.28:                               ;   in Loop: Header=BB375_8 Depth=1
	v_add_co_u32 v13, vcc_lo, v13, v8
	s_wait_alu 0xfffd
	v_add_co_ci_u32_e64 v14, null, v14, v9, vcc_lo
	flat_store_b64 v[13:14], v[10:11]
.LBB375_29:                             ;   in Loop: Header=BB375_8 Depth=1
	s_wait_alu 0xfffe
	s_or_b32 exec_lo, exec_lo, s2
	v_add_co_u32 v1, vcc_lo, v1, v4
	s_wait_alu 0xfffd
	v_add_co_ci_u32_e64 v12, null, v12, v5, vcc_lo
	s_and_saveexec_b32 s2, s18
	s_cbranch_execz .LBB375_34
; %bb.30:                               ;   in Loop: Header=BB375_8 Depth=1
	v_mul_f32_e32 v11, s22, v29
	v_mul_f32_e32 v10, s23, v29
	s_and_not1_b32 vcc_lo, exec_lo, s9
	s_mov_b32 s3, -1
	s_delay_alu instid0(VALU_DEP_2) | instskip(NEXT) | instid1(VALU_DEP_2)
	v_fmac_f32_e32 v11, s23, v28
	v_fma_f32 v10, v28, s22, -v10
	s_wait_alu 0xfffe
	s_cbranch_vccnz .LBB375_32
; %bb.31:                               ;   in Loop: Header=BB375_8 Depth=1
	v_add_co_u32 v13, vcc_lo, v1, v6
	s_wait_alu 0xfffd
	v_add_co_ci_u32_e64 v14, null, v12, v7, vcc_lo
	s_mov_b32 s3, 0
	flat_load_b64 v[28:29], v[13:14]
	s_wait_loadcnt_dscnt 0x0
	v_mul_f32_e32 v15, s15, v29
	s_delay_alu instid0(VALU_DEP_1) | instskip(SKIP_1) | instid1(VALU_DEP_1)
	v_fma_f32 v15, v28, s14, -v15
	v_mul_f32_e32 v29, s14, v29
	v_dual_fmac_f32 v29, s15, v28 :: v_dual_add_f32 v28, v10, v15
	s_delay_alu instid0(VALU_DEP_1)
	v_add_f32_e32 v29, v11, v29
	flat_store_b64 v[13:14], v[28:29]
.LBB375_32:                             ;   in Loop: Header=BB375_8 Depth=1
	s_wait_alu 0xfffe
	s_and_not1_b32 vcc_lo, exec_lo, s3
	s_wait_alu 0xfffe
	s_cbranch_vccnz .LBB375_34
; %bb.33:                               ;   in Loop: Header=BB375_8 Depth=1
	v_add_co_u32 v13, vcc_lo, v1, v6
	s_wait_alu 0xfffd
	v_add_co_ci_u32_e64 v14, null, v12, v7, vcc_lo
	flat_store_b64 v[13:14], v[10:11]
.LBB375_34:                             ;   in Loop: Header=BB375_8 Depth=1
	s_wait_alu 0xfffe
	s_or_b32 exec_lo, exec_lo, s2
	s_and_saveexec_b32 s2, s4
	s_cbranch_execz .LBB375_7
; %bb.35:                               ;   in Loop: Header=BB375_8 Depth=1
	v_mul_f32_e32 v11, s22, v26
	v_mul_f32_e32 v10, s23, v26
	s_and_not1_b32 vcc_lo, exec_lo, s9
	s_mov_b32 s3, -1
	s_delay_alu instid0(VALU_DEP_2) | instskip(NEXT) | instid1(VALU_DEP_2)
	v_fmac_f32_e32 v11, s23, v27
	v_fma_f32 v10, v27, s22, -v10
	s_wait_alu 0xfffe
	s_cbranch_vccnz .LBB375_37
; %bb.36:                               ;   in Loop: Header=BB375_8 Depth=1
	v_add_co_u32 v13, vcc_lo, v1, v8
	s_wait_alu 0xfffd
	v_add_co_ci_u32_e64 v14, null, v12, v9, vcc_lo
	s_mov_b32 s3, 0
	flat_load_b64 v[26:27], v[13:14]
	s_wait_loadcnt_dscnt 0x0
	v_mul_f32_e32 v15, s15, v27
	v_mul_f32_e32 v27, s14, v27
	s_delay_alu instid0(VALU_DEP_2) | instskip(NEXT) | instid1(VALU_DEP_1)
	v_fma_f32 v15, v26, s14, -v15
	v_dual_fmac_f32 v27, s15, v26 :: v_dual_add_f32 v26, v10, v15
	s_delay_alu instid0(VALU_DEP_1)
	v_add_f32_e32 v27, v11, v27
	flat_store_b64 v[13:14], v[26:27]
.LBB375_37:                             ;   in Loop: Header=BB375_8 Depth=1
	s_wait_alu 0xfffe
	s_and_not1_b32 vcc_lo, exec_lo, s3
	s_wait_alu 0xfffe
	s_cbranch_vccnz .LBB375_7
; %bb.38:                               ;   in Loop: Header=BB375_8 Depth=1
	v_add_co_u32 v13, vcc_lo, v1, v8
	s_wait_alu 0xfffd
	v_add_co_ci_u32_e64 v14, null, v12, v9, vcc_lo
	flat_store_b64 v[13:14], v[10:11]
	s_branch .LBB375_7
.LBB375_39:
	s_endpgm
	.section	.rodata,"a",@progbits
	.p2align	6, 0x0
	.amdhsa_kernel _ZL29rocblas_internal_gemmt_kernelIiLi16ELi32ELi8ELc67ELc78ELc76ELb1ELb0E19rocblas_complex_numIfEPKS1_PKS3_PKPS1_EviT_T9_T10_S9_lSB_S9_lSA_T11_S9_li
		.amdhsa_group_segment_fixed_size 4096
		.amdhsa_private_segment_fixed_size 0
		.amdhsa_kernarg_size 100
		.amdhsa_user_sgpr_count 2
		.amdhsa_user_sgpr_dispatch_ptr 0
		.amdhsa_user_sgpr_queue_ptr 0
		.amdhsa_user_sgpr_kernarg_segment_ptr 1
		.amdhsa_user_sgpr_dispatch_id 0
		.amdhsa_user_sgpr_private_segment_size 0
		.amdhsa_wavefront_size32 1
		.amdhsa_uses_dynamic_stack 0
		.amdhsa_enable_private_segment 0
		.amdhsa_system_sgpr_workgroup_id_x 1
		.amdhsa_system_sgpr_workgroup_id_y 1
		.amdhsa_system_sgpr_workgroup_id_z 1
		.amdhsa_system_sgpr_workgroup_info 0
		.amdhsa_system_vgpr_workitem_id 1
		.amdhsa_next_free_vgpr 71
		.amdhsa_next_free_sgpr 35
		.amdhsa_reserve_vcc 1
		.amdhsa_float_round_mode_32 0
		.amdhsa_float_round_mode_16_64 0
		.amdhsa_float_denorm_mode_32 3
		.amdhsa_float_denorm_mode_16_64 3
		.amdhsa_fp16_overflow 0
		.amdhsa_workgroup_processor_mode 1
		.amdhsa_memory_ordered 1
		.amdhsa_forward_progress 1
		.amdhsa_inst_pref_size 26
		.amdhsa_round_robin_scheduling 0
		.amdhsa_exception_fp_ieee_invalid_op 0
		.amdhsa_exception_fp_denorm_src 0
		.amdhsa_exception_fp_ieee_div_zero 0
		.amdhsa_exception_fp_ieee_overflow 0
		.amdhsa_exception_fp_ieee_underflow 0
		.amdhsa_exception_fp_ieee_inexact 0
		.amdhsa_exception_int_div_zero 0
	.end_amdhsa_kernel
	.section	.text._ZL29rocblas_internal_gemmt_kernelIiLi16ELi32ELi8ELc67ELc78ELc76ELb1ELb0E19rocblas_complex_numIfEPKS1_PKS3_PKPS1_EviT_T9_T10_S9_lSB_S9_lSA_T11_S9_li,"axG",@progbits,_ZL29rocblas_internal_gemmt_kernelIiLi16ELi32ELi8ELc67ELc78ELc76ELb1ELb0E19rocblas_complex_numIfEPKS1_PKS3_PKPS1_EviT_T9_T10_S9_lSB_S9_lSA_T11_S9_li,comdat
.Lfunc_end375:
	.size	_ZL29rocblas_internal_gemmt_kernelIiLi16ELi32ELi8ELc67ELc78ELc76ELb1ELb0E19rocblas_complex_numIfEPKS1_PKS3_PKPS1_EviT_T9_T10_S9_lSB_S9_lSA_T11_S9_li, .Lfunc_end375-_ZL29rocblas_internal_gemmt_kernelIiLi16ELi32ELi8ELc67ELc78ELc76ELb1ELb0E19rocblas_complex_numIfEPKS1_PKS3_PKPS1_EviT_T9_T10_S9_lSB_S9_lSA_T11_S9_li
                                        ; -- End function
	.set _ZL29rocblas_internal_gemmt_kernelIiLi16ELi32ELi8ELc67ELc78ELc76ELb1ELb0E19rocblas_complex_numIfEPKS1_PKS3_PKPS1_EviT_T9_T10_S9_lSB_S9_lSA_T11_S9_li.num_vgpr, 71
	.set _ZL29rocblas_internal_gemmt_kernelIiLi16ELi32ELi8ELc67ELc78ELc76ELb1ELb0E19rocblas_complex_numIfEPKS1_PKS3_PKPS1_EviT_T9_T10_S9_lSB_S9_lSA_T11_S9_li.num_agpr, 0
	.set _ZL29rocblas_internal_gemmt_kernelIiLi16ELi32ELi8ELc67ELc78ELc76ELb1ELb0E19rocblas_complex_numIfEPKS1_PKS3_PKPS1_EviT_T9_T10_S9_lSB_S9_lSA_T11_S9_li.numbered_sgpr, 35
	.set _ZL29rocblas_internal_gemmt_kernelIiLi16ELi32ELi8ELc67ELc78ELc76ELb1ELb0E19rocblas_complex_numIfEPKS1_PKS3_PKPS1_EviT_T9_T10_S9_lSB_S9_lSA_T11_S9_li.num_named_barrier, 0
	.set _ZL29rocblas_internal_gemmt_kernelIiLi16ELi32ELi8ELc67ELc78ELc76ELb1ELb0E19rocblas_complex_numIfEPKS1_PKS3_PKPS1_EviT_T9_T10_S9_lSB_S9_lSA_T11_S9_li.private_seg_size, 0
	.set _ZL29rocblas_internal_gemmt_kernelIiLi16ELi32ELi8ELc67ELc78ELc76ELb1ELb0E19rocblas_complex_numIfEPKS1_PKS3_PKPS1_EviT_T9_T10_S9_lSB_S9_lSA_T11_S9_li.uses_vcc, 1
	.set _ZL29rocblas_internal_gemmt_kernelIiLi16ELi32ELi8ELc67ELc78ELc76ELb1ELb0E19rocblas_complex_numIfEPKS1_PKS3_PKPS1_EviT_T9_T10_S9_lSB_S9_lSA_T11_S9_li.uses_flat_scratch, 0
	.set _ZL29rocblas_internal_gemmt_kernelIiLi16ELi32ELi8ELc67ELc78ELc76ELb1ELb0E19rocblas_complex_numIfEPKS1_PKS3_PKPS1_EviT_T9_T10_S9_lSB_S9_lSA_T11_S9_li.has_dyn_sized_stack, 0
	.set _ZL29rocblas_internal_gemmt_kernelIiLi16ELi32ELi8ELc67ELc78ELc76ELb1ELb0E19rocblas_complex_numIfEPKS1_PKS3_PKPS1_EviT_T9_T10_S9_lSB_S9_lSA_T11_S9_li.has_recursion, 0
	.set _ZL29rocblas_internal_gemmt_kernelIiLi16ELi32ELi8ELc67ELc78ELc76ELb1ELb0E19rocblas_complex_numIfEPKS1_PKS3_PKPS1_EviT_T9_T10_S9_lSB_S9_lSA_T11_S9_li.has_indirect_call, 0
	.section	.AMDGPU.csdata,"",@progbits
; Kernel info:
; codeLenInByte = 3204
; TotalNumSgprs: 37
; NumVgprs: 71
; ScratchSize: 0
; MemoryBound: 1
; FloatMode: 240
; IeeeMode: 1
; LDSByteSize: 4096 bytes/workgroup (compile time only)
; SGPRBlocks: 0
; VGPRBlocks: 8
; NumSGPRsForWavesPerEU: 37
; NumVGPRsForWavesPerEU: 71
; Occupancy: 16
; WaveLimiterHint : 1
; COMPUTE_PGM_RSRC2:SCRATCH_EN: 0
; COMPUTE_PGM_RSRC2:USER_SGPR: 2
; COMPUTE_PGM_RSRC2:TRAP_HANDLER: 0
; COMPUTE_PGM_RSRC2:TGID_X_EN: 1
; COMPUTE_PGM_RSRC2:TGID_Y_EN: 1
; COMPUTE_PGM_RSRC2:TGID_Z_EN: 1
; COMPUTE_PGM_RSRC2:TIDIG_COMP_CNT: 1
	.section	.text._ZL29rocblas_internal_gemmt_kernelIiLi16ELi32ELi8ELc67ELc84ELc76ELb1ELb0E19rocblas_complex_numIfEPKS1_PKS3_PKPS1_EviT_T9_T10_S9_lSB_S9_lSA_T11_S9_li,"axG",@progbits,_ZL29rocblas_internal_gemmt_kernelIiLi16ELi32ELi8ELc67ELc84ELc76ELb1ELb0E19rocblas_complex_numIfEPKS1_PKS3_PKPS1_EviT_T9_T10_S9_lSB_S9_lSA_T11_S9_li,comdat
	.globl	_ZL29rocblas_internal_gemmt_kernelIiLi16ELi32ELi8ELc67ELc84ELc76ELb1ELb0E19rocblas_complex_numIfEPKS1_PKS3_PKPS1_EviT_T9_T10_S9_lSB_S9_lSA_T11_S9_li ; -- Begin function _ZL29rocblas_internal_gemmt_kernelIiLi16ELi32ELi8ELc67ELc84ELc76ELb1ELb0E19rocblas_complex_numIfEPKS1_PKS3_PKPS1_EviT_T9_T10_S9_lSB_S9_lSA_T11_S9_li
	.p2align	8
	.type	_ZL29rocblas_internal_gemmt_kernelIiLi16ELi32ELi8ELc67ELc84ELc76ELb1ELb0E19rocblas_complex_numIfEPKS1_PKS3_PKPS1_EviT_T9_T10_S9_lSB_S9_lSA_T11_S9_li,@function
_ZL29rocblas_internal_gemmt_kernelIiLi16ELi32ELi8ELc67ELc84ELc76ELb1ELb0E19rocblas_complex_numIfEPKS1_PKS3_PKPS1_EviT_T9_T10_S9_lSB_S9_lSA_T11_S9_li: ; @_ZL29rocblas_internal_gemmt_kernelIiLi16ELi32ELi8ELc67ELc84ELc76ELb1ELb0E19rocblas_complex_numIfEPKS1_PKS3_PKPS1_EviT_T9_T10_S9_lSB_S9_lSA_T11_S9_li
; %bb.0:
	s_load_b128 s[12:15], s[0:1], 0x38
	s_wait_kmcnt 0x0
	s_load_b64 s[14:15], s[14:15], 0x0
	s_clause 0x1
	s_load_b128 s[4:7], s[0:1], 0x8
	s_load_b64 s[20:21], s[0:1], 0x0
	s_wait_kmcnt 0x0
	s_load_b64 s[22:23], s[4:5], 0x0
	s_cmp_eq_f32 s14, 1.0
	s_cselect_b32 s3, -1, 0
	s_and_b32 s2, s15, 0x7fffffff
	s_delay_alu instid0(SALU_CYCLE_1) | instskip(SKIP_1) | instid1(SALU_CYCLE_1)
	s_cmp_eq_u32 s2, 0
	s_cselect_b32 s2, -1, 0
	s_and_b32 s4, s3, s2
	s_mov_b32 s3, 0
	s_and_not1_b32 vcc_lo, exec_lo, s4
	s_mov_b32 s4, -1
	s_cbranch_vccnz .LBB376_4
; %bb.1:
	s_cmp_lg_u32 s21, 0
	s_cbranch_scc0 .LBB376_3
; %bb.2:
	s_wait_kmcnt 0x0
	s_cmp_neq_f32 s22, 0
	s_cselect_b32 s3, -1, 0
	s_cmp_neq_f32 s23, 0
	s_cselect_b32 s4, -1, 0
	s_delay_alu instid0(SALU_CYCLE_1)
	s_or_b32 s3, s3, s4
.LBB376_3:
	s_delay_alu instid0(SALU_CYCLE_1)
	s_mov_b32 s4, s3
.LBB376_4:
	s_delay_alu instid0(SALU_CYCLE_1)
	s_and_b32 vcc_lo, exec_lo, s4
	s_cbranch_vccz .LBB376_39
; %bb.5:
	s_load_b32 s19, s[0:1], 0x60
	s_lshr_b32 s24, ttmp7, 16
	s_wait_kmcnt 0x0
	s_cmp_ge_u32 s24, s19
	s_cbranch_scc1 .LBB376_39
; %bb.6:
	s_clause 0x2
	s_load_b32 s26, s[0:1], 0x30
	s_load_b32 s5, s[0:1], 0x18
	s_load_b128 s[8:11], s[0:1], 0x20
	v_and_b32_e32 v1, 0x3ff, v0
	v_bfe_u32 v2, v0, 10, 10
	v_and_b32_e32 v16, 7, v0
	s_clause 0x1
	s_load_b96 s[16:18], s[0:1], 0x48
	s_load_b64 s[28:29], s[0:1], 0x58
	s_lshl_b32 s1, ttmp7, 5
	s_lshl_b32 s0, ttmp9, 5
	v_lshl_add_u32 v0, v2, 4, v1
	s_and_b32 s1, s1, 0x1fffe0
	v_lshlrev_b32_e32 v3, 3, v16
	v_lshlrev_b32_e32 v17, 3, v1
	v_add_nc_u32_e32 v6, s0, v1
	v_lshrrev_b32_e32 v4, 3, v0
	v_and_b32_e32 v1, 31, v0
	v_lshrrev_b32_e32 v18, 5, v0
	v_lshl_add_u32 v21, v2, 6, 0x800
	v_add_nc_u32_e32 v8, 16, v6
	v_lshl_or_b32 v3, v4, 6, v3
	s_wait_kmcnt 0x0
	s_ashr_i32 s27, s26, 31
	s_cmp_neq_f32 s22, 0
	v_or_b32_e32 v0, s0, v1
	v_lshlrev_b32_e32 v1, 3, v1
	v_add_nc_u32_e32 v20, 0x800, v3
	s_cselect_b32 s3, -1, 0
	s_cmp_neq_f32 s23, 0
	v_add_nc_u32_e32 v3, s1, v2
	v_add_nc_u32_e32 v5, s1, v4
	v_lshl_or_b32 v19, v18, 8, v1
	s_cselect_b32 s4, -1, 0
	v_cmp_gt_i32_e32 vcc_lo, s20, v0
	s_or_b32 s33, s3, s4
	s_cmp_gt_i32 s21, 0
	v_cmp_le_i32_e64 s1, v3, v6
	s_cselect_b32 s34, -1, 0
	s_cmp_neq_f32 s14, 0
	v_cmp_le_i32_e64 s3, v3, v8
	v_mad_co_i64_i32 v[1:2], null, v3, s18, 0
	v_add_nc_u32_e32 v10, 16, v3
	v_mad_co_i64_i32 v[3:4], null, s5, v0, 0
	s_cselect_b32 s35, -1, 0
	s_xor_b32 s36, s2, -1
	v_cmp_gt_i32_e64 s2, s20, v6
	v_cmp_gt_i32_e64 s4, s20, v8
	;; [unrolled: 1-line block ×3, first 2 shown]
	v_mad_co_i64_i32 v[12:13], null, s26, v16, 0
	s_and_b32 s20, s1, s2
	s_and_b32 s30, s3, s4
	v_cmp_le_i32_e64 s1, v10, v6
	v_cmp_le_i32_e64 s3, v10, v8
	v_lshlrev_b64_e32 v[3:4], 3, v[3:4]
	v_mad_co_i64_i32 v[10:11], null, v10, s18, 0
	s_and_b32 s18, s1, s2
	s_and_b32 s31, s3, s4
	s_lshl_b64 s[2:3], s[8:9], 3
	v_lshlrev_b32_e32 v14, 3, v18
	v_add_co_u32 v15, s1, v3, s2
	s_wait_alu 0xf1ff
	v_add_co_ci_u32_e64 v22, null, s3, v4, s1
	v_lshlrev_b64_e32 v[3:4], 3, v[12:13]
	s_delay_alu instid0(VALU_DEP_3)
	v_add_co_u32 v12, s1, v15, v14
	s_lshl_b64 s[2:3], s[12:13], 3
	s_wait_alu 0xf1ff
	v_add_co_ci_u32_e64 v22, null, 0, v22, s1
	v_lshlrev_b32_e32 v5, 3, v5
	s_wait_alu 0xfffe
	v_add_co_u32 v3, s1, v3, s2
	v_ashrrev_i32_e32 v7, 31, v6
	v_ashrrev_i32_e32 v9, 31, v8
	s_wait_alu 0xf1ff
	v_add_co_ci_u32_e64 v4, null, s3, v4, s1
	v_add_co_u32 v24, s1, v3, v5
	v_lshlrev_b64_e32 v[2:3], 3, v[1:2]
	s_wait_alu 0xf1ff
	s_delay_alu instid0(VALU_DEP_3)
	v_add_co_ci_u32_e64 v25, null, 0, v4, s1
	v_lshlrev_b64_e32 v[4:5], 3, v[10:11]
	v_lshlrev_b64_e32 v[6:7], 3, v[6:7]
	;; [unrolled: 1-line block ×3, first 2 shown]
	v_mov_b32_e32 v0, 0
	v_or_b32_e32 v23, 4, v12
	s_mov_b32 s25, 0
	s_lshl_b64 s[2:3], s[26:27], 6
	s_and_b32 s8, s33, s34
	s_or_b32 s9, s35, s36
	s_xor_b32 s12, vcc_lo, -1
	s_xor_b32 s13, s0, -1
	s_lshl_b64 s[0:1], s[28:29], 3
	s_branch .LBB376_8
.LBB376_7:                              ;   in Loop: Header=BB376_8 Depth=1
	s_wait_alu 0xfffe
	s_or_b32 exec_lo, exec_lo, s4
	s_add_co_i32 s24, s24, 0x10000
	s_delay_alu instid0(SALU_CYCLE_1)
	s_cmp_lt_u32 s24, s19
	s_cbranch_scc0 .LBB376_39
.LBB376_8:                              ; =>This Loop Header: Depth=1
                                        ;     Child Loop BB376_11 Depth 2
	s_lshl_b64 s[4:5], s[24:25], 3
	v_dual_mov_b32 v33, v0 :: v_dual_mov_b32 v32, v0
	s_wait_alu 0xfffe
	s_add_nc_u64 s[26:27], s[16:17], s[4:5]
	v_dual_mov_b32 v30, v0 :: v_dual_mov_b32 v31, v0
	global_load_b64 v[10:11], v0, s[26:27]
	v_dual_mov_b32 v28, v0 :: v_dual_mov_b32 v29, v0
	v_dual_mov_b32 v27, v0 :: v_dual_mov_b32 v26, v0
	s_and_not1_b32 vcc_lo, exec_lo, s8
	s_wait_alu 0xfffe
	s_cbranch_vccnz .LBB376_19
; %bb.9:                                ;   in Loop: Header=BB376_8 Depth=1
	s_add_nc_u64 s[26:27], s[6:7], s[4:5]
	s_add_nc_u64 s[4:5], s[10:11], s[4:5]
	s_clause 0x1
	global_load_b64 v[12:13], v0, s[26:27]
	global_load_b64 v[14:15], v0, s[4:5]
	v_dual_mov_b32 v26, 0 :: v_dual_mov_b32 v27, 0
	v_dual_mov_b32 v29, 0 :: v_dual_mov_b32 v28, 0
	;; [unrolled: 1-line block ×4, first 2 shown]
	s_mov_b32 s4, 0
	s_wait_loadcnt 0x1
	v_add_co_u32 v12, vcc_lo, v12, v23
	s_wait_alu 0xfffd
	v_add_co_ci_u32_e64 v13, null, v13, v22, vcc_lo
	s_wait_loadcnt 0x0
	v_add_co_u32 v14, vcc_lo, v14, v24
	s_wait_alu 0xfffd
	v_add_co_ci_u32_e64 v15, null, v15, v25, vcc_lo
	s_branch .LBB376_11
.LBB376_10:                             ;   in Loop: Header=BB376_11 Depth=2
	s_wait_alu 0xfffe
	s_or_b32 exec_lo, exec_lo, s5
	s_wait_dscnt 0x0
	s_barrier_signal -1
	s_barrier_wait -1
	global_inv scope:SCOPE_SE
	ds_load_b128 v[34:37], v21
	ds_load_2addr_b64 v[38:41], v17 offset1:16
	ds_load_b128 v[42:45], v21 offset:1024
	ds_load_b128 v[46:49], v21 offset:16
	;; [unrolled: 1-line block ×4, first 2 shown]
	ds_load_2addr_b64 v[58:61], v17 offset0:32 offset1:48
	ds_load_b128 v[62:65], v21 offset:1040
	v_add_co_u32 v12, vcc_lo, v12, 64
	s_wait_alu 0xfffd
	v_add_co_ci_u32_e64 v13, null, 0, v13, vcc_lo
	v_add_co_u32 v14, vcc_lo, v14, s2
	s_wait_alu 0xfffd
	v_add_co_ci_u32_e64 v15, null, s3, v15, vcc_lo
	s_add_co_i32 s4, s4, 8
	s_wait_alu 0xfffe
	s_cmp_lt_i32 s4, s21
	s_wait_dscnt 0x6
	v_dual_mul_f32 v1, v35, v39 :: v_dual_mul_f32 v68, v34, v41
	v_dual_mul_f32 v66, v34, v39 :: v_dual_mul_f32 v67, v35, v41
	s_wait_dscnt 0x5
	v_mul_f32_e32 v70, v43, v41
	s_delay_alu instid0(VALU_DEP_3) | instskip(SKIP_3) | instid1(VALU_DEP_4)
	v_fma_f32 v1, v34, v38, -v1
	v_dual_mul_f32 v41, v42, v41 :: v_dual_fmac_f32 v68, v35, v40
	v_fmac_f32_e32 v66, v35, v38
	v_fma_f32 v34, v34, v40, -v67
	v_add_f32_e32 v1, v33, v1
	v_mul_f32_e32 v69, v43, v39
	s_delay_alu instid0(VALU_DEP_4) | instskip(NEXT) | instid1(VALU_DEP_4)
	v_dual_mul_f32 v39, v42, v39 :: v_dual_add_f32 v32, v32, v66
	v_add_f32_e32 v33, v30, v34
	v_fmac_f32_e32 v41, v43, v40
	s_delay_alu instid0(VALU_DEP_4) | instskip(NEXT) | instid1(VALU_DEP_4)
	v_fma_f32 v35, v42, v38, -v69
	v_fmac_f32_e32 v39, v43, v38
	v_fma_f32 v38, v42, v40, -v70
	s_wait_dscnt 0x1
	v_dual_mul_f32 v40, v36, v59 :: v_dual_add_f32 v31, v31, v68
	v_mul_f32_e32 v42, v37, v61
	v_add_f32_e32 v34, v28, v35
	v_dual_add_f32 v35, v29, v39 :: v_dual_add_f32 v38, v27, v38
	ds_load_2addr_b64 v[27:30], v17 offset0:64 offset1:80
	v_fmac_f32_e32 v40, v37, v58
	v_dual_mul_f32 v39, v37, v59 :: v_dual_add_f32 v26, v26, v41
	v_mul_f32_e32 v41, v36, v61
	s_delay_alu instid0(VALU_DEP_3) | instskip(NEXT) | instid1(VALU_DEP_3)
	v_add_f32_e32 v40, v32, v40
	v_fma_f32 v39, v36, v58, -v39
	v_fma_f32 v36, v36, v60, -v42
	v_mul_f32_e32 v32, v44, v59
	s_delay_alu instid0(VALU_DEP_3) | instskip(SKIP_1) | instid1(VALU_DEP_4)
	v_add_f32_e32 v1, v1, v39
	v_mul_f32_e32 v39, v45, v59
	v_add_f32_e32 v36, v33, v36
	v_fmac_f32_e32 v41, v37, v60
	v_mul_f32_e32 v37, v45, v61
	v_fmac_f32_e32 v32, v45, v58
	v_fma_f32 v33, v44, v58, -v39
	s_delay_alu instid0(VALU_DEP_4) | instskip(SKIP_4) | instid1(VALU_DEP_3)
	v_add_f32_e32 v39, v31, v41
	v_mul_f32_e32 v41, v44, v61
	v_fma_f32 v31, v44, v60, -v37
	s_wait_dscnt 0x0
	v_dual_add_f32 v42, v34, v33 :: v_dual_mul_f32 v33, v47, v28
	v_dual_mul_f32 v44, v47, v30 :: v_dual_fmac_f32 v41, v45, v60
	v_mul_f32_e32 v37, v46, v28
	v_add_f32_e32 v38, v38, v31
	s_delay_alu instid0(VALU_DEP_3) | instskip(SKIP_3) | instid1(VALU_DEP_2)
	v_add_f32_e32 v41, v26, v41
	v_mul_f32_e32 v26, v46, v30
	v_fma_f32 v43, v46, v27, -v33
	v_fmac_f32_e32 v37, v47, v27
	v_dual_fmac_f32 v26, v47, v29 :: v_dual_add_f32 v1, v1, v43
	v_fma_f32 v43, v46, v29, -v44
	v_add_f32_e32 v35, v35, v32
	ds_load_2addr_b64 v[31:34], v17 offset0:96 offset1:112
	v_dual_add_f32 v37, v40, v37 :: v_dual_mul_f32 v40, v63, v28
	v_mul_f32_e32 v28, v62, v28
	v_dual_add_f32 v36, v36, v43 :: v_dual_mul_f32 v43, v63, v30
	v_mul_f32_e32 v30, v62, v30
	s_delay_alu instid0(VALU_DEP_4) | instskip(NEXT) | instid1(VALU_DEP_4)
	v_fma_f32 v40, v62, v27, -v40
	v_fmac_f32_e32 v28, v63, v27
	v_add_f32_e32 v39, v39, v26
	v_fma_f32 v26, v62, v29, -v43
	v_fmac_f32_e32 v30, v63, v29
	v_add_f32_e32 v40, v42, v40
	s_delay_alu instid0(VALU_DEP_3)
	v_dual_add_f32 v42, v35, v28 :: v_dual_add_f32 v43, v38, v26
	ds_load_2addr_b64 v[26:29], v17 offset0:128 offset1:144
	s_wait_dscnt 0x1
	v_mul_f32_e32 v35, v49, v32
	v_mul_f32_e32 v38, v48, v32
	v_mul_f32_e32 v44, v49, v34
	v_mul_f32_e32 v47, v65, v34
	s_delay_alu instid0(VALU_DEP_4) | instskip(NEXT) | instid1(VALU_DEP_4)
	v_fma_f32 v35, v48, v31, -v35
	v_fmac_f32_e32 v38, v49, v31
	s_delay_alu instid0(VALU_DEP_2) | instskip(SKIP_1) | instid1(VALU_DEP_3)
	v_add_f32_e32 v1, v1, v35
	v_mul_f32_e32 v35, v65, v32
	v_dual_mul_f32 v32, v64, v32 :: v_dual_add_f32 v45, v37, v38
	s_delay_alu instid0(VALU_DEP_2) | instskip(NEXT) | instid1(VALU_DEP_2)
	v_fma_f32 v46, v64, v31, -v35
	v_fmac_f32_e32 v32, v65, v31
	s_wait_dscnt 0x0
	v_mul_f32_e32 v31, v51, v27
	v_fma_f32 v44, v48, v33, -v44
	v_add_f32_e32 v41, v41, v30
	v_mul_f32_e32 v30, v48, v34
	v_mul_f32_e32 v58, v50, v29
	s_delay_alu instid0(VALU_DEP_4) | instskip(SKIP_2) | instid1(VALU_DEP_1)
	v_add_f32_e32 v44, v36, v44
	ds_load_b128 v[35:38], v21 offset:1056
	v_dual_fmac_f32 v30, v49, v33 :: v_dual_mul_f32 v49, v50, v27
	v_add_f32_e32 v48, v39, v30
	v_fma_f32 v30, v64, v33, -v47
	v_fma_f32 v39, v50, v26, -v31
	v_mul_f32_e32 v34, v64, v34
	v_fmac_f32_e32 v49, v51, v26
	v_add_f32_e32 v46, v40, v46
	v_add_f32_e32 v43, v43, v30
	;; [unrolled: 1-line block ×4, first 2 shown]
	v_fmac_f32_e32 v34, v65, v33
	ds_load_2addr_b64 v[30:33], v17 offset0:160 offset1:176
	v_mul_f32_e32 v40, v51, v29
	v_add_f32_e32 v45, v45, v49
	v_add_f32_e32 v34, v41, v34
	s_delay_alu instid0(VALU_DEP_3)
	v_fma_f32 v50, v50, v28, -v40
	ds_load_b128 v[39:42], v21 offset:1072
	s_wait_dscnt 0x2
	v_mul_f32_e32 v59, v36, v27
	v_dual_mul_f32 v27, v35, v27 :: v_dual_add_f32 v44, v44, v50
	v_fmac_f32_e32 v58, v51, v28
	v_mul_f32_e32 v50, v36, v29
	s_delay_alu instid0(VALU_DEP_4) | instskip(NEXT) | instid1(VALU_DEP_4)
	v_fma_f32 v49, v35, v26, -v59
	v_fmac_f32_e32 v27, v36, v26
	s_delay_alu instid0(VALU_DEP_4) | instskip(SKIP_1) | instid1(VALU_DEP_3)
	v_dual_mul_f32 v51, v35, v29 :: v_dual_add_f32 v48, v48, v58
	s_wait_dscnt 0x1
	v_dual_add_f32 v46, v46, v49 :: v_dual_mul_f32 v29, v53, v31
	v_fma_f32 v26, v35, v28, -v50
	v_add_f32_e32 v35, v47, v27
	v_fmac_f32_e32 v51, v36, v28
	v_mul_f32_e32 v36, v52, v31
	v_fma_f32 v47, v52, v30, -v29
	v_add_f32_e32 v43, v43, v26
	ds_load_2addr_b64 v[26:29], v17 offset0:192 offset1:208
	v_fmac_f32_e32 v36, v53, v30
	v_dual_mul_f32 v49, v53, v33 :: v_dual_add_f32 v50, v34, v51
	v_dual_add_f32 v1, v1, v47 :: v_dual_mul_f32 v34, v52, v33
	s_delay_alu instid0(VALU_DEP_3) | instskip(NEXT) | instid1(VALU_DEP_3)
	v_dual_add_f32 v45, v45, v36 :: v_dual_mul_f32 v36, v38, v31
	v_fma_f32 v47, v52, v32, -v49
	s_delay_alu instid0(VALU_DEP_3) | instskip(NEXT) | instid1(VALU_DEP_3)
	v_fmac_f32_e32 v34, v53, v32
	v_fma_f32 v36, v37, v30, -v36
	s_delay_alu instid0(VALU_DEP_3) | instskip(SKIP_1) | instid1(VALU_DEP_3)
	v_dual_add_f32 v44, v44, v47 :: v_dual_mul_f32 v47, v38, v33
	v_mul_f32_e32 v31, v37, v31
	v_dual_mul_f32 v33, v37, v33 :: v_dual_add_f32 v46, v46, v36
	s_delay_alu instid0(VALU_DEP_2) | instskip(SKIP_2) | instid1(VALU_DEP_4)
	v_fmac_f32_e32 v31, v38, v30
	v_add_f32_e32 v30, v48, v34
	v_fma_f32 v34, v37, v32, -v47
	v_fmac_f32_e32 v33, v38, v32
	s_wait_dscnt 0x0
	v_mul_f32_e32 v38, v54, v27
	v_dual_add_f32 v31, v35, v31 :: v_dual_mul_f32 v48, v54, v29
	v_add_f32_e32 v32, v43, v34
	ds_load_2addr_b64 v[34:37], v17 offset0:224 offset1:240
	v_dual_add_f32 v33, v50, v33 :: v_dual_fmac_f32 v38, v55, v26
	v_mul_f32_e32 v47, v55, v27
	v_fmac_f32_e32 v48, v55, v28
	s_wait_loadcnt_dscnt 0x0
	s_barrier_signal -1
	v_add_f32_e32 v38, v45, v38
	v_fma_f32 v43, v54, v26, -v47
	v_mul_f32_e32 v47, v55, v29
	v_mul_f32_e32 v45, v40, v29
	;; [unrolled: 1-line block ×3, first 2 shown]
	s_barrier_wait -1
	v_add_f32_e32 v1, v1, v43
	v_fma_f32 v47, v54, v28, -v47
	v_mul_f32_e32 v43, v40, v27
	v_fmac_f32_e32 v29, v40, v28
	global_inv scope:SCOPE_SE
	v_dual_add_f32 v44, v44, v47 :: v_dual_add_f32 v47, v30, v48
	v_fma_f32 v30, v39, v28, -v45
	v_mul_f32_e32 v27, v39, v27
	s_delay_alu instid0(VALU_DEP_1) | instskip(NEXT) | instid1(VALU_DEP_3)
	v_fmac_f32_e32 v27, v40, v26
	v_add_f32_e32 v40, v32, v30
	v_mul_f32_e32 v30, v57, v37
	v_fma_f32 v43, v39, v26, -v43
	v_mul_f32_e32 v39, v57, v35
	s_delay_alu instid0(VALU_DEP_2) | instskip(NEXT) | instid1(VALU_DEP_2)
	v_add_f32_e32 v26, v46, v43
	v_fma_f32 v28, v56, v34, -v39
	v_add_f32_e32 v39, v33, v29
	v_mul_f32_e32 v29, v41, v35
	s_delay_alu instid0(VALU_DEP_3) | instskip(SKIP_2) | instid1(VALU_DEP_2)
	v_add_f32_e32 v33, v1, v28
	v_fma_f32 v1, v56, v36, -v30
	v_mul_f32_e32 v28, v42, v35
	v_dual_fmac_f32 v29, v42, v34 :: v_dual_add_f32 v30, v44, v1
	s_delay_alu instid0(VALU_DEP_2) | instskip(SKIP_2) | instid1(VALU_DEP_2)
	v_fma_f32 v1, v41, v34, -v28
	v_mul_f32_e32 v43, v56, v35
	v_mul_f32_e32 v35, v42, v37
	v_dual_add_f32 v28, v26, v1 :: v_dual_fmac_f32 v43, v57, v34
	s_delay_alu instid0(VALU_DEP_2) | instskip(NEXT) | instid1(VALU_DEP_2)
	v_fma_f32 v34, v41, v36, -v35
	v_add_f32_e32 v32, v38, v43
	v_add_f32_e32 v27, v31, v27
	v_mul_f32_e32 v31, v56, v37
	v_mul_f32_e32 v37, v41, v37
	s_delay_alu instid0(VALU_DEP_3) | instskip(NEXT) | instid1(VALU_DEP_3)
	v_add_f32_e32 v29, v27, v29
	v_fmac_f32_e32 v31, v57, v36
	s_delay_alu instid0(VALU_DEP_3) | instskip(SKIP_1) | instid1(VALU_DEP_3)
	v_fmac_f32_e32 v37, v42, v36
	v_add_f32_e32 v27, v40, v34
	v_add_f32_e32 v31, v47, v31
	s_delay_alu instid0(VALU_DEP_3)
	v_add_f32_e32 v26, v39, v37
	s_cbranch_scc0 .LBB376_19
.LBB376_11:                             ;   Parent Loop BB376_8 Depth=1
                                        ; =>  This Inner Loop Header: Depth=2
	s_wait_alu 0xfffe
	v_add_nc_u32_e32 v1, s4, v18
	s_delay_alu instid0(VALU_DEP_1)
	v_cmp_le_i32_e32 vcc_lo, s21, v1
	s_or_b32 s5, s12, vcc_lo
	s_wait_alu 0xfffe
	s_and_saveexec_b32 s26, s5
	s_wait_alu 0xfffe
	s_xor_b32 s5, exec_lo, s26
; %bb.12:                               ;   in Loop: Header=BB376_11 Depth=2
	ds_store_b32 v19, v0
; %bb.13:                               ;   in Loop: Header=BB376_11 Depth=2
	s_wait_alu 0xfffe
	s_or_saveexec_b32 s5, s5
	v_mov_b32_e32 v1, 0
	s_wait_alu 0xfffe
	s_xor_b32 exec_lo, exec_lo, s5
	s_cbranch_execz .LBB376_15
; %bb.14:                               ;   in Loop: Header=BB376_11 Depth=2
	flat_load_b64 v[34:35], v[12:13] offset:-4
	s_wait_loadcnt_dscnt 0x0
	v_xor_b32_e32 v1, 0x80000000, v35
	ds_store_b32 v19, v34
.LBB376_15:                             ;   in Loop: Header=BB376_11 Depth=2
	s_or_b32 exec_lo, exec_lo, s5
	v_add_nc_u32_e32 v34, s4, v16
	ds_store_b32 v19, v1 offset:4
	v_cmp_le_i32_e32 vcc_lo, s21, v34
	s_or_b32 s5, vcc_lo, s13
	s_wait_alu 0xfffe
	s_and_saveexec_b32 s26, s5
	s_wait_alu 0xfffe
	s_xor_b32 s5, exec_lo, s26
; %bb.16:                               ;   in Loop: Header=BB376_11 Depth=2
	v_mov_b32_e32 v1, v0
	ds_store_b64 v20, v[0:1]
; %bb.17:                               ;   in Loop: Header=BB376_11 Depth=2
	s_wait_alu 0xfffe
	s_and_not1_saveexec_b32 s5, s5
	s_cbranch_execz .LBB376_10
; %bb.18:                               ;   in Loop: Header=BB376_11 Depth=2
	flat_load_b64 v[34:35], v[14:15]
	s_wait_loadcnt_dscnt 0x0
	ds_store_b64 v20, v[34:35]
	s_branch .LBB376_10
.LBB376_19:                             ;   in Loop: Header=BB376_8 Depth=1
	s_wait_loadcnt 0x0
	v_add_co_u32 v1, vcc_lo, v10, s0
	s_wait_alu 0xfffd
	v_add_co_ci_u32_e64 v12, null, s1, v11, vcc_lo
	s_delay_alu instid0(VALU_DEP_2) | instskip(SKIP_1) | instid1(VALU_DEP_2)
	v_add_co_u32 v13, vcc_lo, v1, v2
	s_wait_alu 0xfffd
	v_add_co_ci_u32_e64 v14, null, v12, v3, vcc_lo
	s_and_saveexec_b32 s4, s20
	s_cbranch_execz .LBB376_24
; %bb.20:                               ;   in Loop: Header=BB376_8 Depth=1
	v_mul_f32_e32 v11, s22, v32
	v_mul_f32_e32 v10, s23, v32
	s_and_b32 vcc_lo, exec_lo, s9
	s_mov_b32 s5, -1
	s_delay_alu instid0(VALU_DEP_2) | instskip(NEXT) | instid1(VALU_DEP_2)
	v_fmac_f32_e32 v11, s23, v33
	v_fma_f32 v10, v33, s22, -v10
	s_wait_alu 0xfffe
	s_cbranch_vccz .LBB376_22
; %bb.21:                               ;   in Loop: Header=BB376_8 Depth=1
	v_add_co_u32 v32, vcc_lo, v13, v6
	s_wait_alu 0xfffd
	v_add_co_ci_u32_e64 v33, null, v14, v7, vcc_lo
	s_mov_b32 s5, 0
	flat_load_b64 v[34:35], v[32:33]
	s_wait_loadcnt_dscnt 0x0
	v_mul_f32_e32 v15, s15, v35
	v_mul_f32_e32 v35, s14, v35
	s_delay_alu instid0(VALU_DEP_2) | instskip(NEXT) | instid1(VALU_DEP_1)
	v_fma_f32 v15, v34, s14, -v15
	v_dual_fmac_f32 v35, s15, v34 :: v_dual_add_f32 v34, v10, v15
	s_delay_alu instid0(VALU_DEP_1)
	v_add_f32_e32 v35, v11, v35
	flat_store_b64 v[32:33], v[34:35]
.LBB376_22:                             ;   in Loop: Header=BB376_8 Depth=1
	s_wait_alu 0xfffe
	s_and_not1_b32 vcc_lo, exec_lo, s5
	s_wait_alu 0xfffe
	s_cbranch_vccnz .LBB376_24
; %bb.23:                               ;   in Loop: Header=BB376_8 Depth=1
	v_add_co_u32 v32, vcc_lo, v13, v6
	s_wait_alu 0xfffd
	v_add_co_ci_u32_e64 v33, null, v14, v7, vcc_lo
	flat_store_b64 v[32:33], v[10:11]
.LBB376_24:                             ;   in Loop: Header=BB376_8 Depth=1
	s_wait_alu 0xfffe
	s_or_b32 exec_lo, exec_lo, s4
	s_and_saveexec_b32 s4, s30
	s_cbranch_execz .LBB376_29
; %bb.25:                               ;   in Loop: Header=BB376_8 Depth=1
	v_mul_f32_e32 v11, s22, v31
	v_mul_f32_e32 v10, s23, v31
	s_and_not1_b32 vcc_lo, exec_lo, s9
	s_mov_b32 s5, -1
	s_delay_alu instid0(VALU_DEP_2) | instskip(NEXT) | instid1(VALU_DEP_2)
	v_fmac_f32_e32 v11, s23, v30
	v_fma_f32 v10, v30, s22, -v10
	s_wait_alu 0xfffe
	s_cbranch_vccnz .LBB376_27
; %bb.26:                               ;   in Loop: Header=BB376_8 Depth=1
	v_add_co_u32 v30, vcc_lo, v13, v8
	s_wait_alu 0xfffd
	v_add_co_ci_u32_e64 v31, null, v14, v9, vcc_lo
	s_mov_b32 s5, 0
	flat_load_b64 v[32:33], v[30:31]
	s_wait_loadcnt_dscnt 0x0
	v_mul_f32_e32 v15, s15, v33
	s_delay_alu instid0(VALU_DEP_1) | instskip(SKIP_1) | instid1(VALU_DEP_1)
	v_fma_f32 v15, v32, s14, -v15
	v_mul_f32_e32 v33, s14, v33
	v_dual_fmac_f32 v33, s15, v32 :: v_dual_add_f32 v32, v10, v15
	s_delay_alu instid0(VALU_DEP_1)
	v_add_f32_e32 v33, v11, v33
	flat_store_b64 v[30:31], v[32:33]
.LBB376_27:                             ;   in Loop: Header=BB376_8 Depth=1
	s_wait_alu 0xfffe
	s_and_not1_b32 vcc_lo, exec_lo, s5
	s_wait_alu 0xfffe
	s_cbranch_vccnz .LBB376_29
; %bb.28:                               ;   in Loop: Header=BB376_8 Depth=1
	v_add_co_u32 v13, vcc_lo, v13, v8
	s_wait_alu 0xfffd
	v_add_co_ci_u32_e64 v14, null, v14, v9, vcc_lo
	flat_store_b64 v[13:14], v[10:11]
.LBB376_29:                             ;   in Loop: Header=BB376_8 Depth=1
	s_wait_alu 0xfffe
	s_or_b32 exec_lo, exec_lo, s4
	v_add_co_u32 v1, vcc_lo, v1, v4
	s_wait_alu 0xfffd
	v_add_co_ci_u32_e64 v12, null, v12, v5, vcc_lo
	s_and_saveexec_b32 s4, s18
	s_cbranch_execz .LBB376_34
; %bb.30:                               ;   in Loop: Header=BB376_8 Depth=1
	v_mul_f32_e32 v11, s22, v29
	v_mul_f32_e32 v10, s23, v29
	s_and_not1_b32 vcc_lo, exec_lo, s9
	s_mov_b32 s5, -1
	s_delay_alu instid0(VALU_DEP_2) | instskip(NEXT) | instid1(VALU_DEP_2)
	v_fmac_f32_e32 v11, s23, v28
	v_fma_f32 v10, v28, s22, -v10
	s_wait_alu 0xfffe
	s_cbranch_vccnz .LBB376_32
; %bb.31:                               ;   in Loop: Header=BB376_8 Depth=1
	v_add_co_u32 v13, vcc_lo, v1, v6
	s_wait_alu 0xfffd
	v_add_co_ci_u32_e64 v14, null, v12, v7, vcc_lo
	s_mov_b32 s5, 0
	flat_load_b64 v[28:29], v[13:14]
	s_wait_loadcnt_dscnt 0x0
	v_mul_f32_e32 v15, s15, v29
	s_delay_alu instid0(VALU_DEP_1) | instskip(SKIP_1) | instid1(VALU_DEP_1)
	v_fma_f32 v15, v28, s14, -v15
	v_mul_f32_e32 v29, s14, v29
	v_dual_fmac_f32 v29, s15, v28 :: v_dual_add_f32 v28, v10, v15
	s_delay_alu instid0(VALU_DEP_1)
	v_add_f32_e32 v29, v11, v29
	flat_store_b64 v[13:14], v[28:29]
.LBB376_32:                             ;   in Loop: Header=BB376_8 Depth=1
	s_wait_alu 0xfffe
	s_and_not1_b32 vcc_lo, exec_lo, s5
	s_wait_alu 0xfffe
	s_cbranch_vccnz .LBB376_34
; %bb.33:                               ;   in Loop: Header=BB376_8 Depth=1
	v_add_co_u32 v13, vcc_lo, v1, v6
	s_wait_alu 0xfffd
	v_add_co_ci_u32_e64 v14, null, v12, v7, vcc_lo
	flat_store_b64 v[13:14], v[10:11]
.LBB376_34:                             ;   in Loop: Header=BB376_8 Depth=1
	s_wait_alu 0xfffe
	s_or_b32 exec_lo, exec_lo, s4
	s_and_saveexec_b32 s4, s31
	s_cbranch_execz .LBB376_7
; %bb.35:                               ;   in Loop: Header=BB376_8 Depth=1
	v_mul_f32_e32 v11, s22, v26
	v_mul_f32_e32 v10, s23, v26
	s_and_not1_b32 vcc_lo, exec_lo, s9
	s_mov_b32 s5, -1
	s_delay_alu instid0(VALU_DEP_2) | instskip(NEXT) | instid1(VALU_DEP_2)
	v_fmac_f32_e32 v11, s23, v27
	v_fma_f32 v10, v27, s22, -v10
	s_wait_alu 0xfffe
	s_cbranch_vccnz .LBB376_37
; %bb.36:                               ;   in Loop: Header=BB376_8 Depth=1
	v_add_co_u32 v13, vcc_lo, v1, v8
	s_wait_alu 0xfffd
	v_add_co_ci_u32_e64 v14, null, v12, v9, vcc_lo
	s_mov_b32 s5, 0
	flat_load_b64 v[26:27], v[13:14]
	s_wait_loadcnt_dscnt 0x0
	v_mul_f32_e32 v15, s15, v27
	v_mul_f32_e32 v27, s14, v27
	s_delay_alu instid0(VALU_DEP_2) | instskip(NEXT) | instid1(VALU_DEP_1)
	v_fma_f32 v15, v26, s14, -v15
	v_dual_fmac_f32 v27, s15, v26 :: v_dual_add_f32 v26, v10, v15
	s_delay_alu instid0(VALU_DEP_1)
	v_add_f32_e32 v27, v11, v27
	flat_store_b64 v[13:14], v[26:27]
.LBB376_37:                             ;   in Loop: Header=BB376_8 Depth=1
	s_wait_alu 0xfffe
	s_and_not1_b32 vcc_lo, exec_lo, s5
	s_wait_alu 0xfffe
	s_cbranch_vccnz .LBB376_7
; %bb.38:                               ;   in Loop: Header=BB376_8 Depth=1
	v_add_co_u32 v13, vcc_lo, v1, v8
	s_wait_alu 0xfffd
	v_add_co_ci_u32_e64 v14, null, v12, v9, vcc_lo
	flat_store_b64 v[13:14], v[10:11]
	s_branch .LBB376_7
.LBB376_39:
	s_endpgm
	.section	.rodata,"a",@progbits
	.p2align	6, 0x0
	.amdhsa_kernel _ZL29rocblas_internal_gemmt_kernelIiLi16ELi32ELi8ELc67ELc84ELc76ELb1ELb0E19rocblas_complex_numIfEPKS1_PKS3_PKPS1_EviT_T9_T10_S9_lSB_S9_lSA_T11_S9_li
		.amdhsa_group_segment_fixed_size 4096
		.amdhsa_private_segment_fixed_size 0
		.amdhsa_kernarg_size 100
		.amdhsa_user_sgpr_count 2
		.amdhsa_user_sgpr_dispatch_ptr 0
		.amdhsa_user_sgpr_queue_ptr 0
		.amdhsa_user_sgpr_kernarg_segment_ptr 1
		.amdhsa_user_sgpr_dispatch_id 0
		.amdhsa_user_sgpr_private_segment_size 0
		.amdhsa_wavefront_size32 1
		.amdhsa_uses_dynamic_stack 0
		.amdhsa_enable_private_segment 0
		.amdhsa_system_sgpr_workgroup_id_x 1
		.amdhsa_system_sgpr_workgroup_id_y 1
		.amdhsa_system_sgpr_workgroup_id_z 1
		.amdhsa_system_sgpr_workgroup_info 0
		.amdhsa_system_vgpr_workitem_id 1
		.amdhsa_next_free_vgpr 71
		.amdhsa_next_free_sgpr 37
		.amdhsa_reserve_vcc 1
		.amdhsa_float_round_mode_32 0
		.amdhsa_float_round_mode_16_64 0
		.amdhsa_float_denorm_mode_32 3
		.amdhsa_float_denorm_mode_16_64 3
		.amdhsa_fp16_overflow 0
		.amdhsa_workgroup_processor_mode 1
		.amdhsa_memory_ordered 1
		.amdhsa_forward_progress 1
		.amdhsa_inst_pref_size 26
		.amdhsa_round_robin_scheduling 0
		.amdhsa_exception_fp_ieee_invalid_op 0
		.amdhsa_exception_fp_denorm_src 0
		.amdhsa_exception_fp_ieee_div_zero 0
		.amdhsa_exception_fp_ieee_overflow 0
		.amdhsa_exception_fp_ieee_underflow 0
		.amdhsa_exception_fp_ieee_inexact 0
		.amdhsa_exception_int_div_zero 0
	.end_amdhsa_kernel
	.section	.text._ZL29rocblas_internal_gemmt_kernelIiLi16ELi32ELi8ELc67ELc84ELc76ELb1ELb0E19rocblas_complex_numIfEPKS1_PKS3_PKPS1_EviT_T9_T10_S9_lSB_S9_lSA_T11_S9_li,"axG",@progbits,_ZL29rocblas_internal_gemmt_kernelIiLi16ELi32ELi8ELc67ELc84ELc76ELb1ELb0E19rocblas_complex_numIfEPKS1_PKS3_PKPS1_EviT_T9_T10_S9_lSB_S9_lSA_T11_S9_li,comdat
.Lfunc_end376:
	.size	_ZL29rocblas_internal_gemmt_kernelIiLi16ELi32ELi8ELc67ELc84ELc76ELb1ELb0E19rocblas_complex_numIfEPKS1_PKS3_PKPS1_EviT_T9_T10_S9_lSB_S9_lSA_T11_S9_li, .Lfunc_end376-_ZL29rocblas_internal_gemmt_kernelIiLi16ELi32ELi8ELc67ELc84ELc76ELb1ELb0E19rocblas_complex_numIfEPKS1_PKS3_PKPS1_EviT_T9_T10_S9_lSB_S9_lSA_T11_S9_li
                                        ; -- End function
	.set _ZL29rocblas_internal_gemmt_kernelIiLi16ELi32ELi8ELc67ELc84ELc76ELb1ELb0E19rocblas_complex_numIfEPKS1_PKS3_PKPS1_EviT_T9_T10_S9_lSB_S9_lSA_T11_S9_li.num_vgpr, 71
	.set _ZL29rocblas_internal_gemmt_kernelIiLi16ELi32ELi8ELc67ELc84ELc76ELb1ELb0E19rocblas_complex_numIfEPKS1_PKS3_PKPS1_EviT_T9_T10_S9_lSB_S9_lSA_T11_S9_li.num_agpr, 0
	.set _ZL29rocblas_internal_gemmt_kernelIiLi16ELi32ELi8ELc67ELc84ELc76ELb1ELb0E19rocblas_complex_numIfEPKS1_PKS3_PKPS1_EviT_T9_T10_S9_lSB_S9_lSA_T11_S9_li.numbered_sgpr, 37
	.set _ZL29rocblas_internal_gemmt_kernelIiLi16ELi32ELi8ELc67ELc84ELc76ELb1ELb0E19rocblas_complex_numIfEPKS1_PKS3_PKPS1_EviT_T9_T10_S9_lSB_S9_lSA_T11_S9_li.num_named_barrier, 0
	.set _ZL29rocblas_internal_gemmt_kernelIiLi16ELi32ELi8ELc67ELc84ELc76ELb1ELb0E19rocblas_complex_numIfEPKS1_PKS3_PKPS1_EviT_T9_T10_S9_lSB_S9_lSA_T11_S9_li.private_seg_size, 0
	.set _ZL29rocblas_internal_gemmt_kernelIiLi16ELi32ELi8ELc67ELc84ELc76ELb1ELb0E19rocblas_complex_numIfEPKS1_PKS3_PKPS1_EviT_T9_T10_S9_lSB_S9_lSA_T11_S9_li.uses_vcc, 1
	.set _ZL29rocblas_internal_gemmt_kernelIiLi16ELi32ELi8ELc67ELc84ELc76ELb1ELb0E19rocblas_complex_numIfEPKS1_PKS3_PKPS1_EviT_T9_T10_S9_lSB_S9_lSA_T11_S9_li.uses_flat_scratch, 0
	.set _ZL29rocblas_internal_gemmt_kernelIiLi16ELi32ELi8ELc67ELc84ELc76ELb1ELb0E19rocblas_complex_numIfEPKS1_PKS3_PKPS1_EviT_T9_T10_S9_lSB_S9_lSA_T11_S9_li.has_dyn_sized_stack, 0
	.set _ZL29rocblas_internal_gemmt_kernelIiLi16ELi32ELi8ELc67ELc84ELc76ELb1ELb0E19rocblas_complex_numIfEPKS1_PKS3_PKPS1_EviT_T9_T10_S9_lSB_S9_lSA_T11_S9_li.has_recursion, 0
	.set _ZL29rocblas_internal_gemmt_kernelIiLi16ELi32ELi8ELc67ELc84ELc76ELb1ELb0E19rocblas_complex_numIfEPKS1_PKS3_PKPS1_EviT_T9_T10_S9_lSB_S9_lSA_T11_S9_li.has_indirect_call, 0
	.section	.AMDGPU.csdata,"",@progbits
; Kernel info:
; codeLenInByte = 3224
; TotalNumSgprs: 39
; NumVgprs: 71
; ScratchSize: 0
; MemoryBound: 1
; FloatMode: 240
; IeeeMode: 1
; LDSByteSize: 4096 bytes/workgroup (compile time only)
; SGPRBlocks: 0
; VGPRBlocks: 8
; NumSGPRsForWavesPerEU: 39
; NumVGPRsForWavesPerEU: 71
; Occupancy: 16
; WaveLimiterHint : 1
; COMPUTE_PGM_RSRC2:SCRATCH_EN: 0
; COMPUTE_PGM_RSRC2:USER_SGPR: 2
; COMPUTE_PGM_RSRC2:TRAP_HANDLER: 0
; COMPUTE_PGM_RSRC2:TGID_X_EN: 1
; COMPUTE_PGM_RSRC2:TGID_Y_EN: 1
; COMPUTE_PGM_RSRC2:TGID_Z_EN: 1
; COMPUTE_PGM_RSRC2:TIDIG_COMP_CNT: 1
	.section	.text._ZL29rocblas_internal_gemmt_kernelIiLi16ELi32ELi8ELc67ELc67ELc76ELb1ELb1E19rocblas_complex_numIfEPKS1_PKS3_PKPS1_EviT_T9_T10_S9_lSB_S9_lSA_T11_S9_li,"axG",@progbits,_ZL29rocblas_internal_gemmt_kernelIiLi16ELi32ELi8ELc67ELc67ELc76ELb1ELb1E19rocblas_complex_numIfEPKS1_PKS3_PKPS1_EviT_T9_T10_S9_lSB_S9_lSA_T11_S9_li,comdat
	.globl	_ZL29rocblas_internal_gemmt_kernelIiLi16ELi32ELi8ELc67ELc67ELc76ELb1ELb1E19rocblas_complex_numIfEPKS1_PKS3_PKPS1_EviT_T9_T10_S9_lSB_S9_lSA_T11_S9_li ; -- Begin function _ZL29rocblas_internal_gemmt_kernelIiLi16ELi32ELi8ELc67ELc67ELc76ELb1ELb1E19rocblas_complex_numIfEPKS1_PKS3_PKPS1_EviT_T9_T10_S9_lSB_S9_lSA_T11_S9_li
	.p2align	8
	.type	_ZL29rocblas_internal_gemmt_kernelIiLi16ELi32ELi8ELc67ELc67ELc76ELb1ELb1E19rocblas_complex_numIfEPKS1_PKS3_PKPS1_EviT_T9_T10_S9_lSB_S9_lSA_T11_S9_li,@function
_ZL29rocblas_internal_gemmt_kernelIiLi16ELi32ELi8ELc67ELc67ELc76ELb1ELb1E19rocblas_complex_numIfEPKS1_PKS3_PKPS1_EviT_T9_T10_S9_lSB_S9_lSA_T11_S9_li: ; @_ZL29rocblas_internal_gemmt_kernelIiLi16ELi32ELi8ELc67ELc67ELc76ELb1ELb1E19rocblas_complex_numIfEPKS1_PKS3_PKPS1_EviT_T9_T10_S9_lSB_S9_lSA_T11_S9_li
; %bb.0:
	s_load_b128 s[12:15], s[0:1], 0x38
	s_wait_kmcnt 0x0
	s_load_b64 s[14:15], s[14:15], 0x0
	s_clause 0x1
	s_load_b128 s[4:7], s[0:1], 0x8
	s_load_b64 s[20:21], s[0:1], 0x0
	s_wait_kmcnt 0x0
	s_load_b64 s[22:23], s[4:5], 0x0
	s_cmp_eq_f32 s14, 1.0
	s_cselect_b32 s3, -1, 0
	s_and_b32 s2, s15, 0x7fffffff
	s_delay_alu instid0(SALU_CYCLE_1) | instskip(SKIP_1) | instid1(SALU_CYCLE_1)
	s_cmp_eq_u32 s2, 0
	s_cselect_b32 s2, -1, 0
	s_and_b32 s4, s3, s2
	s_mov_b32 s3, 0
	s_and_not1_b32 vcc_lo, exec_lo, s4
	s_mov_b32 s4, -1
	s_cbranch_vccnz .LBB377_4
; %bb.1:
	s_cmp_lg_u32 s21, 0
	s_cbranch_scc0 .LBB377_3
; %bb.2:
	s_wait_kmcnt 0x0
	s_cmp_neq_f32 s22, 0
	s_cselect_b32 s3, -1, 0
	s_cmp_neq_f32 s23, 0
	s_cselect_b32 s4, -1, 0
	s_delay_alu instid0(SALU_CYCLE_1)
	s_or_b32 s3, s3, s4
.LBB377_3:
	s_delay_alu instid0(SALU_CYCLE_1)
	s_mov_b32 s4, s3
.LBB377_4:
	s_delay_alu instid0(SALU_CYCLE_1)
	s_and_b32 vcc_lo, exec_lo, s4
	s_cbranch_vccz .LBB377_39
; %bb.5:
	s_load_b32 s19, s[0:1], 0x60
	s_lshr_b32 s24, ttmp7, 16
	s_wait_kmcnt 0x0
	s_cmp_ge_u32 s24, s19
	s_cbranch_scc1 .LBB377_39
; %bb.6:
	s_clause 0x2
	s_load_b32 s26, s[0:1], 0x30
	s_load_b32 s5, s[0:1], 0x18
	s_load_b128 s[8:11], s[0:1], 0x20
	v_dual_mov_b32 v20, 0 :: v_dual_and_b32 v1, 0x3ff, v0
	v_bfe_u32 v2, v0, 10, 10
	s_clause 0x1
	s_load_b96 s[16:18], s[0:1], 0x48
	s_load_b64 s[28:29], s[0:1], 0x58
	s_lshl_b32 s1, ttmp7, 5
	s_lshl_b32 s0, ttmp9, 5
	s_and_b32 s1, s1, 0x1fffe0
	v_and_b32_e32 v14, 7, v0
	v_lshl_add_u32 v0, v2, 4, v1
	v_lshlrev_b32_e32 v15, 3, v1
	v_add_nc_u32_e32 v4, s0, v1
	v_lshl_add_u32 v19, v2, 6, 0x800
	v_lshlrev_b32_e32 v3, 3, v14
	v_and_b32_e32 v1, 31, v0
	v_lshrrev_b32_e32 v5, 3, v0
	v_lshrrev_b32_e32 v16, 5, v0
	v_add_nc_u32_e32 v6, 16, v4
	s_wait_kmcnt 0x0
	s_ashr_i32 s27, s26, 31
	s_cmp_neq_f32 s22, 0
	v_or_b32_e32 v7, s0, v1
	v_lshlrev_b32_e32 v0, 3, v1
	v_lshl_or_b32 v1, v5, 6, v3
	s_cselect_b32 s3, -1, 0
	s_cmp_neq_f32 s23, 0
	v_add_nc_u32_e32 v3, s1, v2
	v_add_nc_u32_e32 v12, s1, v5
	v_lshl_or_b32 v17, v16, 8, v0
	s_cselect_b32 s4, -1, 0
	v_add_nc_u32_e32 v18, 0x800, v1
	s_or_b32 s33, s3, s4
	s_cmp_gt_i32 s21, 0
	v_cmp_le_i32_e64 s1, v3, v4
	s_cselect_b32 s34, -1, 0
	s_cmp_neq_f32 s14, 0
	v_cmp_le_i32_e64 s3, v3, v6
	v_mad_co_i64_i32 v[0:1], null, v3, s18, 0
	v_add_nc_u32_e32 v10, 16, v3
	v_mad_co_i64_i32 v[2:3], null, s5, v7, 0
	s_cselect_b32 s35, -1, 0
	s_xor_b32 s36, s2, -1
	v_cmp_gt_i32_e64 s2, s20, v4
	v_cmp_gt_i32_e64 s4, s20, v6
	v_mad_co_i64_i32 v[8:9], null, s26, v14, 0
	v_cmp_gt_i32_e32 vcc_lo, s20, v7
	v_cmp_gt_i32_e64 s0, s20, v12
	s_and_b32 s20, s1, s2
	s_and_b32 s30, s3, s4
	v_cmp_le_i32_e64 s1, v10, v4
	v_cmp_le_i32_e64 s3, v10, v6
	v_lshlrev_b64_e32 v[2:3], 3, v[2:3]
	v_mad_co_i64_i32 v[10:11], null, v10, s18, 0
	s_and_b32 s18, s1, s2
	s_and_b32 s31, s3, s4
	s_lshl_b64 s[2:3], s[8:9], 3
	v_lshlrev_b64_e32 v[8:9], 3, v[8:9]
	v_add_co_u32 v2, s1, v2, s2
	s_wait_alu 0xf1ff
	v_add_co_ci_u32_e64 v3, null, s3, v3, s1
	s_lshl_b64 s[2:3], s[12:13], 3
	v_lshlrev_b32_e32 v12, 3, v12
	s_wait_alu 0xfffe
	v_add_co_u32 v8, s1, v8, s2
	v_lshlrev_b32_e32 v13, 3, v16
	v_ashrrev_i32_e32 v5, 31, v4
	v_ashrrev_i32_e32 v7, 31, v6
	s_wait_alu 0xf1ff
	v_add_co_ci_u32_e64 v9, null, s3, v9, s1
	v_add_co_u32 v8, s1, v8, v12
	v_add_co_u32 v21, s2, v2, v13
	s_wait_alu 0xf1ff
	v_add_co_ci_u32_e64 v22, null, 0, v3, s2
	v_lshlrev_b64_e32 v[0:1], 3, v[0:1]
	v_lshlrev_b64_e32 v[2:3], 3, v[10:11]
	;; [unrolled: 1-line block ×4, first 2 shown]
	v_add_co_ci_u32_e64 v23, null, 0, v9, s1
	v_or_b32_e32 v24, 4, v8
	s_mov_b32 s25, 0
	s_lshl_b64 s[2:3], s[26:27], 6
	s_and_b32 s8, s33, s34
	s_or_b32 s9, s35, s36
	s_xor_b32 s12, vcc_lo, -1
	s_xor_b32 s13, s0, -1
	s_lshl_b64 s[0:1], s[28:29], 3
	s_branch .LBB377_8
.LBB377_7:                              ;   in Loop: Header=BB377_8 Depth=1
	s_wait_alu 0xfffe
	s_or_b32 exec_lo, exec_lo, s4
	s_add_co_i32 s24, s24, 0x10000
	s_delay_alu instid0(SALU_CYCLE_1)
	s_cmp_lt_u32 s24, s19
	s_cbranch_scc0 .LBB377_39
.LBB377_8:                              ; =>This Loop Header: Depth=1
                                        ;     Child Loop BB377_11 Depth 2
	s_lshl_b64 s[4:5], s[24:25], 3
	v_dual_mov_b32 v32, 0 :: v_dual_mov_b32 v31, 0
	s_wait_alu 0xfffe
	s_add_nc_u64 s[26:27], s[16:17], s[4:5]
	v_dual_mov_b32 v29, 0 :: v_dual_mov_b32 v30, 0
	global_load_b64 v[8:9], v20, s[26:27]
	v_dual_mov_b32 v27, 0 :: v_dual_mov_b32 v28, 0
	v_dual_mov_b32 v26, 0 :: v_dual_mov_b32 v25, 0
	s_and_not1_b32 vcc_lo, exec_lo, s8
	s_wait_alu 0xfffe
	s_cbranch_vccnz .LBB377_19
; %bb.9:                                ;   in Loop: Header=BB377_8 Depth=1
	s_add_nc_u64 s[26:27], s[6:7], s[4:5]
	s_add_nc_u64 s[4:5], s[10:11], s[4:5]
	s_clause 0x1
	global_load_b64 v[10:11], v20, s[26:27]
	global_load_b64 v[12:13], v20, s[4:5]
	v_dual_mov_b32 v25, 0 :: v_dual_mov_b32 v26, 0
	v_dual_mov_b32 v28, 0 :: v_dual_mov_b32 v27, 0
	;; [unrolled: 1-line block ×4, first 2 shown]
	s_mov_b32 s4, 0
	s_wait_loadcnt 0x1
	v_add_co_u32 v10, vcc_lo, v10, v21
	s_wait_alu 0xfffd
	v_add_co_ci_u32_e64 v11, null, v11, v22, vcc_lo
	s_wait_loadcnt 0x0
	v_add_co_u32 v12, vcc_lo, v12, v24
	s_wait_alu 0xfffd
	v_add_co_ci_u32_e64 v13, null, v13, v23, vcc_lo
	s_branch .LBB377_11
.LBB377_10:                             ;   in Loop: Header=BB377_11 Depth=2
	s_or_b32 exec_lo, exec_lo, s5
	ds_store_b32 v18, v33 offset:4
	s_wait_dscnt 0x0
	s_barrier_signal -1
	s_barrier_wait -1
	global_inv scope:SCOPE_SE
	ds_load_b128 v[33:36], v19
	ds_load_2addr_b64 v[37:40], v15 offset1:16
	ds_load_b128 v[41:44], v19 offset:1024
	ds_load_b128 v[45:48], v19 offset:16
	;; [unrolled: 1-line block ×4, first 2 shown]
	ds_load_2addr_b64 v[57:60], v15 offset0:32 offset1:48
	ds_load_b128 v[61:64], v19 offset:1040
	v_add_co_u32 v10, vcc_lo, v10, 64
	s_wait_alu 0xfffd
	v_add_co_ci_u32_e64 v11, null, 0, v11, vcc_lo
	v_add_co_u32 v12, vcc_lo, v12, s2
	s_wait_alu 0xfffd
	v_add_co_ci_u32_e64 v13, null, s3, v13, vcc_lo
	s_add_co_i32 s4, s4, 8
	s_wait_alu 0xfffe
	s_cmp_lt_i32 s4, s21
	s_wait_dscnt 0x6
	v_dual_mul_f32 v65, v34, v38 :: v_dual_mul_f32 v68, v33, v40
	v_dual_mul_f32 v66, v33, v38 :: v_dual_mul_f32 v67, v34, v40
	s_wait_dscnt 0x5
	v_mul_f32_e32 v69, v42, v38
	s_delay_alu instid0(VALU_DEP_3) | instskip(NEXT) | instid1(VALU_DEP_3)
	v_fma_f32 v65, v33, v37, -v65
	v_fmac_f32_e32 v66, v34, v37
	v_mul_f32_e32 v70, v42, v40
	v_fma_f32 v33, v33, v39, -v67
	v_mul_f32_e32 v40, v41, v40
	s_delay_alu instid0(VALU_DEP_4) | instskip(SKIP_1) | instid1(VALU_DEP_4)
	v_dual_fmac_f32 v68, v34, v39 :: v_dual_add_f32 v31, v31, v66
	v_fma_f32 v34, v41, v37, -v69
	v_add_f32_e32 v33, v29, v33
	v_fma_f32 v29, v41, v39, -v70
	v_mul_f32_e32 v38, v41, v38
	v_fmac_f32_e32 v40, v42, v39
	v_add_f32_e32 v34, v27, v34
	s_wait_dscnt 0x1
	v_mul_f32_e32 v41, v35, v58
	v_add_f32_e32 v39, v26, v29
	v_fmac_f32_e32 v38, v42, v37
	v_add_f32_e32 v30, v30, v68
	v_dual_add_f32 v32, v32, v65 :: v_dual_add_f32 v25, v25, v40
	v_fmac_f32_e32 v41, v36, v57
	s_delay_alu instid0(VALU_DEP_4)
	v_add_f32_e32 v37, v28, v38
	ds_load_2addr_b64 v[26:29], v15 offset0:64 offset1:80
	v_mul_f32_e32 v38, v36, v58
	v_dual_mul_f32 v42, v36, v60 :: v_dual_add_f32 v41, v31, v41
	v_mul_f32_e32 v31, v43, v58
	v_mul_f32_e32 v40, v35, v60
	s_delay_alu instid0(VALU_DEP_4) | instskip(NEXT) | instid1(VALU_DEP_3)
	v_fma_f32 v38, v35, v57, -v38
	v_fmac_f32_e32 v31, v44, v57
	s_delay_alu instid0(VALU_DEP_3) | instskip(NEXT) | instid1(VALU_DEP_3)
	v_fmac_f32_e32 v40, v36, v59
	v_add_f32_e32 v38, v32, v38
	v_fma_f32 v32, v35, v59, -v42
	v_mul_f32_e32 v35, v44, v58
	v_add_f32_e32 v37, v37, v31
	s_delay_alu instid0(VALU_DEP_3) | instskip(NEXT) | instid1(VALU_DEP_3)
	v_add_f32_e32 v36, v33, v32
	v_fma_f32 v32, v43, v57, -v35
	s_wait_dscnt 0x0
	v_dual_mul_f32 v33, v44, v60 :: v_dual_mul_f32 v42, v45, v27
	v_add_f32_e32 v35, v30, v40
	v_mul_f32_e32 v40, v43, v60
	v_add_f32_e32 v34, v34, v32
	s_delay_alu instid0(VALU_DEP_4) | instskip(SKIP_3) | instid1(VALU_DEP_4)
	v_fma_f32 v30, v43, v59, -v33
	v_fmac_f32_e32 v42, v46, v26
	v_mul_f32_e32 v32, v46, v27
	v_fmac_f32_e32 v40, v44, v59
	v_dual_mul_f32 v44, v46, v29 :: v_dual_add_f32 v39, v39, v30
	s_delay_alu instid0(VALU_DEP_4) | instskip(NEXT) | instid1(VALU_DEP_4)
	v_add_f32_e32 v41, v41, v42
	v_fma_f32 v43, v45, v26, -v32
	ds_load_2addr_b64 v[30:33], v15 offset0:96 offset1:112
	v_add_f32_e32 v40, v25, v40
	v_dual_mul_f32 v25, v45, v29 :: v_dual_mul_f32 v42, v62, v27
	v_add_f32_e32 v38, v38, v43
	v_mul_f32_e32 v27, v61, v27
	v_fma_f32 v43, v45, v28, -v44
	s_delay_alu instid0(VALU_DEP_4) | instskip(NEXT) | instid1(VALU_DEP_2)
	v_fmac_f32_e32 v25, v46, v28
	v_dual_fmac_f32 v27, v62, v26 :: v_dual_add_f32 v36, v36, v43
	v_mul_f32_e32 v43, v62, v29
	v_mul_f32_e32 v29, v61, v29
	s_delay_alu instid0(VALU_DEP_4) | instskip(NEXT) | instid1(VALU_DEP_3)
	v_add_f32_e32 v44, v35, v25
	v_fma_f32 v25, v61, v28, -v43
	s_delay_alu instid0(VALU_DEP_3)
	v_fmac_f32_e32 v29, v62, v28
	v_add_f32_e32 v43, v37, v27
	s_wait_dscnt 0x0
	v_mul_f32_e32 v37, v48, v33
	v_add_f32_e32 v39, v39, v25
	v_dual_mul_f32 v35, v47, v31 :: v_dual_add_f32 v40, v40, v29
	v_mul_f32_e32 v29, v47, v33
	s_delay_alu instid0(VALU_DEP_4) | instskip(NEXT) | instid1(VALU_DEP_3)
	v_fma_f32 v37, v47, v32, -v37
	v_fmac_f32_e32 v35, v48, v30
	v_fma_f32 v42, v61, v26, -v42
	ds_load_2addr_b64 v[25:28], v15 offset0:128 offset1:144
	v_dual_add_f32 v46, v36, v37 :: v_dual_add_f32 v45, v41, v35
	v_add_f32_e32 v42, v34, v42
	v_mul_f32_e32 v34, v48, v31
	v_fmac_f32_e32 v29, v48, v32
	s_delay_alu instid0(VALU_DEP_2) | instskip(SKIP_1) | instid1(VALU_DEP_3)
	v_fma_f32 v34, v47, v30, -v34
	v_mul_f32_e32 v47, v64, v33
	v_add_f32_e32 v44, v44, v29
	s_delay_alu instid0(VALU_DEP_3) | instskip(NEXT) | instid1(VALU_DEP_3)
	v_dual_mul_f32 v33, v63, v33 :: v_dual_add_f32 v38, v38, v34
	v_fma_f32 v29, v63, v32, -v47
	v_mul_f32_e32 v34, v64, v31
	v_mul_f32_e32 v31, v63, v31
	s_wait_dscnt 0x0
	v_dual_fmac_f32 v33, v64, v32 :: v_dual_mul_f32 v48, v49, v26
	v_add_f32_e32 v47, v39, v29
	v_fma_f32 v41, v63, v30, -v34
	ds_load_b128 v[34:37], v19 offset:1056
	v_dual_fmac_f32 v31, v64, v30 :: v_dual_fmac_f32 v48, v50, v25
	v_dual_mul_f32 v30, v50, v26 :: v_dual_add_f32 v33, v40, v33
	s_delay_alu instid0(VALU_DEP_2) | instskip(SKIP_1) | instid1(VALU_DEP_3)
	v_dual_mul_f32 v58, v49, v28 :: v_dual_add_f32 v43, v43, v31
	v_add_f32_e32 v42, v42, v41
	v_fma_f32 v39, v49, v25, -v30
	ds_load_2addr_b64 v[29:32], v15 offset0:160 offset1:176
	v_dual_add_f32 v45, v45, v48 :: v_dual_fmac_f32 v58, v50, v27
	v_mul_f32_e32 v41, v50, v28
	s_delay_alu instid0(VALU_DEP_2) | instskip(NEXT) | instid1(VALU_DEP_2)
	v_dual_add_f32 v57, v38, v39 :: v_dual_add_f32 v44, v44, v58
	v_fma_f32 v49, v49, v27, -v41
	ds_load_b128 v[38:41], v19 offset:1072
	s_wait_dscnt 0x2
	v_mul_f32_e32 v59, v35, v26
	v_mul_f32_e32 v26, v34, v26
	v_dual_add_f32 v46, v46, v49 :: v_dual_mul_f32 v49, v35, v28
	v_mul_f32_e32 v50, v34, v28
	s_delay_alu instid0(VALU_DEP_4) | instskip(NEXT) | instid1(VALU_DEP_4)
	v_fma_f32 v48, v34, v25, -v59
	v_fmac_f32_e32 v26, v35, v25
	s_delay_alu instid0(VALU_DEP_4)
	v_fma_f32 v25, v34, v27, -v49
	s_wait_dscnt 0x1
	v_mul_f32_e32 v28, v52, v30
	v_fmac_f32_e32 v50, v35, v27
	v_dual_mul_f32 v35, v51, v30 :: v_dual_add_f32 v42, v42, v48
	v_add_f32_e32 v34, v43, v26
	v_add_f32_e32 v43, v47, v25
	v_fma_f32 v47, v51, v29, -v28
	ds_load_2addr_b64 v[25:28], v15 offset0:192 offset1:208
	v_fmac_f32_e32 v35, v52, v29
	v_add_f32_e32 v47, v57, v47
	s_delay_alu instid0(VALU_DEP_2) | instskip(SKIP_3) | instid1(VALU_DEP_3)
	v_add_f32_e32 v45, v45, v35
	v_dual_mul_f32 v35, v37, v30 :: v_dual_mul_f32 v48, v52, v32
	v_add_f32_e32 v49, v33, v50
	v_dual_mul_f32 v33, v51, v32 :: v_dual_mul_f32 v30, v36, v30
	v_fma_f32 v35, v36, v29, -v35
	s_delay_alu instid0(VALU_DEP_4) | instskip(NEXT) | instid1(VALU_DEP_3)
	v_fma_f32 v48, v51, v31, -v48
	v_dual_fmac_f32 v33, v52, v31 :: v_dual_fmac_f32 v30, v37, v29
	s_delay_alu instid0(VALU_DEP_3) | instskip(NEXT) | instid1(VALU_DEP_3)
	v_add_f32_e32 v42, v42, v35
	v_add_f32_e32 v46, v46, v48
	s_delay_alu instid0(VALU_DEP_3) | instskip(NEXT) | instid1(VALU_DEP_1)
	v_dual_mul_f32 v48, v37, v32 :: v_dual_add_f32 v29, v44, v33
	v_fma_f32 v33, v36, v31, -v48
	v_mul_f32_e32 v32, v36, v32
	s_wait_dscnt 0x0
	v_mul_f32_e32 v48, v53, v28
	s_delay_alu instid0(VALU_DEP_2) | instskip(NEXT) | instid1(VALU_DEP_2)
	v_dual_fmac_f32 v32, v37, v31 :: v_dual_add_f32 v31, v43, v33
	v_fmac_f32_e32 v48, v54, v27
	v_mul_f32_e32 v44, v54, v26
	v_mul_f32_e32 v37, v53, v26
	s_delay_alu instid0(VALU_DEP_2) | instskip(SKIP_1) | instid1(VALU_DEP_3)
	v_fma_f32 v43, v53, v25, -v44
	v_mul_f32_e32 v44, v54, v28
	v_dual_fmac_f32 v37, v54, v25 :: v_dual_add_f32 v32, v49, v32
	s_delay_alu instid0(VALU_DEP_3) | instskip(NEXT) | instid1(VALU_DEP_2)
	v_dual_add_f32 v43, v47, v43 :: v_dual_add_f32 v30, v34, v30
	v_add_f32_e32 v37, v45, v37
	ds_load_2addr_b64 v[33:36], v15 offset0:224 offset1:240
	v_mul_f32_e32 v47, v39, v26
	v_mul_f32_e32 v26, v38, v26
	v_fma_f32 v44, v53, v27, -v44
	s_wait_loadcnt_dscnt 0x0
	s_barrier_signal -1
	v_fma_f32 v45, v38, v25, -v47
	v_dual_fmac_f32 v26, v39, v25 :: v_dual_add_f32 v47, v29, v48
	s_barrier_wait -1
	global_inv scope:SCOPE_SE
	v_dual_add_f32 v25, v42, v45 :: v_dual_mul_f32 v42, v55, v34
	s_delay_alu instid0(VALU_DEP_1) | instskip(SKIP_3) | instid1(VALU_DEP_2)
	v_fmac_f32_e32 v42, v56, v33
	v_add_f32_e32 v44, v46, v44
	v_mul_f32_e32 v46, v39, v28
	v_mul_f32_e32 v28, v38, v28
	v_fma_f32 v29, v38, v27, -v46
	v_mul_f32_e32 v38, v56, v34
	s_delay_alu instid0(VALU_DEP_3) | instskip(NEXT) | instid1(VALU_DEP_3)
	v_fmac_f32_e32 v28, v39, v27
	v_add_f32_e32 v39, v31, v29
	s_delay_alu instid0(VALU_DEP_3) | instskip(SKIP_1) | instid1(VALU_DEP_4)
	v_fma_f32 v27, v55, v33, -v38
	v_mul_f32_e32 v29, v56, v36
	v_dual_add_f32 v38, v32, v28 :: v_dual_add_f32 v31, v37, v42
	v_mul_f32_e32 v28, v41, v34
	s_delay_alu instid0(VALU_DEP_4) | instskip(NEXT) | instid1(VALU_DEP_4)
	v_add_f32_e32 v32, v43, v27
	v_fma_f32 v27, v55, v35, -v29
	v_dual_mul_f32 v34, v40, v34 :: v_dual_mul_f32 v37, v41, v36
	v_add_f32_e32 v26, v30, v26
	v_mul_f32_e32 v30, v55, v36
	v_mul_f32_e32 v36, v40, v36
	v_add_f32_e32 v29, v44, v27
	v_fma_f32 v27, v40, v33, -v28
	v_fmac_f32_e32 v34, v41, v33
	v_fmac_f32_e32 v30, v56, v35
	v_fma_f32 v33, v40, v35, -v37
	v_fmac_f32_e32 v36, v41, v35
	s_delay_alu instid0(VALU_DEP_4) | instskip(NEXT) | instid1(VALU_DEP_4)
	v_dual_add_f32 v27, v25, v27 :: v_dual_add_f32 v28, v26, v34
	v_add_f32_e32 v30, v47, v30
	s_delay_alu instid0(VALU_DEP_3)
	v_dual_add_f32 v26, v39, v33 :: v_dual_add_f32 v25, v38, v36
	s_cbranch_scc0 .LBB377_19
.LBB377_11:                             ;   Parent Loop BB377_8 Depth=1
                                        ; =>  This Inner Loop Header: Depth=2
	s_wait_alu 0xfffe
	v_add_nc_u32_e32 v33, s4, v16
	s_delay_alu instid0(VALU_DEP_1)
	v_cmp_le_i32_e32 vcc_lo, s21, v33
	s_or_b32 s5, s12, vcc_lo
	s_wait_alu 0xfffe
	s_and_saveexec_b32 s26, s5
	s_wait_alu 0xfffe
	s_xor_b32 s5, exec_lo, s26
; %bb.12:                               ;   in Loop: Header=BB377_11 Depth=2
	ds_store_b32 v17, v20
; %bb.13:                               ;   in Loop: Header=BB377_11 Depth=2
	s_wait_alu 0xfffe
	s_or_saveexec_b32 s5, s5
	v_mov_b32_e32 v33, 0
	s_wait_alu 0xfffe
	s_xor_b32 exec_lo, exec_lo, s5
	s_cbranch_execz .LBB377_15
; %bb.14:                               ;   in Loop: Header=BB377_11 Depth=2
	flat_load_b64 v[34:35], v[10:11]
	s_wait_loadcnt_dscnt 0x0
	v_xor_b32_e32 v33, 0x80000000, v35
	ds_store_b32 v17, v34
.LBB377_15:                             ;   in Loop: Header=BB377_11 Depth=2
	s_or_b32 exec_lo, exec_lo, s5
	v_add_nc_u32_e32 v34, s4, v14
	ds_store_b32 v17, v33 offset:4
	v_cmp_le_i32_e32 vcc_lo, s21, v34
	s_or_b32 s5, vcc_lo, s13
	s_wait_alu 0xfffe
	s_and_saveexec_b32 s26, s5
	s_wait_alu 0xfffe
	s_xor_b32 s5, exec_lo, s26
; %bb.16:                               ;   in Loop: Header=BB377_11 Depth=2
	ds_store_b32 v18, v20
; %bb.17:                               ;   in Loop: Header=BB377_11 Depth=2
	s_wait_alu 0xfffe
	s_or_saveexec_b32 s5, s5
	v_mov_b32_e32 v33, 0
	s_wait_alu 0xfffe
	s_xor_b32 exec_lo, exec_lo, s5
	s_cbranch_execz .LBB377_10
; %bb.18:                               ;   in Loop: Header=BB377_11 Depth=2
	flat_load_b64 v[34:35], v[12:13] offset:-4
	s_wait_loadcnt_dscnt 0x0
	v_xor_b32_e32 v33, 0x80000000, v35
	ds_store_b32 v18, v34
	s_branch .LBB377_10
.LBB377_19:                             ;   in Loop: Header=BB377_8 Depth=1
	s_wait_loadcnt 0x0
	v_add_co_u32 v10, vcc_lo, v8, s0
	s_wait_alu 0xfffd
	v_add_co_ci_u32_e64 v11, null, s1, v9, vcc_lo
	s_delay_alu instid0(VALU_DEP_2) | instskip(SKIP_1) | instid1(VALU_DEP_2)
	v_add_co_u32 v12, vcc_lo, v10, v0
	s_wait_alu 0xfffd
	v_add_co_ci_u32_e64 v13, null, v11, v1, vcc_lo
	s_and_saveexec_b32 s4, s20
	s_cbranch_execz .LBB377_24
; %bb.20:                               ;   in Loop: Header=BB377_8 Depth=1
	v_mul_f32_e32 v9, s22, v31
	v_mul_f32_e32 v8, s23, v31
	s_and_b32 vcc_lo, exec_lo, s9
	s_mov_b32 s5, -1
	s_delay_alu instid0(VALU_DEP_2) | instskip(NEXT) | instid1(VALU_DEP_2)
	v_fmac_f32_e32 v9, s23, v32
	v_fma_f32 v8, v32, s22, -v8
	s_wait_alu 0xfffe
	s_cbranch_vccz .LBB377_22
; %bb.21:                               ;   in Loop: Header=BB377_8 Depth=1
	v_add_co_u32 v31, vcc_lo, v12, v4
	s_wait_alu 0xfffd
	v_add_co_ci_u32_e64 v32, null, v13, v5, vcc_lo
	s_mov_b32 s5, 0
	flat_load_b64 v[33:34], v[31:32]
	s_wait_loadcnt_dscnt 0x0
	v_mul_f32_e32 v35, s15, v34
	v_mul_f32_e32 v34, s14, v34
	s_delay_alu instid0(VALU_DEP_1) | instskip(NEXT) | instid1(VALU_DEP_3)
	v_fmac_f32_e32 v34, s15, v33
	v_fma_f32 v35, v33, s14, -v35
	s_delay_alu instid0(VALU_DEP_1)
	v_dual_add_f32 v34, v9, v34 :: v_dual_add_f32 v33, v8, v35
	flat_store_b64 v[31:32], v[33:34]
.LBB377_22:                             ;   in Loop: Header=BB377_8 Depth=1
	s_wait_alu 0xfffe
	s_and_not1_b32 vcc_lo, exec_lo, s5
	s_wait_alu 0xfffe
	s_cbranch_vccnz .LBB377_24
; %bb.23:                               ;   in Loop: Header=BB377_8 Depth=1
	v_add_co_u32 v31, vcc_lo, v12, v4
	s_wait_alu 0xfffd
	v_add_co_ci_u32_e64 v32, null, v13, v5, vcc_lo
	flat_store_b64 v[31:32], v[8:9]
.LBB377_24:                             ;   in Loop: Header=BB377_8 Depth=1
	s_wait_alu 0xfffe
	s_or_b32 exec_lo, exec_lo, s4
	s_and_saveexec_b32 s4, s30
	s_cbranch_execz .LBB377_29
; %bb.25:                               ;   in Loop: Header=BB377_8 Depth=1
	v_mul_f32_e32 v9, s22, v30
	v_mul_f32_e32 v8, s23, v30
	s_and_not1_b32 vcc_lo, exec_lo, s9
	s_mov_b32 s5, -1
	s_delay_alu instid0(VALU_DEP_2) | instskip(NEXT) | instid1(VALU_DEP_2)
	v_fmac_f32_e32 v9, s23, v29
	v_fma_f32 v8, v29, s22, -v8
	s_wait_alu 0xfffe
	s_cbranch_vccnz .LBB377_27
; %bb.26:                               ;   in Loop: Header=BB377_8 Depth=1
	v_add_co_u32 v29, vcc_lo, v12, v6
	s_wait_alu 0xfffd
	v_add_co_ci_u32_e64 v30, null, v13, v7, vcc_lo
	s_mov_b32 s5, 0
	flat_load_b64 v[31:32], v[29:30]
	s_wait_loadcnt_dscnt 0x0
	v_mul_f32_e32 v33, s15, v32
	v_mul_f32_e32 v32, s14, v32
	s_delay_alu instid0(VALU_DEP_1) | instskip(NEXT) | instid1(VALU_DEP_3)
	v_fmac_f32_e32 v32, s15, v31
	v_fma_f32 v33, v31, s14, -v33
	s_delay_alu instid0(VALU_DEP_1)
	v_dual_add_f32 v32, v9, v32 :: v_dual_add_f32 v31, v8, v33
	flat_store_b64 v[29:30], v[31:32]
.LBB377_27:                             ;   in Loop: Header=BB377_8 Depth=1
	s_wait_alu 0xfffe
	s_and_not1_b32 vcc_lo, exec_lo, s5
	s_wait_alu 0xfffe
	s_cbranch_vccnz .LBB377_29
; %bb.28:                               ;   in Loop: Header=BB377_8 Depth=1
	v_add_co_u32 v12, vcc_lo, v12, v6
	s_wait_alu 0xfffd
	v_add_co_ci_u32_e64 v13, null, v13, v7, vcc_lo
	flat_store_b64 v[12:13], v[8:9]
.LBB377_29:                             ;   in Loop: Header=BB377_8 Depth=1
	s_wait_alu 0xfffe
	s_or_b32 exec_lo, exec_lo, s4
	v_add_co_u32 v10, vcc_lo, v10, v2
	s_wait_alu 0xfffd
	v_add_co_ci_u32_e64 v11, null, v11, v3, vcc_lo
	s_and_saveexec_b32 s4, s18
	s_cbranch_execz .LBB377_34
; %bb.30:                               ;   in Loop: Header=BB377_8 Depth=1
	v_mul_f32_e32 v9, s22, v28
	v_mul_f32_e32 v8, s23, v28
	s_and_not1_b32 vcc_lo, exec_lo, s9
	s_mov_b32 s5, -1
	s_delay_alu instid0(VALU_DEP_2) | instskip(NEXT) | instid1(VALU_DEP_2)
	v_fmac_f32_e32 v9, s23, v27
	v_fma_f32 v8, v27, s22, -v8
	s_wait_alu 0xfffe
	s_cbranch_vccnz .LBB377_32
; %bb.31:                               ;   in Loop: Header=BB377_8 Depth=1
	v_add_co_u32 v12, vcc_lo, v10, v4
	s_wait_alu 0xfffd
	v_add_co_ci_u32_e64 v13, null, v11, v5, vcc_lo
	s_mov_b32 s5, 0
	flat_load_b64 v[27:28], v[12:13]
	s_wait_loadcnt_dscnt 0x0
	v_mul_f32_e32 v29, s15, v28
	v_mul_f32_e32 v28, s14, v28
	s_delay_alu instid0(VALU_DEP_1) | instskip(NEXT) | instid1(VALU_DEP_3)
	v_fmac_f32_e32 v28, s15, v27
	v_fma_f32 v29, v27, s14, -v29
	s_delay_alu instid0(VALU_DEP_1)
	v_dual_add_f32 v28, v9, v28 :: v_dual_add_f32 v27, v8, v29
	flat_store_b64 v[12:13], v[27:28]
.LBB377_32:                             ;   in Loop: Header=BB377_8 Depth=1
	s_wait_alu 0xfffe
	s_and_not1_b32 vcc_lo, exec_lo, s5
	s_wait_alu 0xfffe
	s_cbranch_vccnz .LBB377_34
; %bb.33:                               ;   in Loop: Header=BB377_8 Depth=1
	v_add_co_u32 v12, vcc_lo, v10, v4
	s_wait_alu 0xfffd
	v_add_co_ci_u32_e64 v13, null, v11, v5, vcc_lo
	flat_store_b64 v[12:13], v[8:9]
.LBB377_34:                             ;   in Loop: Header=BB377_8 Depth=1
	s_wait_alu 0xfffe
	s_or_b32 exec_lo, exec_lo, s4
	s_and_saveexec_b32 s4, s31
	s_cbranch_execz .LBB377_7
; %bb.35:                               ;   in Loop: Header=BB377_8 Depth=1
	v_mul_f32_e32 v9, s22, v25
	v_mul_f32_e32 v8, s23, v25
	s_and_not1_b32 vcc_lo, exec_lo, s9
	s_mov_b32 s5, -1
	s_delay_alu instid0(VALU_DEP_2) | instskip(NEXT) | instid1(VALU_DEP_2)
	v_fmac_f32_e32 v9, s23, v26
	v_fma_f32 v8, v26, s22, -v8
	s_wait_alu 0xfffe
	s_cbranch_vccnz .LBB377_37
; %bb.36:                               ;   in Loop: Header=BB377_8 Depth=1
	v_add_co_u32 v12, vcc_lo, v10, v6
	s_wait_alu 0xfffd
	v_add_co_ci_u32_e64 v13, null, v11, v7, vcc_lo
	s_mov_b32 s5, 0
	flat_load_b64 v[25:26], v[12:13]
	s_wait_loadcnt_dscnt 0x0
	v_mul_f32_e32 v27, s15, v26
	v_mul_f32_e32 v26, s14, v26
	s_delay_alu instid0(VALU_DEP_1) | instskip(NEXT) | instid1(VALU_DEP_3)
	v_fmac_f32_e32 v26, s15, v25
	v_fma_f32 v27, v25, s14, -v27
	s_delay_alu instid0(VALU_DEP_1)
	v_dual_add_f32 v26, v9, v26 :: v_dual_add_f32 v25, v8, v27
	flat_store_b64 v[12:13], v[25:26]
.LBB377_37:                             ;   in Loop: Header=BB377_8 Depth=1
	s_wait_alu 0xfffe
	s_and_not1_b32 vcc_lo, exec_lo, s5
	s_wait_alu 0xfffe
	s_cbranch_vccnz .LBB377_7
; %bb.38:                               ;   in Loop: Header=BB377_8 Depth=1
	v_add_co_u32 v10, vcc_lo, v10, v6
	s_wait_alu 0xfffd
	v_add_co_ci_u32_e64 v11, null, v11, v7, vcc_lo
	flat_store_b64 v[10:11], v[8:9]
	s_branch .LBB377_7
.LBB377_39:
	s_endpgm
	.section	.rodata,"a",@progbits
	.p2align	6, 0x0
	.amdhsa_kernel _ZL29rocblas_internal_gemmt_kernelIiLi16ELi32ELi8ELc67ELc67ELc76ELb1ELb1E19rocblas_complex_numIfEPKS1_PKS3_PKPS1_EviT_T9_T10_S9_lSB_S9_lSA_T11_S9_li
		.amdhsa_group_segment_fixed_size 4096
		.amdhsa_private_segment_fixed_size 0
		.amdhsa_kernarg_size 100
		.amdhsa_user_sgpr_count 2
		.amdhsa_user_sgpr_dispatch_ptr 0
		.amdhsa_user_sgpr_queue_ptr 0
		.amdhsa_user_sgpr_kernarg_segment_ptr 1
		.amdhsa_user_sgpr_dispatch_id 0
		.amdhsa_user_sgpr_private_segment_size 0
		.amdhsa_wavefront_size32 1
		.amdhsa_uses_dynamic_stack 0
		.amdhsa_enable_private_segment 0
		.amdhsa_system_sgpr_workgroup_id_x 1
		.amdhsa_system_sgpr_workgroup_id_y 1
		.amdhsa_system_sgpr_workgroup_id_z 1
		.amdhsa_system_sgpr_workgroup_info 0
		.amdhsa_system_vgpr_workitem_id 1
		.amdhsa_next_free_vgpr 71
		.amdhsa_next_free_sgpr 37
		.amdhsa_reserve_vcc 1
		.amdhsa_float_round_mode_32 0
		.amdhsa_float_round_mode_16_64 0
		.amdhsa_float_denorm_mode_32 3
		.amdhsa_float_denorm_mode_16_64 3
		.amdhsa_fp16_overflow 0
		.amdhsa_workgroup_processor_mode 1
		.amdhsa_memory_ordered 1
		.amdhsa_forward_progress 1
		.amdhsa_inst_pref_size 26
		.amdhsa_round_robin_scheduling 0
		.amdhsa_exception_fp_ieee_invalid_op 0
		.amdhsa_exception_fp_denorm_src 0
		.amdhsa_exception_fp_ieee_div_zero 0
		.amdhsa_exception_fp_ieee_overflow 0
		.amdhsa_exception_fp_ieee_underflow 0
		.amdhsa_exception_fp_ieee_inexact 0
		.amdhsa_exception_int_div_zero 0
	.end_amdhsa_kernel
	.section	.text._ZL29rocblas_internal_gemmt_kernelIiLi16ELi32ELi8ELc67ELc67ELc76ELb1ELb1E19rocblas_complex_numIfEPKS1_PKS3_PKPS1_EviT_T9_T10_S9_lSB_S9_lSA_T11_S9_li,"axG",@progbits,_ZL29rocblas_internal_gemmt_kernelIiLi16ELi32ELi8ELc67ELc67ELc76ELb1ELb1E19rocblas_complex_numIfEPKS1_PKS3_PKPS1_EviT_T9_T10_S9_lSB_S9_lSA_T11_S9_li,comdat
.Lfunc_end377:
	.size	_ZL29rocblas_internal_gemmt_kernelIiLi16ELi32ELi8ELc67ELc67ELc76ELb1ELb1E19rocblas_complex_numIfEPKS1_PKS3_PKPS1_EviT_T9_T10_S9_lSB_S9_lSA_T11_S9_li, .Lfunc_end377-_ZL29rocblas_internal_gemmt_kernelIiLi16ELi32ELi8ELc67ELc67ELc76ELb1ELb1E19rocblas_complex_numIfEPKS1_PKS3_PKPS1_EviT_T9_T10_S9_lSB_S9_lSA_T11_S9_li
                                        ; -- End function
	.set _ZL29rocblas_internal_gemmt_kernelIiLi16ELi32ELi8ELc67ELc67ELc76ELb1ELb1E19rocblas_complex_numIfEPKS1_PKS3_PKPS1_EviT_T9_T10_S9_lSB_S9_lSA_T11_S9_li.num_vgpr, 71
	.set _ZL29rocblas_internal_gemmt_kernelIiLi16ELi32ELi8ELc67ELc67ELc76ELb1ELb1E19rocblas_complex_numIfEPKS1_PKS3_PKPS1_EviT_T9_T10_S9_lSB_S9_lSA_T11_S9_li.num_agpr, 0
	.set _ZL29rocblas_internal_gemmt_kernelIiLi16ELi32ELi8ELc67ELc67ELc76ELb1ELb1E19rocblas_complex_numIfEPKS1_PKS3_PKPS1_EviT_T9_T10_S9_lSB_S9_lSA_T11_S9_li.numbered_sgpr, 37
	.set _ZL29rocblas_internal_gemmt_kernelIiLi16ELi32ELi8ELc67ELc67ELc76ELb1ELb1E19rocblas_complex_numIfEPKS1_PKS3_PKPS1_EviT_T9_T10_S9_lSB_S9_lSA_T11_S9_li.num_named_barrier, 0
	.set _ZL29rocblas_internal_gemmt_kernelIiLi16ELi32ELi8ELc67ELc67ELc76ELb1ELb1E19rocblas_complex_numIfEPKS1_PKS3_PKPS1_EviT_T9_T10_S9_lSB_S9_lSA_T11_S9_li.private_seg_size, 0
	.set _ZL29rocblas_internal_gemmt_kernelIiLi16ELi32ELi8ELc67ELc67ELc76ELb1ELb1E19rocblas_complex_numIfEPKS1_PKS3_PKPS1_EviT_T9_T10_S9_lSB_S9_lSA_T11_S9_li.uses_vcc, 1
	.set _ZL29rocblas_internal_gemmt_kernelIiLi16ELi32ELi8ELc67ELc67ELc76ELb1ELb1E19rocblas_complex_numIfEPKS1_PKS3_PKPS1_EviT_T9_T10_S9_lSB_S9_lSA_T11_S9_li.uses_flat_scratch, 0
	.set _ZL29rocblas_internal_gemmt_kernelIiLi16ELi32ELi8ELc67ELc67ELc76ELb1ELb1E19rocblas_complex_numIfEPKS1_PKS3_PKPS1_EviT_T9_T10_S9_lSB_S9_lSA_T11_S9_li.has_dyn_sized_stack, 0
	.set _ZL29rocblas_internal_gemmt_kernelIiLi16ELi32ELi8ELc67ELc67ELc76ELb1ELb1E19rocblas_complex_numIfEPKS1_PKS3_PKPS1_EviT_T9_T10_S9_lSB_S9_lSA_T11_S9_li.has_recursion, 0
	.set _ZL29rocblas_internal_gemmt_kernelIiLi16ELi32ELi8ELc67ELc67ELc76ELb1ELb1E19rocblas_complex_numIfEPKS1_PKS3_PKPS1_EviT_T9_T10_S9_lSB_S9_lSA_T11_S9_li.has_indirect_call, 0
	.section	.AMDGPU.csdata,"",@progbits
; Kernel info:
; codeLenInByte = 3244
; TotalNumSgprs: 39
; NumVgprs: 71
; ScratchSize: 0
; MemoryBound: 0
; FloatMode: 240
; IeeeMode: 1
; LDSByteSize: 4096 bytes/workgroup (compile time only)
; SGPRBlocks: 0
; VGPRBlocks: 8
; NumSGPRsForWavesPerEU: 39
; NumVGPRsForWavesPerEU: 71
; Occupancy: 16
; WaveLimiterHint : 1
; COMPUTE_PGM_RSRC2:SCRATCH_EN: 0
; COMPUTE_PGM_RSRC2:USER_SGPR: 2
; COMPUTE_PGM_RSRC2:TRAP_HANDLER: 0
; COMPUTE_PGM_RSRC2:TGID_X_EN: 1
; COMPUTE_PGM_RSRC2:TGID_Y_EN: 1
; COMPUTE_PGM_RSRC2:TGID_Z_EN: 1
; COMPUTE_PGM_RSRC2:TIDIG_COMP_CNT: 1
	.section	.text._ZL29rocblas_internal_gemmt_kernelIiLi16ELi32ELi8ELc78ELc78ELc85ELb0ELb0E19rocblas_complex_numIfES1_PKPKS1_PKPS1_EviT_T9_T10_S9_lSB_S9_lSA_T11_S9_li,"axG",@progbits,_ZL29rocblas_internal_gemmt_kernelIiLi16ELi32ELi8ELc78ELc78ELc85ELb0ELb0E19rocblas_complex_numIfES1_PKPKS1_PKPS1_EviT_T9_T10_S9_lSB_S9_lSA_T11_S9_li,comdat
	.globl	_ZL29rocblas_internal_gemmt_kernelIiLi16ELi32ELi8ELc78ELc78ELc85ELb0ELb0E19rocblas_complex_numIfES1_PKPKS1_PKPS1_EviT_T9_T10_S9_lSB_S9_lSA_T11_S9_li ; -- Begin function _ZL29rocblas_internal_gemmt_kernelIiLi16ELi32ELi8ELc78ELc78ELc85ELb0ELb0E19rocblas_complex_numIfES1_PKPKS1_PKPS1_EviT_T9_T10_S9_lSB_S9_lSA_T11_S9_li
	.p2align	8
	.type	_ZL29rocblas_internal_gemmt_kernelIiLi16ELi32ELi8ELc78ELc78ELc85ELb0ELb0E19rocblas_complex_numIfES1_PKPKS1_PKPS1_EviT_T9_T10_S9_lSB_S9_lSA_T11_S9_li,@function
_ZL29rocblas_internal_gemmt_kernelIiLi16ELi32ELi8ELc78ELc78ELc85ELb0ELb0E19rocblas_complex_numIfES1_PKPKS1_PKPS1_EviT_T9_T10_S9_lSB_S9_lSA_T11_S9_li: ; @_ZL29rocblas_internal_gemmt_kernelIiLi16ELi32ELi8ELc78ELc78ELc85ELb0ELb0E19rocblas_complex_numIfES1_PKPKS1_PKPS1_EviT_T9_T10_S9_lSB_S9_lSA_T11_S9_li
; %bb.0:
	s_clause 0x1
	s_load_b64 s[20:21], s[0:1], 0x40
	s_load_b128 s[4:7], s[0:1], 0x0
	s_wait_kmcnt 0x0
	s_cmp_eq_f32 s20, 1.0
	s_cselect_b32 s3, -1, 0
	s_and_b32 s2, s21, 0x7fffffff
	s_delay_alu instid0(SALU_CYCLE_1) | instskip(SKIP_1) | instid1(SALU_CYCLE_1)
	s_cmp_eq_u32 s2, 0
	s_cselect_b32 s2, -1, 0
	s_and_b32 s8, s3, s2
	s_mov_b32 s3, 0
	s_and_not1_b32 vcc_lo, exec_lo, s8
	s_mov_b32 s8, -1
	s_cbranch_vccnz .LBB378_4
; %bb.1:
	s_cmp_lg_u32 s5, 0
	s_cbranch_scc0 .LBB378_3
; %bb.2:
	s_cmp_neq_f32 s6, 0
	s_cselect_b32 s3, -1, 0
	s_cmp_neq_f32 s7, 0
	s_cselect_b32 s8, -1, 0
	s_delay_alu instid0(SALU_CYCLE_1)
	s_or_b32 s3, s3, s8
.LBB378_3:
	s_delay_alu instid0(SALU_CYCLE_1)
	s_mov_b32 s8, s3
.LBB378_4:
	s_delay_alu instid0(SALU_CYCLE_1)
	s_and_b32 vcc_lo, exec_lo, s8
	s_cbranch_vccz .LBB378_39
; %bb.5:
	s_load_b32 s15, s[0:1], 0x60
	s_lshr_b32 s22, ttmp7, 16
	s_wait_kmcnt 0x0
	s_cmp_ge_u32 s22, s15
	s_cbranch_scc1 .LBB378_39
; %bb.6:
	s_clause 0x1
	s_load_b96 s[12:14], s[0:1], 0x10
	s_load_b128 s[8:11], s[0:1], 0x20
	v_and_b32_e32 v1, 0x3ff, v0
	v_bfe_u32 v2, v0, 10, 10
	v_and_b32_e32 v16, 7, v0
	s_clause 0x3
	s_load_b32 s30, s[0:1], 0x30
	s_load_b64 s[26:27], s[0:1], 0x38
	s_load_b96 s[16:18], s[0:1], 0x48
	s_load_b64 s[24:25], s[0:1], 0x58
	s_lshl_b32 s0, ttmp7, 5
	s_lshl_b32 s1, ttmp9, 5
	v_lshl_add_u32 v0, v2, 4, v1
	s_and_b32 s3, s0, 0x1fffe0
	v_lshlrev_b32_e32 v14, 3, v16
	v_add_nc_u32_e32 v6, s1, v1
	v_lshlrev_b32_e32 v20, 3, v1
	v_lshrrev_b32_e32 v4, 3, v0
	v_and_b32_e32 v3, 31, v0
	v_lshrrev_b32_e32 v17, 5, v0
	v_add_nc_u32_e32 v8, 16, v6
	v_lshl_add_u32 v21, v2, 6, 0x800
	v_add_nc_u32_e32 v12, s3, v4
	v_lshl_or_b32 v4, v4, 6, v14
	s_wait_kmcnt 0x0
	s_ashr_i32 s29, s14, 31
	s_cmp_neq_f32 s6, 0
	v_or_b32_e32 v0, s1, v3
	v_lshlrev_b32_e32 v3, 3, v3
	v_add_nc_u32_e32 v19, 0x800, v4
	s_cselect_b32 s19, -1, 0
	s_cmp_neq_f32 s7, 0
	v_add_nc_u32_e32 v4, s3, v2
	v_lshl_or_b32 v18, v17, 8, v3
	s_mov_b32 s28, s14
	s_cselect_b32 s31, -1, 0
	v_cmp_gt_i32_e32 vcc_lo, s4, v0
	s_or_b32 s31, s19, s31
	s_cmp_gt_i32 s5, 0
	v_cmp_gt_i32_e64 s1, s4, v4
	s_cselect_b32 s33, -1, 0
	s_cmp_neq_f32 s20, 0
	v_add_nc_u32_e32 v1, 16, v4
	v_mad_co_i64_i32 v[2:3], null, v4, s18, 0
	s_cselect_b32 s34, -1, 0
	s_xor_b32 s35, s2, -1
	v_cmp_le_i32_e64 s2, v6, v4
	v_cmp_gt_i32_e64 s0, s4, v12
	v_cmp_gt_i32_e64 s3, s4, v1
	v_cmp_le_i32_e64 s4, v6, v1
	v_mad_co_i64_i32 v[12:13], null, s30, v12, 0
	s_and_b32 s19, s1, s2
	v_cmp_le_i32_e64 s2, v8, v4
	v_mad_co_i64_i32 v[4:5], null, v17, s14, 0
	v_mad_co_i64_i32 v[10:11], null, v1, s18, 0
	s_and_b32 s14, s1, s2
	v_cmp_le_i32_e64 s1, v8, v1
	v_ashrrev_i32_e32 v1, 31, v0
	s_and_b32 s4, s3, s4
	v_lshlrev_b64_e32 v[4:5], 3, v[4:5]
	v_ashrrev_i32_e32 v7, 31, v6
	s_and_b32 s18, s3, s1
	s_lshl_b64 s[2:3], s[8:9], 3
	v_lshlrev_b64_e32 v[0:1], 3, v[0:1]
	s_lshl_b64 s[8:9], s[26:27], 3
	s_wait_alu 0xfffe
	v_add_co_u32 v15, s1, v4, s2
	s_wait_alu 0xf1ff
	v_add_co_ci_u32_e64 v23, null, s3, v5, s1
	v_lshlrev_b64_e32 v[4:5], 3, v[12:13]
	s_delay_alu instid0(VALU_DEP_3) | instskip(SKIP_1) | instid1(VALU_DEP_3)
	v_add_co_u32 v22, s1, v15, v0
	s_wait_alu 0xf1ff
	v_add_co_ci_u32_e64 v23, null, v23, v1, s1
	v_ashrrev_i32_e32 v9, 31, v8
	s_delay_alu instid0(VALU_DEP_4) | instskip(SKIP_3) | instid1(VALU_DEP_3)
	v_add_co_u32 v1, s1, v4, s8
	s_wait_alu 0xf1ff
	v_add_co_ci_u32_e64 v4, null, s9, v5, s1
	v_lshlrev_b64_e32 v[2:3], 3, v[2:3]
	v_add_co_u32 v24, s1, v1, v14
	s_wait_alu 0xf1ff
	s_delay_alu instid0(VALU_DEP_3)
	v_add_co_ci_u32_e64 v25, null, 0, v4, s1
	v_lshlrev_b64_e32 v[4:5], 3, v[10:11]
	v_lshlrev_b64_e32 v[6:7], 3, v[6:7]
	;; [unrolled: 1-line block ×3, first 2 shown]
	v_mov_b32_e32 v0, 0
	s_mov_b32 s23, 0
	s_lshl_b64 s[2:3], s[28:29], 6
	s_and_b32 s26, s31, s33
	s_or_b32 s27, s34, s35
	s_xor_b32 s28, vcc_lo, -1
	s_xor_b32 s29, s0, -1
	s_lshl_b64 s[0:1], s[24:25], 3
	s_branch .LBB378_8
.LBB378_7:                              ;   in Loop: Header=BB378_8 Depth=1
	s_wait_alu 0xfffe
	s_or_b32 exec_lo, exec_lo, s8
	s_add_co_i32 s22, s22, 0x10000
	s_delay_alu instid0(SALU_CYCLE_1)
	s_cmp_lt_u32 s22, s15
	s_cbranch_scc0 .LBB378_39
.LBB378_8:                              ; =>This Loop Header: Depth=1
                                        ;     Child Loop BB378_11 Depth 2
	s_lshl_b64 s[8:9], s[22:23], 3
	v_dual_mov_b32 v33, v0 :: v_dual_mov_b32 v32, v0
	s_wait_alu 0xfffe
	s_add_nc_u64 s[24:25], s[16:17], s[8:9]
	v_dual_mov_b32 v30, v0 :: v_dual_mov_b32 v31, v0
	global_load_b64 v[10:11], v0, s[24:25]
	v_dual_mov_b32 v28, v0 :: v_dual_mov_b32 v29, v0
	v_dual_mov_b32 v27, v0 :: v_dual_mov_b32 v26, v0
	s_and_not1_b32 vcc_lo, exec_lo, s26
	s_wait_alu 0xfffe
	s_cbranch_vccnz .LBB378_19
; %bb.9:                                ;   in Loop: Header=BB378_8 Depth=1
	s_add_nc_u64 s[24:25], s[12:13], s[8:9]
	s_add_nc_u64 s[8:9], s[10:11], s[8:9]
	s_clause 0x1
	global_load_b64 v[12:13], v0, s[24:25]
	global_load_b64 v[14:15], v0, s[8:9]
	v_dual_mov_b32 v26, 0 :: v_dual_mov_b32 v27, 0
	v_dual_mov_b32 v29, 0 :: v_dual_mov_b32 v28, 0
	;; [unrolled: 1-line block ×4, first 2 shown]
	s_mov_b32 s8, 0
	s_wait_loadcnt 0x1
	v_add_co_u32 v12, vcc_lo, v12, v22
	s_wait_alu 0xfffd
	v_add_co_ci_u32_e64 v13, null, v13, v23, vcc_lo
	s_wait_loadcnt 0x0
	v_add_co_u32 v14, vcc_lo, v14, v24
	s_wait_alu 0xfffd
	v_add_co_ci_u32_e64 v15, null, v15, v25, vcc_lo
	s_branch .LBB378_11
.LBB378_10:                             ;   in Loop: Header=BB378_11 Depth=2
	s_wait_alu 0xfffe
	s_or_b32 exec_lo, exec_lo, s9
	s_wait_dscnt 0x0
	s_barrier_signal -1
	s_barrier_wait -1
	global_inv scope:SCOPE_SE
	ds_load_b128 v[34:37], v21
	ds_load_2addr_b64 v[38:41], v20 offset1:16
	ds_load_b128 v[42:45], v21 offset:1024
	ds_load_b128 v[46:49], v21 offset:16
	;; [unrolled: 1-line block ×4, first 2 shown]
	ds_load_2addr_b64 v[58:61], v20 offset0:32 offset1:48
	ds_load_b128 v[62:65], v21 offset:1040
	v_add_co_u32 v12, vcc_lo, v12, s2
	s_wait_alu 0xfffd
	v_add_co_ci_u32_e64 v13, null, s3, v13, vcc_lo
	v_add_co_u32 v14, vcc_lo, v14, 64
	s_wait_alu 0xfffd
	v_add_co_ci_u32_e64 v15, null, 0, v15, vcc_lo
	s_add_co_i32 s8, s8, 8
	s_wait_alu 0xfffe
	s_cmp_lt_i32 s8, s5
	s_wait_dscnt 0x6
	v_dual_mul_f32 v1, v35, v39 :: v_dual_mul_f32 v68, v34, v41
	v_dual_mul_f32 v66, v34, v39 :: v_dual_mul_f32 v67, v35, v41
	s_wait_dscnt 0x5
	v_mul_f32_e32 v70, v43, v41
	s_delay_alu instid0(VALU_DEP_3) | instskip(SKIP_3) | instid1(VALU_DEP_4)
	v_fma_f32 v1, v34, v38, -v1
	v_dual_mul_f32 v41, v42, v41 :: v_dual_fmac_f32 v68, v35, v40
	v_fmac_f32_e32 v66, v35, v38
	v_fma_f32 v34, v34, v40, -v67
	v_add_f32_e32 v1, v33, v1
	v_mul_f32_e32 v69, v43, v39
	s_delay_alu instid0(VALU_DEP_4) | instskip(NEXT) | instid1(VALU_DEP_4)
	v_dual_mul_f32 v39, v42, v39 :: v_dual_add_f32 v32, v32, v66
	v_add_f32_e32 v33, v30, v34
	v_fmac_f32_e32 v41, v43, v40
	s_delay_alu instid0(VALU_DEP_4) | instskip(NEXT) | instid1(VALU_DEP_4)
	v_fma_f32 v35, v42, v38, -v69
	v_fmac_f32_e32 v39, v43, v38
	v_fma_f32 v38, v42, v40, -v70
	s_wait_dscnt 0x1
	v_dual_mul_f32 v40, v36, v59 :: v_dual_add_f32 v31, v31, v68
	v_mul_f32_e32 v42, v37, v61
	v_add_f32_e32 v34, v28, v35
	v_dual_add_f32 v35, v29, v39 :: v_dual_add_f32 v38, v27, v38
	ds_load_2addr_b64 v[27:30], v20 offset0:64 offset1:80
	v_fmac_f32_e32 v40, v37, v58
	v_dual_mul_f32 v39, v37, v59 :: v_dual_add_f32 v26, v26, v41
	v_mul_f32_e32 v41, v36, v61
	s_delay_alu instid0(VALU_DEP_3) | instskip(NEXT) | instid1(VALU_DEP_3)
	v_add_f32_e32 v40, v32, v40
	v_fma_f32 v39, v36, v58, -v39
	v_fma_f32 v36, v36, v60, -v42
	v_mul_f32_e32 v32, v44, v59
	s_delay_alu instid0(VALU_DEP_3) | instskip(SKIP_1) | instid1(VALU_DEP_4)
	v_add_f32_e32 v1, v1, v39
	v_mul_f32_e32 v39, v45, v59
	v_add_f32_e32 v36, v33, v36
	v_fmac_f32_e32 v41, v37, v60
	v_mul_f32_e32 v37, v45, v61
	v_fmac_f32_e32 v32, v45, v58
	v_fma_f32 v33, v44, v58, -v39
	s_delay_alu instid0(VALU_DEP_4) | instskip(SKIP_4) | instid1(VALU_DEP_3)
	v_add_f32_e32 v39, v31, v41
	v_mul_f32_e32 v41, v44, v61
	v_fma_f32 v31, v44, v60, -v37
	s_wait_dscnt 0x0
	v_dual_add_f32 v42, v34, v33 :: v_dual_mul_f32 v33, v47, v28
	v_dual_mul_f32 v44, v47, v30 :: v_dual_fmac_f32 v41, v45, v60
	v_mul_f32_e32 v37, v46, v28
	v_add_f32_e32 v38, v38, v31
	s_delay_alu instid0(VALU_DEP_3) | instskip(SKIP_3) | instid1(VALU_DEP_2)
	v_add_f32_e32 v41, v26, v41
	v_mul_f32_e32 v26, v46, v30
	v_fma_f32 v43, v46, v27, -v33
	v_fmac_f32_e32 v37, v47, v27
	v_dual_fmac_f32 v26, v47, v29 :: v_dual_add_f32 v1, v1, v43
	v_fma_f32 v43, v46, v29, -v44
	v_add_f32_e32 v35, v35, v32
	ds_load_2addr_b64 v[31:34], v20 offset0:96 offset1:112
	v_dual_add_f32 v37, v40, v37 :: v_dual_mul_f32 v40, v63, v28
	v_mul_f32_e32 v28, v62, v28
	v_dual_add_f32 v36, v36, v43 :: v_dual_mul_f32 v43, v63, v30
	v_mul_f32_e32 v30, v62, v30
	s_delay_alu instid0(VALU_DEP_4) | instskip(NEXT) | instid1(VALU_DEP_4)
	v_fma_f32 v40, v62, v27, -v40
	v_fmac_f32_e32 v28, v63, v27
	v_add_f32_e32 v39, v39, v26
	v_fma_f32 v26, v62, v29, -v43
	v_fmac_f32_e32 v30, v63, v29
	v_add_f32_e32 v40, v42, v40
	s_delay_alu instid0(VALU_DEP_3)
	v_dual_add_f32 v42, v35, v28 :: v_dual_add_f32 v43, v38, v26
	ds_load_2addr_b64 v[26:29], v20 offset0:128 offset1:144
	s_wait_dscnt 0x1
	v_mul_f32_e32 v35, v49, v32
	v_mul_f32_e32 v38, v48, v32
	;; [unrolled: 1-line block ×4, first 2 shown]
	s_delay_alu instid0(VALU_DEP_4) | instskip(NEXT) | instid1(VALU_DEP_4)
	v_fma_f32 v35, v48, v31, -v35
	v_fmac_f32_e32 v38, v49, v31
	s_delay_alu instid0(VALU_DEP_2) | instskip(SKIP_1) | instid1(VALU_DEP_3)
	v_add_f32_e32 v1, v1, v35
	v_mul_f32_e32 v35, v65, v32
	v_dual_mul_f32 v32, v64, v32 :: v_dual_add_f32 v45, v37, v38
	s_delay_alu instid0(VALU_DEP_2) | instskip(NEXT) | instid1(VALU_DEP_2)
	v_fma_f32 v46, v64, v31, -v35
	v_fmac_f32_e32 v32, v65, v31
	s_wait_dscnt 0x0
	v_mul_f32_e32 v31, v51, v27
	v_fma_f32 v44, v48, v33, -v44
	v_add_f32_e32 v41, v41, v30
	v_mul_f32_e32 v30, v48, v34
	v_mul_f32_e32 v58, v50, v29
	s_delay_alu instid0(VALU_DEP_4) | instskip(SKIP_2) | instid1(VALU_DEP_1)
	v_add_f32_e32 v44, v36, v44
	ds_load_b128 v[35:38], v21 offset:1056
	v_dual_fmac_f32 v30, v49, v33 :: v_dual_mul_f32 v49, v50, v27
	v_add_f32_e32 v48, v39, v30
	v_fma_f32 v30, v64, v33, -v47
	v_fma_f32 v39, v50, v26, -v31
	v_mul_f32_e32 v34, v64, v34
	v_fmac_f32_e32 v49, v51, v26
	v_add_f32_e32 v46, v40, v46
	v_add_f32_e32 v43, v43, v30
	;; [unrolled: 1-line block ×4, first 2 shown]
	v_fmac_f32_e32 v34, v65, v33
	ds_load_2addr_b64 v[30:33], v20 offset0:160 offset1:176
	v_mul_f32_e32 v40, v51, v29
	v_add_f32_e32 v45, v45, v49
	v_add_f32_e32 v34, v41, v34
	s_delay_alu instid0(VALU_DEP_3)
	v_fma_f32 v50, v50, v28, -v40
	ds_load_b128 v[39:42], v21 offset:1072
	s_wait_dscnt 0x2
	v_mul_f32_e32 v59, v36, v27
	v_dual_mul_f32 v27, v35, v27 :: v_dual_add_f32 v44, v44, v50
	v_fmac_f32_e32 v58, v51, v28
	v_mul_f32_e32 v50, v36, v29
	s_delay_alu instid0(VALU_DEP_4) | instskip(NEXT) | instid1(VALU_DEP_4)
	v_fma_f32 v49, v35, v26, -v59
	v_fmac_f32_e32 v27, v36, v26
	s_delay_alu instid0(VALU_DEP_4) | instskip(SKIP_1) | instid1(VALU_DEP_3)
	v_dual_mul_f32 v51, v35, v29 :: v_dual_add_f32 v48, v48, v58
	s_wait_dscnt 0x1
	v_dual_add_f32 v46, v46, v49 :: v_dual_mul_f32 v29, v53, v31
	v_fma_f32 v26, v35, v28, -v50
	v_add_f32_e32 v35, v47, v27
	v_fmac_f32_e32 v51, v36, v28
	v_mul_f32_e32 v36, v52, v31
	v_fma_f32 v47, v52, v30, -v29
	v_add_f32_e32 v43, v43, v26
	ds_load_2addr_b64 v[26:29], v20 offset0:192 offset1:208
	v_fmac_f32_e32 v36, v53, v30
	v_dual_mul_f32 v49, v53, v33 :: v_dual_add_f32 v50, v34, v51
	v_dual_add_f32 v1, v1, v47 :: v_dual_mul_f32 v34, v52, v33
	s_delay_alu instid0(VALU_DEP_3) | instskip(NEXT) | instid1(VALU_DEP_3)
	v_dual_add_f32 v45, v45, v36 :: v_dual_mul_f32 v36, v38, v31
	v_fma_f32 v47, v52, v32, -v49
	s_delay_alu instid0(VALU_DEP_3) | instskip(NEXT) | instid1(VALU_DEP_3)
	v_fmac_f32_e32 v34, v53, v32
	v_fma_f32 v36, v37, v30, -v36
	s_delay_alu instid0(VALU_DEP_3) | instskip(SKIP_1) | instid1(VALU_DEP_3)
	v_dual_add_f32 v44, v44, v47 :: v_dual_mul_f32 v47, v38, v33
	v_mul_f32_e32 v31, v37, v31
	v_dual_mul_f32 v33, v37, v33 :: v_dual_add_f32 v46, v46, v36
	s_delay_alu instid0(VALU_DEP_2) | instskip(SKIP_2) | instid1(VALU_DEP_4)
	v_fmac_f32_e32 v31, v38, v30
	v_add_f32_e32 v30, v48, v34
	v_fma_f32 v34, v37, v32, -v47
	v_fmac_f32_e32 v33, v38, v32
	s_wait_dscnt 0x0
	v_mul_f32_e32 v38, v54, v27
	v_dual_add_f32 v31, v35, v31 :: v_dual_mul_f32 v48, v54, v29
	v_add_f32_e32 v32, v43, v34
	ds_load_2addr_b64 v[34:37], v20 offset0:224 offset1:240
	v_dual_add_f32 v33, v50, v33 :: v_dual_fmac_f32 v38, v55, v26
	v_mul_f32_e32 v47, v55, v27
	v_fmac_f32_e32 v48, v55, v28
	s_wait_loadcnt_dscnt 0x0
	s_barrier_signal -1
	v_add_f32_e32 v38, v45, v38
	v_fma_f32 v43, v54, v26, -v47
	v_mul_f32_e32 v47, v55, v29
	v_mul_f32_e32 v45, v40, v29
	;; [unrolled: 1-line block ×3, first 2 shown]
	s_barrier_wait -1
	v_add_f32_e32 v1, v1, v43
	v_fma_f32 v47, v54, v28, -v47
	v_mul_f32_e32 v43, v40, v27
	v_fmac_f32_e32 v29, v40, v28
	global_inv scope:SCOPE_SE
	v_dual_add_f32 v44, v44, v47 :: v_dual_add_f32 v47, v30, v48
	v_fma_f32 v30, v39, v28, -v45
	v_mul_f32_e32 v27, v39, v27
	s_delay_alu instid0(VALU_DEP_1) | instskip(NEXT) | instid1(VALU_DEP_3)
	v_fmac_f32_e32 v27, v40, v26
	v_add_f32_e32 v40, v32, v30
	v_mul_f32_e32 v30, v57, v37
	v_fma_f32 v43, v39, v26, -v43
	v_mul_f32_e32 v39, v57, v35
	s_delay_alu instid0(VALU_DEP_2) | instskip(NEXT) | instid1(VALU_DEP_2)
	v_add_f32_e32 v26, v46, v43
	v_fma_f32 v28, v56, v34, -v39
	v_add_f32_e32 v39, v33, v29
	v_mul_f32_e32 v29, v41, v35
	s_delay_alu instid0(VALU_DEP_3) | instskip(SKIP_2) | instid1(VALU_DEP_2)
	v_add_f32_e32 v33, v1, v28
	v_fma_f32 v1, v56, v36, -v30
	v_mul_f32_e32 v28, v42, v35
	v_dual_fmac_f32 v29, v42, v34 :: v_dual_add_f32 v30, v44, v1
	s_delay_alu instid0(VALU_DEP_2) | instskip(SKIP_2) | instid1(VALU_DEP_2)
	v_fma_f32 v1, v41, v34, -v28
	v_mul_f32_e32 v43, v56, v35
	v_mul_f32_e32 v35, v42, v37
	v_dual_add_f32 v28, v26, v1 :: v_dual_fmac_f32 v43, v57, v34
	s_delay_alu instid0(VALU_DEP_2) | instskip(NEXT) | instid1(VALU_DEP_2)
	v_fma_f32 v34, v41, v36, -v35
	v_add_f32_e32 v32, v38, v43
	v_add_f32_e32 v27, v31, v27
	v_mul_f32_e32 v31, v56, v37
	v_mul_f32_e32 v37, v41, v37
	s_delay_alu instid0(VALU_DEP_3) | instskip(NEXT) | instid1(VALU_DEP_3)
	v_add_f32_e32 v29, v27, v29
	v_fmac_f32_e32 v31, v57, v36
	s_delay_alu instid0(VALU_DEP_3) | instskip(SKIP_1) | instid1(VALU_DEP_3)
	v_fmac_f32_e32 v37, v42, v36
	v_add_f32_e32 v27, v40, v34
	v_add_f32_e32 v31, v47, v31
	s_delay_alu instid0(VALU_DEP_3)
	v_add_f32_e32 v26, v39, v37
	s_cbranch_scc0 .LBB378_19
.LBB378_11:                             ;   Parent Loop BB378_8 Depth=1
                                        ; =>  This Inner Loop Header: Depth=2
	s_wait_alu 0xfffe
	v_add_nc_u32_e32 v1, s8, v17
	s_delay_alu instid0(VALU_DEP_1) | instskip(SKIP_3) | instid1(SALU_CYCLE_1)
	v_cmp_le_i32_e32 vcc_lo, s5, v1
	s_or_b32 s9, s28, vcc_lo
	s_wait_alu 0xfffe
	s_and_saveexec_b32 s24, s9
	s_xor_b32 s9, exec_lo, s24
; %bb.12:                               ;   in Loop: Header=BB378_11 Depth=2
	v_mov_b32_e32 v1, v0
	ds_store_b64 v18, v[0:1]
; %bb.13:                               ;   in Loop: Header=BB378_11 Depth=2
	s_wait_alu 0xfffe
	s_and_not1_saveexec_b32 s9, s9
	s_cbranch_execz .LBB378_15
; %bb.14:                               ;   in Loop: Header=BB378_11 Depth=2
	flat_load_b64 v[34:35], v[12:13]
	s_wait_loadcnt_dscnt 0x0
	ds_store_b64 v18, v[34:35]
.LBB378_15:                             ;   in Loop: Header=BB378_11 Depth=2
	s_wait_alu 0xfffe
	s_or_b32 exec_lo, exec_lo, s9
	v_add_nc_u32_e32 v1, s8, v16
	s_delay_alu instid0(VALU_DEP_1) | instskip(SKIP_3) | instid1(SALU_CYCLE_1)
	v_cmp_le_i32_e32 vcc_lo, s5, v1
	s_or_b32 s9, vcc_lo, s29
	s_wait_alu 0xfffe
	s_and_saveexec_b32 s24, s9
	s_xor_b32 s9, exec_lo, s24
; %bb.16:                               ;   in Loop: Header=BB378_11 Depth=2
	v_mov_b32_e32 v1, v0
	ds_store_b64 v19, v[0:1]
; %bb.17:                               ;   in Loop: Header=BB378_11 Depth=2
	s_wait_alu 0xfffe
	s_and_not1_saveexec_b32 s9, s9
	s_cbranch_execz .LBB378_10
; %bb.18:                               ;   in Loop: Header=BB378_11 Depth=2
	flat_load_b64 v[34:35], v[14:15]
	s_wait_loadcnt_dscnt 0x0
	ds_store_b64 v19, v[34:35]
	s_branch .LBB378_10
.LBB378_19:                             ;   in Loop: Header=BB378_8 Depth=1
	s_wait_loadcnt 0x0
	v_add_co_u32 v1, vcc_lo, v10, s0
	s_wait_alu 0xfffd
	v_add_co_ci_u32_e64 v12, null, s1, v11, vcc_lo
	s_delay_alu instid0(VALU_DEP_2) | instskip(SKIP_1) | instid1(VALU_DEP_2)
	v_add_co_u32 v13, vcc_lo, v1, v2
	s_wait_alu 0xfffd
	v_add_co_ci_u32_e64 v14, null, v12, v3, vcc_lo
	s_and_saveexec_b32 s8, s19
	s_cbranch_execz .LBB378_24
; %bb.20:                               ;   in Loop: Header=BB378_8 Depth=1
	v_mul_f32_e32 v11, s6, v32
	v_mul_f32_e32 v10, s7, v32
	s_and_b32 vcc_lo, exec_lo, s27
	s_mov_b32 s9, -1
	s_delay_alu instid0(VALU_DEP_2) | instskip(NEXT) | instid1(VALU_DEP_2)
	v_fmac_f32_e32 v11, s7, v33
	v_fma_f32 v10, v33, s6, -v10
	s_wait_alu 0xfffe
	s_cbranch_vccz .LBB378_22
; %bb.21:                               ;   in Loop: Header=BB378_8 Depth=1
	v_add_co_u32 v32, vcc_lo, v13, v6
	s_wait_alu 0xfffd
	v_add_co_ci_u32_e64 v33, null, v14, v7, vcc_lo
	s_mov_b32 s9, 0
	flat_load_b64 v[34:35], v[32:33]
	s_wait_loadcnt_dscnt 0x0
	v_mul_f32_e32 v15, s21, v35
	v_mul_f32_e32 v35, s20, v35
	s_delay_alu instid0(VALU_DEP_2) | instskip(NEXT) | instid1(VALU_DEP_1)
	v_fma_f32 v15, v34, s20, -v15
	v_dual_fmac_f32 v35, s21, v34 :: v_dual_add_f32 v34, v10, v15
	s_delay_alu instid0(VALU_DEP_1)
	v_add_f32_e32 v35, v11, v35
	flat_store_b64 v[32:33], v[34:35]
.LBB378_22:                             ;   in Loop: Header=BB378_8 Depth=1
	s_wait_alu 0xfffe
	s_and_not1_b32 vcc_lo, exec_lo, s9
	s_wait_alu 0xfffe
	s_cbranch_vccnz .LBB378_24
; %bb.23:                               ;   in Loop: Header=BB378_8 Depth=1
	v_add_co_u32 v32, vcc_lo, v13, v6
	s_wait_alu 0xfffd
	v_add_co_ci_u32_e64 v33, null, v14, v7, vcc_lo
	flat_store_b64 v[32:33], v[10:11]
.LBB378_24:                             ;   in Loop: Header=BB378_8 Depth=1
	s_wait_alu 0xfffe
	s_or_b32 exec_lo, exec_lo, s8
	s_and_saveexec_b32 s8, s14
	s_cbranch_execz .LBB378_29
; %bb.25:                               ;   in Loop: Header=BB378_8 Depth=1
	v_mul_f32_e32 v11, s6, v31
	v_mul_f32_e32 v10, s7, v31
	s_and_not1_b32 vcc_lo, exec_lo, s27
	s_mov_b32 s9, -1
	s_delay_alu instid0(VALU_DEP_2) | instskip(NEXT) | instid1(VALU_DEP_2)
	v_fmac_f32_e32 v11, s7, v30
	v_fma_f32 v10, v30, s6, -v10
	s_wait_alu 0xfffe
	s_cbranch_vccnz .LBB378_27
; %bb.26:                               ;   in Loop: Header=BB378_8 Depth=1
	v_add_co_u32 v30, vcc_lo, v13, v8
	s_wait_alu 0xfffd
	v_add_co_ci_u32_e64 v31, null, v14, v9, vcc_lo
	s_mov_b32 s9, 0
	flat_load_b64 v[32:33], v[30:31]
	s_wait_loadcnt_dscnt 0x0
	v_mul_f32_e32 v15, s21, v33
	s_delay_alu instid0(VALU_DEP_1) | instskip(SKIP_1) | instid1(VALU_DEP_1)
	v_fma_f32 v15, v32, s20, -v15
	v_mul_f32_e32 v33, s20, v33
	v_dual_fmac_f32 v33, s21, v32 :: v_dual_add_f32 v32, v10, v15
	s_delay_alu instid0(VALU_DEP_1)
	v_add_f32_e32 v33, v11, v33
	flat_store_b64 v[30:31], v[32:33]
.LBB378_27:                             ;   in Loop: Header=BB378_8 Depth=1
	s_wait_alu 0xfffe
	s_and_not1_b32 vcc_lo, exec_lo, s9
	s_wait_alu 0xfffe
	s_cbranch_vccnz .LBB378_29
; %bb.28:                               ;   in Loop: Header=BB378_8 Depth=1
	v_add_co_u32 v13, vcc_lo, v13, v8
	s_wait_alu 0xfffd
	v_add_co_ci_u32_e64 v14, null, v14, v9, vcc_lo
	flat_store_b64 v[13:14], v[10:11]
.LBB378_29:                             ;   in Loop: Header=BB378_8 Depth=1
	s_wait_alu 0xfffe
	s_or_b32 exec_lo, exec_lo, s8
	v_add_co_u32 v1, vcc_lo, v1, v4
	s_wait_alu 0xfffd
	v_add_co_ci_u32_e64 v12, null, v12, v5, vcc_lo
	s_and_saveexec_b32 s8, s4
	s_cbranch_execz .LBB378_34
; %bb.30:                               ;   in Loop: Header=BB378_8 Depth=1
	v_mul_f32_e32 v11, s6, v29
	v_mul_f32_e32 v10, s7, v29
	s_and_not1_b32 vcc_lo, exec_lo, s27
	s_mov_b32 s9, -1
	s_delay_alu instid0(VALU_DEP_2) | instskip(NEXT) | instid1(VALU_DEP_2)
	v_fmac_f32_e32 v11, s7, v28
	v_fma_f32 v10, v28, s6, -v10
	s_wait_alu 0xfffe
	s_cbranch_vccnz .LBB378_32
; %bb.31:                               ;   in Loop: Header=BB378_8 Depth=1
	v_add_co_u32 v13, vcc_lo, v1, v6
	s_wait_alu 0xfffd
	v_add_co_ci_u32_e64 v14, null, v12, v7, vcc_lo
	s_mov_b32 s9, 0
	flat_load_b64 v[28:29], v[13:14]
	s_wait_loadcnt_dscnt 0x0
	v_mul_f32_e32 v15, s21, v29
	s_delay_alu instid0(VALU_DEP_1) | instskip(SKIP_1) | instid1(VALU_DEP_1)
	v_fma_f32 v15, v28, s20, -v15
	v_mul_f32_e32 v29, s20, v29
	v_dual_fmac_f32 v29, s21, v28 :: v_dual_add_f32 v28, v10, v15
	s_delay_alu instid0(VALU_DEP_1)
	v_add_f32_e32 v29, v11, v29
	flat_store_b64 v[13:14], v[28:29]
.LBB378_32:                             ;   in Loop: Header=BB378_8 Depth=1
	s_wait_alu 0xfffe
	s_and_not1_b32 vcc_lo, exec_lo, s9
	s_wait_alu 0xfffe
	s_cbranch_vccnz .LBB378_34
; %bb.33:                               ;   in Loop: Header=BB378_8 Depth=1
	v_add_co_u32 v13, vcc_lo, v1, v6
	s_wait_alu 0xfffd
	v_add_co_ci_u32_e64 v14, null, v12, v7, vcc_lo
	flat_store_b64 v[13:14], v[10:11]
.LBB378_34:                             ;   in Loop: Header=BB378_8 Depth=1
	s_wait_alu 0xfffe
	s_or_b32 exec_lo, exec_lo, s8
	s_and_saveexec_b32 s8, s18
	s_cbranch_execz .LBB378_7
; %bb.35:                               ;   in Loop: Header=BB378_8 Depth=1
	v_mul_f32_e32 v11, s6, v26
	v_mul_f32_e32 v10, s7, v26
	s_and_not1_b32 vcc_lo, exec_lo, s27
	s_mov_b32 s9, -1
	s_delay_alu instid0(VALU_DEP_2) | instskip(NEXT) | instid1(VALU_DEP_2)
	v_fmac_f32_e32 v11, s7, v27
	v_fma_f32 v10, v27, s6, -v10
	s_wait_alu 0xfffe
	s_cbranch_vccnz .LBB378_37
; %bb.36:                               ;   in Loop: Header=BB378_8 Depth=1
	v_add_co_u32 v13, vcc_lo, v1, v8
	s_wait_alu 0xfffd
	v_add_co_ci_u32_e64 v14, null, v12, v9, vcc_lo
	s_mov_b32 s9, 0
	flat_load_b64 v[26:27], v[13:14]
	s_wait_loadcnt_dscnt 0x0
	v_mul_f32_e32 v15, s21, v27
	v_mul_f32_e32 v27, s20, v27
	s_delay_alu instid0(VALU_DEP_2) | instskip(NEXT) | instid1(VALU_DEP_1)
	v_fma_f32 v15, v26, s20, -v15
	v_dual_fmac_f32 v27, s21, v26 :: v_dual_add_f32 v26, v10, v15
	s_delay_alu instid0(VALU_DEP_1)
	v_add_f32_e32 v27, v11, v27
	flat_store_b64 v[13:14], v[26:27]
.LBB378_37:                             ;   in Loop: Header=BB378_8 Depth=1
	s_wait_alu 0xfffe
	s_and_not1_b32 vcc_lo, exec_lo, s9
	s_wait_alu 0xfffe
	s_cbranch_vccnz .LBB378_7
; %bb.38:                               ;   in Loop: Header=BB378_8 Depth=1
	v_add_co_u32 v13, vcc_lo, v1, v8
	s_wait_alu 0xfffd
	v_add_co_ci_u32_e64 v14, null, v12, v9, vcc_lo
	flat_store_b64 v[13:14], v[10:11]
	s_branch .LBB378_7
.LBB378_39:
	s_endpgm
	.section	.rodata,"a",@progbits
	.p2align	6, 0x0
	.amdhsa_kernel _ZL29rocblas_internal_gemmt_kernelIiLi16ELi32ELi8ELc78ELc78ELc85ELb0ELb0E19rocblas_complex_numIfES1_PKPKS1_PKPS1_EviT_T9_T10_S9_lSB_S9_lSA_T11_S9_li
		.amdhsa_group_segment_fixed_size 4096
		.amdhsa_private_segment_fixed_size 0
		.amdhsa_kernarg_size 100
		.amdhsa_user_sgpr_count 2
		.amdhsa_user_sgpr_dispatch_ptr 0
		.amdhsa_user_sgpr_queue_ptr 0
		.amdhsa_user_sgpr_kernarg_segment_ptr 1
		.amdhsa_user_sgpr_dispatch_id 0
		.amdhsa_user_sgpr_private_segment_size 0
		.amdhsa_wavefront_size32 1
		.amdhsa_uses_dynamic_stack 0
		.amdhsa_enable_private_segment 0
		.amdhsa_system_sgpr_workgroup_id_x 1
		.amdhsa_system_sgpr_workgroup_id_y 1
		.amdhsa_system_sgpr_workgroup_id_z 1
		.amdhsa_system_sgpr_workgroup_info 0
		.amdhsa_system_vgpr_workitem_id 1
		.amdhsa_next_free_vgpr 71
		.amdhsa_next_free_sgpr 36
		.amdhsa_reserve_vcc 1
		.amdhsa_float_round_mode_32 0
		.amdhsa_float_round_mode_16_64 0
		.amdhsa_float_denorm_mode_32 3
		.amdhsa_float_denorm_mode_16_64 3
		.amdhsa_fp16_overflow 0
		.amdhsa_workgroup_processor_mode 1
		.amdhsa_memory_ordered 1
		.amdhsa_forward_progress 1
		.amdhsa_inst_pref_size 25
		.amdhsa_round_robin_scheduling 0
		.amdhsa_exception_fp_ieee_invalid_op 0
		.amdhsa_exception_fp_denorm_src 0
		.amdhsa_exception_fp_ieee_div_zero 0
		.amdhsa_exception_fp_ieee_overflow 0
		.amdhsa_exception_fp_ieee_underflow 0
		.amdhsa_exception_fp_ieee_inexact 0
		.amdhsa_exception_int_div_zero 0
	.end_amdhsa_kernel
	.section	.text._ZL29rocblas_internal_gemmt_kernelIiLi16ELi32ELi8ELc78ELc78ELc85ELb0ELb0E19rocblas_complex_numIfES1_PKPKS1_PKPS1_EviT_T9_T10_S9_lSB_S9_lSA_T11_S9_li,"axG",@progbits,_ZL29rocblas_internal_gemmt_kernelIiLi16ELi32ELi8ELc78ELc78ELc85ELb0ELb0E19rocblas_complex_numIfES1_PKPKS1_PKPS1_EviT_T9_T10_S9_lSB_S9_lSA_T11_S9_li,comdat
.Lfunc_end378:
	.size	_ZL29rocblas_internal_gemmt_kernelIiLi16ELi32ELi8ELc78ELc78ELc85ELb0ELb0E19rocblas_complex_numIfES1_PKPKS1_PKPS1_EviT_T9_T10_S9_lSB_S9_lSA_T11_S9_li, .Lfunc_end378-_ZL29rocblas_internal_gemmt_kernelIiLi16ELi32ELi8ELc78ELc78ELc85ELb0ELb0E19rocblas_complex_numIfES1_PKPKS1_PKPS1_EviT_T9_T10_S9_lSB_S9_lSA_T11_S9_li
                                        ; -- End function
	.set _ZL29rocblas_internal_gemmt_kernelIiLi16ELi32ELi8ELc78ELc78ELc85ELb0ELb0E19rocblas_complex_numIfES1_PKPKS1_PKPS1_EviT_T9_T10_S9_lSB_S9_lSA_T11_S9_li.num_vgpr, 71
	.set _ZL29rocblas_internal_gemmt_kernelIiLi16ELi32ELi8ELc78ELc78ELc85ELb0ELb0E19rocblas_complex_numIfES1_PKPKS1_PKPS1_EviT_T9_T10_S9_lSB_S9_lSA_T11_S9_li.num_agpr, 0
	.set _ZL29rocblas_internal_gemmt_kernelIiLi16ELi32ELi8ELc78ELc78ELc85ELb0ELb0E19rocblas_complex_numIfES1_PKPKS1_PKPS1_EviT_T9_T10_S9_lSB_S9_lSA_T11_S9_li.numbered_sgpr, 36
	.set _ZL29rocblas_internal_gemmt_kernelIiLi16ELi32ELi8ELc78ELc78ELc85ELb0ELb0E19rocblas_complex_numIfES1_PKPKS1_PKPS1_EviT_T9_T10_S9_lSB_S9_lSA_T11_S9_li.num_named_barrier, 0
	.set _ZL29rocblas_internal_gemmt_kernelIiLi16ELi32ELi8ELc78ELc78ELc85ELb0ELb0E19rocblas_complex_numIfES1_PKPKS1_PKPS1_EviT_T9_T10_S9_lSB_S9_lSA_T11_S9_li.private_seg_size, 0
	.set _ZL29rocblas_internal_gemmt_kernelIiLi16ELi32ELi8ELc78ELc78ELc85ELb0ELb0E19rocblas_complex_numIfES1_PKPKS1_PKPS1_EviT_T9_T10_S9_lSB_S9_lSA_T11_S9_li.uses_vcc, 1
	.set _ZL29rocblas_internal_gemmt_kernelIiLi16ELi32ELi8ELc78ELc78ELc85ELb0ELb0E19rocblas_complex_numIfES1_PKPKS1_PKPS1_EviT_T9_T10_S9_lSB_S9_lSA_T11_S9_li.uses_flat_scratch, 0
	.set _ZL29rocblas_internal_gemmt_kernelIiLi16ELi32ELi8ELc78ELc78ELc85ELb0ELb0E19rocblas_complex_numIfES1_PKPKS1_PKPS1_EviT_T9_T10_S9_lSB_S9_lSA_T11_S9_li.has_dyn_sized_stack, 0
	.set _ZL29rocblas_internal_gemmt_kernelIiLi16ELi32ELi8ELc78ELc78ELc85ELb0ELb0E19rocblas_complex_numIfES1_PKPKS1_PKPS1_EviT_T9_T10_S9_lSB_S9_lSA_T11_S9_li.has_recursion, 0
	.set _ZL29rocblas_internal_gemmt_kernelIiLi16ELi32ELi8ELc78ELc78ELc85ELb0ELb0E19rocblas_complex_numIfES1_PKPKS1_PKPS1_EviT_T9_T10_S9_lSB_S9_lSA_T11_S9_li.has_indirect_call, 0
	.section	.AMDGPU.csdata,"",@progbits
; Kernel info:
; codeLenInByte = 3180
; TotalNumSgprs: 38
; NumVgprs: 71
; ScratchSize: 0
; MemoryBound: 1
; FloatMode: 240
; IeeeMode: 1
; LDSByteSize: 4096 bytes/workgroup (compile time only)
; SGPRBlocks: 0
; VGPRBlocks: 8
; NumSGPRsForWavesPerEU: 38
; NumVGPRsForWavesPerEU: 71
; Occupancy: 16
; WaveLimiterHint : 1
; COMPUTE_PGM_RSRC2:SCRATCH_EN: 0
; COMPUTE_PGM_RSRC2:USER_SGPR: 2
; COMPUTE_PGM_RSRC2:TRAP_HANDLER: 0
; COMPUTE_PGM_RSRC2:TGID_X_EN: 1
; COMPUTE_PGM_RSRC2:TGID_Y_EN: 1
; COMPUTE_PGM_RSRC2:TGID_Z_EN: 1
; COMPUTE_PGM_RSRC2:TIDIG_COMP_CNT: 1
	.section	.text._ZL29rocblas_internal_gemmt_kernelIiLi16ELi32ELi8ELc78ELc84ELc85ELb0ELb0E19rocblas_complex_numIfES1_PKPKS1_PKPS1_EviT_T9_T10_S9_lSB_S9_lSA_T11_S9_li,"axG",@progbits,_ZL29rocblas_internal_gemmt_kernelIiLi16ELi32ELi8ELc78ELc84ELc85ELb0ELb0E19rocblas_complex_numIfES1_PKPKS1_PKPS1_EviT_T9_T10_S9_lSB_S9_lSA_T11_S9_li,comdat
	.globl	_ZL29rocblas_internal_gemmt_kernelIiLi16ELi32ELi8ELc78ELc84ELc85ELb0ELb0E19rocblas_complex_numIfES1_PKPKS1_PKPS1_EviT_T9_T10_S9_lSB_S9_lSA_T11_S9_li ; -- Begin function _ZL29rocblas_internal_gemmt_kernelIiLi16ELi32ELi8ELc78ELc84ELc85ELb0ELb0E19rocblas_complex_numIfES1_PKPKS1_PKPS1_EviT_T9_T10_S9_lSB_S9_lSA_T11_S9_li
	.p2align	8
	.type	_ZL29rocblas_internal_gemmt_kernelIiLi16ELi32ELi8ELc78ELc84ELc85ELb0ELb0E19rocblas_complex_numIfES1_PKPKS1_PKPS1_EviT_T9_T10_S9_lSB_S9_lSA_T11_S9_li,@function
_ZL29rocblas_internal_gemmt_kernelIiLi16ELi32ELi8ELc78ELc84ELc85ELb0ELb0E19rocblas_complex_numIfES1_PKPKS1_PKPS1_EviT_T9_T10_S9_lSB_S9_lSA_T11_S9_li: ; @_ZL29rocblas_internal_gemmt_kernelIiLi16ELi32ELi8ELc78ELc84ELc85ELb0ELb0E19rocblas_complex_numIfES1_PKPKS1_PKPS1_EviT_T9_T10_S9_lSB_S9_lSA_T11_S9_li
; %bb.0:
	s_clause 0x1
	s_load_b64 s[20:21], s[0:1], 0x40
	s_load_b128 s[4:7], s[0:1], 0x0
	s_wait_kmcnt 0x0
	s_cmp_eq_f32 s20, 1.0
	s_cselect_b32 s3, -1, 0
	s_and_b32 s2, s21, 0x7fffffff
	s_delay_alu instid0(SALU_CYCLE_1) | instskip(SKIP_1) | instid1(SALU_CYCLE_1)
	s_cmp_eq_u32 s2, 0
	s_cselect_b32 s2, -1, 0
	s_and_b32 s8, s3, s2
	s_mov_b32 s3, 0
	s_and_not1_b32 vcc_lo, exec_lo, s8
	s_mov_b32 s8, -1
	s_cbranch_vccnz .LBB379_4
; %bb.1:
	s_cmp_lg_u32 s5, 0
	s_cbranch_scc0 .LBB379_3
; %bb.2:
	s_cmp_neq_f32 s6, 0
	s_cselect_b32 s3, -1, 0
	s_cmp_neq_f32 s7, 0
	s_cselect_b32 s8, -1, 0
	s_delay_alu instid0(SALU_CYCLE_1)
	s_or_b32 s3, s3, s8
.LBB379_3:
	s_delay_alu instid0(SALU_CYCLE_1)
	s_mov_b32 s8, s3
.LBB379_4:
	s_delay_alu instid0(SALU_CYCLE_1)
	s_and_b32 vcc_lo, exec_lo, s8
	s_cbranch_vccz .LBB379_39
; %bb.5:
	s_load_b32 s19, s[0:1], 0x60
	s_lshr_b32 s22, ttmp7, 16
	s_wait_kmcnt 0x0
	s_cmp_ge_u32 s22, s19
	s_cbranch_scc1 .LBB379_39
; %bb.6:
	s_clause 0x1
	s_load_b96 s[12:14], s[0:1], 0x10
	s_load_b32 s24, s[0:1], 0x30
	v_and_b32_e32 v1, 0x3ff, v0
	v_bfe_u32 v2, v0, 10, 10
	v_and_b32_e32 v16, 7, v0
	s_clause 0x3
	s_load_b128 s[8:11], s[0:1], 0x20
	s_load_b64 s[28:29], s[0:1], 0x38
	s_load_b96 s[16:18], s[0:1], 0x48
	s_load_b64 s[26:27], s[0:1], 0x58
	s_lshl_b32 s0, ttmp7, 5
	s_lshl_b32 s1, ttmp9, 5
	v_lshl_add_u32 v0, v2, 4, v1
	s_and_b32 s3, s0, 0x1fffe0
	v_lshlrev_b32_e32 v3, 3, v16
	v_add_nc_u32_e32 v6, s1, v1
	v_lshlrev_b32_e32 v20, 3, v1
	v_and_b32_e32 v4, 31, v0
	v_lshrrev_b32_e32 v17, 5, v0
	v_lshrrev_b32_e32 v5, 3, v0
	v_add_nc_u32_e32 v8, 16, v6
	v_lshl_add_u32 v21, v2, 6, 0x800
	v_or_b32_e32 v0, s1, v4
	v_lshlrev_b32_e32 v4, 3, v4
	s_wait_kmcnt 0x0
	s_ashr_i32 s35, s14, 31
	s_ashr_i32 s25, s24, 31
	s_cmp_neq_f32 s6, 0
	v_lshl_or_b32 v3, v5, 6, v3
	v_lshl_or_b32 v18, v17, 8, v4
	v_add_nc_u32_e32 v4, s3, v2
	s_cselect_b32 s0, -1, 0
	s_cmp_neq_f32 s7, 0
	v_add_nc_u32_e32 v14, s3, v5
	v_add_nc_u32_e32 v19, 0x800, v3
	v_cmp_gt_i32_e64 s1, s4, v4
	s_cselect_b32 s15, -1, 0
	v_add_nc_u32_e32 v1, 16, v4
	s_wait_alu 0xfffe
	s_or_b32 s15, s0, s15
	s_cmp_gt_i32 s5, 0
	v_mad_co_i64_i32 v[2:3], null, v4, s18, 0
	s_cselect_b32 s33, -1, 0
	s_cmp_neq_f32 s20, 0
	v_cmp_gt_i32_e32 vcc_lo, s4, v0
	v_cmp_gt_i32_e64 s0, s4, v14
	v_cmp_gt_i32_e64 s3, s4, v1
	s_cselect_b32 s36, -1, 0
	s_xor_b32 s37, s2, -1
	v_cmp_le_i32_e64 s2, v6, v4
	v_cmp_le_i32_e64 s4, v6, v1
	v_mad_co_i64_i32 v[12:13], null, s24, v16, 0
	v_mad_co_i64_i32 v[10:11], null, v1, s18, 0
	s_and_b32 s30, s1, s2
	v_cmp_le_i32_e64 s2, v8, v4
	v_mad_co_i64_i32 v[4:5], null, v17, s14, 0
	s_and_b32 s4, s3, s4
	v_ashrrev_i32_e32 v7, 31, v6
	s_and_b32 s31, s1, s2
	v_cmp_le_i32_e64 s1, v8, v1
	v_ashrrev_i32_e32 v1, 31, v0
	v_ashrrev_i32_e32 v9, 31, v8
	v_lshlrev_b64_e32 v[4:5], 3, v[4:5]
	v_lshlrev_b64_e32 v[2:3], 3, v[2:3]
	s_and_b32 s18, s3, s1
	s_lshl_b64 s[2:3], s[8:9], 3
	v_lshlrev_b64_e32 v[0:1], 3, v[0:1]
	s_lshl_b64 s[8:9], s[28:29], 3
	s_wait_alu 0xfffe
	v_add_co_u32 v15, s1, v4, s2
	s_wait_alu 0xf1ff
	v_add_co_ci_u32_e64 v23, null, s3, v5, s1
	v_lshlrev_b64_e32 v[4:5], 3, v[12:13]
	s_delay_alu instid0(VALU_DEP_3) | instskip(SKIP_1) | instid1(VALU_DEP_3)
	v_add_co_u32 v22, s1, v15, v0
	s_wait_alu 0xf1ff
	v_add_co_ci_u32_e64 v23, null, v23, v1, s1
	v_lshlrev_b32_e32 v1, 3, v14
	s_delay_alu instid0(VALU_DEP_4) | instskip(SKIP_3) | instid1(VALU_DEP_3)
	v_add_co_u32 v4, s1, v4, s8
	s_wait_alu 0xf1ff
	v_add_co_ci_u32_e64 v5, null, s9, v5, s1
	v_lshlrev_b64_e32 v[6:7], 3, v[6:7]
	v_add_co_u32 v24, s1, v4, v1
	s_wait_alu 0xf1ff
	s_delay_alu instid0(VALU_DEP_3)
	v_add_co_ci_u32_e64 v25, null, 0, v5, s1
	v_lshlrev_b64_e32 v[4:5], 3, v[10:11]
	v_lshlrev_b64_e32 v[8:9], 3, v[8:9]
	v_mov_b32_e32 v0, 0
	s_mov_b32 s34, s14
	s_mov_b32 s23, 0
	s_lshl_b64 s[2:3], s[34:35], 6
	s_lshl_b64 s[8:9], s[24:25], 6
	s_and_b32 s24, s15, s33
	s_or_b32 s25, s36, s37
	s_xor_b32 s28, vcc_lo, -1
	s_xor_b32 s29, s0, -1
	s_lshl_b64 s[0:1], s[26:27], 3
	s_branch .LBB379_8
.LBB379_7:                              ;   in Loop: Header=BB379_8 Depth=1
	s_wait_alu 0xfffe
	s_or_b32 exec_lo, exec_lo, s14
	s_add_co_i32 s22, s22, 0x10000
	s_delay_alu instid0(SALU_CYCLE_1)
	s_cmp_lt_u32 s22, s19
	s_cbranch_scc0 .LBB379_39
.LBB379_8:                              ; =>This Loop Header: Depth=1
                                        ;     Child Loop BB379_11 Depth 2
	s_lshl_b64 s[14:15], s[22:23], 3
	v_dual_mov_b32 v33, v0 :: v_dual_mov_b32 v32, v0
	s_wait_alu 0xfffe
	s_add_nc_u64 s[26:27], s[16:17], s[14:15]
	v_dual_mov_b32 v30, v0 :: v_dual_mov_b32 v31, v0
	global_load_b64 v[10:11], v0, s[26:27]
	v_dual_mov_b32 v28, v0 :: v_dual_mov_b32 v29, v0
	v_dual_mov_b32 v27, v0 :: v_dual_mov_b32 v26, v0
	s_and_not1_b32 vcc_lo, exec_lo, s24
	s_wait_alu 0xfffe
	s_cbranch_vccnz .LBB379_19
; %bb.9:                                ;   in Loop: Header=BB379_8 Depth=1
	s_add_nc_u64 s[26:27], s[12:13], s[14:15]
	s_add_nc_u64 s[14:15], s[10:11], s[14:15]
	s_clause 0x1
	global_load_b64 v[12:13], v0, s[26:27]
	global_load_b64 v[14:15], v0, s[14:15]
	v_dual_mov_b32 v26, 0 :: v_dual_mov_b32 v27, 0
	v_dual_mov_b32 v29, 0 :: v_dual_mov_b32 v28, 0
	;; [unrolled: 1-line block ×4, first 2 shown]
	s_mov_b32 s14, 0
	s_wait_loadcnt 0x1
	v_add_co_u32 v12, vcc_lo, v12, v22
	s_wait_alu 0xfffd
	v_add_co_ci_u32_e64 v13, null, v13, v23, vcc_lo
	s_wait_loadcnt 0x0
	v_add_co_u32 v14, vcc_lo, v14, v24
	s_wait_alu 0xfffd
	v_add_co_ci_u32_e64 v15, null, v15, v25, vcc_lo
	s_branch .LBB379_11
.LBB379_10:                             ;   in Loop: Header=BB379_11 Depth=2
	s_wait_alu 0xfffe
	s_or_b32 exec_lo, exec_lo, s15
	s_wait_dscnt 0x0
	s_barrier_signal -1
	s_barrier_wait -1
	global_inv scope:SCOPE_SE
	ds_load_b128 v[34:37], v21
	ds_load_2addr_b64 v[38:41], v20 offset1:16
	ds_load_b128 v[42:45], v21 offset:1024
	ds_load_b128 v[46:49], v21 offset:16
	;; [unrolled: 1-line block ×4, first 2 shown]
	ds_load_2addr_b64 v[58:61], v20 offset0:32 offset1:48
	ds_load_b128 v[62:65], v21 offset:1040
	v_add_co_u32 v12, vcc_lo, v12, s2
	s_wait_alu 0xfffd
	v_add_co_ci_u32_e64 v13, null, s3, v13, vcc_lo
	v_add_co_u32 v14, vcc_lo, v14, s8
	s_wait_alu 0xfffd
	v_add_co_ci_u32_e64 v15, null, s9, v15, vcc_lo
	s_add_co_i32 s14, s14, 8
	s_wait_alu 0xfffe
	s_cmp_lt_i32 s14, s5
	s_wait_dscnt 0x6
	v_dual_mul_f32 v1, v35, v39 :: v_dual_mul_f32 v68, v34, v41
	v_dual_mul_f32 v66, v34, v39 :: v_dual_mul_f32 v67, v35, v41
	s_wait_dscnt 0x5
	v_mul_f32_e32 v70, v43, v41
	s_delay_alu instid0(VALU_DEP_3) | instskip(SKIP_3) | instid1(VALU_DEP_4)
	v_fma_f32 v1, v34, v38, -v1
	v_dual_mul_f32 v41, v42, v41 :: v_dual_fmac_f32 v68, v35, v40
	v_fmac_f32_e32 v66, v35, v38
	v_fma_f32 v34, v34, v40, -v67
	v_add_f32_e32 v1, v33, v1
	v_mul_f32_e32 v69, v43, v39
	s_delay_alu instid0(VALU_DEP_4) | instskip(NEXT) | instid1(VALU_DEP_4)
	v_dual_mul_f32 v39, v42, v39 :: v_dual_add_f32 v32, v32, v66
	v_add_f32_e32 v33, v30, v34
	v_fmac_f32_e32 v41, v43, v40
	s_delay_alu instid0(VALU_DEP_4) | instskip(NEXT) | instid1(VALU_DEP_4)
	v_fma_f32 v35, v42, v38, -v69
	v_fmac_f32_e32 v39, v43, v38
	v_fma_f32 v38, v42, v40, -v70
	s_wait_dscnt 0x1
	v_dual_mul_f32 v40, v36, v59 :: v_dual_add_f32 v31, v31, v68
	v_mul_f32_e32 v42, v37, v61
	v_add_f32_e32 v34, v28, v35
	v_dual_add_f32 v35, v29, v39 :: v_dual_add_f32 v38, v27, v38
	ds_load_2addr_b64 v[27:30], v20 offset0:64 offset1:80
	v_fmac_f32_e32 v40, v37, v58
	v_dual_mul_f32 v39, v37, v59 :: v_dual_add_f32 v26, v26, v41
	v_mul_f32_e32 v41, v36, v61
	s_delay_alu instid0(VALU_DEP_3) | instskip(NEXT) | instid1(VALU_DEP_3)
	v_add_f32_e32 v40, v32, v40
	v_fma_f32 v39, v36, v58, -v39
	v_fma_f32 v36, v36, v60, -v42
	v_mul_f32_e32 v32, v44, v59
	s_delay_alu instid0(VALU_DEP_3) | instskip(SKIP_1) | instid1(VALU_DEP_4)
	v_add_f32_e32 v1, v1, v39
	v_mul_f32_e32 v39, v45, v59
	v_add_f32_e32 v36, v33, v36
	v_fmac_f32_e32 v41, v37, v60
	v_mul_f32_e32 v37, v45, v61
	v_fmac_f32_e32 v32, v45, v58
	v_fma_f32 v33, v44, v58, -v39
	s_delay_alu instid0(VALU_DEP_4) | instskip(SKIP_4) | instid1(VALU_DEP_3)
	v_add_f32_e32 v39, v31, v41
	v_mul_f32_e32 v41, v44, v61
	v_fma_f32 v31, v44, v60, -v37
	s_wait_dscnt 0x0
	v_dual_add_f32 v42, v34, v33 :: v_dual_mul_f32 v33, v47, v28
	v_dual_mul_f32 v44, v47, v30 :: v_dual_fmac_f32 v41, v45, v60
	v_mul_f32_e32 v37, v46, v28
	v_add_f32_e32 v38, v38, v31
	s_delay_alu instid0(VALU_DEP_3) | instskip(SKIP_3) | instid1(VALU_DEP_2)
	v_add_f32_e32 v41, v26, v41
	v_mul_f32_e32 v26, v46, v30
	v_fma_f32 v43, v46, v27, -v33
	v_fmac_f32_e32 v37, v47, v27
	v_dual_fmac_f32 v26, v47, v29 :: v_dual_add_f32 v1, v1, v43
	v_fma_f32 v43, v46, v29, -v44
	v_add_f32_e32 v35, v35, v32
	ds_load_2addr_b64 v[31:34], v20 offset0:96 offset1:112
	v_dual_add_f32 v37, v40, v37 :: v_dual_mul_f32 v40, v63, v28
	v_mul_f32_e32 v28, v62, v28
	v_dual_add_f32 v36, v36, v43 :: v_dual_mul_f32 v43, v63, v30
	v_mul_f32_e32 v30, v62, v30
	s_delay_alu instid0(VALU_DEP_4) | instskip(NEXT) | instid1(VALU_DEP_4)
	v_fma_f32 v40, v62, v27, -v40
	v_fmac_f32_e32 v28, v63, v27
	v_add_f32_e32 v39, v39, v26
	v_fma_f32 v26, v62, v29, -v43
	v_fmac_f32_e32 v30, v63, v29
	v_add_f32_e32 v40, v42, v40
	s_delay_alu instid0(VALU_DEP_3)
	v_dual_add_f32 v42, v35, v28 :: v_dual_add_f32 v43, v38, v26
	ds_load_2addr_b64 v[26:29], v20 offset0:128 offset1:144
	s_wait_dscnt 0x1
	v_mul_f32_e32 v35, v49, v32
	v_mul_f32_e32 v38, v48, v32
	;; [unrolled: 1-line block ×4, first 2 shown]
	s_delay_alu instid0(VALU_DEP_4) | instskip(NEXT) | instid1(VALU_DEP_4)
	v_fma_f32 v35, v48, v31, -v35
	v_fmac_f32_e32 v38, v49, v31
	s_delay_alu instid0(VALU_DEP_2) | instskip(SKIP_1) | instid1(VALU_DEP_3)
	v_add_f32_e32 v1, v1, v35
	v_mul_f32_e32 v35, v65, v32
	v_dual_mul_f32 v32, v64, v32 :: v_dual_add_f32 v45, v37, v38
	s_delay_alu instid0(VALU_DEP_2) | instskip(NEXT) | instid1(VALU_DEP_2)
	v_fma_f32 v46, v64, v31, -v35
	v_fmac_f32_e32 v32, v65, v31
	s_wait_dscnt 0x0
	v_mul_f32_e32 v31, v51, v27
	v_fma_f32 v44, v48, v33, -v44
	v_add_f32_e32 v41, v41, v30
	v_mul_f32_e32 v30, v48, v34
	v_mul_f32_e32 v58, v50, v29
	s_delay_alu instid0(VALU_DEP_4) | instskip(SKIP_2) | instid1(VALU_DEP_1)
	v_add_f32_e32 v44, v36, v44
	ds_load_b128 v[35:38], v21 offset:1056
	v_dual_fmac_f32 v30, v49, v33 :: v_dual_mul_f32 v49, v50, v27
	v_add_f32_e32 v48, v39, v30
	v_fma_f32 v30, v64, v33, -v47
	v_fma_f32 v39, v50, v26, -v31
	v_mul_f32_e32 v34, v64, v34
	v_fmac_f32_e32 v49, v51, v26
	v_add_f32_e32 v46, v40, v46
	v_add_f32_e32 v43, v43, v30
	;; [unrolled: 1-line block ×4, first 2 shown]
	v_fmac_f32_e32 v34, v65, v33
	ds_load_2addr_b64 v[30:33], v20 offset0:160 offset1:176
	v_mul_f32_e32 v40, v51, v29
	v_add_f32_e32 v45, v45, v49
	v_add_f32_e32 v34, v41, v34
	s_delay_alu instid0(VALU_DEP_3)
	v_fma_f32 v50, v50, v28, -v40
	ds_load_b128 v[39:42], v21 offset:1072
	s_wait_dscnt 0x2
	v_mul_f32_e32 v59, v36, v27
	v_dual_mul_f32 v27, v35, v27 :: v_dual_add_f32 v44, v44, v50
	v_fmac_f32_e32 v58, v51, v28
	v_mul_f32_e32 v50, v36, v29
	s_delay_alu instid0(VALU_DEP_4) | instskip(NEXT) | instid1(VALU_DEP_4)
	v_fma_f32 v49, v35, v26, -v59
	v_fmac_f32_e32 v27, v36, v26
	s_delay_alu instid0(VALU_DEP_4) | instskip(SKIP_1) | instid1(VALU_DEP_3)
	v_dual_mul_f32 v51, v35, v29 :: v_dual_add_f32 v48, v48, v58
	s_wait_dscnt 0x1
	v_dual_add_f32 v46, v46, v49 :: v_dual_mul_f32 v29, v53, v31
	v_fma_f32 v26, v35, v28, -v50
	v_add_f32_e32 v35, v47, v27
	v_fmac_f32_e32 v51, v36, v28
	v_mul_f32_e32 v36, v52, v31
	v_fma_f32 v47, v52, v30, -v29
	v_add_f32_e32 v43, v43, v26
	ds_load_2addr_b64 v[26:29], v20 offset0:192 offset1:208
	v_fmac_f32_e32 v36, v53, v30
	v_dual_mul_f32 v49, v53, v33 :: v_dual_add_f32 v50, v34, v51
	v_dual_add_f32 v1, v1, v47 :: v_dual_mul_f32 v34, v52, v33
	s_delay_alu instid0(VALU_DEP_3) | instskip(NEXT) | instid1(VALU_DEP_3)
	v_dual_add_f32 v45, v45, v36 :: v_dual_mul_f32 v36, v38, v31
	v_fma_f32 v47, v52, v32, -v49
	s_delay_alu instid0(VALU_DEP_3) | instskip(NEXT) | instid1(VALU_DEP_3)
	v_fmac_f32_e32 v34, v53, v32
	v_fma_f32 v36, v37, v30, -v36
	s_delay_alu instid0(VALU_DEP_3) | instskip(SKIP_1) | instid1(VALU_DEP_3)
	v_dual_add_f32 v44, v44, v47 :: v_dual_mul_f32 v47, v38, v33
	v_mul_f32_e32 v31, v37, v31
	v_dual_mul_f32 v33, v37, v33 :: v_dual_add_f32 v46, v46, v36
	s_delay_alu instid0(VALU_DEP_2) | instskip(SKIP_2) | instid1(VALU_DEP_4)
	v_fmac_f32_e32 v31, v38, v30
	v_add_f32_e32 v30, v48, v34
	v_fma_f32 v34, v37, v32, -v47
	v_fmac_f32_e32 v33, v38, v32
	s_wait_dscnt 0x0
	v_mul_f32_e32 v38, v54, v27
	v_dual_add_f32 v31, v35, v31 :: v_dual_mul_f32 v48, v54, v29
	v_add_f32_e32 v32, v43, v34
	ds_load_2addr_b64 v[34:37], v20 offset0:224 offset1:240
	v_dual_add_f32 v33, v50, v33 :: v_dual_fmac_f32 v38, v55, v26
	v_mul_f32_e32 v47, v55, v27
	v_fmac_f32_e32 v48, v55, v28
	s_wait_loadcnt_dscnt 0x0
	s_barrier_signal -1
	v_add_f32_e32 v38, v45, v38
	v_fma_f32 v43, v54, v26, -v47
	v_mul_f32_e32 v47, v55, v29
	v_mul_f32_e32 v45, v40, v29
	;; [unrolled: 1-line block ×3, first 2 shown]
	s_barrier_wait -1
	v_add_f32_e32 v1, v1, v43
	v_fma_f32 v47, v54, v28, -v47
	v_mul_f32_e32 v43, v40, v27
	v_fmac_f32_e32 v29, v40, v28
	global_inv scope:SCOPE_SE
	v_dual_add_f32 v44, v44, v47 :: v_dual_add_f32 v47, v30, v48
	v_fma_f32 v30, v39, v28, -v45
	v_mul_f32_e32 v27, v39, v27
	s_delay_alu instid0(VALU_DEP_1) | instskip(NEXT) | instid1(VALU_DEP_3)
	v_fmac_f32_e32 v27, v40, v26
	v_add_f32_e32 v40, v32, v30
	v_mul_f32_e32 v30, v57, v37
	v_fma_f32 v43, v39, v26, -v43
	v_mul_f32_e32 v39, v57, v35
	s_delay_alu instid0(VALU_DEP_2) | instskip(NEXT) | instid1(VALU_DEP_2)
	v_add_f32_e32 v26, v46, v43
	v_fma_f32 v28, v56, v34, -v39
	v_add_f32_e32 v39, v33, v29
	v_mul_f32_e32 v29, v41, v35
	s_delay_alu instid0(VALU_DEP_3) | instskip(SKIP_2) | instid1(VALU_DEP_2)
	v_add_f32_e32 v33, v1, v28
	v_fma_f32 v1, v56, v36, -v30
	v_mul_f32_e32 v28, v42, v35
	v_dual_fmac_f32 v29, v42, v34 :: v_dual_add_f32 v30, v44, v1
	s_delay_alu instid0(VALU_DEP_2) | instskip(SKIP_2) | instid1(VALU_DEP_2)
	v_fma_f32 v1, v41, v34, -v28
	v_mul_f32_e32 v43, v56, v35
	v_mul_f32_e32 v35, v42, v37
	v_dual_add_f32 v28, v26, v1 :: v_dual_fmac_f32 v43, v57, v34
	s_delay_alu instid0(VALU_DEP_2) | instskip(NEXT) | instid1(VALU_DEP_2)
	v_fma_f32 v34, v41, v36, -v35
	v_add_f32_e32 v32, v38, v43
	v_add_f32_e32 v27, v31, v27
	v_mul_f32_e32 v31, v56, v37
	v_mul_f32_e32 v37, v41, v37
	s_delay_alu instid0(VALU_DEP_3) | instskip(NEXT) | instid1(VALU_DEP_3)
	v_add_f32_e32 v29, v27, v29
	v_fmac_f32_e32 v31, v57, v36
	s_delay_alu instid0(VALU_DEP_3) | instskip(SKIP_1) | instid1(VALU_DEP_3)
	v_fmac_f32_e32 v37, v42, v36
	v_add_f32_e32 v27, v40, v34
	v_add_f32_e32 v31, v47, v31
	s_delay_alu instid0(VALU_DEP_3)
	v_add_f32_e32 v26, v39, v37
	s_cbranch_scc0 .LBB379_19
.LBB379_11:                             ;   Parent Loop BB379_8 Depth=1
                                        ; =>  This Inner Loop Header: Depth=2
	s_wait_alu 0xfffe
	v_add_nc_u32_e32 v1, s14, v17
	s_delay_alu instid0(VALU_DEP_1) | instskip(SKIP_3) | instid1(SALU_CYCLE_1)
	v_cmp_le_i32_e32 vcc_lo, s5, v1
	s_or_b32 s15, s28, vcc_lo
	s_wait_alu 0xfffe
	s_and_saveexec_b32 s26, s15
	s_xor_b32 s15, exec_lo, s26
; %bb.12:                               ;   in Loop: Header=BB379_11 Depth=2
	v_mov_b32_e32 v1, v0
	ds_store_b64 v18, v[0:1]
; %bb.13:                               ;   in Loop: Header=BB379_11 Depth=2
	s_wait_alu 0xfffe
	s_and_not1_saveexec_b32 s15, s15
	s_cbranch_execz .LBB379_15
; %bb.14:                               ;   in Loop: Header=BB379_11 Depth=2
	flat_load_b64 v[34:35], v[12:13]
	s_wait_loadcnt_dscnt 0x0
	ds_store_b64 v18, v[34:35]
.LBB379_15:                             ;   in Loop: Header=BB379_11 Depth=2
	s_wait_alu 0xfffe
	s_or_b32 exec_lo, exec_lo, s15
	v_add_nc_u32_e32 v1, s14, v16
	s_delay_alu instid0(VALU_DEP_1) | instskip(SKIP_3) | instid1(SALU_CYCLE_1)
	v_cmp_le_i32_e32 vcc_lo, s5, v1
	s_or_b32 s15, vcc_lo, s29
	s_wait_alu 0xfffe
	s_and_saveexec_b32 s26, s15
	s_xor_b32 s15, exec_lo, s26
; %bb.16:                               ;   in Loop: Header=BB379_11 Depth=2
	v_mov_b32_e32 v1, v0
	ds_store_b64 v19, v[0:1]
; %bb.17:                               ;   in Loop: Header=BB379_11 Depth=2
	s_wait_alu 0xfffe
	s_and_not1_saveexec_b32 s15, s15
	s_cbranch_execz .LBB379_10
; %bb.18:                               ;   in Loop: Header=BB379_11 Depth=2
	flat_load_b64 v[34:35], v[14:15]
	s_wait_loadcnt_dscnt 0x0
	ds_store_b64 v19, v[34:35]
	s_branch .LBB379_10
.LBB379_19:                             ;   in Loop: Header=BB379_8 Depth=1
	s_wait_loadcnt 0x0
	v_add_co_u32 v1, vcc_lo, v10, s0
	s_wait_alu 0xfffd
	v_add_co_ci_u32_e64 v12, null, s1, v11, vcc_lo
	s_delay_alu instid0(VALU_DEP_2) | instskip(SKIP_1) | instid1(VALU_DEP_2)
	v_add_co_u32 v13, vcc_lo, v1, v2
	s_wait_alu 0xfffd
	v_add_co_ci_u32_e64 v14, null, v12, v3, vcc_lo
	s_and_saveexec_b32 s14, s30
	s_cbranch_execz .LBB379_24
; %bb.20:                               ;   in Loop: Header=BB379_8 Depth=1
	v_mul_f32_e32 v11, s6, v32
	v_mul_f32_e32 v10, s7, v32
	s_and_b32 vcc_lo, exec_lo, s25
	s_mov_b32 s15, -1
	s_delay_alu instid0(VALU_DEP_2) | instskip(NEXT) | instid1(VALU_DEP_2)
	v_fmac_f32_e32 v11, s7, v33
	v_fma_f32 v10, v33, s6, -v10
	s_wait_alu 0xfffe
	s_cbranch_vccz .LBB379_22
; %bb.21:                               ;   in Loop: Header=BB379_8 Depth=1
	v_add_co_u32 v32, vcc_lo, v13, v6
	s_wait_alu 0xfffd
	v_add_co_ci_u32_e64 v33, null, v14, v7, vcc_lo
	s_mov_b32 s15, 0
	flat_load_b64 v[34:35], v[32:33]
	s_wait_loadcnt_dscnt 0x0
	v_mul_f32_e32 v15, s21, v35
	v_mul_f32_e32 v35, s20, v35
	s_delay_alu instid0(VALU_DEP_2) | instskip(NEXT) | instid1(VALU_DEP_1)
	v_fma_f32 v15, v34, s20, -v15
	v_dual_fmac_f32 v35, s21, v34 :: v_dual_add_f32 v34, v10, v15
	s_delay_alu instid0(VALU_DEP_1)
	v_add_f32_e32 v35, v11, v35
	flat_store_b64 v[32:33], v[34:35]
.LBB379_22:                             ;   in Loop: Header=BB379_8 Depth=1
	s_wait_alu 0xfffe
	s_and_not1_b32 vcc_lo, exec_lo, s15
	s_wait_alu 0xfffe
	s_cbranch_vccnz .LBB379_24
; %bb.23:                               ;   in Loop: Header=BB379_8 Depth=1
	v_add_co_u32 v32, vcc_lo, v13, v6
	s_wait_alu 0xfffd
	v_add_co_ci_u32_e64 v33, null, v14, v7, vcc_lo
	flat_store_b64 v[32:33], v[10:11]
.LBB379_24:                             ;   in Loop: Header=BB379_8 Depth=1
	s_wait_alu 0xfffe
	s_or_b32 exec_lo, exec_lo, s14
	s_and_saveexec_b32 s14, s31
	s_cbranch_execz .LBB379_29
; %bb.25:                               ;   in Loop: Header=BB379_8 Depth=1
	v_mul_f32_e32 v11, s6, v31
	v_mul_f32_e32 v10, s7, v31
	s_and_not1_b32 vcc_lo, exec_lo, s25
	s_mov_b32 s15, -1
	s_delay_alu instid0(VALU_DEP_2) | instskip(NEXT) | instid1(VALU_DEP_2)
	v_fmac_f32_e32 v11, s7, v30
	v_fma_f32 v10, v30, s6, -v10
	s_wait_alu 0xfffe
	s_cbranch_vccnz .LBB379_27
; %bb.26:                               ;   in Loop: Header=BB379_8 Depth=1
	v_add_co_u32 v30, vcc_lo, v13, v8
	s_wait_alu 0xfffd
	v_add_co_ci_u32_e64 v31, null, v14, v9, vcc_lo
	s_mov_b32 s15, 0
	flat_load_b64 v[32:33], v[30:31]
	s_wait_loadcnt_dscnt 0x0
	v_mul_f32_e32 v15, s21, v33
	s_delay_alu instid0(VALU_DEP_1) | instskip(SKIP_1) | instid1(VALU_DEP_1)
	v_fma_f32 v15, v32, s20, -v15
	v_mul_f32_e32 v33, s20, v33
	v_dual_fmac_f32 v33, s21, v32 :: v_dual_add_f32 v32, v10, v15
	s_delay_alu instid0(VALU_DEP_1)
	v_add_f32_e32 v33, v11, v33
	flat_store_b64 v[30:31], v[32:33]
.LBB379_27:                             ;   in Loop: Header=BB379_8 Depth=1
	s_wait_alu 0xfffe
	s_and_not1_b32 vcc_lo, exec_lo, s15
	s_wait_alu 0xfffe
	s_cbranch_vccnz .LBB379_29
; %bb.28:                               ;   in Loop: Header=BB379_8 Depth=1
	v_add_co_u32 v13, vcc_lo, v13, v8
	s_wait_alu 0xfffd
	v_add_co_ci_u32_e64 v14, null, v14, v9, vcc_lo
	flat_store_b64 v[13:14], v[10:11]
.LBB379_29:                             ;   in Loop: Header=BB379_8 Depth=1
	s_wait_alu 0xfffe
	s_or_b32 exec_lo, exec_lo, s14
	v_add_co_u32 v1, vcc_lo, v1, v4
	s_wait_alu 0xfffd
	v_add_co_ci_u32_e64 v12, null, v12, v5, vcc_lo
	s_and_saveexec_b32 s14, s4
	s_cbranch_execz .LBB379_34
; %bb.30:                               ;   in Loop: Header=BB379_8 Depth=1
	v_mul_f32_e32 v11, s6, v29
	v_mul_f32_e32 v10, s7, v29
	s_and_not1_b32 vcc_lo, exec_lo, s25
	s_mov_b32 s15, -1
	s_delay_alu instid0(VALU_DEP_2) | instskip(NEXT) | instid1(VALU_DEP_2)
	v_fmac_f32_e32 v11, s7, v28
	v_fma_f32 v10, v28, s6, -v10
	s_wait_alu 0xfffe
	s_cbranch_vccnz .LBB379_32
; %bb.31:                               ;   in Loop: Header=BB379_8 Depth=1
	v_add_co_u32 v13, vcc_lo, v1, v6
	s_wait_alu 0xfffd
	v_add_co_ci_u32_e64 v14, null, v12, v7, vcc_lo
	s_mov_b32 s15, 0
	flat_load_b64 v[28:29], v[13:14]
	s_wait_loadcnt_dscnt 0x0
	v_mul_f32_e32 v15, s21, v29
	s_delay_alu instid0(VALU_DEP_1) | instskip(SKIP_1) | instid1(VALU_DEP_1)
	v_fma_f32 v15, v28, s20, -v15
	v_mul_f32_e32 v29, s20, v29
	v_dual_fmac_f32 v29, s21, v28 :: v_dual_add_f32 v28, v10, v15
	s_delay_alu instid0(VALU_DEP_1)
	v_add_f32_e32 v29, v11, v29
	flat_store_b64 v[13:14], v[28:29]
.LBB379_32:                             ;   in Loop: Header=BB379_8 Depth=1
	s_wait_alu 0xfffe
	s_and_not1_b32 vcc_lo, exec_lo, s15
	s_wait_alu 0xfffe
	s_cbranch_vccnz .LBB379_34
; %bb.33:                               ;   in Loop: Header=BB379_8 Depth=1
	v_add_co_u32 v13, vcc_lo, v1, v6
	s_wait_alu 0xfffd
	v_add_co_ci_u32_e64 v14, null, v12, v7, vcc_lo
	flat_store_b64 v[13:14], v[10:11]
.LBB379_34:                             ;   in Loop: Header=BB379_8 Depth=1
	s_wait_alu 0xfffe
	s_or_b32 exec_lo, exec_lo, s14
	s_and_saveexec_b32 s14, s18
	s_cbranch_execz .LBB379_7
; %bb.35:                               ;   in Loop: Header=BB379_8 Depth=1
	v_mul_f32_e32 v11, s6, v26
	v_mul_f32_e32 v10, s7, v26
	s_and_not1_b32 vcc_lo, exec_lo, s25
	s_mov_b32 s15, -1
	s_delay_alu instid0(VALU_DEP_2) | instskip(NEXT) | instid1(VALU_DEP_2)
	v_fmac_f32_e32 v11, s7, v27
	v_fma_f32 v10, v27, s6, -v10
	s_wait_alu 0xfffe
	s_cbranch_vccnz .LBB379_37
; %bb.36:                               ;   in Loop: Header=BB379_8 Depth=1
	v_add_co_u32 v13, vcc_lo, v1, v8
	s_wait_alu 0xfffd
	v_add_co_ci_u32_e64 v14, null, v12, v9, vcc_lo
	s_mov_b32 s15, 0
	flat_load_b64 v[26:27], v[13:14]
	s_wait_loadcnt_dscnt 0x0
	v_mul_f32_e32 v15, s21, v27
	v_mul_f32_e32 v27, s20, v27
	s_delay_alu instid0(VALU_DEP_2) | instskip(NEXT) | instid1(VALU_DEP_1)
	v_fma_f32 v15, v26, s20, -v15
	v_dual_fmac_f32 v27, s21, v26 :: v_dual_add_f32 v26, v10, v15
	s_delay_alu instid0(VALU_DEP_1)
	v_add_f32_e32 v27, v11, v27
	flat_store_b64 v[13:14], v[26:27]
.LBB379_37:                             ;   in Loop: Header=BB379_8 Depth=1
	s_wait_alu 0xfffe
	s_and_not1_b32 vcc_lo, exec_lo, s15
	s_wait_alu 0xfffe
	s_cbranch_vccnz .LBB379_7
; %bb.38:                               ;   in Loop: Header=BB379_8 Depth=1
	v_add_co_u32 v13, vcc_lo, v1, v8
	s_wait_alu 0xfffd
	v_add_co_ci_u32_e64 v14, null, v12, v9, vcc_lo
	flat_store_b64 v[13:14], v[10:11]
	s_branch .LBB379_7
.LBB379_39:
	s_endpgm
	.section	.rodata,"a",@progbits
	.p2align	6, 0x0
	.amdhsa_kernel _ZL29rocblas_internal_gemmt_kernelIiLi16ELi32ELi8ELc78ELc84ELc85ELb0ELb0E19rocblas_complex_numIfES1_PKPKS1_PKPS1_EviT_T9_T10_S9_lSB_S9_lSA_T11_S9_li
		.amdhsa_group_segment_fixed_size 4096
		.amdhsa_private_segment_fixed_size 0
		.amdhsa_kernarg_size 100
		.amdhsa_user_sgpr_count 2
		.amdhsa_user_sgpr_dispatch_ptr 0
		.amdhsa_user_sgpr_queue_ptr 0
		.amdhsa_user_sgpr_kernarg_segment_ptr 1
		.amdhsa_user_sgpr_dispatch_id 0
		.amdhsa_user_sgpr_private_segment_size 0
		.amdhsa_wavefront_size32 1
		.amdhsa_uses_dynamic_stack 0
		.amdhsa_enable_private_segment 0
		.amdhsa_system_sgpr_workgroup_id_x 1
		.amdhsa_system_sgpr_workgroup_id_y 1
		.amdhsa_system_sgpr_workgroup_id_z 1
		.amdhsa_system_sgpr_workgroup_info 0
		.amdhsa_system_vgpr_workitem_id 1
		.amdhsa_next_free_vgpr 71
		.amdhsa_next_free_sgpr 38
		.amdhsa_reserve_vcc 1
		.amdhsa_float_round_mode_32 0
		.amdhsa_float_round_mode_16_64 0
		.amdhsa_float_denorm_mode_32 3
		.amdhsa_float_denorm_mode_16_64 3
		.amdhsa_fp16_overflow 0
		.amdhsa_workgroup_processor_mode 1
		.amdhsa_memory_ordered 1
		.amdhsa_forward_progress 1
		.amdhsa_inst_pref_size 25
		.amdhsa_round_robin_scheduling 0
		.amdhsa_exception_fp_ieee_invalid_op 0
		.amdhsa_exception_fp_denorm_src 0
		.amdhsa_exception_fp_ieee_div_zero 0
		.amdhsa_exception_fp_ieee_overflow 0
		.amdhsa_exception_fp_ieee_underflow 0
		.amdhsa_exception_fp_ieee_inexact 0
		.amdhsa_exception_int_div_zero 0
	.end_amdhsa_kernel
	.section	.text._ZL29rocblas_internal_gemmt_kernelIiLi16ELi32ELi8ELc78ELc84ELc85ELb0ELb0E19rocblas_complex_numIfES1_PKPKS1_PKPS1_EviT_T9_T10_S9_lSB_S9_lSA_T11_S9_li,"axG",@progbits,_ZL29rocblas_internal_gemmt_kernelIiLi16ELi32ELi8ELc78ELc84ELc85ELb0ELb0E19rocblas_complex_numIfES1_PKPKS1_PKPS1_EviT_T9_T10_S9_lSB_S9_lSA_T11_S9_li,comdat
.Lfunc_end379:
	.size	_ZL29rocblas_internal_gemmt_kernelIiLi16ELi32ELi8ELc78ELc84ELc85ELb0ELb0E19rocblas_complex_numIfES1_PKPKS1_PKPS1_EviT_T9_T10_S9_lSB_S9_lSA_T11_S9_li, .Lfunc_end379-_ZL29rocblas_internal_gemmt_kernelIiLi16ELi32ELi8ELc78ELc84ELc85ELb0ELb0E19rocblas_complex_numIfES1_PKPKS1_PKPS1_EviT_T9_T10_S9_lSB_S9_lSA_T11_S9_li
                                        ; -- End function
	.set _ZL29rocblas_internal_gemmt_kernelIiLi16ELi32ELi8ELc78ELc84ELc85ELb0ELb0E19rocblas_complex_numIfES1_PKPKS1_PKPS1_EviT_T9_T10_S9_lSB_S9_lSA_T11_S9_li.num_vgpr, 71
	.set _ZL29rocblas_internal_gemmt_kernelIiLi16ELi32ELi8ELc78ELc84ELc85ELb0ELb0E19rocblas_complex_numIfES1_PKPKS1_PKPS1_EviT_T9_T10_S9_lSB_S9_lSA_T11_S9_li.num_agpr, 0
	.set _ZL29rocblas_internal_gemmt_kernelIiLi16ELi32ELi8ELc78ELc84ELc85ELb0ELb0E19rocblas_complex_numIfES1_PKPKS1_PKPS1_EviT_T9_T10_S9_lSB_S9_lSA_T11_S9_li.numbered_sgpr, 38
	.set _ZL29rocblas_internal_gemmt_kernelIiLi16ELi32ELi8ELc78ELc84ELc85ELb0ELb0E19rocblas_complex_numIfES1_PKPKS1_PKPS1_EviT_T9_T10_S9_lSB_S9_lSA_T11_S9_li.num_named_barrier, 0
	.set _ZL29rocblas_internal_gemmt_kernelIiLi16ELi32ELi8ELc78ELc84ELc85ELb0ELb0E19rocblas_complex_numIfES1_PKPKS1_PKPS1_EviT_T9_T10_S9_lSB_S9_lSA_T11_S9_li.private_seg_size, 0
	.set _ZL29rocblas_internal_gemmt_kernelIiLi16ELi32ELi8ELc78ELc84ELc85ELb0ELb0E19rocblas_complex_numIfES1_PKPKS1_PKPS1_EviT_T9_T10_S9_lSB_S9_lSA_T11_S9_li.uses_vcc, 1
	.set _ZL29rocblas_internal_gemmt_kernelIiLi16ELi32ELi8ELc78ELc84ELc85ELb0ELb0E19rocblas_complex_numIfES1_PKPKS1_PKPS1_EviT_T9_T10_S9_lSB_S9_lSA_T11_S9_li.uses_flat_scratch, 0
	.set _ZL29rocblas_internal_gemmt_kernelIiLi16ELi32ELi8ELc78ELc84ELc85ELb0ELb0E19rocblas_complex_numIfES1_PKPKS1_PKPS1_EviT_T9_T10_S9_lSB_S9_lSA_T11_S9_li.has_dyn_sized_stack, 0
	.set _ZL29rocblas_internal_gemmt_kernelIiLi16ELi32ELi8ELc78ELc84ELc85ELb0ELb0E19rocblas_complex_numIfES1_PKPKS1_PKPS1_EviT_T9_T10_S9_lSB_S9_lSA_T11_S9_li.has_recursion, 0
	.set _ZL29rocblas_internal_gemmt_kernelIiLi16ELi32ELi8ELc78ELc84ELc85ELb0ELb0E19rocblas_complex_numIfES1_PKPKS1_PKPS1_EviT_T9_T10_S9_lSB_S9_lSA_T11_S9_li.has_indirect_call, 0
	.section	.AMDGPU.csdata,"",@progbits
; Kernel info:
; codeLenInByte = 3196
; TotalNumSgprs: 40
; NumVgprs: 71
; ScratchSize: 0
; MemoryBound: 1
; FloatMode: 240
; IeeeMode: 1
; LDSByteSize: 4096 bytes/workgroup (compile time only)
; SGPRBlocks: 0
; VGPRBlocks: 8
; NumSGPRsForWavesPerEU: 40
; NumVGPRsForWavesPerEU: 71
; Occupancy: 16
; WaveLimiterHint : 1
; COMPUTE_PGM_RSRC2:SCRATCH_EN: 0
; COMPUTE_PGM_RSRC2:USER_SGPR: 2
; COMPUTE_PGM_RSRC2:TRAP_HANDLER: 0
; COMPUTE_PGM_RSRC2:TGID_X_EN: 1
; COMPUTE_PGM_RSRC2:TGID_Y_EN: 1
; COMPUTE_PGM_RSRC2:TGID_Z_EN: 1
; COMPUTE_PGM_RSRC2:TIDIG_COMP_CNT: 1
	.section	.text._ZL29rocblas_internal_gemmt_kernelIiLi16ELi32ELi8ELc78ELc67ELc85ELb0ELb1E19rocblas_complex_numIfES1_PKPKS1_PKPS1_EviT_T9_T10_S9_lSB_S9_lSA_T11_S9_li,"axG",@progbits,_ZL29rocblas_internal_gemmt_kernelIiLi16ELi32ELi8ELc78ELc67ELc85ELb0ELb1E19rocblas_complex_numIfES1_PKPKS1_PKPS1_EviT_T9_T10_S9_lSB_S9_lSA_T11_S9_li,comdat
	.globl	_ZL29rocblas_internal_gemmt_kernelIiLi16ELi32ELi8ELc78ELc67ELc85ELb0ELb1E19rocblas_complex_numIfES1_PKPKS1_PKPS1_EviT_T9_T10_S9_lSB_S9_lSA_T11_S9_li ; -- Begin function _ZL29rocblas_internal_gemmt_kernelIiLi16ELi32ELi8ELc78ELc67ELc85ELb0ELb1E19rocblas_complex_numIfES1_PKPKS1_PKPS1_EviT_T9_T10_S9_lSB_S9_lSA_T11_S9_li
	.p2align	8
	.type	_ZL29rocblas_internal_gemmt_kernelIiLi16ELi32ELi8ELc78ELc67ELc85ELb0ELb1E19rocblas_complex_numIfES1_PKPKS1_PKPS1_EviT_T9_T10_S9_lSB_S9_lSA_T11_S9_li,@function
_ZL29rocblas_internal_gemmt_kernelIiLi16ELi32ELi8ELc78ELc67ELc85ELb0ELb1E19rocblas_complex_numIfES1_PKPKS1_PKPS1_EviT_T9_T10_S9_lSB_S9_lSA_T11_S9_li: ; @_ZL29rocblas_internal_gemmt_kernelIiLi16ELi32ELi8ELc78ELc67ELc85ELb0ELb1E19rocblas_complex_numIfES1_PKPKS1_PKPS1_EviT_T9_T10_S9_lSB_S9_lSA_T11_S9_li
; %bb.0:
	s_clause 0x1
	s_load_b64 s[20:21], s[0:1], 0x40
	s_load_b128 s[4:7], s[0:1], 0x0
	s_wait_kmcnt 0x0
	s_cmp_eq_f32 s20, 1.0
	s_cselect_b32 s3, -1, 0
	s_and_b32 s2, s21, 0x7fffffff
	s_delay_alu instid0(SALU_CYCLE_1) | instskip(SKIP_1) | instid1(SALU_CYCLE_1)
	s_cmp_eq_u32 s2, 0
	s_cselect_b32 s2, -1, 0
	s_and_b32 s8, s3, s2
	s_mov_b32 s3, 0
	s_and_not1_b32 vcc_lo, exec_lo, s8
	s_mov_b32 s8, -1
	s_cbranch_vccnz .LBB380_4
; %bb.1:
	s_cmp_lg_u32 s5, 0
	s_cbranch_scc0 .LBB380_3
; %bb.2:
	s_cmp_neq_f32 s6, 0
	s_cselect_b32 s3, -1, 0
	s_cmp_neq_f32 s7, 0
	s_cselect_b32 s8, -1, 0
	s_delay_alu instid0(SALU_CYCLE_1)
	s_or_b32 s3, s3, s8
.LBB380_3:
	s_delay_alu instid0(SALU_CYCLE_1)
	s_mov_b32 s8, s3
.LBB380_4:
	s_delay_alu instid0(SALU_CYCLE_1)
	s_and_b32 vcc_lo, exec_lo, s8
	s_cbranch_vccz .LBB380_39
; %bb.5:
	s_load_b32 s19, s[0:1], 0x60
	s_lshr_b32 s22, ttmp7, 16
	s_wait_kmcnt 0x0
	s_cmp_ge_u32 s22, s19
	s_cbranch_scc1 .LBB380_39
; %bb.6:
	s_clause 0x1
	s_load_b96 s[12:14], s[0:1], 0x10
	s_load_b32 s24, s[0:1], 0x30
	v_and_b32_e32 v1, 0x3ff, v0
	v_bfe_u32 v2, v0, 10, 10
	s_clause 0x3
	s_load_b128 s[8:11], s[0:1], 0x20
	s_load_b64 s[28:29], s[0:1], 0x38
	s_load_b96 s[16:18], s[0:1], 0x48
	s_load_b64 s[26:27], s[0:1], 0x58
	s_lshl_b32 s0, ttmp7, 5
	s_lshl_b32 s1, ttmp9, 5
	s_and_b32 s3, s0, 0x1fffe0
	v_and_b32_e32 v16, 7, v0
	v_lshl_add_u32 v0, v2, 4, v1
	v_add_nc_u32_e32 v6, s1, v1
	v_lshlrev_b32_e32 v20, 3, v1
	v_add_nc_u32_e32 v1, s3, v2
	v_lshlrev_b32_e32 v3, 3, v16
	v_and_b32_e32 v4, 31, v0
	v_lshrrev_b32_e32 v5, 3, v0
	v_lshrrev_b32_e32 v17, 5, v0
	v_add_nc_u32_e32 v8, 16, v6
	v_lshl_add_u32 v21, v2, 6, 0x800
	v_or_b32_e32 v0, s1, v4
	s_wait_kmcnt 0x0
	s_ashr_i32 s35, s14, 31
	s_ashr_i32 s25, s24, 31
	s_cmp_neq_f32 s6, 0
	v_lshlrev_b32_e32 v4, 3, v4
	v_lshl_or_b32 v3, v5, 6, v3
	v_add_nc_u32_e32 v14, s3, v5
	s_cselect_b32 s0, -1, 0
	s_cmp_neq_f32 s7, 0
	v_lshl_or_b32 v18, v17, 8, v4
	v_mad_co_i64_i32 v[4:5], null, v17, s14, 0
	s_cselect_b32 s15, -1, 0
	v_add_nc_u32_e32 v19, 0x800, v3
	s_wait_alu 0xfffe
	s_or_b32 s15, s0, s15
	s_cmp_gt_i32 s5, 0
	v_cmp_gt_i32_e64 s1, s4, v1
	s_cselect_b32 s33, -1, 0
	s_cmp_neq_f32 s20, 0
	v_cmp_le_i32_e64 s3, v8, v1
	v_mad_co_i64_i32 v[2:3], null, v1, s18, 0
	s_cselect_b32 s36, -1, 0
	s_xor_b32 s37, s2, -1
	v_cmp_le_i32_e64 s2, v6, v1
	v_add_nc_u32_e32 v1, 16, v1
	v_mad_co_i64_i32 v[10:11], null, s24, v16, 0
	s_and_b32 s31, s1, s3
	s_and_b32 s30, s1, s2
	v_cmp_gt_i32_e64 s1, s4, v1
	v_cmp_le_i32_e64 s2, v6, v1
	v_cmp_le_i32_e64 s3, v8, v1
	v_lshlrev_b64_e32 v[4:5], 3, v[4:5]
	v_mad_co_i64_i32 v[12:13], null, v1, s18, 0
	v_ashrrev_i32_e32 v1, 31, v0
	v_cmp_gt_i32_e32 vcc_lo, s4, v0
	v_cmp_gt_i32_e64 s0, s4, v14
	s_and_b32 s4, s1, s2
	s_and_b32 s18, s1, s3
	s_lshl_b64 s[2:3], s[8:9], 3
	v_lshlrev_b64_e32 v[10:11], 3, v[10:11]
	s_wait_alu 0xfffe
	v_add_co_u32 v4, s1, v4, s2
	v_lshlrev_b64_e32 v[0:1], 3, v[0:1]
	s_wait_alu 0xf1ff
	v_add_co_ci_u32_e64 v5, null, s3, v5, s1
	s_lshl_b64 s[2:3], s[28:29], 3
	v_lshlrev_b32_e32 v14, 3, v14
	s_wait_alu 0xfffe
	v_add_co_u32 v10, s1, v10, s2
	v_add_co_u32 v22, s2, v4, v0
	v_ashrrev_i32_e32 v7, 31, v6
	v_ashrrev_i32_e32 v9, 31, v8
	s_wait_alu 0xf1ff
	v_add_co_ci_u32_e64 v23, null, v5, v1, s2
	v_add_co_ci_u32_e64 v1, null, s3, v11, s1
	v_add_co_u32 v4, s1, v10, v14
	v_lshlrev_b64_e32 v[2:3], 3, v[2:3]
	v_lshlrev_b64_e32 v[6:7], 3, v[6:7]
	;; [unrolled: 1-line block ×3, first 2 shown]
	s_delay_alu instid0(VALU_DEP_4)
	v_or_b32_e32 v25, 4, v4
	v_lshlrev_b64_e32 v[4:5], 3, v[12:13]
	v_mov_b32_e32 v0, 0
	s_wait_alu 0xf1ff
	v_add_co_ci_u32_e64 v24, null, 0, v1, s1
	s_mov_b32 s34, s14
	s_mov_b32 s23, 0
	s_lshl_b64 s[2:3], s[34:35], 6
	s_lshl_b64 s[8:9], s[24:25], 6
	s_and_b32 s24, s15, s33
	s_or_b32 s25, s36, s37
	s_xor_b32 s28, vcc_lo, -1
	s_xor_b32 s29, s0, -1
	s_lshl_b64 s[0:1], s[26:27], 3
	s_branch .LBB380_8
.LBB380_7:                              ;   in Loop: Header=BB380_8 Depth=1
	s_wait_alu 0xfffe
	s_or_b32 exec_lo, exec_lo, s14
	s_add_co_i32 s22, s22, 0x10000
	s_delay_alu instid0(SALU_CYCLE_1)
	s_cmp_lt_u32 s22, s19
	s_cbranch_scc0 .LBB380_39
.LBB380_8:                              ; =>This Loop Header: Depth=1
                                        ;     Child Loop BB380_11 Depth 2
	s_lshl_b64 s[14:15], s[22:23], 3
	v_dual_mov_b32 v33, v0 :: v_dual_mov_b32 v32, v0
	s_wait_alu 0xfffe
	s_add_nc_u64 s[26:27], s[16:17], s[14:15]
	v_dual_mov_b32 v30, v0 :: v_dual_mov_b32 v31, v0
	global_load_b64 v[10:11], v0, s[26:27]
	v_dual_mov_b32 v28, v0 :: v_dual_mov_b32 v29, v0
	v_dual_mov_b32 v27, v0 :: v_dual_mov_b32 v26, v0
	s_and_not1_b32 vcc_lo, exec_lo, s24
	s_wait_alu 0xfffe
	s_cbranch_vccnz .LBB380_19
; %bb.9:                                ;   in Loop: Header=BB380_8 Depth=1
	s_add_nc_u64 s[26:27], s[12:13], s[14:15]
	s_add_nc_u64 s[14:15], s[10:11], s[14:15]
	s_clause 0x1
	global_load_b64 v[12:13], v0, s[26:27]
	global_load_b64 v[14:15], v0, s[14:15]
	v_dual_mov_b32 v26, 0 :: v_dual_mov_b32 v27, 0
	v_dual_mov_b32 v29, 0 :: v_dual_mov_b32 v28, 0
	;; [unrolled: 1-line block ×4, first 2 shown]
	s_mov_b32 s14, 0
	s_wait_loadcnt 0x1
	v_add_co_u32 v12, vcc_lo, v12, v22
	s_wait_alu 0xfffd
	v_add_co_ci_u32_e64 v13, null, v13, v23, vcc_lo
	s_wait_loadcnt 0x0
	v_add_co_u32 v14, vcc_lo, v14, v25
	s_wait_alu 0xfffd
	v_add_co_ci_u32_e64 v15, null, v15, v24, vcc_lo
	s_branch .LBB380_11
.LBB380_10:                             ;   in Loop: Header=BB380_11 Depth=2
	s_or_b32 exec_lo, exec_lo, s15
	ds_store_b32 v19, v1 offset:4
	s_wait_dscnt 0x0
	s_barrier_signal -1
	s_barrier_wait -1
	global_inv scope:SCOPE_SE
	ds_load_b128 v[34:37], v21
	ds_load_2addr_b64 v[38:41], v20 offset1:16
	ds_load_b128 v[42:45], v21 offset:1024
	ds_load_b128 v[46:49], v21 offset:16
	;; [unrolled: 1-line block ×4, first 2 shown]
	ds_load_2addr_b64 v[58:61], v20 offset0:32 offset1:48
	ds_load_b128 v[62:65], v21 offset:1040
	v_add_co_u32 v12, vcc_lo, v12, s2
	s_wait_alu 0xfffd
	v_add_co_ci_u32_e64 v13, null, s3, v13, vcc_lo
	v_add_co_u32 v14, vcc_lo, v14, s8
	s_wait_alu 0xfffd
	v_add_co_ci_u32_e64 v15, null, s9, v15, vcc_lo
	s_add_co_i32 s14, s14, 8
	s_wait_alu 0xfffe
	s_cmp_lt_i32 s14, s5
	s_wait_dscnt 0x6
	v_dual_mul_f32 v1, v35, v39 :: v_dual_mul_f32 v68, v34, v41
	v_dual_mul_f32 v66, v34, v39 :: v_dual_mul_f32 v67, v35, v41
	s_wait_dscnt 0x5
	v_mul_f32_e32 v70, v43, v41
	s_delay_alu instid0(VALU_DEP_3) | instskip(SKIP_3) | instid1(VALU_DEP_4)
	v_fma_f32 v1, v34, v38, -v1
	v_dual_mul_f32 v41, v42, v41 :: v_dual_fmac_f32 v68, v35, v40
	v_fmac_f32_e32 v66, v35, v38
	v_fma_f32 v34, v34, v40, -v67
	v_add_f32_e32 v1, v33, v1
	v_mul_f32_e32 v69, v43, v39
	s_delay_alu instid0(VALU_DEP_4) | instskip(NEXT) | instid1(VALU_DEP_4)
	v_dual_mul_f32 v39, v42, v39 :: v_dual_add_f32 v32, v32, v66
	v_add_f32_e32 v33, v30, v34
	v_fma_f32 v30, v42, v40, -v70
	s_delay_alu instid0(VALU_DEP_4) | instskip(NEXT) | instid1(VALU_DEP_4)
	v_fma_f32 v35, v42, v38, -v69
	v_fmac_f32_e32 v39, v43, v38
	s_wait_dscnt 0x1
	v_dual_add_f32 v31, v31, v68 :: v_dual_mul_f32 v38, v37, v59
	v_dual_fmac_f32 v41, v43, v40 :: v_dual_mul_f32 v42, v37, v61
	v_add_f32_e32 v34, v28, v35
	v_add_f32_e32 v35, v29, v39
	v_dual_add_f32 v39, v27, v30 :: v_dual_mul_f32 v40, v36, v59
	ds_load_2addr_b64 v[27:30], v20 offset0:64 offset1:80
	v_fma_f32 v38, v36, v58, -v38
	v_add_f32_e32 v26, v26, v41
	v_dual_mul_f32 v41, v36, v61 :: v_dual_fmac_f32 v40, v37, v58
	v_fma_f32 v36, v36, v60, -v42
	s_delay_alu instid0(VALU_DEP_4) | instskip(SKIP_1) | instid1(VALU_DEP_4)
	v_add_f32_e32 v1, v1, v38
	v_mul_f32_e32 v38, v45, v59
	v_fmac_f32_e32 v41, v37, v60
	v_add_f32_e32 v40, v32, v40
	v_mul_f32_e32 v32, v44, v59
	v_add_f32_e32 v36, v33, v36
	v_fma_f32 v33, v44, v58, -v38
	v_mul_f32_e32 v37, v45, v61
	v_add_f32_e32 v38, v31, v41
	v_dual_mul_f32 v41, v44, v61 :: v_dual_fmac_f32 v32, v45, v58
	s_delay_alu instid0(VALU_DEP_4) | instskip(NEXT) | instid1(VALU_DEP_4)
	v_add_f32_e32 v42, v34, v33
	v_fma_f32 v31, v44, v60, -v37
	s_wait_dscnt 0x0
	v_mul_f32_e32 v33, v47, v28
	v_fmac_f32_e32 v41, v45, v60
	v_add_f32_e32 v35, v35, v32
	v_add_f32_e32 v39, v39, v31
	v_mul_f32_e32 v44, v47, v30
	v_fma_f32 v43, v46, v27, -v33
	ds_load_2addr_b64 v[31:34], v20 offset0:96 offset1:112
	v_add_f32_e32 v41, v26, v41
	v_mul_f32_e32 v26, v46, v30
	v_mul_f32_e32 v37, v46, v28
	v_add_f32_e32 v1, v1, v43
	v_fma_f32 v43, v46, v29, -v44
	s_delay_alu instid0(VALU_DEP_4) | instskip(NEXT) | instid1(VALU_DEP_4)
	v_fmac_f32_e32 v26, v47, v29
	v_fmac_f32_e32 v37, v47, v27
	s_delay_alu instid0(VALU_DEP_3) | instskip(NEXT) | instid1(VALU_DEP_2)
	v_dual_add_f32 v36, v36, v43 :: v_dual_mul_f32 v43, v63, v30
	v_dual_mul_f32 v30, v62, v30 :: v_dual_add_f32 v37, v40, v37
	v_mul_f32_e32 v40, v63, v28
	v_mul_f32_e32 v28, v62, v28
	v_add_f32_e32 v44, v38, v26
	v_fma_f32 v26, v62, v29, -v43
	s_delay_alu instid0(VALU_DEP_4) | instskip(SKIP_2) | instid1(VALU_DEP_3)
	v_fma_f32 v40, v62, v27, -v40
	s_wait_dscnt 0x0
	v_dual_fmac_f32 v28, v63, v27 :: v_dual_mul_f32 v43, v49, v34
	v_add_f32_e32 v39, v39, v26
	s_delay_alu instid0(VALU_DEP_3) | instskip(NEXT) | instid1(VALU_DEP_3)
	v_dual_mul_f32 v47, v65, v34 :: v_dual_add_f32 v40, v42, v40
	v_add_f32_e32 v42, v35, v28
	v_mul_f32_e32 v35, v49, v32
	v_fma_f32 v43, v48, v33, -v43
	s_delay_alu instid0(VALU_DEP_2)
	v_fma_f32 v35, v48, v31, -v35
	v_fmac_f32_e32 v30, v63, v29
	ds_load_2addr_b64 v[26:29], v20 offset0:128 offset1:144
	v_add_f32_e32 v43, v36, v43
	v_dual_add_f32 v1, v1, v35 :: v_dual_mul_f32 v38, v48, v32
	v_add_f32_e32 v41, v41, v30
	v_dual_mul_f32 v30, v48, v34 :: v_dual_mul_f32 v35, v65, v32
	v_mul_f32_e32 v32, v64, v32
	v_mul_f32_e32 v34, v64, v34
	s_delay_alu instid0(VALU_DEP_3) | instskip(NEXT) | instid1(VALU_DEP_4)
	v_fmac_f32_e32 v30, v49, v33
	v_fma_f32 v46, v64, v31, -v35
	s_delay_alu instid0(VALU_DEP_4) | instskip(SKIP_1) | instid1(VALU_DEP_4)
	v_fmac_f32_e32 v32, v65, v31
	v_fmac_f32_e32 v38, v49, v31
	v_add_f32_e32 v44, v44, v30
	v_fma_f32 v30, v64, v33, -v47
	s_wait_dscnt 0x0
	v_mul_f32_e32 v49, v50, v27
	v_dual_mul_f32 v31, v51, v27 :: v_dual_mul_f32 v58, v50, v29
	s_delay_alu instid0(VALU_DEP_2)
	v_fmac_f32_e32 v49, v51, v26
	v_add_f32_e32 v47, v42, v32
	v_add_f32_e32 v45, v37, v38
	ds_load_b128 v[35:38], v21 offset:1056
	v_fmac_f32_e32 v34, v65, v33
	v_add_f32_e32 v48, v39, v30
	v_fma_f32 v39, v50, v26, -v31
	v_add_f32_e32 v46, v40, v46
	ds_load_2addr_b64 v[30:33], v20 offset0:160 offset1:176
	v_mul_f32_e32 v40, v51, v29
	v_add_f32_e32 v34, v41, v34
	v_add_f32_e32 v1, v1, v39
	;; [unrolled: 1-line block ×3, first 2 shown]
	s_delay_alu instid0(VALU_DEP_4)
	v_fma_f32 v50, v50, v28, -v40
	ds_load_b128 v[39:42], v21 offset:1072
	v_add_f32_e32 v43, v43, v50
	s_wait_dscnt 0x2
	v_mul_f32_e32 v59, v36, v27
	v_mul_f32_e32 v27, v35, v27
	v_fmac_f32_e32 v58, v51, v28
	v_mul_f32_e32 v50, v36, v29
	v_mul_f32_e32 v51, v35, v29
	v_fma_f32 v49, v35, v26, -v59
	v_fmac_f32_e32 v27, v36, v26
	s_wait_dscnt 0x1
	v_dual_add_f32 v44, v44, v58 :: v_dual_mul_f32 v29, v53, v31
	v_fma_f32 v26, v35, v28, -v50
	v_fmac_f32_e32 v51, v36, v28
	v_mul_f32_e32 v36, v52, v31
	v_dual_add_f32 v46, v46, v49 :: v_dual_add_f32 v35, v47, v27
	v_mul_f32_e32 v49, v53, v33
	s_delay_alu instid0(VALU_DEP_3)
	v_fmac_f32_e32 v36, v53, v30
	v_dual_add_f32 v47, v48, v26 :: v_dual_add_f32 v50, v34, v51
	v_fma_f32 v48, v52, v30, -v29
	ds_load_2addr_b64 v[26:29], v20 offset0:192 offset1:208
	v_dual_mul_f32 v34, v52, v33 :: v_dual_add_f32 v45, v45, v36
	v_dual_mul_f32 v36, v38, v31 :: v_dual_add_f32 v1, v1, v48
	v_fma_f32 v48, v52, v32, -v49
	v_mul_f32_e32 v31, v37, v31
	s_delay_alu instid0(VALU_DEP_3) | instskip(NEXT) | instid1(VALU_DEP_3)
	v_fma_f32 v36, v37, v30, -v36
	v_dual_add_f32 v43, v43, v48 :: v_dual_mul_f32 v48, v38, v33
	s_delay_alu instid0(VALU_DEP_3) | instskip(NEXT) | instid1(VALU_DEP_1)
	v_dual_fmac_f32 v34, v53, v32 :: v_dual_fmac_f32 v31, v38, v30
	v_dual_mul_f32 v33, v37, v33 :: v_dual_add_f32 v30, v44, v34
	s_delay_alu instid0(VALU_DEP_3) | instskip(NEXT) | instid1(VALU_DEP_3)
	v_fma_f32 v34, v37, v32, -v48
	v_dual_add_f32 v44, v46, v36 :: v_dual_add_f32 v31, v35, v31
	s_wait_dscnt 0x0
	v_mul_f32_e32 v48, v54, v29
	v_dual_mul_f32 v46, v55, v27 :: v_dual_fmac_f32 v33, v38, v32
	v_add_f32_e32 v32, v47, v34
	ds_load_2addr_b64 v[34:37], v20 offset0:224 offset1:240
	v_dual_mul_f32 v38, v54, v27 :: v_dual_mul_f32 v47, v55, v29
	v_fma_f32 v46, v54, v26, -v46
	v_dual_fmac_f32 v48, v55, v28 :: v_dual_add_f32 v33, v50, v33
	s_delay_alu instid0(VALU_DEP_3) | instskip(NEXT) | instid1(VALU_DEP_4)
	v_fmac_f32_e32 v38, v55, v26
	v_fma_f32 v47, v54, v28, -v47
	s_delay_alu instid0(VALU_DEP_4) | instskip(SKIP_2) | instid1(VALU_DEP_3)
	v_dual_add_f32 v1, v1, v46 :: v_dual_mul_f32 v46, v40, v27
	v_mul_f32_e32 v27, v39, v27
	s_wait_loadcnt_dscnt 0x0
	v_add_f32_e32 v43, v43, v47
	v_dual_add_f32 v47, v30, v48 :: v_dual_add_f32 v38, v45, v38
	v_fma_f32 v45, v39, v26, -v46
	v_mul_f32_e32 v46, v40, v29
	v_fmac_f32_e32 v27, v40, v26
	v_mul_f32_e32 v29, v39, v29
	s_barrier_signal -1
	v_add_f32_e32 v26, v44, v45
	v_fma_f32 v30, v39, v28, -v46
	v_mul_f32_e32 v39, v57, v35
	v_mul_f32_e32 v44, v56, v35
	v_fmac_f32_e32 v29, v40, v28
	s_delay_alu instid0(VALU_DEP_4) | instskip(NEXT) | instid1(VALU_DEP_4)
	v_dual_add_f32 v27, v31, v27 :: v_dual_add_f32 v40, v32, v30
	v_fma_f32 v28, v56, v34, -v39
	s_delay_alu instid0(VALU_DEP_4) | instskip(NEXT) | instid1(VALU_DEP_4)
	v_fmac_f32_e32 v44, v57, v34
	v_add_f32_e32 v39, v33, v29
	v_mul_f32_e32 v31, v56, v37
	s_barrier_wait -1
	v_dual_add_f32 v33, v1, v28 :: v_dual_mul_f32 v28, v42, v35
	v_mul_f32_e32 v29, v41, v35
	v_mul_f32_e32 v30, v57, v37
	v_mul_f32_e32 v35, v42, v37
	v_dual_mul_f32 v37, v41, v37 :: v_dual_add_f32 v32, v38, v44
	s_delay_alu instid0(VALU_DEP_4) | instskip(NEXT) | instid1(VALU_DEP_4)
	v_fmac_f32_e32 v29, v42, v34
	v_fma_f32 v1, v56, v36, -v30
	global_inv scope:SCOPE_SE
	v_fmac_f32_e32 v37, v42, v36
	v_add_f32_e32 v29, v27, v29
	v_add_f32_e32 v30, v43, v1
	v_fma_f32 v1, v41, v34, -v28
	v_fmac_f32_e32 v31, v57, v36
	v_fma_f32 v34, v41, v36, -v35
	s_delay_alu instid0(VALU_DEP_2) | instskip(NEXT) | instid1(VALU_DEP_2)
	v_dual_add_f32 v28, v26, v1 :: v_dual_add_f32 v31, v47, v31
	v_dual_add_f32 v27, v40, v34 :: v_dual_add_f32 v26, v39, v37
	s_cbranch_scc0 .LBB380_19
.LBB380_11:                             ;   Parent Loop BB380_8 Depth=1
                                        ; =>  This Inner Loop Header: Depth=2
	s_wait_alu 0xfffe
	v_add_nc_u32_e32 v1, s14, v17
	s_delay_alu instid0(VALU_DEP_1) | instskip(SKIP_3) | instid1(SALU_CYCLE_1)
	v_cmp_le_i32_e32 vcc_lo, s5, v1
	s_or_b32 s15, s28, vcc_lo
	s_wait_alu 0xfffe
	s_and_saveexec_b32 s26, s15
	s_xor_b32 s15, exec_lo, s26
; %bb.12:                               ;   in Loop: Header=BB380_11 Depth=2
	v_mov_b32_e32 v1, v0
	ds_store_b64 v18, v[0:1]
; %bb.13:                               ;   in Loop: Header=BB380_11 Depth=2
	s_wait_alu 0xfffe
	s_and_not1_saveexec_b32 s15, s15
	s_cbranch_execz .LBB380_15
; %bb.14:                               ;   in Loop: Header=BB380_11 Depth=2
	flat_load_b64 v[34:35], v[12:13]
	s_wait_loadcnt_dscnt 0x0
	ds_store_b64 v18, v[34:35]
.LBB380_15:                             ;   in Loop: Header=BB380_11 Depth=2
	s_wait_alu 0xfffe
	s_or_b32 exec_lo, exec_lo, s15
	v_add_nc_u32_e32 v1, s14, v16
	s_delay_alu instid0(VALU_DEP_1) | instskip(SKIP_3) | instid1(SALU_CYCLE_1)
	v_cmp_le_i32_e32 vcc_lo, s5, v1
	s_or_b32 s15, vcc_lo, s29
	s_wait_alu 0xfffe
	s_and_saveexec_b32 s26, s15
	s_xor_b32 s15, exec_lo, s26
; %bb.16:                               ;   in Loop: Header=BB380_11 Depth=2
	ds_store_b32 v19, v0
; %bb.17:                               ;   in Loop: Header=BB380_11 Depth=2
	s_wait_alu 0xfffe
	s_or_saveexec_b32 s15, s15
	v_mov_b32_e32 v1, 0
	s_wait_alu 0xfffe
	s_xor_b32 exec_lo, exec_lo, s15
	s_cbranch_execz .LBB380_10
; %bb.18:                               ;   in Loop: Header=BB380_11 Depth=2
	flat_load_b64 v[34:35], v[14:15] offset:-4
	s_wait_loadcnt_dscnt 0x0
	v_xor_b32_e32 v1, 0x80000000, v35
	ds_store_b32 v19, v34
	s_branch .LBB380_10
.LBB380_19:                             ;   in Loop: Header=BB380_8 Depth=1
	s_wait_loadcnt 0x0
	v_add_co_u32 v1, vcc_lo, v10, s0
	s_wait_alu 0xfffd
	v_add_co_ci_u32_e64 v12, null, s1, v11, vcc_lo
	s_delay_alu instid0(VALU_DEP_2) | instskip(SKIP_1) | instid1(VALU_DEP_2)
	v_add_co_u32 v13, vcc_lo, v1, v2
	s_wait_alu 0xfffd
	v_add_co_ci_u32_e64 v14, null, v12, v3, vcc_lo
	s_and_saveexec_b32 s14, s30
	s_cbranch_execz .LBB380_24
; %bb.20:                               ;   in Loop: Header=BB380_8 Depth=1
	v_mul_f32_e32 v11, s6, v32
	v_mul_f32_e32 v10, s7, v32
	s_and_b32 vcc_lo, exec_lo, s25
	s_mov_b32 s15, -1
	s_delay_alu instid0(VALU_DEP_2) | instskip(NEXT) | instid1(VALU_DEP_2)
	v_fmac_f32_e32 v11, s7, v33
	v_fma_f32 v10, v33, s6, -v10
	s_wait_alu 0xfffe
	s_cbranch_vccz .LBB380_22
; %bb.21:                               ;   in Loop: Header=BB380_8 Depth=1
	v_add_co_u32 v32, vcc_lo, v13, v6
	s_wait_alu 0xfffd
	v_add_co_ci_u32_e64 v33, null, v14, v7, vcc_lo
	s_mov_b32 s15, 0
	flat_load_b64 v[34:35], v[32:33]
	s_wait_loadcnt_dscnt 0x0
	v_mul_f32_e32 v15, s21, v35
	v_mul_f32_e32 v35, s20, v35
	s_delay_alu instid0(VALU_DEP_2) | instskip(NEXT) | instid1(VALU_DEP_1)
	v_fma_f32 v15, v34, s20, -v15
	v_dual_fmac_f32 v35, s21, v34 :: v_dual_add_f32 v34, v10, v15
	s_delay_alu instid0(VALU_DEP_1)
	v_add_f32_e32 v35, v11, v35
	flat_store_b64 v[32:33], v[34:35]
.LBB380_22:                             ;   in Loop: Header=BB380_8 Depth=1
	s_wait_alu 0xfffe
	s_and_not1_b32 vcc_lo, exec_lo, s15
	s_wait_alu 0xfffe
	s_cbranch_vccnz .LBB380_24
; %bb.23:                               ;   in Loop: Header=BB380_8 Depth=1
	v_add_co_u32 v32, vcc_lo, v13, v6
	s_wait_alu 0xfffd
	v_add_co_ci_u32_e64 v33, null, v14, v7, vcc_lo
	flat_store_b64 v[32:33], v[10:11]
.LBB380_24:                             ;   in Loop: Header=BB380_8 Depth=1
	s_wait_alu 0xfffe
	s_or_b32 exec_lo, exec_lo, s14
	s_and_saveexec_b32 s14, s31
	s_cbranch_execz .LBB380_29
; %bb.25:                               ;   in Loop: Header=BB380_8 Depth=1
	v_mul_f32_e32 v11, s6, v31
	v_mul_f32_e32 v10, s7, v31
	s_and_not1_b32 vcc_lo, exec_lo, s25
	s_mov_b32 s15, -1
	s_delay_alu instid0(VALU_DEP_2) | instskip(NEXT) | instid1(VALU_DEP_2)
	v_fmac_f32_e32 v11, s7, v30
	v_fma_f32 v10, v30, s6, -v10
	s_wait_alu 0xfffe
	s_cbranch_vccnz .LBB380_27
; %bb.26:                               ;   in Loop: Header=BB380_8 Depth=1
	v_add_co_u32 v30, vcc_lo, v13, v8
	s_wait_alu 0xfffd
	v_add_co_ci_u32_e64 v31, null, v14, v9, vcc_lo
	s_mov_b32 s15, 0
	flat_load_b64 v[32:33], v[30:31]
	s_wait_loadcnt_dscnt 0x0
	v_mul_f32_e32 v15, s21, v33
	s_delay_alu instid0(VALU_DEP_1) | instskip(SKIP_1) | instid1(VALU_DEP_1)
	v_fma_f32 v15, v32, s20, -v15
	v_mul_f32_e32 v33, s20, v33
	v_dual_fmac_f32 v33, s21, v32 :: v_dual_add_f32 v32, v10, v15
	s_delay_alu instid0(VALU_DEP_1)
	v_add_f32_e32 v33, v11, v33
	flat_store_b64 v[30:31], v[32:33]
.LBB380_27:                             ;   in Loop: Header=BB380_8 Depth=1
	s_wait_alu 0xfffe
	s_and_not1_b32 vcc_lo, exec_lo, s15
	s_wait_alu 0xfffe
	s_cbranch_vccnz .LBB380_29
; %bb.28:                               ;   in Loop: Header=BB380_8 Depth=1
	v_add_co_u32 v13, vcc_lo, v13, v8
	s_wait_alu 0xfffd
	v_add_co_ci_u32_e64 v14, null, v14, v9, vcc_lo
	flat_store_b64 v[13:14], v[10:11]
.LBB380_29:                             ;   in Loop: Header=BB380_8 Depth=1
	s_wait_alu 0xfffe
	s_or_b32 exec_lo, exec_lo, s14
	v_add_co_u32 v1, vcc_lo, v1, v4
	s_wait_alu 0xfffd
	v_add_co_ci_u32_e64 v12, null, v12, v5, vcc_lo
	s_and_saveexec_b32 s14, s4
	s_cbranch_execz .LBB380_34
; %bb.30:                               ;   in Loop: Header=BB380_8 Depth=1
	v_mul_f32_e32 v11, s6, v29
	v_mul_f32_e32 v10, s7, v29
	s_and_not1_b32 vcc_lo, exec_lo, s25
	s_mov_b32 s15, -1
	s_delay_alu instid0(VALU_DEP_2) | instskip(NEXT) | instid1(VALU_DEP_2)
	v_fmac_f32_e32 v11, s7, v28
	v_fma_f32 v10, v28, s6, -v10
	s_wait_alu 0xfffe
	s_cbranch_vccnz .LBB380_32
; %bb.31:                               ;   in Loop: Header=BB380_8 Depth=1
	v_add_co_u32 v13, vcc_lo, v1, v6
	s_wait_alu 0xfffd
	v_add_co_ci_u32_e64 v14, null, v12, v7, vcc_lo
	s_mov_b32 s15, 0
	flat_load_b64 v[28:29], v[13:14]
	s_wait_loadcnt_dscnt 0x0
	v_mul_f32_e32 v15, s21, v29
	s_delay_alu instid0(VALU_DEP_1) | instskip(SKIP_1) | instid1(VALU_DEP_1)
	v_fma_f32 v15, v28, s20, -v15
	v_mul_f32_e32 v29, s20, v29
	v_dual_fmac_f32 v29, s21, v28 :: v_dual_add_f32 v28, v10, v15
	s_delay_alu instid0(VALU_DEP_1)
	v_add_f32_e32 v29, v11, v29
	flat_store_b64 v[13:14], v[28:29]
.LBB380_32:                             ;   in Loop: Header=BB380_8 Depth=1
	s_wait_alu 0xfffe
	s_and_not1_b32 vcc_lo, exec_lo, s15
	s_wait_alu 0xfffe
	s_cbranch_vccnz .LBB380_34
; %bb.33:                               ;   in Loop: Header=BB380_8 Depth=1
	v_add_co_u32 v13, vcc_lo, v1, v6
	s_wait_alu 0xfffd
	v_add_co_ci_u32_e64 v14, null, v12, v7, vcc_lo
	flat_store_b64 v[13:14], v[10:11]
.LBB380_34:                             ;   in Loop: Header=BB380_8 Depth=1
	s_wait_alu 0xfffe
	s_or_b32 exec_lo, exec_lo, s14
	s_and_saveexec_b32 s14, s18
	s_cbranch_execz .LBB380_7
; %bb.35:                               ;   in Loop: Header=BB380_8 Depth=1
	v_mul_f32_e32 v11, s6, v26
	v_mul_f32_e32 v10, s7, v26
	s_and_not1_b32 vcc_lo, exec_lo, s25
	s_mov_b32 s15, -1
	s_delay_alu instid0(VALU_DEP_2) | instskip(NEXT) | instid1(VALU_DEP_2)
	v_fmac_f32_e32 v11, s7, v27
	v_fma_f32 v10, v27, s6, -v10
	s_wait_alu 0xfffe
	s_cbranch_vccnz .LBB380_37
; %bb.36:                               ;   in Loop: Header=BB380_8 Depth=1
	v_add_co_u32 v13, vcc_lo, v1, v8
	s_wait_alu 0xfffd
	v_add_co_ci_u32_e64 v14, null, v12, v9, vcc_lo
	s_mov_b32 s15, 0
	flat_load_b64 v[26:27], v[13:14]
	s_wait_loadcnt_dscnt 0x0
	v_mul_f32_e32 v15, s21, v27
	v_mul_f32_e32 v27, s20, v27
	s_delay_alu instid0(VALU_DEP_2) | instskip(NEXT) | instid1(VALU_DEP_1)
	v_fma_f32 v15, v26, s20, -v15
	v_dual_fmac_f32 v27, s21, v26 :: v_dual_add_f32 v26, v10, v15
	s_delay_alu instid0(VALU_DEP_1)
	v_add_f32_e32 v27, v11, v27
	flat_store_b64 v[13:14], v[26:27]
.LBB380_37:                             ;   in Loop: Header=BB380_8 Depth=1
	s_wait_alu 0xfffe
	s_and_not1_b32 vcc_lo, exec_lo, s15
	s_wait_alu 0xfffe
	s_cbranch_vccnz .LBB380_7
; %bb.38:                               ;   in Loop: Header=BB380_8 Depth=1
	v_add_co_u32 v13, vcc_lo, v1, v8
	s_wait_alu 0xfffd
	v_add_co_ci_u32_e64 v14, null, v12, v9, vcc_lo
	flat_store_b64 v[13:14], v[10:11]
	s_branch .LBB380_7
.LBB380_39:
	s_endpgm
	.section	.rodata,"a",@progbits
	.p2align	6, 0x0
	.amdhsa_kernel _ZL29rocblas_internal_gemmt_kernelIiLi16ELi32ELi8ELc78ELc67ELc85ELb0ELb1E19rocblas_complex_numIfES1_PKPKS1_PKPS1_EviT_T9_T10_S9_lSB_S9_lSA_T11_S9_li
		.amdhsa_group_segment_fixed_size 4096
		.amdhsa_private_segment_fixed_size 0
		.amdhsa_kernarg_size 100
		.amdhsa_user_sgpr_count 2
		.amdhsa_user_sgpr_dispatch_ptr 0
		.amdhsa_user_sgpr_queue_ptr 0
		.amdhsa_user_sgpr_kernarg_segment_ptr 1
		.amdhsa_user_sgpr_dispatch_id 0
		.amdhsa_user_sgpr_private_segment_size 0
		.amdhsa_wavefront_size32 1
		.amdhsa_uses_dynamic_stack 0
		.amdhsa_enable_private_segment 0
		.amdhsa_system_sgpr_workgroup_id_x 1
		.amdhsa_system_sgpr_workgroup_id_y 1
		.amdhsa_system_sgpr_workgroup_id_z 1
		.amdhsa_system_sgpr_workgroup_info 0
		.amdhsa_system_vgpr_workitem_id 1
		.amdhsa_next_free_vgpr 71
		.amdhsa_next_free_sgpr 38
		.amdhsa_reserve_vcc 1
		.amdhsa_float_round_mode_32 0
		.amdhsa_float_round_mode_16_64 0
		.amdhsa_float_denorm_mode_32 3
		.amdhsa_float_denorm_mode_16_64 3
		.amdhsa_fp16_overflow 0
		.amdhsa_workgroup_processor_mode 1
		.amdhsa_memory_ordered 1
		.amdhsa_forward_progress 1
		.amdhsa_inst_pref_size 25
		.amdhsa_round_robin_scheduling 0
		.amdhsa_exception_fp_ieee_invalid_op 0
		.amdhsa_exception_fp_denorm_src 0
		.amdhsa_exception_fp_ieee_div_zero 0
		.amdhsa_exception_fp_ieee_overflow 0
		.amdhsa_exception_fp_ieee_underflow 0
		.amdhsa_exception_fp_ieee_inexact 0
		.amdhsa_exception_int_div_zero 0
	.end_amdhsa_kernel
	.section	.text._ZL29rocblas_internal_gemmt_kernelIiLi16ELi32ELi8ELc78ELc67ELc85ELb0ELb1E19rocblas_complex_numIfES1_PKPKS1_PKPS1_EviT_T9_T10_S9_lSB_S9_lSA_T11_S9_li,"axG",@progbits,_ZL29rocblas_internal_gemmt_kernelIiLi16ELi32ELi8ELc78ELc67ELc85ELb0ELb1E19rocblas_complex_numIfES1_PKPKS1_PKPS1_EviT_T9_T10_S9_lSB_S9_lSA_T11_S9_li,comdat
.Lfunc_end380:
	.size	_ZL29rocblas_internal_gemmt_kernelIiLi16ELi32ELi8ELc78ELc67ELc85ELb0ELb1E19rocblas_complex_numIfES1_PKPKS1_PKPS1_EviT_T9_T10_S9_lSB_S9_lSA_T11_S9_li, .Lfunc_end380-_ZL29rocblas_internal_gemmt_kernelIiLi16ELi32ELi8ELc78ELc67ELc85ELb0ELb1E19rocblas_complex_numIfES1_PKPKS1_PKPS1_EviT_T9_T10_S9_lSB_S9_lSA_T11_S9_li
                                        ; -- End function
	.set _ZL29rocblas_internal_gemmt_kernelIiLi16ELi32ELi8ELc78ELc67ELc85ELb0ELb1E19rocblas_complex_numIfES1_PKPKS1_PKPS1_EviT_T9_T10_S9_lSB_S9_lSA_T11_S9_li.num_vgpr, 71
	.set _ZL29rocblas_internal_gemmt_kernelIiLi16ELi32ELi8ELc78ELc67ELc85ELb0ELb1E19rocblas_complex_numIfES1_PKPKS1_PKPS1_EviT_T9_T10_S9_lSB_S9_lSA_T11_S9_li.num_agpr, 0
	.set _ZL29rocblas_internal_gemmt_kernelIiLi16ELi32ELi8ELc78ELc67ELc85ELb0ELb1E19rocblas_complex_numIfES1_PKPKS1_PKPS1_EviT_T9_T10_S9_lSB_S9_lSA_T11_S9_li.numbered_sgpr, 38
	.set _ZL29rocblas_internal_gemmt_kernelIiLi16ELi32ELi8ELc78ELc67ELc85ELb0ELb1E19rocblas_complex_numIfES1_PKPKS1_PKPS1_EviT_T9_T10_S9_lSB_S9_lSA_T11_S9_li.num_named_barrier, 0
	.set _ZL29rocblas_internal_gemmt_kernelIiLi16ELi32ELi8ELc78ELc67ELc85ELb0ELb1E19rocblas_complex_numIfES1_PKPKS1_PKPS1_EviT_T9_T10_S9_lSB_S9_lSA_T11_S9_li.private_seg_size, 0
	.set _ZL29rocblas_internal_gemmt_kernelIiLi16ELi32ELi8ELc78ELc67ELc85ELb0ELb1E19rocblas_complex_numIfES1_PKPKS1_PKPS1_EviT_T9_T10_S9_lSB_S9_lSA_T11_S9_li.uses_vcc, 1
	.set _ZL29rocblas_internal_gemmt_kernelIiLi16ELi32ELi8ELc78ELc67ELc85ELb0ELb1E19rocblas_complex_numIfES1_PKPKS1_PKPS1_EviT_T9_T10_S9_lSB_S9_lSA_T11_S9_li.uses_flat_scratch, 0
	.set _ZL29rocblas_internal_gemmt_kernelIiLi16ELi32ELi8ELc78ELc67ELc85ELb0ELb1E19rocblas_complex_numIfES1_PKPKS1_PKPS1_EviT_T9_T10_S9_lSB_S9_lSA_T11_S9_li.has_dyn_sized_stack, 0
	.set _ZL29rocblas_internal_gemmt_kernelIiLi16ELi32ELi8ELc78ELc67ELc85ELb0ELb1E19rocblas_complex_numIfES1_PKPKS1_PKPS1_EviT_T9_T10_S9_lSB_S9_lSA_T11_S9_li.has_recursion, 0
	.set _ZL29rocblas_internal_gemmt_kernelIiLi16ELi32ELi8ELc78ELc67ELc85ELb0ELb1E19rocblas_complex_numIfES1_PKPKS1_PKPS1_EviT_T9_T10_S9_lSB_S9_lSA_T11_S9_li.has_indirect_call, 0
	.section	.AMDGPU.csdata,"",@progbits
; Kernel info:
; codeLenInByte = 3196
; TotalNumSgprs: 40
; NumVgprs: 71
; ScratchSize: 0
; MemoryBound: 1
; FloatMode: 240
; IeeeMode: 1
; LDSByteSize: 4096 bytes/workgroup (compile time only)
; SGPRBlocks: 0
; VGPRBlocks: 8
; NumSGPRsForWavesPerEU: 40
; NumVGPRsForWavesPerEU: 71
; Occupancy: 16
; WaveLimiterHint : 1
; COMPUTE_PGM_RSRC2:SCRATCH_EN: 0
; COMPUTE_PGM_RSRC2:USER_SGPR: 2
; COMPUTE_PGM_RSRC2:TRAP_HANDLER: 0
; COMPUTE_PGM_RSRC2:TGID_X_EN: 1
; COMPUTE_PGM_RSRC2:TGID_Y_EN: 1
; COMPUTE_PGM_RSRC2:TGID_Z_EN: 1
; COMPUTE_PGM_RSRC2:TIDIG_COMP_CNT: 1
	.section	.text._ZL29rocblas_internal_gemmt_kernelIiLi16ELi32ELi8ELc84ELc78ELc85ELb0ELb0E19rocblas_complex_numIfES1_PKPKS1_PKPS1_EviT_T9_T10_S9_lSB_S9_lSA_T11_S9_li,"axG",@progbits,_ZL29rocblas_internal_gemmt_kernelIiLi16ELi32ELi8ELc84ELc78ELc85ELb0ELb0E19rocblas_complex_numIfES1_PKPKS1_PKPS1_EviT_T9_T10_S9_lSB_S9_lSA_T11_S9_li,comdat
	.globl	_ZL29rocblas_internal_gemmt_kernelIiLi16ELi32ELi8ELc84ELc78ELc85ELb0ELb0E19rocblas_complex_numIfES1_PKPKS1_PKPS1_EviT_T9_T10_S9_lSB_S9_lSA_T11_S9_li ; -- Begin function _ZL29rocblas_internal_gemmt_kernelIiLi16ELi32ELi8ELc84ELc78ELc85ELb0ELb0E19rocblas_complex_numIfES1_PKPKS1_PKPS1_EviT_T9_T10_S9_lSB_S9_lSA_T11_S9_li
	.p2align	8
	.type	_ZL29rocblas_internal_gemmt_kernelIiLi16ELi32ELi8ELc84ELc78ELc85ELb0ELb0E19rocblas_complex_numIfES1_PKPKS1_PKPS1_EviT_T9_T10_S9_lSB_S9_lSA_T11_S9_li,@function
_ZL29rocblas_internal_gemmt_kernelIiLi16ELi32ELi8ELc84ELc78ELc85ELb0ELb0E19rocblas_complex_numIfES1_PKPKS1_PKPS1_EviT_T9_T10_S9_lSB_S9_lSA_T11_S9_li: ; @_ZL29rocblas_internal_gemmt_kernelIiLi16ELi32ELi8ELc84ELc78ELc85ELb0ELb0E19rocblas_complex_numIfES1_PKPKS1_PKPS1_EviT_T9_T10_S9_lSB_S9_lSA_T11_S9_li
; %bb.0:
	s_clause 0x1
	s_load_b64 s[20:21], s[0:1], 0x40
	s_load_b128 s[4:7], s[0:1], 0x0
	s_wait_kmcnt 0x0
	s_cmp_eq_f32 s20, 1.0
	s_cselect_b32 s2, -1, 0
	s_and_b32 s3, s21, 0x7fffffff
	s_delay_alu instid0(SALU_CYCLE_1) | instskip(SKIP_1) | instid1(SALU_CYCLE_1)
	s_cmp_eq_u32 s3, 0
	s_cselect_b32 s3, -1, 0
	s_and_b32 s8, s2, s3
	s_mov_b32 s2, 0
	s_and_not1_b32 vcc_lo, exec_lo, s8
	s_mov_b32 s8, -1
	s_cbranch_vccnz .LBB381_4
; %bb.1:
	s_cmp_lg_u32 s5, 0
	s_cbranch_scc0 .LBB381_3
; %bb.2:
	s_cmp_neq_f32 s6, 0
	s_cselect_b32 s2, -1, 0
	s_cmp_neq_f32 s7, 0
	s_cselect_b32 s8, -1, 0
	s_delay_alu instid0(SALU_CYCLE_1)
	s_or_b32 s2, s2, s8
.LBB381_3:
	s_delay_alu instid0(SALU_CYCLE_1)
	s_mov_b32 s8, s2
.LBB381_4:
	s_delay_alu instid0(SALU_CYCLE_1)
	s_and_b32 vcc_lo, exec_lo, s8
	s_cbranch_vccz .LBB381_39
; %bb.5:
	s_load_b32 s15, s[0:1], 0x60
	s_lshr_b32 s22, ttmp7, 16
	s_wait_kmcnt 0x0
	s_cmp_ge_u32 s22, s15
	s_cbranch_scc1 .LBB381_39
; %bb.6:
	v_and_b32_e32 v1, 0x3ff, v0
	v_bfe_u32 v2, v0, 10, 10
	s_clause 0x1
	s_load_b96 s[12:14], s[0:1], 0x10
	s_load_b128 s[8:11], s[0:1], 0x20
	v_and_b32_e32 v16, 7, v0
	s_lshl_b32 s2, ttmp7, 5
	s_clause 0x3
	s_load_b32 s27, s[0:1], 0x30
	s_load_b64 s[28:29], s[0:1], 0x38
	s_load_b96 s[16:18], s[0:1], 0x48
	s_load_b64 s[24:25], s[0:1], 0x58
	v_lshl_add_u32 v0, v2, 4, v1
	s_lshl_b32 s19, ttmp9, 5
	s_and_b32 s2, s2, 0x1fffe0
	s_cmp_neq_f32 s6, 0
	v_lshlrev_b32_e32 v14, 3, v16
	v_lshrrev_b32_e32 v17, 5, v0
	v_lshrrev_b32_e32 v3, 3, v0
	v_and_b32_e32 v0, 31, v0
	s_cselect_b32 s26, -1, 0
	s_cmp_neq_f32 s7, 0
	v_add_nc_u32_e32 v6, s19, v1
	v_add_nc_u32_e32 v5, s2, v3
	v_or_b32_e32 v4, s19, v0
	v_lshlrev_b32_e32 v0, 3, v0
	s_cselect_b32 s0, -1, 0
	v_lshl_or_b32 v3, v3, 6, v14
	s_or_b32 s30, s26, s0
	s_cmp_gt_i32 s5, 0
	v_lshl_or_b32 v18, v17, 8, v0
	v_add_nc_u32_e32 v0, s2, v2
	v_add_nc_u32_e32 v8, 16, v6
	s_cselect_b32 s31, -1, 0
	s_cmp_neq_f32 s20, 0
	v_cmp_gt_i32_e32 vcc_lo, s4, v4
	v_add_nc_u32_e32 v19, 0x800, v3
	s_wait_kmcnt 0x0
	v_mad_co_i64_i32 v[3:4], null, s14, v4, 0
	v_lshlrev_b32_e32 v20, 3, v1
	v_lshl_add_u32 v21, v2, 6, 0x800
	s_cselect_b32 s33, -1, 0
	v_cmp_gt_i32_e64 s1, s4, v0
	v_cmp_le_i32_e64 s2, v6, v0
	s_xor_b32 s34, s3, -1
	v_cmp_le_i32_e64 s3, v8, v0
	v_mad_co_i64_i32 v[1:2], null, v0, s18, 0
	v_add_nc_u32_e32 v0, 16, v0
	v_mad_co_i64_i32 v[10:11], null, s27, v5, 0
	s_and_b32 s19, s1, s2
	s_and_b32 s26, s1, s3
	v_cmp_gt_i32_e64 s1, s4, v0
	v_cmp_le_i32_e64 s2, v6, v0
	v_cmp_le_i32_e64 s3, v8, v0
	v_lshlrev_b64_e32 v[3:4], 3, v[3:4]
	v_cmp_gt_i32_e64 s0, s4, v5
	v_lshlrev_b64_e32 v[10:11], 3, v[10:11]
	s_and_b32 s4, s1, s2
	s_and_b32 s14, s1, s3
	s_lshl_b64 s[2:3], s[8:9], 3
	v_mad_co_i64_i32 v[12:13], null, v0, s18, 0
	s_wait_alu 0xfffe
	v_add_co_u32 v3, s1, v3, s2
	s_delay_alu instid0(VALU_DEP_1)
	v_add_co_ci_u32_e64 v4, null, s3, v4, s1
	v_lshlrev_b32_e32 v5, 3, v17
	s_lshl_b64 s[2:3], s[28:29], 3
	v_ashrrev_i32_e32 v7, 31, v6
	s_wait_alu 0xfffe
	v_add_co_u32 v10, s1, v10, s2
	v_ashrrev_i32_e32 v9, 31, v8
	s_wait_alu 0xf1ff
	v_add_co_ci_u32_e64 v11, null, s3, v11, s1
	v_add_co_u32 v22, s1, v3, v5
	s_wait_alu 0xf1ff
	v_add_co_ci_u32_e64 v23, null, 0, v4, s1
	v_add_co_u32 v24, s1, v10, v14
	v_lshlrev_b64_e32 v[2:3], 3, v[1:2]
	v_lshlrev_b64_e32 v[4:5], 3, v[12:13]
	;; [unrolled: 1-line block ×4, first 2 shown]
	v_mov_b32_e32 v0, 0
	s_wait_alu 0xf1ff
	v_add_co_ci_u32_e64 v25, null, 0, v11, s1
	s_mov_b32 s23, 0
	s_and_b32 s8, s30, s31
	s_or_b32 s9, s33, s34
	s_xor_b32 s18, vcc_lo, -1
	s_xor_b32 s27, s0, -1
	s_lshl_b64 s[0:1], s[24:25], 3
	s_branch .LBB381_8
.LBB381_7:                              ;   in Loop: Header=BB381_8 Depth=1
	s_wait_alu 0xfffe
	s_or_b32 exec_lo, exec_lo, s2
	s_add_co_i32 s22, s22, 0x10000
	s_delay_alu instid0(SALU_CYCLE_1)
	s_cmp_lt_u32 s22, s15
	s_cbranch_scc0 .LBB381_39
.LBB381_8:                              ; =>This Loop Header: Depth=1
                                        ;     Child Loop BB381_11 Depth 2
	s_lshl_b64 s[2:3], s[22:23], 3
	v_dual_mov_b32 v33, v0 :: v_dual_mov_b32 v32, v0
	s_wait_alu 0xfffe
	s_add_nc_u64 s[24:25], s[16:17], s[2:3]
	v_dual_mov_b32 v30, v0 :: v_dual_mov_b32 v31, v0
	global_load_b64 v[10:11], v0, s[24:25]
	v_dual_mov_b32 v28, v0 :: v_dual_mov_b32 v29, v0
	v_dual_mov_b32 v27, v0 :: v_dual_mov_b32 v26, v0
	s_and_not1_b32 vcc_lo, exec_lo, s8
	s_wait_alu 0xfffe
	s_cbranch_vccnz .LBB381_19
; %bb.9:                                ;   in Loop: Header=BB381_8 Depth=1
	s_add_nc_u64 s[24:25], s[12:13], s[2:3]
	s_add_nc_u64 s[2:3], s[10:11], s[2:3]
	s_clause 0x1
	global_load_b64 v[12:13], v0, s[24:25]
	global_load_b64 v[14:15], v0, s[2:3]
	v_dual_mov_b32 v26, 0 :: v_dual_mov_b32 v27, 0
	v_dual_mov_b32 v29, 0 :: v_dual_mov_b32 v28, 0
	;; [unrolled: 1-line block ×4, first 2 shown]
	s_mov_b32 s2, 0
	s_wait_loadcnt 0x1
	v_add_co_u32 v12, vcc_lo, v12, v22
	s_wait_alu 0xfffd
	v_add_co_ci_u32_e64 v13, null, v13, v23, vcc_lo
	s_wait_loadcnt 0x0
	v_add_co_u32 v14, vcc_lo, v14, v24
	s_wait_alu 0xfffd
	v_add_co_ci_u32_e64 v15, null, v15, v25, vcc_lo
	s_branch .LBB381_11
.LBB381_10:                             ;   in Loop: Header=BB381_11 Depth=2
	s_wait_alu 0xfffe
	s_or_b32 exec_lo, exec_lo, s3
	s_wait_dscnt 0x0
	s_barrier_signal -1
	s_barrier_wait -1
	global_inv scope:SCOPE_SE
	ds_load_b128 v[34:37], v21
	ds_load_2addr_b64 v[38:41], v20 offset1:16
	ds_load_b128 v[42:45], v21 offset:1024
	ds_load_b128 v[46:49], v21 offset:16
	;; [unrolled: 1-line block ×4, first 2 shown]
	ds_load_2addr_b64 v[58:61], v20 offset0:32 offset1:48
	ds_load_b128 v[62:65], v21 offset:1040
	v_add_co_u32 v12, vcc_lo, v12, 64
	s_wait_alu 0xfffd
	v_add_co_ci_u32_e64 v13, null, 0, v13, vcc_lo
	v_add_co_u32 v14, vcc_lo, v14, 64
	s_wait_alu 0xfffd
	v_add_co_ci_u32_e64 v15, null, 0, v15, vcc_lo
	s_add_co_i32 s2, s2, 8
	s_wait_alu 0xfffe
	s_cmp_lt_i32 s2, s5
	s_wait_dscnt 0x6
	v_dual_mul_f32 v1, v35, v39 :: v_dual_mul_f32 v68, v34, v41
	v_dual_mul_f32 v66, v34, v39 :: v_dual_mul_f32 v67, v35, v41
	s_wait_dscnt 0x5
	v_mul_f32_e32 v70, v43, v41
	s_delay_alu instid0(VALU_DEP_3) | instskip(SKIP_3) | instid1(VALU_DEP_4)
	v_fma_f32 v1, v34, v38, -v1
	v_dual_mul_f32 v41, v42, v41 :: v_dual_fmac_f32 v68, v35, v40
	v_fmac_f32_e32 v66, v35, v38
	v_fma_f32 v34, v34, v40, -v67
	v_add_f32_e32 v1, v33, v1
	v_mul_f32_e32 v69, v43, v39
	s_delay_alu instid0(VALU_DEP_4) | instskip(NEXT) | instid1(VALU_DEP_4)
	v_dual_mul_f32 v39, v42, v39 :: v_dual_add_f32 v32, v32, v66
	v_add_f32_e32 v33, v30, v34
	v_fmac_f32_e32 v41, v43, v40
	s_delay_alu instid0(VALU_DEP_4) | instskip(NEXT) | instid1(VALU_DEP_4)
	v_fma_f32 v35, v42, v38, -v69
	v_fmac_f32_e32 v39, v43, v38
	v_fma_f32 v38, v42, v40, -v70
	s_wait_dscnt 0x1
	v_dual_mul_f32 v40, v36, v59 :: v_dual_add_f32 v31, v31, v68
	v_mul_f32_e32 v42, v37, v61
	v_add_f32_e32 v34, v28, v35
	v_dual_add_f32 v35, v29, v39 :: v_dual_add_f32 v38, v27, v38
	ds_load_2addr_b64 v[27:30], v20 offset0:64 offset1:80
	v_fmac_f32_e32 v40, v37, v58
	v_dual_mul_f32 v39, v37, v59 :: v_dual_add_f32 v26, v26, v41
	v_mul_f32_e32 v41, v36, v61
	s_delay_alu instid0(VALU_DEP_3) | instskip(NEXT) | instid1(VALU_DEP_3)
	v_add_f32_e32 v40, v32, v40
	v_fma_f32 v39, v36, v58, -v39
	v_fma_f32 v36, v36, v60, -v42
	v_mul_f32_e32 v32, v44, v59
	s_delay_alu instid0(VALU_DEP_3) | instskip(SKIP_1) | instid1(VALU_DEP_4)
	v_add_f32_e32 v1, v1, v39
	v_mul_f32_e32 v39, v45, v59
	v_add_f32_e32 v36, v33, v36
	v_fmac_f32_e32 v41, v37, v60
	v_mul_f32_e32 v37, v45, v61
	v_fmac_f32_e32 v32, v45, v58
	v_fma_f32 v33, v44, v58, -v39
	s_delay_alu instid0(VALU_DEP_4) | instskip(SKIP_4) | instid1(VALU_DEP_3)
	v_add_f32_e32 v39, v31, v41
	v_mul_f32_e32 v41, v44, v61
	v_fma_f32 v31, v44, v60, -v37
	s_wait_dscnt 0x0
	v_dual_add_f32 v42, v34, v33 :: v_dual_mul_f32 v33, v47, v28
	v_dual_mul_f32 v44, v47, v30 :: v_dual_fmac_f32 v41, v45, v60
	v_mul_f32_e32 v37, v46, v28
	v_add_f32_e32 v38, v38, v31
	s_delay_alu instid0(VALU_DEP_3) | instskip(SKIP_3) | instid1(VALU_DEP_2)
	v_add_f32_e32 v41, v26, v41
	v_mul_f32_e32 v26, v46, v30
	v_fma_f32 v43, v46, v27, -v33
	v_fmac_f32_e32 v37, v47, v27
	v_dual_fmac_f32 v26, v47, v29 :: v_dual_add_f32 v1, v1, v43
	v_fma_f32 v43, v46, v29, -v44
	v_add_f32_e32 v35, v35, v32
	ds_load_2addr_b64 v[31:34], v20 offset0:96 offset1:112
	v_dual_add_f32 v37, v40, v37 :: v_dual_mul_f32 v40, v63, v28
	v_mul_f32_e32 v28, v62, v28
	v_dual_add_f32 v36, v36, v43 :: v_dual_mul_f32 v43, v63, v30
	v_mul_f32_e32 v30, v62, v30
	s_delay_alu instid0(VALU_DEP_4) | instskip(NEXT) | instid1(VALU_DEP_4)
	v_fma_f32 v40, v62, v27, -v40
	v_fmac_f32_e32 v28, v63, v27
	v_add_f32_e32 v39, v39, v26
	v_fma_f32 v26, v62, v29, -v43
	v_fmac_f32_e32 v30, v63, v29
	v_add_f32_e32 v40, v42, v40
	s_delay_alu instid0(VALU_DEP_3)
	v_dual_add_f32 v42, v35, v28 :: v_dual_add_f32 v43, v38, v26
	ds_load_2addr_b64 v[26:29], v20 offset0:128 offset1:144
	s_wait_dscnt 0x1
	v_mul_f32_e32 v35, v49, v32
	v_mul_f32_e32 v38, v48, v32
	;; [unrolled: 1-line block ×4, first 2 shown]
	s_delay_alu instid0(VALU_DEP_4) | instskip(NEXT) | instid1(VALU_DEP_4)
	v_fma_f32 v35, v48, v31, -v35
	v_fmac_f32_e32 v38, v49, v31
	s_delay_alu instid0(VALU_DEP_2) | instskip(SKIP_1) | instid1(VALU_DEP_3)
	v_add_f32_e32 v1, v1, v35
	v_mul_f32_e32 v35, v65, v32
	v_dual_mul_f32 v32, v64, v32 :: v_dual_add_f32 v45, v37, v38
	s_delay_alu instid0(VALU_DEP_2) | instskip(NEXT) | instid1(VALU_DEP_2)
	v_fma_f32 v46, v64, v31, -v35
	v_fmac_f32_e32 v32, v65, v31
	s_wait_dscnt 0x0
	v_mul_f32_e32 v31, v51, v27
	v_fma_f32 v44, v48, v33, -v44
	v_add_f32_e32 v41, v41, v30
	v_mul_f32_e32 v30, v48, v34
	v_mul_f32_e32 v58, v50, v29
	s_delay_alu instid0(VALU_DEP_4) | instskip(SKIP_2) | instid1(VALU_DEP_1)
	v_add_f32_e32 v44, v36, v44
	ds_load_b128 v[35:38], v21 offset:1056
	v_dual_fmac_f32 v30, v49, v33 :: v_dual_mul_f32 v49, v50, v27
	v_add_f32_e32 v48, v39, v30
	v_fma_f32 v30, v64, v33, -v47
	v_fma_f32 v39, v50, v26, -v31
	v_mul_f32_e32 v34, v64, v34
	v_fmac_f32_e32 v49, v51, v26
	v_add_f32_e32 v46, v40, v46
	v_add_f32_e32 v43, v43, v30
	;; [unrolled: 1-line block ×4, first 2 shown]
	v_fmac_f32_e32 v34, v65, v33
	ds_load_2addr_b64 v[30:33], v20 offset0:160 offset1:176
	v_mul_f32_e32 v40, v51, v29
	v_add_f32_e32 v45, v45, v49
	v_add_f32_e32 v34, v41, v34
	s_delay_alu instid0(VALU_DEP_3)
	v_fma_f32 v50, v50, v28, -v40
	ds_load_b128 v[39:42], v21 offset:1072
	s_wait_dscnt 0x2
	v_mul_f32_e32 v59, v36, v27
	v_dual_mul_f32 v27, v35, v27 :: v_dual_add_f32 v44, v44, v50
	v_fmac_f32_e32 v58, v51, v28
	v_mul_f32_e32 v50, v36, v29
	s_delay_alu instid0(VALU_DEP_4) | instskip(NEXT) | instid1(VALU_DEP_4)
	v_fma_f32 v49, v35, v26, -v59
	v_fmac_f32_e32 v27, v36, v26
	s_delay_alu instid0(VALU_DEP_4) | instskip(SKIP_1) | instid1(VALU_DEP_3)
	v_dual_mul_f32 v51, v35, v29 :: v_dual_add_f32 v48, v48, v58
	s_wait_dscnt 0x1
	v_dual_add_f32 v46, v46, v49 :: v_dual_mul_f32 v29, v53, v31
	v_fma_f32 v26, v35, v28, -v50
	v_add_f32_e32 v35, v47, v27
	v_fmac_f32_e32 v51, v36, v28
	v_mul_f32_e32 v36, v52, v31
	v_fma_f32 v47, v52, v30, -v29
	v_add_f32_e32 v43, v43, v26
	ds_load_2addr_b64 v[26:29], v20 offset0:192 offset1:208
	v_fmac_f32_e32 v36, v53, v30
	v_dual_mul_f32 v49, v53, v33 :: v_dual_add_f32 v50, v34, v51
	v_dual_add_f32 v1, v1, v47 :: v_dual_mul_f32 v34, v52, v33
	s_delay_alu instid0(VALU_DEP_3) | instskip(NEXT) | instid1(VALU_DEP_3)
	v_dual_add_f32 v45, v45, v36 :: v_dual_mul_f32 v36, v38, v31
	v_fma_f32 v47, v52, v32, -v49
	s_delay_alu instid0(VALU_DEP_3) | instskip(NEXT) | instid1(VALU_DEP_3)
	v_fmac_f32_e32 v34, v53, v32
	v_fma_f32 v36, v37, v30, -v36
	s_delay_alu instid0(VALU_DEP_3) | instskip(SKIP_1) | instid1(VALU_DEP_3)
	v_dual_add_f32 v44, v44, v47 :: v_dual_mul_f32 v47, v38, v33
	v_mul_f32_e32 v31, v37, v31
	v_dual_mul_f32 v33, v37, v33 :: v_dual_add_f32 v46, v46, v36
	s_delay_alu instid0(VALU_DEP_2) | instskip(SKIP_2) | instid1(VALU_DEP_4)
	v_fmac_f32_e32 v31, v38, v30
	v_add_f32_e32 v30, v48, v34
	v_fma_f32 v34, v37, v32, -v47
	v_fmac_f32_e32 v33, v38, v32
	s_wait_dscnt 0x0
	v_mul_f32_e32 v38, v54, v27
	v_dual_add_f32 v31, v35, v31 :: v_dual_mul_f32 v48, v54, v29
	v_add_f32_e32 v32, v43, v34
	ds_load_2addr_b64 v[34:37], v20 offset0:224 offset1:240
	v_dual_add_f32 v33, v50, v33 :: v_dual_fmac_f32 v38, v55, v26
	v_mul_f32_e32 v47, v55, v27
	v_fmac_f32_e32 v48, v55, v28
	s_wait_loadcnt_dscnt 0x0
	s_barrier_signal -1
	v_add_f32_e32 v38, v45, v38
	v_fma_f32 v43, v54, v26, -v47
	v_mul_f32_e32 v47, v55, v29
	v_mul_f32_e32 v45, v40, v29
	;; [unrolled: 1-line block ×3, first 2 shown]
	s_barrier_wait -1
	v_add_f32_e32 v1, v1, v43
	v_fma_f32 v47, v54, v28, -v47
	v_mul_f32_e32 v43, v40, v27
	v_fmac_f32_e32 v29, v40, v28
	global_inv scope:SCOPE_SE
	v_dual_add_f32 v44, v44, v47 :: v_dual_add_f32 v47, v30, v48
	v_fma_f32 v30, v39, v28, -v45
	v_mul_f32_e32 v27, v39, v27
	s_delay_alu instid0(VALU_DEP_1) | instskip(NEXT) | instid1(VALU_DEP_3)
	v_fmac_f32_e32 v27, v40, v26
	v_add_f32_e32 v40, v32, v30
	v_mul_f32_e32 v30, v57, v37
	v_fma_f32 v43, v39, v26, -v43
	v_mul_f32_e32 v39, v57, v35
	s_delay_alu instid0(VALU_DEP_2) | instskip(NEXT) | instid1(VALU_DEP_2)
	v_add_f32_e32 v26, v46, v43
	v_fma_f32 v28, v56, v34, -v39
	v_add_f32_e32 v39, v33, v29
	v_mul_f32_e32 v29, v41, v35
	s_delay_alu instid0(VALU_DEP_3) | instskip(SKIP_2) | instid1(VALU_DEP_2)
	v_add_f32_e32 v33, v1, v28
	v_fma_f32 v1, v56, v36, -v30
	v_mul_f32_e32 v28, v42, v35
	v_dual_fmac_f32 v29, v42, v34 :: v_dual_add_f32 v30, v44, v1
	s_delay_alu instid0(VALU_DEP_2) | instskip(SKIP_2) | instid1(VALU_DEP_2)
	v_fma_f32 v1, v41, v34, -v28
	v_mul_f32_e32 v43, v56, v35
	v_mul_f32_e32 v35, v42, v37
	v_dual_add_f32 v28, v26, v1 :: v_dual_fmac_f32 v43, v57, v34
	s_delay_alu instid0(VALU_DEP_2) | instskip(NEXT) | instid1(VALU_DEP_2)
	v_fma_f32 v34, v41, v36, -v35
	v_add_f32_e32 v32, v38, v43
	v_add_f32_e32 v27, v31, v27
	v_mul_f32_e32 v31, v56, v37
	v_mul_f32_e32 v37, v41, v37
	s_delay_alu instid0(VALU_DEP_3) | instskip(NEXT) | instid1(VALU_DEP_3)
	v_add_f32_e32 v29, v27, v29
	v_fmac_f32_e32 v31, v57, v36
	s_delay_alu instid0(VALU_DEP_3) | instskip(SKIP_1) | instid1(VALU_DEP_3)
	v_fmac_f32_e32 v37, v42, v36
	v_add_f32_e32 v27, v40, v34
	v_add_f32_e32 v31, v47, v31
	s_delay_alu instid0(VALU_DEP_3)
	v_add_f32_e32 v26, v39, v37
	s_cbranch_scc0 .LBB381_19
.LBB381_11:                             ;   Parent Loop BB381_8 Depth=1
                                        ; =>  This Inner Loop Header: Depth=2
	s_wait_alu 0xfffe
	v_add_nc_u32_e32 v1, s2, v17
	s_delay_alu instid0(VALU_DEP_1) | instskip(SKIP_3) | instid1(SALU_CYCLE_1)
	v_cmp_le_i32_e32 vcc_lo, s5, v1
	s_or_b32 s3, s18, vcc_lo
	s_wait_alu 0xfffe
	s_and_saveexec_b32 s24, s3
	s_xor_b32 s3, exec_lo, s24
; %bb.12:                               ;   in Loop: Header=BB381_11 Depth=2
	v_mov_b32_e32 v1, v0
	ds_store_b64 v18, v[0:1]
; %bb.13:                               ;   in Loop: Header=BB381_11 Depth=2
	s_wait_alu 0xfffe
	s_and_not1_saveexec_b32 s3, s3
	s_cbranch_execz .LBB381_15
; %bb.14:                               ;   in Loop: Header=BB381_11 Depth=2
	flat_load_b64 v[34:35], v[12:13]
	s_wait_loadcnt_dscnt 0x0
	ds_store_b64 v18, v[34:35]
.LBB381_15:                             ;   in Loop: Header=BB381_11 Depth=2
	s_wait_alu 0xfffe
	s_or_b32 exec_lo, exec_lo, s3
	v_add_nc_u32_e32 v1, s2, v16
	s_delay_alu instid0(VALU_DEP_1) | instskip(SKIP_3) | instid1(SALU_CYCLE_1)
	v_cmp_le_i32_e32 vcc_lo, s5, v1
	s_or_b32 s3, vcc_lo, s27
	s_wait_alu 0xfffe
	s_and_saveexec_b32 s24, s3
	s_xor_b32 s3, exec_lo, s24
; %bb.16:                               ;   in Loop: Header=BB381_11 Depth=2
	v_mov_b32_e32 v1, v0
	ds_store_b64 v19, v[0:1]
; %bb.17:                               ;   in Loop: Header=BB381_11 Depth=2
	s_wait_alu 0xfffe
	s_and_not1_saveexec_b32 s3, s3
	s_cbranch_execz .LBB381_10
; %bb.18:                               ;   in Loop: Header=BB381_11 Depth=2
	flat_load_b64 v[34:35], v[14:15]
	s_wait_loadcnt_dscnt 0x0
	ds_store_b64 v19, v[34:35]
	s_branch .LBB381_10
.LBB381_19:                             ;   in Loop: Header=BB381_8 Depth=1
	s_wait_loadcnt 0x0
	v_add_co_u32 v1, vcc_lo, v10, s0
	s_wait_alu 0xfffd
	v_add_co_ci_u32_e64 v12, null, s1, v11, vcc_lo
	s_delay_alu instid0(VALU_DEP_2) | instskip(SKIP_1) | instid1(VALU_DEP_2)
	v_add_co_u32 v13, vcc_lo, v1, v2
	s_wait_alu 0xfffd
	v_add_co_ci_u32_e64 v14, null, v12, v3, vcc_lo
	s_and_saveexec_b32 s2, s19
	s_cbranch_execz .LBB381_24
; %bb.20:                               ;   in Loop: Header=BB381_8 Depth=1
	v_mul_f32_e32 v11, s6, v32
	v_mul_f32_e32 v10, s7, v32
	s_and_b32 vcc_lo, exec_lo, s9
	s_mov_b32 s3, -1
	s_delay_alu instid0(VALU_DEP_2) | instskip(NEXT) | instid1(VALU_DEP_2)
	v_fmac_f32_e32 v11, s7, v33
	v_fma_f32 v10, v33, s6, -v10
	s_wait_alu 0xfffe
	s_cbranch_vccz .LBB381_22
; %bb.21:                               ;   in Loop: Header=BB381_8 Depth=1
	v_add_co_u32 v32, vcc_lo, v13, v6
	s_wait_alu 0xfffd
	v_add_co_ci_u32_e64 v33, null, v14, v7, vcc_lo
	s_mov_b32 s3, 0
	flat_load_b64 v[34:35], v[32:33]
	s_wait_loadcnt_dscnt 0x0
	v_mul_f32_e32 v15, s21, v35
	v_mul_f32_e32 v35, s20, v35
	s_delay_alu instid0(VALU_DEP_2) | instskip(NEXT) | instid1(VALU_DEP_1)
	v_fma_f32 v15, v34, s20, -v15
	v_dual_fmac_f32 v35, s21, v34 :: v_dual_add_f32 v34, v10, v15
	s_delay_alu instid0(VALU_DEP_1)
	v_add_f32_e32 v35, v11, v35
	flat_store_b64 v[32:33], v[34:35]
.LBB381_22:                             ;   in Loop: Header=BB381_8 Depth=1
	s_wait_alu 0xfffe
	s_and_not1_b32 vcc_lo, exec_lo, s3
	s_wait_alu 0xfffe
	s_cbranch_vccnz .LBB381_24
; %bb.23:                               ;   in Loop: Header=BB381_8 Depth=1
	v_add_co_u32 v32, vcc_lo, v13, v6
	s_wait_alu 0xfffd
	v_add_co_ci_u32_e64 v33, null, v14, v7, vcc_lo
	flat_store_b64 v[32:33], v[10:11]
.LBB381_24:                             ;   in Loop: Header=BB381_8 Depth=1
	s_wait_alu 0xfffe
	s_or_b32 exec_lo, exec_lo, s2
	s_and_saveexec_b32 s2, s26
	s_cbranch_execz .LBB381_29
; %bb.25:                               ;   in Loop: Header=BB381_8 Depth=1
	v_mul_f32_e32 v11, s6, v31
	v_mul_f32_e32 v10, s7, v31
	s_and_not1_b32 vcc_lo, exec_lo, s9
	s_mov_b32 s3, -1
	s_delay_alu instid0(VALU_DEP_2) | instskip(NEXT) | instid1(VALU_DEP_2)
	v_fmac_f32_e32 v11, s7, v30
	v_fma_f32 v10, v30, s6, -v10
	s_wait_alu 0xfffe
	s_cbranch_vccnz .LBB381_27
; %bb.26:                               ;   in Loop: Header=BB381_8 Depth=1
	v_add_co_u32 v30, vcc_lo, v13, v8
	s_wait_alu 0xfffd
	v_add_co_ci_u32_e64 v31, null, v14, v9, vcc_lo
	s_mov_b32 s3, 0
	flat_load_b64 v[32:33], v[30:31]
	s_wait_loadcnt_dscnt 0x0
	v_mul_f32_e32 v15, s21, v33
	s_delay_alu instid0(VALU_DEP_1) | instskip(SKIP_1) | instid1(VALU_DEP_1)
	v_fma_f32 v15, v32, s20, -v15
	v_mul_f32_e32 v33, s20, v33
	v_dual_fmac_f32 v33, s21, v32 :: v_dual_add_f32 v32, v10, v15
	s_delay_alu instid0(VALU_DEP_1)
	v_add_f32_e32 v33, v11, v33
	flat_store_b64 v[30:31], v[32:33]
.LBB381_27:                             ;   in Loop: Header=BB381_8 Depth=1
	s_wait_alu 0xfffe
	s_and_not1_b32 vcc_lo, exec_lo, s3
	s_wait_alu 0xfffe
	s_cbranch_vccnz .LBB381_29
; %bb.28:                               ;   in Loop: Header=BB381_8 Depth=1
	v_add_co_u32 v13, vcc_lo, v13, v8
	s_wait_alu 0xfffd
	v_add_co_ci_u32_e64 v14, null, v14, v9, vcc_lo
	flat_store_b64 v[13:14], v[10:11]
.LBB381_29:                             ;   in Loop: Header=BB381_8 Depth=1
	s_wait_alu 0xfffe
	s_or_b32 exec_lo, exec_lo, s2
	v_add_co_u32 v1, vcc_lo, v1, v4
	s_wait_alu 0xfffd
	v_add_co_ci_u32_e64 v12, null, v12, v5, vcc_lo
	s_and_saveexec_b32 s2, s4
	s_cbranch_execz .LBB381_34
; %bb.30:                               ;   in Loop: Header=BB381_8 Depth=1
	v_mul_f32_e32 v11, s6, v29
	v_mul_f32_e32 v10, s7, v29
	s_and_not1_b32 vcc_lo, exec_lo, s9
	s_mov_b32 s3, -1
	s_delay_alu instid0(VALU_DEP_2) | instskip(NEXT) | instid1(VALU_DEP_2)
	v_fmac_f32_e32 v11, s7, v28
	v_fma_f32 v10, v28, s6, -v10
	s_wait_alu 0xfffe
	s_cbranch_vccnz .LBB381_32
; %bb.31:                               ;   in Loop: Header=BB381_8 Depth=1
	v_add_co_u32 v13, vcc_lo, v1, v6
	s_wait_alu 0xfffd
	v_add_co_ci_u32_e64 v14, null, v12, v7, vcc_lo
	s_mov_b32 s3, 0
	flat_load_b64 v[28:29], v[13:14]
	s_wait_loadcnt_dscnt 0x0
	v_mul_f32_e32 v15, s21, v29
	s_delay_alu instid0(VALU_DEP_1) | instskip(SKIP_1) | instid1(VALU_DEP_1)
	v_fma_f32 v15, v28, s20, -v15
	v_mul_f32_e32 v29, s20, v29
	v_dual_fmac_f32 v29, s21, v28 :: v_dual_add_f32 v28, v10, v15
	s_delay_alu instid0(VALU_DEP_1)
	v_add_f32_e32 v29, v11, v29
	flat_store_b64 v[13:14], v[28:29]
.LBB381_32:                             ;   in Loop: Header=BB381_8 Depth=1
	s_wait_alu 0xfffe
	s_and_not1_b32 vcc_lo, exec_lo, s3
	s_wait_alu 0xfffe
	s_cbranch_vccnz .LBB381_34
; %bb.33:                               ;   in Loop: Header=BB381_8 Depth=1
	v_add_co_u32 v13, vcc_lo, v1, v6
	s_wait_alu 0xfffd
	v_add_co_ci_u32_e64 v14, null, v12, v7, vcc_lo
	flat_store_b64 v[13:14], v[10:11]
.LBB381_34:                             ;   in Loop: Header=BB381_8 Depth=1
	s_wait_alu 0xfffe
	s_or_b32 exec_lo, exec_lo, s2
	s_and_saveexec_b32 s2, s14
	s_cbranch_execz .LBB381_7
; %bb.35:                               ;   in Loop: Header=BB381_8 Depth=1
	v_mul_f32_e32 v11, s6, v26
	v_mul_f32_e32 v10, s7, v26
	s_and_not1_b32 vcc_lo, exec_lo, s9
	s_mov_b32 s3, -1
	s_delay_alu instid0(VALU_DEP_2) | instskip(NEXT) | instid1(VALU_DEP_2)
	v_fmac_f32_e32 v11, s7, v27
	v_fma_f32 v10, v27, s6, -v10
	s_wait_alu 0xfffe
	s_cbranch_vccnz .LBB381_37
; %bb.36:                               ;   in Loop: Header=BB381_8 Depth=1
	v_add_co_u32 v13, vcc_lo, v1, v8
	s_wait_alu 0xfffd
	v_add_co_ci_u32_e64 v14, null, v12, v9, vcc_lo
	s_mov_b32 s3, 0
	flat_load_b64 v[26:27], v[13:14]
	s_wait_loadcnt_dscnt 0x0
	v_mul_f32_e32 v15, s21, v27
	v_mul_f32_e32 v27, s20, v27
	s_delay_alu instid0(VALU_DEP_2) | instskip(NEXT) | instid1(VALU_DEP_1)
	v_fma_f32 v15, v26, s20, -v15
	v_dual_fmac_f32 v27, s21, v26 :: v_dual_add_f32 v26, v10, v15
	s_delay_alu instid0(VALU_DEP_1)
	v_add_f32_e32 v27, v11, v27
	flat_store_b64 v[13:14], v[26:27]
.LBB381_37:                             ;   in Loop: Header=BB381_8 Depth=1
	s_wait_alu 0xfffe
	s_and_not1_b32 vcc_lo, exec_lo, s3
	s_wait_alu 0xfffe
	s_cbranch_vccnz .LBB381_7
; %bb.38:                               ;   in Loop: Header=BB381_8 Depth=1
	v_add_co_u32 v13, vcc_lo, v1, v8
	s_wait_alu 0xfffd
	v_add_co_ci_u32_e64 v14, null, v12, v9, vcc_lo
	flat_store_b64 v[13:14], v[10:11]
	s_branch .LBB381_7
.LBB381_39:
	s_endpgm
	.section	.rodata,"a",@progbits
	.p2align	6, 0x0
	.amdhsa_kernel _ZL29rocblas_internal_gemmt_kernelIiLi16ELi32ELi8ELc84ELc78ELc85ELb0ELb0E19rocblas_complex_numIfES1_PKPKS1_PKPS1_EviT_T9_T10_S9_lSB_S9_lSA_T11_S9_li
		.amdhsa_group_segment_fixed_size 4096
		.amdhsa_private_segment_fixed_size 0
		.amdhsa_kernarg_size 100
		.amdhsa_user_sgpr_count 2
		.amdhsa_user_sgpr_dispatch_ptr 0
		.amdhsa_user_sgpr_queue_ptr 0
		.amdhsa_user_sgpr_kernarg_segment_ptr 1
		.amdhsa_user_sgpr_dispatch_id 0
		.amdhsa_user_sgpr_private_segment_size 0
		.amdhsa_wavefront_size32 1
		.amdhsa_uses_dynamic_stack 0
		.amdhsa_enable_private_segment 0
		.amdhsa_system_sgpr_workgroup_id_x 1
		.amdhsa_system_sgpr_workgroup_id_y 1
		.amdhsa_system_sgpr_workgroup_id_z 1
		.amdhsa_system_sgpr_workgroup_info 0
		.amdhsa_system_vgpr_workitem_id 1
		.amdhsa_next_free_vgpr 71
		.amdhsa_next_free_sgpr 35
		.amdhsa_reserve_vcc 1
		.amdhsa_float_round_mode_32 0
		.amdhsa_float_round_mode_16_64 0
		.amdhsa_float_denorm_mode_32 3
		.amdhsa_float_denorm_mode_16_64 3
		.amdhsa_fp16_overflow 0
		.amdhsa_workgroup_processor_mode 1
		.amdhsa_memory_ordered 1
		.amdhsa_forward_progress 1
		.amdhsa_inst_pref_size 25
		.amdhsa_round_robin_scheduling 0
		.amdhsa_exception_fp_ieee_invalid_op 0
		.amdhsa_exception_fp_denorm_src 0
		.amdhsa_exception_fp_ieee_div_zero 0
		.amdhsa_exception_fp_ieee_overflow 0
		.amdhsa_exception_fp_ieee_underflow 0
		.amdhsa_exception_fp_ieee_inexact 0
		.amdhsa_exception_int_div_zero 0
	.end_amdhsa_kernel
	.section	.text._ZL29rocblas_internal_gemmt_kernelIiLi16ELi32ELi8ELc84ELc78ELc85ELb0ELb0E19rocblas_complex_numIfES1_PKPKS1_PKPS1_EviT_T9_T10_S9_lSB_S9_lSA_T11_S9_li,"axG",@progbits,_ZL29rocblas_internal_gemmt_kernelIiLi16ELi32ELi8ELc84ELc78ELc85ELb0ELb0E19rocblas_complex_numIfES1_PKPKS1_PKPS1_EviT_T9_T10_S9_lSB_S9_lSA_T11_S9_li,comdat
.Lfunc_end381:
	.size	_ZL29rocblas_internal_gemmt_kernelIiLi16ELi32ELi8ELc84ELc78ELc85ELb0ELb0E19rocblas_complex_numIfES1_PKPKS1_PKPS1_EviT_T9_T10_S9_lSB_S9_lSA_T11_S9_li, .Lfunc_end381-_ZL29rocblas_internal_gemmt_kernelIiLi16ELi32ELi8ELc84ELc78ELc85ELb0ELb0E19rocblas_complex_numIfES1_PKPKS1_PKPS1_EviT_T9_T10_S9_lSB_S9_lSA_T11_S9_li
                                        ; -- End function
	.set _ZL29rocblas_internal_gemmt_kernelIiLi16ELi32ELi8ELc84ELc78ELc85ELb0ELb0E19rocblas_complex_numIfES1_PKPKS1_PKPS1_EviT_T9_T10_S9_lSB_S9_lSA_T11_S9_li.num_vgpr, 71
	.set _ZL29rocblas_internal_gemmt_kernelIiLi16ELi32ELi8ELc84ELc78ELc85ELb0ELb0E19rocblas_complex_numIfES1_PKPKS1_PKPS1_EviT_T9_T10_S9_lSB_S9_lSA_T11_S9_li.num_agpr, 0
	.set _ZL29rocblas_internal_gemmt_kernelIiLi16ELi32ELi8ELc84ELc78ELc85ELb0ELb0E19rocblas_complex_numIfES1_PKPKS1_PKPS1_EviT_T9_T10_S9_lSB_S9_lSA_T11_S9_li.numbered_sgpr, 35
	.set _ZL29rocblas_internal_gemmt_kernelIiLi16ELi32ELi8ELc84ELc78ELc85ELb0ELb0E19rocblas_complex_numIfES1_PKPKS1_PKPS1_EviT_T9_T10_S9_lSB_S9_lSA_T11_S9_li.num_named_barrier, 0
	.set _ZL29rocblas_internal_gemmt_kernelIiLi16ELi32ELi8ELc84ELc78ELc85ELb0ELb0E19rocblas_complex_numIfES1_PKPKS1_PKPS1_EviT_T9_T10_S9_lSB_S9_lSA_T11_S9_li.private_seg_size, 0
	.set _ZL29rocblas_internal_gemmt_kernelIiLi16ELi32ELi8ELc84ELc78ELc85ELb0ELb0E19rocblas_complex_numIfES1_PKPKS1_PKPS1_EviT_T9_T10_S9_lSB_S9_lSA_T11_S9_li.uses_vcc, 1
	.set _ZL29rocblas_internal_gemmt_kernelIiLi16ELi32ELi8ELc84ELc78ELc85ELb0ELb0E19rocblas_complex_numIfES1_PKPKS1_PKPS1_EviT_T9_T10_S9_lSB_S9_lSA_T11_S9_li.uses_flat_scratch, 0
	.set _ZL29rocblas_internal_gemmt_kernelIiLi16ELi32ELi8ELc84ELc78ELc85ELb0ELb0E19rocblas_complex_numIfES1_PKPKS1_PKPS1_EviT_T9_T10_S9_lSB_S9_lSA_T11_S9_li.has_dyn_sized_stack, 0
	.set _ZL29rocblas_internal_gemmt_kernelIiLi16ELi32ELi8ELc84ELc78ELc85ELb0ELb0E19rocblas_complex_numIfES1_PKPKS1_PKPS1_EviT_T9_T10_S9_lSB_S9_lSA_T11_S9_li.has_recursion, 0
	.set _ZL29rocblas_internal_gemmt_kernelIiLi16ELi32ELi8ELc84ELc78ELc85ELb0ELb0E19rocblas_complex_numIfES1_PKPKS1_PKPS1_EviT_T9_T10_S9_lSB_S9_lSA_T11_S9_li.has_indirect_call, 0
	.section	.AMDGPU.csdata,"",@progbits
; Kernel info:
; codeLenInByte = 3156
; TotalNumSgprs: 37
; NumVgprs: 71
; ScratchSize: 0
; MemoryBound: 1
; FloatMode: 240
; IeeeMode: 1
; LDSByteSize: 4096 bytes/workgroup (compile time only)
; SGPRBlocks: 0
; VGPRBlocks: 8
; NumSGPRsForWavesPerEU: 37
; NumVGPRsForWavesPerEU: 71
; Occupancy: 16
; WaveLimiterHint : 1
; COMPUTE_PGM_RSRC2:SCRATCH_EN: 0
; COMPUTE_PGM_RSRC2:USER_SGPR: 2
; COMPUTE_PGM_RSRC2:TRAP_HANDLER: 0
; COMPUTE_PGM_RSRC2:TGID_X_EN: 1
; COMPUTE_PGM_RSRC2:TGID_Y_EN: 1
; COMPUTE_PGM_RSRC2:TGID_Z_EN: 1
; COMPUTE_PGM_RSRC2:TIDIG_COMP_CNT: 1
	.section	.text._ZL29rocblas_internal_gemmt_kernelIiLi16ELi32ELi8ELc84ELc84ELc85ELb0ELb0E19rocblas_complex_numIfES1_PKPKS1_PKPS1_EviT_T9_T10_S9_lSB_S9_lSA_T11_S9_li,"axG",@progbits,_ZL29rocblas_internal_gemmt_kernelIiLi16ELi32ELi8ELc84ELc84ELc85ELb0ELb0E19rocblas_complex_numIfES1_PKPKS1_PKPS1_EviT_T9_T10_S9_lSB_S9_lSA_T11_S9_li,comdat
	.globl	_ZL29rocblas_internal_gemmt_kernelIiLi16ELi32ELi8ELc84ELc84ELc85ELb0ELb0E19rocblas_complex_numIfES1_PKPKS1_PKPS1_EviT_T9_T10_S9_lSB_S9_lSA_T11_S9_li ; -- Begin function _ZL29rocblas_internal_gemmt_kernelIiLi16ELi32ELi8ELc84ELc84ELc85ELb0ELb0E19rocblas_complex_numIfES1_PKPKS1_PKPS1_EviT_T9_T10_S9_lSB_S9_lSA_T11_S9_li
	.p2align	8
	.type	_ZL29rocblas_internal_gemmt_kernelIiLi16ELi32ELi8ELc84ELc84ELc85ELb0ELb0E19rocblas_complex_numIfES1_PKPKS1_PKPS1_EviT_T9_T10_S9_lSB_S9_lSA_T11_S9_li,@function
_ZL29rocblas_internal_gemmt_kernelIiLi16ELi32ELi8ELc84ELc84ELc85ELb0ELb0E19rocblas_complex_numIfES1_PKPKS1_PKPS1_EviT_T9_T10_S9_lSB_S9_lSA_T11_S9_li: ; @_ZL29rocblas_internal_gemmt_kernelIiLi16ELi32ELi8ELc84ELc84ELc85ELb0ELb0E19rocblas_complex_numIfES1_PKPKS1_PKPS1_EviT_T9_T10_S9_lSB_S9_lSA_T11_S9_li
; %bb.0:
	s_clause 0x1
	s_load_b64 s[20:21], s[0:1], 0x40
	s_load_b128 s[4:7], s[0:1], 0x0
	s_wait_kmcnt 0x0
	s_cmp_eq_f32 s20, 1.0
	s_cselect_b32 s2, -1, 0
	s_and_b32 s3, s21, 0x7fffffff
	s_delay_alu instid0(SALU_CYCLE_1) | instskip(SKIP_1) | instid1(SALU_CYCLE_1)
	s_cmp_eq_u32 s3, 0
	s_cselect_b32 s3, -1, 0
	s_and_b32 s8, s2, s3
	s_mov_b32 s2, 0
	s_and_not1_b32 vcc_lo, exec_lo, s8
	s_mov_b32 s8, -1
	s_cbranch_vccnz .LBB382_4
; %bb.1:
	s_cmp_lg_u32 s5, 0
	s_cbranch_scc0 .LBB382_3
; %bb.2:
	s_cmp_neq_f32 s6, 0
	s_cselect_b32 s2, -1, 0
	s_cmp_neq_f32 s7, 0
	s_cselect_b32 s8, -1, 0
	s_delay_alu instid0(SALU_CYCLE_1)
	s_or_b32 s2, s2, s8
.LBB382_3:
	s_delay_alu instid0(SALU_CYCLE_1)
	s_mov_b32 s8, s2
.LBB382_4:
	s_delay_alu instid0(SALU_CYCLE_1)
	s_and_b32 vcc_lo, exec_lo, s8
	s_cbranch_vccz .LBB382_39
; %bb.5:
	s_load_b32 s15, s[0:1], 0x60
	s_lshr_b32 s22, ttmp7, 16
	s_wait_kmcnt 0x0
	s_cmp_ge_u32 s22, s15
	s_cbranch_scc1 .LBB382_39
; %bb.6:
	s_load_b32 s24, s[0:1], 0x30
	v_and_b32_e32 v1, 0x3ff, v0
	v_bfe_u32 v2, v0, 10, 10
	v_and_b32_e32 v16, 7, v0
	s_clause 0x4
	s_load_b96 s[12:14], s[0:1], 0x10
	s_load_b128 s[8:11], s[0:1], 0x20
	s_load_b64 s[28:29], s[0:1], 0x38
	s_load_b96 s[16:18], s[0:1], 0x48
	s_load_b64 s[26:27], s[0:1], 0x58
	s_lshl_b32 s1, ttmp7, 5
	s_lshl_b32 s0, ttmp9, 5
	v_lshl_add_u32 v0, v2, 4, v1
	s_and_b32 s1, s1, 0x1fffe0
	v_lshlrev_b32_e32 v3, 3, v16
	v_add_nc_u32_e32 v6, s0, v1
	v_lshlrev_b32_e32 v20, 3, v1
	v_lshrrev_b32_e32 v5, 3, v0
	v_and_b32_e32 v4, 31, v0
	v_lshrrev_b32_e32 v17, 5, v0
	v_add_nc_u32_e32 v8, 16, v6
	v_lshl_add_u32 v21, v2, 6, 0x800
	v_lshl_or_b32 v3, v5, 6, v3
	v_or_b32_e32 v0, s0, v4
	v_lshlrev_b32_e32 v4, 3, v4
	s_wait_kmcnt 0x0
	s_ashr_i32 s25, s24, 31
	s_cmp_neq_f32 s6, 0
	v_add_nc_u32_e32 v19, 0x800, v3
	v_add_nc_u32_e32 v3, s1, v2
	;; [unrolled: 1-line block ×3, first 2 shown]
	s_cselect_b32 s2, -1, 0
	s_cmp_neq_f32 s7, 0
	v_lshl_or_b32 v18, v17, 8, v4
	v_cmp_gt_i32_e64 s1, s4, v3
	v_mad_co_i64_i32 v[1:2], null, v3, s18, 0
	s_cselect_b32 s19, -1, 0
	v_add_nc_u32_e32 v5, 16, v3
	s_wait_alu 0xfffe
	s_or_b32 s31, s2, s19
	s_cmp_gt_i32 s5, 0
	v_cmp_le_i32_e64 s2, v6, v3
	s_cselect_b32 s33, -1, 0
	s_cmp_neq_f32 s20, 0
	v_mad_co_i64_i32 v[10:11], null, s24, v16, 0
	v_cmp_gt_i32_e32 vcc_lo, s4, v0
	s_cselect_b32 s34, -1, 0
	s_xor_b32 s35, s3, -1
	v_cmp_le_i32_e64 s3, v8, v3
	v_mad_co_i64_i32 v[3:4], null, s14, v0, 0
	s_and_b32 s19, s1, s2
	v_cmp_le_i32_e64 s2, v6, v5
	s_and_b32 s30, s1, s3
	v_cmp_gt_i32_e64 s1, s4, v5
	v_cmp_le_i32_e64 s3, v8, v5
	v_cmp_gt_i32_e64 s0, s4, v14
	v_lshlrev_b64_e32 v[3:4], 3, v[3:4]
	v_lshlrev_b64_e32 v[10:11], 3, v[10:11]
	s_and_b32 s4, s1, s2
	s_and_b32 s14, s1, s3
	s_lshl_b64 s[2:3], s[8:9], 3
	v_mad_co_i64_i32 v[12:13], null, v5, s18, 0
	v_add_co_u32 v3, s1, v3, s2
	s_wait_alu 0xf1ff
	v_add_co_ci_u32_e64 v4, null, s3, v4, s1
	v_lshlrev_b32_e32 v5, 3, v17
	s_lshl_b64 s[2:3], s[28:29], 3
	v_lshlrev_b32_e32 v14, 3, v14
	s_wait_alu 0xfffe
	v_add_co_u32 v10, s1, v10, s2
	v_ashrrev_i32_e32 v7, 31, v6
	v_ashrrev_i32_e32 v9, 31, v8
	s_wait_alu 0xf1ff
	v_add_co_ci_u32_e64 v11, null, s3, v11, s1
	v_add_co_u32 v22, s1, v3, v5
	s_wait_alu 0xf1ff
	v_add_co_ci_u32_e64 v23, null, 0, v4, s1
	v_add_co_u32 v24, s1, v10, v14
	v_lshlrev_b64_e32 v[2:3], 3, v[1:2]
	v_lshlrev_b64_e32 v[4:5], 3, v[12:13]
	;; [unrolled: 1-line block ×4, first 2 shown]
	v_mov_b32_e32 v0, 0
	s_wait_alu 0xf1ff
	v_add_co_ci_u32_e64 v25, null, 0, v11, s1
	s_mov_b32 s23, 0
	s_lshl_b64 s[2:3], s[24:25], 6
	s_and_b32 s18, s31, s33
	s_or_b32 s24, s34, s35
	s_xor_b32 s25, vcc_lo, -1
	s_xor_b32 s28, s0, -1
	s_lshl_b64 s[0:1], s[26:27], 3
	s_branch .LBB382_8
.LBB382_7:                              ;   in Loop: Header=BB382_8 Depth=1
	s_wait_alu 0xfffe
	s_or_b32 exec_lo, exec_lo, s8
	s_add_co_i32 s22, s22, 0x10000
	s_delay_alu instid0(SALU_CYCLE_1)
	s_cmp_lt_u32 s22, s15
	s_cbranch_scc0 .LBB382_39
.LBB382_8:                              ; =>This Loop Header: Depth=1
                                        ;     Child Loop BB382_11 Depth 2
	s_lshl_b64 s[8:9], s[22:23], 3
	v_dual_mov_b32 v33, v0 :: v_dual_mov_b32 v32, v0
	s_wait_alu 0xfffe
	s_add_nc_u64 s[26:27], s[16:17], s[8:9]
	v_dual_mov_b32 v30, v0 :: v_dual_mov_b32 v31, v0
	global_load_b64 v[10:11], v0, s[26:27]
	v_dual_mov_b32 v28, v0 :: v_dual_mov_b32 v29, v0
	v_dual_mov_b32 v27, v0 :: v_dual_mov_b32 v26, v0
	s_and_not1_b32 vcc_lo, exec_lo, s18
	s_wait_alu 0xfffe
	s_cbranch_vccnz .LBB382_19
; %bb.9:                                ;   in Loop: Header=BB382_8 Depth=1
	s_add_nc_u64 s[26:27], s[12:13], s[8:9]
	s_add_nc_u64 s[8:9], s[10:11], s[8:9]
	s_clause 0x1
	global_load_b64 v[12:13], v0, s[26:27]
	global_load_b64 v[14:15], v0, s[8:9]
	v_dual_mov_b32 v26, 0 :: v_dual_mov_b32 v27, 0
	v_dual_mov_b32 v29, 0 :: v_dual_mov_b32 v28, 0
	;; [unrolled: 1-line block ×4, first 2 shown]
	s_mov_b32 s8, 0
	s_wait_loadcnt 0x1
	v_add_co_u32 v12, vcc_lo, v12, v22
	s_wait_alu 0xfffd
	v_add_co_ci_u32_e64 v13, null, v13, v23, vcc_lo
	s_wait_loadcnt 0x0
	v_add_co_u32 v14, vcc_lo, v14, v24
	s_wait_alu 0xfffd
	v_add_co_ci_u32_e64 v15, null, v15, v25, vcc_lo
	s_branch .LBB382_11
.LBB382_10:                             ;   in Loop: Header=BB382_11 Depth=2
	s_wait_alu 0xfffe
	s_or_b32 exec_lo, exec_lo, s9
	s_wait_dscnt 0x0
	s_barrier_signal -1
	s_barrier_wait -1
	global_inv scope:SCOPE_SE
	ds_load_b128 v[34:37], v21
	ds_load_2addr_b64 v[38:41], v20 offset1:16
	ds_load_b128 v[42:45], v21 offset:1024
	ds_load_b128 v[46:49], v21 offset:16
	;; [unrolled: 1-line block ×4, first 2 shown]
	ds_load_2addr_b64 v[58:61], v20 offset0:32 offset1:48
	ds_load_b128 v[62:65], v21 offset:1040
	v_add_co_u32 v12, vcc_lo, v12, 64
	s_wait_alu 0xfffd
	v_add_co_ci_u32_e64 v13, null, 0, v13, vcc_lo
	v_add_co_u32 v14, vcc_lo, v14, s2
	s_wait_alu 0xfffd
	v_add_co_ci_u32_e64 v15, null, s3, v15, vcc_lo
	s_add_co_i32 s8, s8, 8
	s_wait_alu 0xfffe
	s_cmp_lt_i32 s8, s5
	s_wait_dscnt 0x6
	v_dual_mul_f32 v1, v35, v39 :: v_dual_mul_f32 v68, v34, v41
	v_dual_mul_f32 v66, v34, v39 :: v_dual_mul_f32 v67, v35, v41
	s_wait_dscnt 0x5
	v_mul_f32_e32 v70, v43, v41
	s_delay_alu instid0(VALU_DEP_3) | instskip(SKIP_3) | instid1(VALU_DEP_4)
	v_fma_f32 v1, v34, v38, -v1
	v_dual_mul_f32 v41, v42, v41 :: v_dual_fmac_f32 v68, v35, v40
	v_fmac_f32_e32 v66, v35, v38
	v_fma_f32 v34, v34, v40, -v67
	v_add_f32_e32 v1, v33, v1
	v_mul_f32_e32 v69, v43, v39
	s_delay_alu instid0(VALU_DEP_4) | instskip(NEXT) | instid1(VALU_DEP_4)
	v_dual_mul_f32 v39, v42, v39 :: v_dual_add_f32 v32, v32, v66
	v_add_f32_e32 v33, v30, v34
	v_fmac_f32_e32 v41, v43, v40
	s_delay_alu instid0(VALU_DEP_4) | instskip(NEXT) | instid1(VALU_DEP_4)
	v_fma_f32 v35, v42, v38, -v69
	v_fmac_f32_e32 v39, v43, v38
	v_fma_f32 v38, v42, v40, -v70
	s_wait_dscnt 0x1
	v_dual_mul_f32 v40, v36, v59 :: v_dual_add_f32 v31, v31, v68
	v_mul_f32_e32 v42, v37, v61
	v_add_f32_e32 v34, v28, v35
	v_dual_add_f32 v35, v29, v39 :: v_dual_add_f32 v38, v27, v38
	ds_load_2addr_b64 v[27:30], v20 offset0:64 offset1:80
	v_fmac_f32_e32 v40, v37, v58
	v_dual_mul_f32 v39, v37, v59 :: v_dual_add_f32 v26, v26, v41
	v_mul_f32_e32 v41, v36, v61
	s_delay_alu instid0(VALU_DEP_3) | instskip(NEXT) | instid1(VALU_DEP_3)
	v_add_f32_e32 v40, v32, v40
	v_fma_f32 v39, v36, v58, -v39
	v_fma_f32 v36, v36, v60, -v42
	v_mul_f32_e32 v32, v44, v59
	s_delay_alu instid0(VALU_DEP_3) | instskip(SKIP_1) | instid1(VALU_DEP_4)
	v_add_f32_e32 v1, v1, v39
	v_mul_f32_e32 v39, v45, v59
	v_add_f32_e32 v36, v33, v36
	v_fmac_f32_e32 v41, v37, v60
	v_mul_f32_e32 v37, v45, v61
	v_fmac_f32_e32 v32, v45, v58
	v_fma_f32 v33, v44, v58, -v39
	s_delay_alu instid0(VALU_DEP_4) | instskip(SKIP_4) | instid1(VALU_DEP_3)
	v_add_f32_e32 v39, v31, v41
	v_mul_f32_e32 v41, v44, v61
	v_fma_f32 v31, v44, v60, -v37
	s_wait_dscnt 0x0
	v_dual_add_f32 v42, v34, v33 :: v_dual_mul_f32 v33, v47, v28
	v_dual_mul_f32 v44, v47, v30 :: v_dual_fmac_f32 v41, v45, v60
	v_mul_f32_e32 v37, v46, v28
	v_add_f32_e32 v38, v38, v31
	s_delay_alu instid0(VALU_DEP_3) | instskip(SKIP_3) | instid1(VALU_DEP_2)
	v_add_f32_e32 v41, v26, v41
	v_mul_f32_e32 v26, v46, v30
	v_fma_f32 v43, v46, v27, -v33
	v_fmac_f32_e32 v37, v47, v27
	v_dual_fmac_f32 v26, v47, v29 :: v_dual_add_f32 v1, v1, v43
	v_fma_f32 v43, v46, v29, -v44
	v_add_f32_e32 v35, v35, v32
	ds_load_2addr_b64 v[31:34], v20 offset0:96 offset1:112
	v_dual_add_f32 v37, v40, v37 :: v_dual_mul_f32 v40, v63, v28
	v_mul_f32_e32 v28, v62, v28
	v_dual_add_f32 v36, v36, v43 :: v_dual_mul_f32 v43, v63, v30
	v_mul_f32_e32 v30, v62, v30
	s_delay_alu instid0(VALU_DEP_4) | instskip(NEXT) | instid1(VALU_DEP_4)
	v_fma_f32 v40, v62, v27, -v40
	v_fmac_f32_e32 v28, v63, v27
	v_add_f32_e32 v39, v39, v26
	v_fma_f32 v26, v62, v29, -v43
	v_fmac_f32_e32 v30, v63, v29
	v_add_f32_e32 v40, v42, v40
	s_delay_alu instid0(VALU_DEP_3)
	v_dual_add_f32 v42, v35, v28 :: v_dual_add_f32 v43, v38, v26
	ds_load_2addr_b64 v[26:29], v20 offset0:128 offset1:144
	s_wait_dscnt 0x1
	v_mul_f32_e32 v35, v49, v32
	v_mul_f32_e32 v38, v48, v32
	;; [unrolled: 1-line block ×4, first 2 shown]
	s_delay_alu instid0(VALU_DEP_4) | instskip(NEXT) | instid1(VALU_DEP_4)
	v_fma_f32 v35, v48, v31, -v35
	v_fmac_f32_e32 v38, v49, v31
	s_delay_alu instid0(VALU_DEP_2) | instskip(SKIP_1) | instid1(VALU_DEP_3)
	v_add_f32_e32 v1, v1, v35
	v_mul_f32_e32 v35, v65, v32
	v_dual_mul_f32 v32, v64, v32 :: v_dual_add_f32 v45, v37, v38
	s_delay_alu instid0(VALU_DEP_2) | instskip(NEXT) | instid1(VALU_DEP_2)
	v_fma_f32 v46, v64, v31, -v35
	v_fmac_f32_e32 v32, v65, v31
	s_wait_dscnt 0x0
	v_mul_f32_e32 v31, v51, v27
	v_fma_f32 v44, v48, v33, -v44
	v_add_f32_e32 v41, v41, v30
	v_mul_f32_e32 v30, v48, v34
	v_mul_f32_e32 v58, v50, v29
	s_delay_alu instid0(VALU_DEP_4) | instskip(SKIP_2) | instid1(VALU_DEP_1)
	v_add_f32_e32 v44, v36, v44
	ds_load_b128 v[35:38], v21 offset:1056
	v_dual_fmac_f32 v30, v49, v33 :: v_dual_mul_f32 v49, v50, v27
	v_add_f32_e32 v48, v39, v30
	v_fma_f32 v30, v64, v33, -v47
	v_fma_f32 v39, v50, v26, -v31
	v_mul_f32_e32 v34, v64, v34
	v_fmac_f32_e32 v49, v51, v26
	v_add_f32_e32 v46, v40, v46
	v_add_f32_e32 v43, v43, v30
	;; [unrolled: 1-line block ×4, first 2 shown]
	v_fmac_f32_e32 v34, v65, v33
	ds_load_2addr_b64 v[30:33], v20 offset0:160 offset1:176
	v_mul_f32_e32 v40, v51, v29
	v_add_f32_e32 v45, v45, v49
	v_add_f32_e32 v34, v41, v34
	s_delay_alu instid0(VALU_DEP_3)
	v_fma_f32 v50, v50, v28, -v40
	ds_load_b128 v[39:42], v21 offset:1072
	s_wait_dscnt 0x2
	v_mul_f32_e32 v59, v36, v27
	v_dual_mul_f32 v27, v35, v27 :: v_dual_add_f32 v44, v44, v50
	v_fmac_f32_e32 v58, v51, v28
	v_mul_f32_e32 v50, v36, v29
	s_delay_alu instid0(VALU_DEP_4) | instskip(NEXT) | instid1(VALU_DEP_4)
	v_fma_f32 v49, v35, v26, -v59
	v_fmac_f32_e32 v27, v36, v26
	s_delay_alu instid0(VALU_DEP_4) | instskip(SKIP_1) | instid1(VALU_DEP_3)
	v_dual_mul_f32 v51, v35, v29 :: v_dual_add_f32 v48, v48, v58
	s_wait_dscnt 0x1
	v_dual_add_f32 v46, v46, v49 :: v_dual_mul_f32 v29, v53, v31
	v_fma_f32 v26, v35, v28, -v50
	v_add_f32_e32 v35, v47, v27
	v_fmac_f32_e32 v51, v36, v28
	v_mul_f32_e32 v36, v52, v31
	v_fma_f32 v47, v52, v30, -v29
	v_add_f32_e32 v43, v43, v26
	ds_load_2addr_b64 v[26:29], v20 offset0:192 offset1:208
	v_fmac_f32_e32 v36, v53, v30
	v_dual_mul_f32 v49, v53, v33 :: v_dual_add_f32 v50, v34, v51
	v_dual_add_f32 v1, v1, v47 :: v_dual_mul_f32 v34, v52, v33
	s_delay_alu instid0(VALU_DEP_3) | instskip(NEXT) | instid1(VALU_DEP_3)
	v_dual_add_f32 v45, v45, v36 :: v_dual_mul_f32 v36, v38, v31
	v_fma_f32 v47, v52, v32, -v49
	s_delay_alu instid0(VALU_DEP_3) | instskip(NEXT) | instid1(VALU_DEP_3)
	v_fmac_f32_e32 v34, v53, v32
	v_fma_f32 v36, v37, v30, -v36
	s_delay_alu instid0(VALU_DEP_3) | instskip(SKIP_1) | instid1(VALU_DEP_3)
	v_dual_add_f32 v44, v44, v47 :: v_dual_mul_f32 v47, v38, v33
	v_mul_f32_e32 v31, v37, v31
	v_dual_mul_f32 v33, v37, v33 :: v_dual_add_f32 v46, v46, v36
	s_delay_alu instid0(VALU_DEP_2) | instskip(SKIP_2) | instid1(VALU_DEP_4)
	v_fmac_f32_e32 v31, v38, v30
	v_add_f32_e32 v30, v48, v34
	v_fma_f32 v34, v37, v32, -v47
	v_fmac_f32_e32 v33, v38, v32
	s_wait_dscnt 0x0
	v_mul_f32_e32 v38, v54, v27
	v_dual_add_f32 v31, v35, v31 :: v_dual_mul_f32 v48, v54, v29
	v_add_f32_e32 v32, v43, v34
	ds_load_2addr_b64 v[34:37], v20 offset0:224 offset1:240
	v_dual_add_f32 v33, v50, v33 :: v_dual_fmac_f32 v38, v55, v26
	v_mul_f32_e32 v47, v55, v27
	v_fmac_f32_e32 v48, v55, v28
	s_wait_loadcnt_dscnt 0x0
	s_barrier_signal -1
	v_add_f32_e32 v38, v45, v38
	v_fma_f32 v43, v54, v26, -v47
	v_mul_f32_e32 v47, v55, v29
	v_mul_f32_e32 v45, v40, v29
	;; [unrolled: 1-line block ×3, first 2 shown]
	s_barrier_wait -1
	v_add_f32_e32 v1, v1, v43
	v_fma_f32 v47, v54, v28, -v47
	v_mul_f32_e32 v43, v40, v27
	v_fmac_f32_e32 v29, v40, v28
	global_inv scope:SCOPE_SE
	v_dual_add_f32 v44, v44, v47 :: v_dual_add_f32 v47, v30, v48
	v_fma_f32 v30, v39, v28, -v45
	v_mul_f32_e32 v27, v39, v27
	s_delay_alu instid0(VALU_DEP_1) | instskip(NEXT) | instid1(VALU_DEP_3)
	v_fmac_f32_e32 v27, v40, v26
	v_add_f32_e32 v40, v32, v30
	v_mul_f32_e32 v30, v57, v37
	v_fma_f32 v43, v39, v26, -v43
	v_mul_f32_e32 v39, v57, v35
	s_delay_alu instid0(VALU_DEP_2) | instskip(NEXT) | instid1(VALU_DEP_2)
	v_add_f32_e32 v26, v46, v43
	v_fma_f32 v28, v56, v34, -v39
	v_add_f32_e32 v39, v33, v29
	v_mul_f32_e32 v29, v41, v35
	s_delay_alu instid0(VALU_DEP_3) | instskip(SKIP_2) | instid1(VALU_DEP_2)
	v_add_f32_e32 v33, v1, v28
	v_fma_f32 v1, v56, v36, -v30
	v_mul_f32_e32 v28, v42, v35
	v_dual_fmac_f32 v29, v42, v34 :: v_dual_add_f32 v30, v44, v1
	s_delay_alu instid0(VALU_DEP_2) | instskip(SKIP_2) | instid1(VALU_DEP_2)
	v_fma_f32 v1, v41, v34, -v28
	v_mul_f32_e32 v43, v56, v35
	v_mul_f32_e32 v35, v42, v37
	v_dual_add_f32 v28, v26, v1 :: v_dual_fmac_f32 v43, v57, v34
	s_delay_alu instid0(VALU_DEP_2) | instskip(NEXT) | instid1(VALU_DEP_2)
	v_fma_f32 v34, v41, v36, -v35
	v_add_f32_e32 v32, v38, v43
	v_add_f32_e32 v27, v31, v27
	v_mul_f32_e32 v31, v56, v37
	v_mul_f32_e32 v37, v41, v37
	s_delay_alu instid0(VALU_DEP_3) | instskip(NEXT) | instid1(VALU_DEP_3)
	v_add_f32_e32 v29, v27, v29
	v_fmac_f32_e32 v31, v57, v36
	s_delay_alu instid0(VALU_DEP_3) | instskip(SKIP_1) | instid1(VALU_DEP_3)
	v_fmac_f32_e32 v37, v42, v36
	v_add_f32_e32 v27, v40, v34
	v_add_f32_e32 v31, v47, v31
	s_delay_alu instid0(VALU_DEP_3)
	v_add_f32_e32 v26, v39, v37
	s_cbranch_scc0 .LBB382_19
.LBB382_11:                             ;   Parent Loop BB382_8 Depth=1
                                        ; =>  This Inner Loop Header: Depth=2
	s_wait_alu 0xfffe
	v_add_nc_u32_e32 v1, s8, v17
	s_delay_alu instid0(VALU_DEP_1) | instskip(SKIP_3) | instid1(SALU_CYCLE_1)
	v_cmp_le_i32_e32 vcc_lo, s5, v1
	s_or_b32 s9, s25, vcc_lo
	s_wait_alu 0xfffe
	s_and_saveexec_b32 s26, s9
	s_xor_b32 s9, exec_lo, s26
; %bb.12:                               ;   in Loop: Header=BB382_11 Depth=2
	v_mov_b32_e32 v1, v0
	ds_store_b64 v18, v[0:1]
; %bb.13:                               ;   in Loop: Header=BB382_11 Depth=2
	s_wait_alu 0xfffe
	s_and_not1_saveexec_b32 s9, s9
	s_cbranch_execz .LBB382_15
; %bb.14:                               ;   in Loop: Header=BB382_11 Depth=2
	flat_load_b64 v[34:35], v[12:13]
	s_wait_loadcnt_dscnt 0x0
	ds_store_b64 v18, v[34:35]
.LBB382_15:                             ;   in Loop: Header=BB382_11 Depth=2
	s_wait_alu 0xfffe
	s_or_b32 exec_lo, exec_lo, s9
	v_add_nc_u32_e32 v1, s8, v16
	s_delay_alu instid0(VALU_DEP_1) | instskip(SKIP_3) | instid1(SALU_CYCLE_1)
	v_cmp_le_i32_e32 vcc_lo, s5, v1
	s_or_b32 s9, vcc_lo, s28
	s_wait_alu 0xfffe
	s_and_saveexec_b32 s26, s9
	s_xor_b32 s9, exec_lo, s26
; %bb.16:                               ;   in Loop: Header=BB382_11 Depth=2
	v_mov_b32_e32 v1, v0
	ds_store_b64 v19, v[0:1]
; %bb.17:                               ;   in Loop: Header=BB382_11 Depth=2
	s_wait_alu 0xfffe
	s_and_not1_saveexec_b32 s9, s9
	s_cbranch_execz .LBB382_10
; %bb.18:                               ;   in Loop: Header=BB382_11 Depth=2
	flat_load_b64 v[34:35], v[14:15]
	s_wait_loadcnt_dscnt 0x0
	ds_store_b64 v19, v[34:35]
	s_branch .LBB382_10
.LBB382_19:                             ;   in Loop: Header=BB382_8 Depth=1
	s_wait_loadcnt 0x0
	v_add_co_u32 v1, vcc_lo, v10, s0
	s_wait_alu 0xfffd
	v_add_co_ci_u32_e64 v12, null, s1, v11, vcc_lo
	s_delay_alu instid0(VALU_DEP_2) | instskip(SKIP_1) | instid1(VALU_DEP_2)
	v_add_co_u32 v13, vcc_lo, v1, v2
	s_wait_alu 0xfffd
	v_add_co_ci_u32_e64 v14, null, v12, v3, vcc_lo
	s_and_saveexec_b32 s8, s19
	s_cbranch_execz .LBB382_24
; %bb.20:                               ;   in Loop: Header=BB382_8 Depth=1
	v_mul_f32_e32 v11, s6, v32
	v_mul_f32_e32 v10, s7, v32
	s_and_b32 vcc_lo, exec_lo, s24
	s_mov_b32 s9, -1
	s_delay_alu instid0(VALU_DEP_2) | instskip(NEXT) | instid1(VALU_DEP_2)
	v_fmac_f32_e32 v11, s7, v33
	v_fma_f32 v10, v33, s6, -v10
	s_wait_alu 0xfffe
	s_cbranch_vccz .LBB382_22
; %bb.21:                               ;   in Loop: Header=BB382_8 Depth=1
	v_add_co_u32 v32, vcc_lo, v13, v6
	s_wait_alu 0xfffd
	v_add_co_ci_u32_e64 v33, null, v14, v7, vcc_lo
	s_mov_b32 s9, 0
	flat_load_b64 v[34:35], v[32:33]
	s_wait_loadcnt_dscnt 0x0
	v_mul_f32_e32 v15, s21, v35
	v_mul_f32_e32 v35, s20, v35
	s_delay_alu instid0(VALU_DEP_2) | instskip(NEXT) | instid1(VALU_DEP_1)
	v_fma_f32 v15, v34, s20, -v15
	v_dual_fmac_f32 v35, s21, v34 :: v_dual_add_f32 v34, v10, v15
	s_delay_alu instid0(VALU_DEP_1)
	v_add_f32_e32 v35, v11, v35
	flat_store_b64 v[32:33], v[34:35]
.LBB382_22:                             ;   in Loop: Header=BB382_8 Depth=1
	s_wait_alu 0xfffe
	s_and_not1_b32 vcc_lo, exec_lo, s9
	s_wait_alu 0xfffe
	s_cbranch_vccnz .LBB382_24
; %bb.23:                               ;   in Loop: Header=BB382_8 Depth=1
	v_add_co_u32 v32, vcc_lo, v13, v6
	s_wait_alu 0xfffd
	v_add_co_ci_u32_e64 v33, null, v14, v7, vcc_lo
	flat_store_b64 v[32:33], v[10:11]
.LBB382_24:                             ;   in Loop: Header=BB382_8 Depth=1
	s_wait_alu 0xfffe
	s_or_b32 exec_lo, exec_lo, s8
	s_and_saveexec_b32 s8, s30
	s_cbranch_execz .LBB382_29
; %bb.25:                               ;   in Loop: Header=BB382_8 Depth=1
	v_mul_f32_e32 v11, s6, v31
	v_mul_f32_e32 v10, s7, v31
	s_and_not1_b32 vcc_lo, exec_lo, s24
	s_mov_b32 s9, -1
	s_delay_alu instid0(VALU_DEP_2) | instskip(NEXT) | instid1(VALU_DEP_2)
	v_fmac_f32_e32 v11, s7, v30
	v_fma_f32 v10, v30, s6, -v10
	s_wait_alu 0xfffe
	s_cbranch_vccnz .LBB382_27
; %bb.26:                               ;   in Loop: Header=BB382_8 Depth=1
	v_add_co_u32 v30, vcc_lo, v13, v8
	s_wait_alu 0xfffd
	v_add_co_ci_u32_e64 v31, null, v14, v9, vcc_lo
	s_mov_b32 s9, 0
	flat_load_b64 v[32:33], v[30:31]
	s_wait_loadcnt_dscnt 0x0
	v_mul_f32_e32 v15, s21, v33
	s_delay_alu instid0(VALU_DEP_1) | instskip(SKIP_1) | instid1(VALU_DEP_1)
	v_fma_f32 v15, v32, s20, -v15
	v_mul_f32_e32 v33, s20, v33
	v_dual_fmac_f32 v33, s21, v32 :: v_dual_add_f32 v32, v10, v15
	s_delay_alu instid0(VALU_DEP_1)
	v_add_f32_e32 v33, v11, v33
	flat_store_b64 v[30:31], v[32:33]
.LBB382_27:                             ;   in Loop: Header=BB382_8 Depth=1
	s_wait_alu 0xfffe
	s_and_not1_b32 vcc_lo, exec_lo, s9
	s_wait_alu 0xfffe
	s_cbranch_vccnz .LBB382_29
; %bb.28:                               ;   in Loop: Header=BB382_8 Depth=1
	v_add_co_u32 v13, vcc_lo, v13, v8
	s_wait_alu 0xfffd
	v_add_co_ci_u32_e64 v14, null, v14, v9, vcc_lo
	flat_store_b64 v[13:14], v[10:11]
.LBB382_29:                             ;   in Loop: Header=BB382_8 Depth=1
	s_wait_alu 0xfffe
	s_or_b32 exec_lo, exec_lo, s8
	v_add_co_u32 v1, vcc_lo, v1, v4
	s_wait_alu 0xfffd
	v_add_co_ci_u32_e64 v12, null, v12, v5, vcc_lo
	s_and_saveexec_b32 s8, s4
	s_cbranch_execz .LBB382_34
; %bb.30:                               ;   in Loop: Header=BB382_8 Depth=1
	v_mul_f32_e32 v11, s6, v29
	v_mul_f32_e32 v10, s7, v29
	s_and_not1_b32 vcc_lo, exec_lo, s24
	s_mov_b32 s9, -1
	s_delay_alu instid0(VALU_DEP_2) | instskip(NEXT) | instid1(VALU_DEP_2)
	v_fmac_f32_e32 v11, s7, v28
	v_fma_f32 v10, v28, s6, -v10
	s_wait_alu 0xfffe
	s_cbranch_vccnz .LBB382_32
; %bb.31:                               ;   in Loop: Header=BB382_8 Depth=1
	v_add_co_u32 v13, vcc_lo, v1, v6
	s_wait_alu 0xfffd
	v_add_co_ci_u32_e64 v14, null, v12, v7, vcc_lo
	s_mov_b32 s9, 0
	flat_load_b64 v[28:29], v[13:14]
	s_wait_loadcnt_dscnt 0x0
	v_mul_f32_e32 v15, s21, v29
	s_delay_alu instid0(VALU_DEP_1) | instskip(SKIP_1) | instid1(VALU_DEP_1)
	v_fma_f32 v15, v28, s20, -v15
	v_mul_f32_e32 v29, s20, v29
	v_dual_fmac_f32 v29, s21, v28 :: v_dual_add_f32 v28, v10, v15
	s_delay_alu instid0(VALU_DEP_1)
	v_add_f32_e32 v29, v11, v29
	flat_store_b64 v[13:14], v[28:29]
.LBB382_32:                             ;   in Loop: Header=BB382_8 Depth=1
	s_wait_alu 0xfffe
	s_and_not1_b32 vcc_lo, exec_lo, s9
	s_wait_alu 0xfffe
	s_cbranch_vccnz .LBB382_34
; %bb.33:                               ;   in Loop: Header=BB382_8 Depth=1
	v_add_co_u32 v13, vcc_lo, v1, v6
	s_wait_alu 0xfffd
	v_add_co_ci_u32_e64 v14, null, v12, v7, vcc_lo
	flat_store_b64 v[13:14], v[10:11]
.LBB382_34:                             ;   in Loop: Header=BB382_8 Depth=1
	s_wait_alu 0xfffe
	s_or_b32 exec_lo, exec_lo, s8
	s_and_saveexec_b32 s8, s14
	s_cbranch_execz .LBB382_7
; %bb.35:                               ;   in Loop: Header=BB382_8 Depth=1
	v_mul_f32_e32 v11, s6, v26
	v_mul_f32_e32 v10, s7, v26
	s_and_not1_b32 vcc_lo, exec_lo, s24
	s_mov_b32 s9, -1
	s_delay_alu instid0(VALU_DEP_2) | instskip(NEXT) | instid1(VALU_DEP_2)
	v_fmac_f32_e32 v11, s7, v27
	v_fma_f32 v10, v27, s6, -v10
	s_wait_alu 0xfffe
	s_cbranch_vccnz .LBB382_37
; %bb.36:                               ;   in Loop: Header=BB382_8 Depth=1
	v_add_co_u32 v13, vcc_lo, v1, v8
	s_wait_alu 0xfffd
	v_add_co_ci_u32_e64 v14, null, v12, v9, vcc_lo
	s_mov_b32 s9, 0
	flat_load_b64 v[26:27], v[13:14]
	s_wait_loadcnt_dscnt 0x0
	v_mul_f32_e32 v15, s21, v27
	v_mul_f32_e32 v27, s20, v27
	s_delay_alu instid0(VALU_DEP_2) | instskip(NEXT) | instid1(VALU_DEP_1)
	v_fma_f32 v15, v26, s20, -v15
	v_dual_fmac_f32 v27, s21, v26 :: v_dual_add_f32 v26, v10, v15
	s_delay_alu instid0(VALU_DEP_1)
	v_add_f32_e32 v27, v11, v27
	flat_store_b64 v[13:14], v[26:27]
.LBB382_37:                             ;   in Loop: Header=BB382_8 Depth=1
	s_wait_alu 0xfffe
	s_and_not1_b32 vcc_lo, exec_lo, s9
	s_wait_alu 0xfffe
	s_cbranch_vccnz .LBB382_7
; %bb.38:                               ;   in Loop: Header=BB382_8 Depth=1
	v_add_co_u32 v13, vcc_lo, v1, v8
	s_wait_alu 0xfffd
	v_add_co_ci_u32_e64 v14, null, v12, v9, vcc_lo
	flat_store_b64 v[13:14], v[10:11]
	s_branch .LBB382_7
.LBB382_39:
	s_endpgm
	.section	.rodata,"a",@progbits
	.p2align	6, 0x0
	.amdhsa_kernel _ZL29rocblas_internal_gemmt_kernelIiLi16ELi32ELi8ELc84ELc84ELc85ELb0ELb0E19rocblas_complex_numIfES1_PKPKS1_PKPS1_EviT_T9_T10_S9_lSB_S9_lSA_T11_S9_li
		.amdhsa_group_segment_fixed_size 4096
		.amdhsa_private_segment_fixed_size 0
		.amdhsa_kernarg_size 100
		.amdhsa_user_sgpr_count 2
		.amdhsa_user_sgpr_dispatch_ptr 0
		.amdhsa_user_sgpr_queue_ptr 0
		.amdhsa_user_sgpr_kernarg_segment_ptr 1
		.amdhsa_user_sgpr_dispatch_id 0
		.amdhsa_user_sgpr_private_segment_size 0
		.amdhsa_wavefront_size32 1
		.amdhsa_uses_dynamic_stack 0
		.amdhsa_enable_private_segment 0
		.amdhsa_system_sgpr_workgroup_id_x 1
		.amdhsa_system_sgpr_workgroup_id_y 1
		.amdhsa_system_sgpr_workgroup_id_z 1
		.amdhsa_system_sgpr_workgroup_info 0
		.amdhsa_system_vgpr_workitem_id 1
		.amdhsa_next_free_vgpr 71
		.amdhsa_next_free_sgpr 36
		.amdhsa_reserve_vcc 1
		.amdhsa_float_round_mode_32 0
		.amdhsa_float_round_mode_16_64 0
		.amdhsa_float_denorm_mode_32 3
		.amdhsa_float_denorm_mode_16_64 3
		.amdhsa_fp16_overflow 0
		.amdhsa_workgroup_processor_mode 1
		.amdhsa_memory_ordered 1
		.amdhsa_forward_progress 1
		.amdhsa_inst_pref_size 25
		.amdhsa_round_robin_scheduling 0
		.amdhsa_exception_fp_ieee_invalid_op 0
		.amdhsa_exception_fp_denorm_src 0
		.amdhsa_exception_fp_ieee_div_zero 0
		.amdhsa_exception_fp_ieee_overflow 0
		.amdhsa_exception_fp_ieee_underflow 0
		.amdhsa_exception_fp_ieee_inexact 0
		.amdhsa_exception_int_div_zero 0
	.end_amdhsa_kernel
	.section	.text._ZL29rocblas_internal_gemmt_kernelIiLi16ELi32ELi8ELc84ELc84ELc85ELb0ELb0E19rocblas_complex_numIfES1_PKPKS1_PKPS1_EviT_T9_T10_S9_lSB_S9_lSA_T11_S9_li,"axG",@progbits,_ZL29rocblas_internal_gemmt_kernelIiLi16ELi32ELi8ELc84ELc84ELc85ELb0ELb0E19rocblas_complex_numIfES1_PKPKS1_PKPS1_EviT_T9_T10_S9_lSB_S9_lSA_T11_S9_li,comdat
.Lfunc_end382:
	.size	_ZL29rocblas_internal_gemmt_kernelIiLi16ELi32ELi8ELc84ELc84ELc85ELb0ELb0E19rocblas_complex_numIfES1_PKPKS1_PKPS1_EviT_T9_T10_S9_lSB_S9_lSA_T11_S9_li, .Lfunc_end382-_ZL29rocblas_internal_gemmt_kernelIiLi16ELi32ELi8ELc84ELc84ELc85ELb0ELb0E19rocblas_complex_numIfES1_PKPKS1_PKPS1_EviT_T9_T10_S9_lSB_S9_lSA_T11_S9_li
                                        ; -- End function
	.set _ZL29rocblas_internal_gemmt_kernelIiLi16ELi32ELi8ELc84ELc84ELc85ELb0ELb0E19rocblas_complex_numIfES1_PKPKS1_PKPS1_EviT_T9_T10_S9_lSB_S9_lSA_T11_S9_li.num_vgpr, 71
	.set _ZL29rocblas_internal_gemmt_kernelIiLi16ELi32ELi8ELc84ELc84ELc85ELb0ELb0E19rocblas_complex_numIfES1_PKPKS1_PKPS1_EviT_T9_T10_S9_lSB_S9_lSA_T11_S9_li.num_agpr, 0
	.set _ZL29rocblas_internal_gemmt_kernelIiLi16ELi32ELi8ELc84ELc84ELc85ELb0ELb0E19rocblas_complex_numIfES1_PKPKS1_PKPS1_EviT_T9_T10_S9_lSB_S9_lSA_T11_S9_li.numbered_sgpr, 36
	.set _ZL29rocblas_internal_gemmt_kernelIiLi16ELi32ELi8ELc84ELc84ELc85ELb0ELb0E19rocblas_complex_numIfES1_PKPKS1_PKPS1_EviT_T9_T10_S9_lSB_S9_lSA_T11_S9_li.num_named_barrier, 0
	.set _ZL29rocblas_internal_gemmt_kernelIiLi16ELi32ELi8ELc84ELc84ELc85ELb0ELb0E19rocblas_complex_numIfES1_PKPKS1_PKPS1_EviT_T9_T10_S9_lSB_S9_lSA_T11_S9_li.private_seg_size, 0
	.set _ZL29rocblas_internal_gemmt_kernelIiLi16ELi32ELi8ELc84ELc84ELc85ELb0ELb0E19rocblas_complex_numIfES1_PKPKS1_PKPS1_EviT_T9_T10_S9_lSB_S9_lSA_T11_S9_li.uses_vcc, 1
	.set _ZL29rocblas_internal_gemmt_kernelIiLi16ELi32ELi8ELc84ELc84ELc85ELb0ELb0E19rocblas_complex_numIfES1_PKPKS1_PKPS1_EviT_T9_T10_S9_lSB_S9_lSA_T11_S9_li.uses_flat_scratch, 0
	.set _ZL29rocblas_internal_gemmt_kernelIiLi16ELi32ELi8ELc84ELc84ELc85ELb0ELb0E19rocblas_complex_numIfES1_PKPKS1_PKPS1_EviT_T9_T10_S9_lSB_S9_lSA_T11_S9_li.has_dyn_sized_stack, 0
	.set _ZL29rocblas_internal_gemmt_kernelIiLi16ELi32ELi8ELc84ELc84ELc85ELb0ELb0E19rocblas_complex_numIfES1_PKPKS1_PKPS1_EviT_T9_T10_S9_lSB_S9_lSA_T11_S9_li.has_recursion, 0
	.set _ZL29rocblas_internal_gemmt_kernelIiLi16ELi32ELi8ELc84ELc84ELc85ELb0ELb0E19rocblas_complex_numIfES1_PKPKS1_PKPS1_EviT_T9_T10_S9_lSB_S9_lSA_T11_S9_li.has_indirect_call, 0
	.section	.AMDGPU.csdata,"",@progbits
; Kernel info:
; codeLenInByte = 3164
; TotalNumSgprs: 38
; NumVgprs: 71
; ScratchSize: 0
; MemoryBound: 1
; FloatMode: 240
; IeeeMode: 1
; LDSByteSize: 4096 bytes/workgroup (compile time only)
; SGPRBlocks: 0
; VGPRBlocks: 8
; NumSGPRsForWavesPerEU: 38
; NumVGPRsForWavesPerEU: 71
; Occupancy: 16
; WaveLimiterHint : 1
; COMPUTE_PGM_RSRC2:SCRATCH_EN: 0
; COMPUTE_PGM_RSRC2:USER_SGPR: 2
; COMPUTE_PGM_RSRC2:TRAP_HANDLER: 0
; COMPUTE_PGM_RSRC2:TGID_X_EN: 1
; COMPUTE_PGM_RSRC2:TGID_Y_EN: 1
; COMPUTE_PGM_RSRC2:TGID_Z_EN: 1
; COMPUTE_PGM_RSRC2:TIDIG_COMP_CNT: 1
	.section	.text._ZL29rocblas_internal_gemmt_kernelIiLi16ELi32ELi8ELc84ELc67ELc85ELb0ELb1E19rocblas_complex_numIfES1_PKPKS1_PKPS1_EviT_T9_T10_S9_lSB_S9_lSA_T11_S9_li,"axG",@progbits,_ZL29rocblas_internal_gemmt_kernelIiLi16ELi32ELi8ELc84ELc67ELc85ELb0ELb1E19rocblas_complex_numIfES1_PKPKS1_PKPS1_EviT_T9_T10_S9_lSB_S9_lSA_T11_S9_li,comdat
	.globl	_ZL29rocblas_internal_gemmt_kernelIiLi16ELi32ELi8ELc84ELc67ELc85ELb0ELb1E19rocblas_complex_numIfES1_PKPKS1_PKPS1_EviT_T9_T10_S9_lSB_S9_lSA_T11_S9_li ; -- Begin function _ZL29rocblas_internal_gemmt_kernelIiLi16ELi32ELi8ELc84ELc67ELc85ELb0ELb1E19rocblas_complex_numIfES1_PKPKS1_PKPS1_EviT_T9_T10_S9_lSB_S9_lSA_T11_S9_li
	.p2align	8
	.type	_ZL29rocblas_internal_gemmt_kernelIiLi16ELi32ELi8ELc84ELc67ELc85ELb0ELb1E19rocblas_complex_numIfES1_PKPKS1_PKPS1_EviT_T9_T10_S9_lSB_S9_lSA_T11_S9_li,@function
_ZL29rocblas_internal_gemmt_kernelIiLi16ELi32ELi8ELc84ELc67ELc85ELb0ELb1E19rocblas_complex_numIfES1_PKPKS1_PKPS1_EviT_T9_T10_S9_lSB_S9_lSA_T11_S9_li: ; @_ZL29rocblas_internal_gemmt_kernelIiLi16ELi32ELi8ELc84ELc67ELc85ELb0ELb1E19rocblas_complex_numIfES1_PKPKS1_PKPS1_EviT_T9_T10_S9_lSB_S9_lSA_T11_S9_li
; %bb.0:
	s_clause 0x1
	s_load_b64 s[20:21], s[0:1], 0x40
	s_load_b128 s[4:7], s[0:1], 0x0
	s_wait_kmcnt 0x0
	s_cmp_eq_f32 s20, 1.0
	s_cselect_b32 s2, -1, 0
	s_and_b32 s3, s21, 0x7fffffff
	s_delay_alu instid0(SALU_CYCLE_1) | instskip(SKIP_1) | instid1(SALU_CYCLE_1)
	s_cmp_eq_u32 s3, 0
	s_cselect_b32 s3, -1, 0
	s_and_b32 s8, s2, s3
	s_mov_b32 s2, 0
	s_and_not1_b32 vcc_lo, exec_lo, s8
	s_mov_b32 s8, -1
	s_cbranch_vccnz .LBB383_4
; %bb.1:
	s_cmp_lg_u32 s5, 0
	s_cbranch_scc0 .LBB383_3
; %bb.2:
	s_cmp_neq_f32 s6, 0
	s_cselect_b32 s2, -1, 0
	s_cmp_neq_f32 s7, 0
	s_cselect_b32 s8, -1, 0
	s_delay_alu instid0(SALU_CYCLE_1)
	s_or_b32 s2, s2, s8
.LBB383_3:
	s_delay_alu instid0(SALU_CYCLE_1)
	s_mov_b32 s8, s2
.LBB383_4:
	s_delay_alu instid0(SALU_CYCLE_1)
	s_and_b32 vcc_lo, exec_lo, s8
	s_cbranch_vccz .LBB383_39
; %bb.5:
	s_load_b32 s15, s[0:1], 0x60
	s_lshr_b32 s22, ttmp7, 16
	s_wait_kmcnt 0x0
	s_cmp_ge_u32 s22, s15
	s_cbranch_scc1 .LBB383_39
; %bb.6:
	s_load_b32 s24, s[0:1], 0x30
	v_and_b32_e32 v1, 0x3ff, v0
	v_bfe_u32 v2, v0, 10, 10
	v_and_b32_e32 v16, 7, v0
	s_clause 0x4
	s_load_b96 s[12:14], s[0:1], 0x10
	s_load_b128 s[8:11], s[0:1], 0x20
	s_load_b64 s[28:29], s[0:1], 0x38
	s_load_b96 s[16:18], s[0:1], 0x48
	s_load_b64 s[26:27], s[0:1], 0x58
	s_lshl_b32 s1, ttmp7, 5
	s_lshl_b32 s0, ttmp9, 5
	v_lshl_add_u32 v0, v2, 4, v1
	s_and_b32 s1, s1, 0x1fffe0
	v_lshlrev_b32_e32 v3, 3, v16
	v_add_nc_u32_e32 v6, s0, v1
	v_lshlrev_b32_e32 v20, 3, v1
	v_lshrrev_b32_e32 v5, 3, v0
	v_and_b32_e32 v4, 31, v0
	v_lshrrev_b32_e32 v17, 5, v0
	v_add_nc_u32_e32 v8, 16, v6
	v_lshl_add_u32 v21, v2, 6, 0x800
	v_lshl_or_b32 v3, v5, 6, v3
	v_or_b32_e32 v0, s0, v4
	v_lshlrev_b32_e32 v4, 3, v4
	s_wait_kmcnt 0x0
	s_ashr_i32 s25, s24, 31
	s_cmp_neq_f32 s6, 0
	v_add_nc_u32_e32 v19, 0x800, v3
	v_add_nc_u32_e32 v3, s1, v2
	;; [unrolled: 1-line block ×3, first 2 shown]
	s_cselect_b32 s2, -1, 0
	s_cmp_neq_f32 s7, 0
	v_lshl_or_b32 v18, v17, 8, v4
	v_cmp_gt_i32_e64 s1, s4, v3
	v_mad_co_i64_i32 v[1:2], null, v3, s18, 0
	s_cselect_b32 s19, -1, 0
	v_add_nc_u32_e32 v5, 16, v3
	s_wait_alu 0xfffe
	s_or_b32 s31, s2, s19
	s_cmp_gt_i32 s5, 0
	v_cmp_le_i32_e64 s2, v6, v3
	s_cselect_b32 s33, -1, 0
	s_cmp_neq_f32 s20, 0
	v_mad_co_i64_i32 v[10:11], null, s24, v16, 0
	v_cmp_gt_i32_e32 vcc_lo, s4, v0
	s_cselect_b32 s34, -1, 0
	s_xor_b32 s35, s3, -1
	v_cmp_le_i32_e64 s3, v8, v3
	v_mad_co_i64_i32 v[3:4], null, s14, v0, 0
	s_and_b32 s19, s1, s2
	v_cmp_le_i32_e64 s2, v6, v5
	s_and_b32 s30, s1, s3
	v_cmp_gt_i32_e64 s1, s4, v5
	v_cmp_le_i32_e64 s3, v8, v5
	v_cmp_gt_i32_e64 s0, s4, v14
	v_lshlrev_b64_e32 v[3:4], 3, v[3:4]
	v_lshlrev_b64_e32 v[10:11], 3, v[10:11]
	s_and_b32 s4, s1, s2
	s_and_b32 s14, s1, s3
	s_lshl_b64 s[2:3], s[8:9], 3
	v_lshlrev_b32_e32 v14, 3, v14
	v_add_co_u32 v3, s1, v3, s2
	s_wait_alu 0xf1ff
	v_add_co_ci_u32_e64 v4, null, s3, v4, s1
	s_lshl_b64 s[2:3], s[28:29], 3
	v_mad_co_i64_i32 v[12:13], null, v5, s18, 0
	s_wait_alu 0xfffe
	v_add_co_u32 v10, s1, v10, s2
	v_lshlrev_b32_e32 v5, 3, v17
	v_ashrrev_i32_e32 v7, 31, v6
	v_ashrrev_i32_e32 v9, 31, v8
	s_wait_alu 0xf1ff
	v_add_co_ci_u32_e64 v11, null, s3, v11, s1
	v_add_co_u32 v10, s1, v10, v14
	v_add_co_u32 v22, s2, v3, v5
	s_wait_alu 0xf1ff
	v_add_co_ci_u32_e64 v23, null, 0, v4, s2
	v_lshlrev_b64_e32 v[2:3], 3, v[1:2]
	v_lshlrev_b64_e32 v[4:5], 3, v[12:13]
	;; [unrolled: 1-line block ×4, first 2 shown]
	v_mov_b32_e32 v0, 0
	v_add_co_ci_u32_e64 v24, null, 0, v11, s1
	v_or_b32_e32 v25, 4, v10
	s_mov_b32 s23, 0
	s_lshl_b64 s[2:3], s[24:25], 6
	s_and_b32 s18, s31, s33
	s_or_b32 s24, s34, s35
	s_xor_b32 s25, vcc_lo, -1
	s_xor_b32 s28, s0, -1
	s_lshl_b64 s[0:1], s[26:27], 3
	s_branch .LBB383_8
.LBB383_7:                              ;   in Loop: Header=BB383_8 Depth=1
	s_wait_alu 0xfffe
	s_or_b32 exec_lo, exec_lo, s8
	s_add_co_i32 s22, s22, 0x10000
	s_delay_alu instid0(SALU_CYCLE_1)
	s_cmp_lt_u32 s22, s15
	s_cbranch_scc0 .LBB383_39
.LBB383_8:                              ; =>This Loop Header: Depth=1
                                        ;     Child Loop BB383_11 Depth 2
	s_lshl_b64 s[8:9], s[22:23], 3
	v_dual_mov_b32 v33, v0 :: v_dual_mov_b32 v32, v0
	s_wait_alu 0xfffe
	s_add_nc_u64 s[26:27], s[16:17], s[8:9]
	v_dual_mov_b32 v30, v0 :: v_dual_mov_b32 v31, v0
	global_load_b64 v[10:11], v0, s[26:27]
	v_dual_mov_b32 v28, v0 :: v_dual_mov_b32 v29, v0
	v_dual_mov_b32 v27, v0 :: v_dual_mov_b32 v26, v0
	s_and_not1_b32 vcc_lo, exec_lo, s18
	s_wait_alu 0xfffe
	s_cbranch_vccnz .LBB383_19
; %bb.9:                                ;   in Loop: Header=BB383_8 Depth=1
	s_add_nc_u64 s[26:27], s[12:13], s[8:9]
	s_add_nc_u64 s[8:9], s[10:11], s[8:9]
	s_clause 0x1
	global_load_b64 v[12:13], v0, s[26:27]
	global_load_b64 v[14:15], v0, s[8:9]
	v_dual_mov_b32 v26, 0 :: v_dual_mov_b32 v27, 0
	v_dual_mov_b32 v29, 0 :: v_dual_mov_b32 v28, 0
	;; [unrolled: 1-line block ×4, first 2 shown]
	s_mov_b32 s8, 0
	s_wait_loadcnt 0x1
	v_add_co_u32 v12, vcc_lo, v12, v22
	s_wait_alu 0xfffd
	v_add_co_ci_u32_e64 v13, null, v13, v23, vcc_lo
	s_wait_loadcnt 0x0
	v_add_co_u32 v14, vcc_lo, v14, v25
	s_wait_alu 0xfffd
	v_add_co_ci_u32_e64 v15, null, v15, v24, vcc_lo
	s_branch .LBB383_11
.LBB383_10:                             ;   in Loop: Header=BB383_11 Depth=2
	s_or_b32 exec_lo, exec_lo, s9
	ds_store_b32 v19, v1 offset:4
	s_wait_dscnt 0x0
	s_barrier_signal -1
	s_barrier_wait -1
	global_inv scope:SCOPE_SE
	ds_load_b128 v[34:37], v21
	ds_load_2addr_b64 v[38:41], v20 offset1:16
	ds_load_b128 v[42:45], v21 offset:1024
	ds_load_b128 v[46:49], v21 offset:16
	;; [unrolled: 1-line block ×4, first 2 shown]
	ds_load_2addr_b64 v[58:61], v20 offset0:32 offset1:48
	ds_load_b128 v[62:65], v21 offset:1040
	v_add_co_u32 v12, vcc_lo, v12, 64
	s_wait_alu 0xfffd
	v_add_co_ci_u32_e64 v13, null, 0, v13, vcc_lo
	v_add_co_u32 v14, vcc_lo, v14, s2
	s_wait_alu 0xfffd
	v_add_co_ci_u32_e64 v15, null, s3, v15, vcc_lo
	s_add_co_i32 s8, s8, 8
	s_wait_alu 0xfffe
	s_cmp_lt_i32 s8, s5
	s_wait_dscnt 0x6
	v_dual_mul_f32 v1, v35, v39 :: v_dual_mul_f32 v68, v34, v41
	v_dual_mul_f32 v66, v34, v39 :: v_dual_mul_f32 v67, v35, v41
	s_wait_dscnt 0x5
	v_mul_f32_e32 v70, v43, v41
	s_delay_alu instid0(VALU_DEP_3) | instskip(SKIP_3) | instid1(VALU_DEP_4)
	v_fma_f32 v1, v34, v38, -v1
	v_dual_mul_f32 v41, v42, v41 :: v_dual_fmac_f32 v68, v35, v40
	v_fmac_f32_e32 v66, v35, v38
	v_fma_f32 v34, v34, v40, -v67
	v_add_f32_e32 v1, v33, v1
	v_mul_f32_e32 v69, v43, v39
	s_delay_alu instid0(VALU_DEP_4) | instskip(NEXT) | instid1(VALU_DEP_4)
	v_dual_mul_f32 v39, v42, v39 :: v_dual_add_f32 v32, v32, v66
	v_add_f32_e32 v33, v30, v34
	v_fma_f32 v30, v42, v40, -v70
	s_delay_alu instid0(VALU_DEP_4) | instskip(NEXT) | instid1(VALU_DEP_4)
	v_fma_f32 v35, v42, v38, -v69
	v_fmac_f32_e32 v39, v43, v38
	s_wait_dscnt 0x1
	v_dual_add_f32 v31, v31, v68 :: v_dual_mul_f32 v38, v37, v59
	v_dual_fmac_f32 v41, v43, v40 :: v_dual_mul_f32 v42, v37, v61
	v_add_f32_e32 v34, v28, v35
	v_add_f32_e32 v35, v29, v39
	v_dual_add_f32 v39, v27, v30 :: v_dual_mul_f32 v40, v36, v59
	ds_load_2addr_b64 v[27:30], v20 offset0:64 offset1:80
	v_fma_f32 v38, v36, v58, -v38
	v_add_f32_e32 v26, v26, v41
	v_dual_mul_f32 v41, v36, v61 :: v_dual_fmac_f32 v40, v37, v58
	v_fma_f32 v36, v36, v60, -v42
	s_delay_alu instid0(VALU_DEP_4) | instskip(SKIP_1) | instid1(VALU_DEP_4)
	v_add_f32_e32 v1, v1, v38
	v_mul_f32_e32 v38, v45, v59
	v_fmac_f32_e32 v41, v37, v60
	v_add_f32_e32 v40, v32, v40
	v_mul_f32_e32 v32, v44, v59
	v_add_f32_e32 v36, v33, v36
	v_fma_f32 v33, v44, v58, -v38
	v_mul_f32_e32 v37, v45, v61
	v_add_f32_e32 v38, v31, v41
	v_dual_mul_f32 v41, v44, v61 :: v_dual_fmac_f32 v32, v45, v58
	s_delay_alu instid0(VALU_DEP_4) | instskip(NEXT) | instid1(VALU_DEP_4)
	v_add_f32_e32 v42, v34, v33
	v_fma_f32 v31, v44, v60, -v37
	s_wait_dscnt 0x0
	v_mul_f32_e32 v33, v47, v28
	v_fmac_f32_e32 v41, v45, v60
	v_add_f32_e32 v35, v35, v32
	v_add_f32_e32 v39, v39, v31
	v_mul_f32_e32 v44, v47, v30
	v_fma_f32 v43, v46, v27, -v33
	ds_load_2addr_b64 v[31:34], v20 offset0:96 offset1:112
	v_add_f32_e32 v41, v26, v41
	v_mul_f32_e32 v26, v46, v30
	v_mul_f32_e32 v37, v46, v28
	v_add_f32_e32 v1, v1, v43
	v_fma_f32 v43, v46, v29, -v44
	s_delay_alu instid0(VALU_DEP_4) | instskip(NEXT) | instid1(VALU_DEP_4)
	v_fmac_f32_e32 v26, v47, v29
	v_fmac_f32_e32 v37, v47, v27
	s_delay_alu instid0(VALU_DEP_3) | instskip(NEXT) | instid1(VALU_DEP_2)
	v_dual_add_f32 v36, v36, v43 :: v_dual_mul_f32 v43, v63, v30
	v_dual_mul_f32 v30, v62, v30 :: v_dual_add_f32 v37, v40, v37
	v_mul_f32_e32 v40, v63, v28
	v_mul_f32_e32 v28, v62, v28
	v_add_f32_e32 v44, v38, v26
	v_fma_f32 v26, v62, v29, -v43
	s_delay_alu instid0(VALU_DEP_4) | instskip(SKIP_2) | instid1(VALU_DEP_3)
	v_fma_f32 v40, v62, v27, -v40
	s_wait_dscnt 0x0
	v_dual_fmac_f32 v28, v63, v27 :: v_dual_mul_f32 v43, v49, v34
	v_add_f32_e32 v39, v39, v26
	s_delay_alu instid0(VALU_DEP_3) | instskip(NEXT) | instid1(VALU_DEP_3)
	v_dual_mul_f32 v47, v65, v34 :: v_dual_add_f32 v40, v42, v40
	v_add_f32_e32 v42, v35, v28
	v_mul_f32_e32 v35, v49, v32
	v_fma_f32 v43, v48, v33, -v43
	s_delay_alu instid0(VALU_DEP_2)
	v_fma_f32 v35, v48, v31, -v35
	v_fmac_f32_e32 v30, v63, v29
	ds_load_2addr_b64 v[26:29], v20 offset0:128 offset1:144
	v_add_f32_e32 v43, v36, v43
	v_dual_add_f32 v1, v1, v35 :: v_dual_mul_f32 v38, v48, v32
	v_add_f32_e32 v41, v41, v30
	v_dual_mul_f32 v30, v48, v34 :: v_dual_mul_f32 v35, v65, v32
	v_mul_f32_e32 v32, v64, v32
	v_mul_f32_e32 v34, v64, v34
	s_delay_alu instid0(VALU_DEP_3) | instskip(NEXT) | instid1(VALU_DEP_4)
	v_fmac_f32_e32 v30, v49, v33
	v_fma_f32 v46, v64, v31, -v35
	s_delay_alu instid0(VALU_DEP_4) | instskip(SKIP_1) | instid1(VALU_DEP_4)
	v_fmac_f32_e32 v32, v65, v31
	v_fmac_f32_e32 v38, v49, v31
	v_add_f32_e32 v44, v44, v30
	v_fma_f32 v30, v64, v33, -v47
	s_wait_dscnt 0x0
	v_mul_f32_e32 v49, v50, v27
	v_dual_mul_f32 v31, v51, v27 :: v_dual_mul_f32 v58, v50, v29
	s_delay_alu instid0(VALU_DEP_2)
	v_fmac_f32_e32 v49, v51, v26
	v_add_f32_e32 v47, v42, v32
	v_add_f32_e32 v45, v37, v38
	ds_load_b128 v[35:38], v21 offset:1056
	v_fmac_f32_e32 v34, v65, v33
	v_add_f32_e32 v48, v39, v30
	v_fma_f32 v39, v50, v26, -v31
	v_add_f32_e32 v46, v40, v46
	ds_load_2addr_b64 v[30:33], v20 offset0:160 offset1:176
	v_mul_f32_e32 v40, v51, v29
	v_add_f32_e32 v34, v41, v34
	v_add_f32_e32 v1, v1, v39
	;; [unrolled: 1-line block ×3, first 2 shown]
	s_delay_alu instid0(VALU_DEP_4)
	v_fma_f32 v50, v50, v28, -v40
	ds_load_b128 v[39:42], v21 offset:1072
	v_add_f32_e32 v43, v43, v50
	s_wait_dscnt 0x2
	v_mul_f32_e32 v59, v36, v27
	v_mul_f32_e32 v27, v35, v27
	v_fmac_f32_e32 v58, v51, v28
	v_mul_f32_e32 v50, v36, v29
	v_mul_f32_e32 v51, v35, v29
	v_fma_f32 v49, v35, v26, -v59
	v_fmac_f32_e32 v27, v36, v26
	s_wait_dscnt 0x1
	v_dual_add_f32 v44, v44, v58 :: v_dual_mul_f32 v29, v53, v31
	v_fma_f32 v26, v35, v28, -v50
	v_fmac_f32_e32 v51, v36, v28
	v_mul_f32_e32 v36, v52, v31
	v_dual_add_f32 v46, v46, v49 :: v_dual_add_f32 v35, v47, v27
	v_mul_f32_e32 v49, v53, v33
	s_delay_alu instid0(VALU_DEP_3)
	v_fmac_f32_e32 v36, v53, v30
	v_dual_add_f32 v47, v48, v26 :: v_dual_add_f32 v50, v34, v51
	v_fma_f32 v48, v52, v30, -v29
	ds_load_2addr_b64 v[26:29], v20 offset0:192 offset1:208
	v_dual_mul_f32 v34, v52, v33 :: v_dual_add_f32 v45, v45, v36
	v_dual_mul_f32 v36, v38, v31 :: v_dual_add_f32 v1, v1, v48
	v_fma_f32 v48, v52, v32, -v49
	v_mul_f32_e32 v31, v37, v31
	s_delay_alu instid0(VALU_DEP_3) | instskip(NEXT) | instid1(VALU_DEP_3)
	v_fma_f32 v36, v37, v30, -v36
	v_dual_add_f32 v43, v43, v48 :: v_dual_mul_f32 v48, v38, v33
	s_delay_alu instid0(VALU_DEP_3) | instskip(NEXT) | instid1(VALU_DEP_1)
	v_dual_fmac_f32 v34, v53, v32 :: v_dual_fmac_f32 v31, v38, v30
	v_dual_mul_f32 v33, v37, v33 :: v_dual_add_f32 v30, v44, v34
	s_delay_alu instid0(VALU_DEP_3) | instskip(NEXT) | instid1(VALU_DEP_3)
	v_fma_f32 v34, v37, v32, -v48
	v_dual_add_f32 v44, v46, v36 :: v_dual_add_f32 v31, v35, v31
	s_wait_dscnt 0x0
	v_mul_f32_e32 v48, v54, v29
	v_dual_mul_f32 v46, v55, v27 :: v_dual_fmac_f32 v33, v38, v32
	v_add_f32_e32 v32, v47, v34
	ds_load_2addr_b64 v[34:37], v20 offset0:224 offset1:240
	v_dual_mul_f32 v38, v54, v27 :: v_dual_mul_f32 v47, v55, v29
	v_fma_f32 v46, v54, v26, -v46
	v_dual_fmac_f32 v48, v55, v28 :: v_dual_add_f32 v33, v50, v33
	s_delay_alu instid0(VALU_DEP_3) | instskip(NEXT) | instid1(VALU_DEP_4)
	v_fmac_f32_e32 v38, v55, v26
	v_fma_f32 v47, v54, v28, -v47
	s_delay_alu instid0(VALU_DEP_4) | instskip(SKIP_2) | instid1(VALU_DEP_3)
	v_dual_add_f32 v1, v1, v46 :: v_dual_mul_f32 v46, v40, v27
	v_mul_f32_e32 v27, v39, v27
	s_wait_loadcnt_dscnt 0x0
	v_add_f32_e32 v43, v43, v47
	v_dual_add_f32 v47, v30, v48 :: v_dual_add_f32 v38, v45, v38
	v_fma_f32 v45, v39, v26, -v46
	v_mul_f32_e32 v46, v40, v29
	v_fmac_f32_e32 v27, v40, v26
	v_mul_f32_e32 v29, v39, v29
	s_barrier_signal -1
	v_add_f32_e32 v26, v44, v45
	v_fma_f32 v30, v39, v28, -v46
	v_mul_f32_e32 v39, v57, v35
	v_mul_f32_e32 v44, v56, v35
	v_fmac_f32_e32 v29, v40, v28
	s_delay_alu instid0(VALU_DEP_4) | instskip(NEXT) | instid1(VALU_DEP_4)
	v_dual_add_f32 v27, v31, v27 :: v_dual_add_f32 v40, v32, v30
	v_fma_f32 v28, v56, v34, -v39
	s_delay_alu instid0(VALU_DEP_4) | instskip(NEXT) | instid1(VALU_DEP_4)
	v_fmac_f32_e32 v44, v57, v34
	v_add_f32_e32 v39, v33, v29
	v_mul_f32_e32 v31, v56, v37
	s_barrier_wait -1
	v_dual_add_f32 v33, v1, v28 :: v_dual_mul_f32 v28, v42, v35
	v_mul_f32_e32 v29, v41, v35
	v_mul_f32_e32 v30, v57, v37
	;; [unrolled: 1-line block ×3, first 2 shown]
	v_dual_mul_f32 v37, v41, v37 :: v_dual_add_f32 v32, v38, v44
	s_delay_alu instid0(VALU_DEP_4) | instskip(NEXT) | instid1(VALU_DEP_4)
	v_fmac_f32_e32 v29, v42, v34
	v_fma_f32 v1, v56, v36, -v30
	global_inv scope:SCOPE_SE
	v_fmac_f32_e32 v37, v42, v36
	v_add_f32_e32 v29, v27, v29
	v_add_f32_e32 v30, v43, v1
	v_fma_f32 v1, v41, v34, -v28
	v_fmac_f32_e32 v31, v57, v36
	v_fma_f32 v34, v41, v36, -v35
	s_delay_alu instid0(VALU_DEP_2) | instskip(NEXT) | instid1(VALU_DEP_2)
	v_dual_add_f32 v28, v26, v1 :: v_dual_add_f32 v31, v47, v31
	v_dual_add_f32 v27, v40, v34 :: v_dual_add_f32 v26, v39, v37
	s_cbranch_scc0 .LBB383_19
.LBB383_11:                             ;   Parent Loop BB383_8 Depth=1
                                        ; =>  This Inner Loop Header: Depth=2
	s_wait_alu 0xfffe
	v_add_nc_u32_e32 v1, s8, v17
	s_delay_alu instid0(VALU_DEP_1) | instskip(SKIP_3) | instid1(SALU_CYCLE_1)
	v_cmp_le_i32_e32 vcc_lo, s5, v1
	s_or_b32 s9, s25, vcc_lo
	s_wait_alu 0xfffe
	s_and_saveexec_b32 s26, s9
	s_xor_b32 s9, exec_lo, s26
; %bb.12:                               ;   in Loop: Header=BB383_11 Depth=2
	v_mov_b32_e32 v1, v0
	ds_store_b64 v18, v[0:1]
; %bb.13:                               ;   in Loop: Header=BB383_11 Depth=2
	s_wait_alu 0xfffe
	s_and_not1_saveexec_b32 s9, s9
	s_cbranch_execz .LBB383_15
; %bb.14:                               ;   in Loop: Header=BB383_11 Depth=2
	flat_load_b64 v[34:35], v[12:13]
	s_wait_loadcnt_dscnt 0x0
	ds_store_b64 v18, v[34:35]
.LBB383_15:                             ;   in Loop: Header=BB383_11 Depth=2
	s_wait_alu 0xfffe
	s_or_b32 exec_lo, exec_lo, s9
	v_add_nc_u32_e32 v1, s8, v16
	s_delay_alu instid0(VALU_DEP_1) | instskip(SKIP_3) | instid1(SALU_CYCLE_1)
	v_cmp_le_i32_e32 vcc_lo, s5, v1
	s_or_b32 s9, vcc_lo, s28
	s_wait_alu 0xfffe
	s_and_saveexec_b32 s26, s9
	s_xor_b32 s9, exec_lo, s26
; %bb.16:                               ;   in Loop: Header=BB383_11 Depth=2
	ds_store_b32 v19, v0
; %bb.17:                               ;   in Loop: Header=BB383_11 Depth=2
	s_wait_alu 0xfffe
	s_or_saveexec_b32 s9, s9
	v_mov_b32_e32 v1, 0
	s_wait_alu 0xfffe
	s_xor_b32 exec_lo, exec_lo, s9
	s_cbranch_execz .LBB383_10
; %bb.18:                               ;   in Loop: Header=BB383_11 Depth=2
	flat_load_b64 v[34:35], v[14:15] offset:-4
	s_wait_loadcnt_dscnt 0x0
	v_xor_b32_e32 v1, 0x80000000, v35
	ds_store_b32 v19, v34
	s_branch .LBB383_10
.LBB383_19:                             ;   in Loop: Header=BB383_8 Depth=1
	s_wait_loadcnt 0x0
	v_add_co_u32 v1, vcc_lo, v10, s0
	s_wait_alu 0xfffd
	v_add_co_ci_u32_e64 v12, null, s1, v11, vcc_lo
	s_delay_alu instid0(VALU_DEP_2) | instskip(SKIP_1) | instid1(VALU_DEP_2)
	v_add_co_u32 v13, vcc_lo, v1, v2
	s_wait_alu 0xfffd
	v_add_co_ci_u32_e64 v14, null, v12, v3, vcc_lo
	s_and_saveexec_b32 s8, s19
	s_cbranch_execz .LBB383_24
; %bb.20:                               ;   in Loop: Header=BB383_8 Depth=1
	v_mul_f32_e32 v11, s6, v32
	v_mul_f32_e32 v10, s7, v32
	s_and_b32 vcc_lo, exec_lo, s24
	s_mov_b32 s9, -1
	s_delay_alu instid0(VALU_DEP_2) | instskip(NEXT) | instid1(VALU_DEP_2)
	v_fmac_f32_e32 v11, s7, v33
	v_fma_f32 v10, v33, s6, -v10
	s_wait_alu 0xfffe
	s_cbranch_vccz .LBB383_22
; %bb.21:                               ;   in Loop: Header=BB383_8 Depth=1
	v_add_co_u32 v32, vcc_lo, v13, v6
	s_wait_alu 0xfffd
	v_add_co_ci_u32_e64 v33, null, v14, v7, vcc_lo
	s_mov_b32 s9, 0
	flat_load_b64 v[34:35], v[32:33]
	s_wait_loadcnt_dscnt 0x0
	v_mul_f32_e32 v15, s21, v35
	v_mul_f32_e32 v35, s20, v35
	s_delay_alu instid0(VALU_DEP_2) | instskip(NEXT) | instid1(VALU_DEP_1)
	v_fma_f32 v15, v34, s20, -v15
	v_dual_fmac_f32 v35, s21, v34 :: v_dual_add_f32 v34, v10, v15
	s_delay_alu instid0(VALU_DEP_1)
	v_add_f32_e32 v35, v11, v35
	flat_store_b64 v[32:33], v[34:35]
.LBB383_22:                             ;   in Loop: Header=BB383_8 Depth=1
	s_wait_alu 0xfffe
	s_and_not1_b32 vcc_lo, exec_lo, s9
	s_wait_alu 0xfffe
	s_cbranch_vccnz .LBB383_24
; %bb.23:                               ;   in Loop: Header=BB383_8 Depth=1
	v_add_co_u32 v32, vcc_lo, v13, v6
	s_wait_alu 0xfffd
	v_add_co_ci_u32_e64 v33, null, v14, v7, vcc_lo
	flat_store_b64 v[32:33], v[10:11]
.LBB383_24:                             ;   in Loop: Header=BB383_8 Depth=1
	s_wait_alu 0xfffe
	s_or_b32 exec_lo, exec_lo, s8
	s_and_saveexec_b32 s8, s30
	s_cbranch_execz .LBB383_29
; %bb.25:                               ;   in Loop: Header=BB383_8 Depth=1
	v_mul_f32_e32 v11, s6, v31
	v_mul_f32_e32 v10, s7, v31
	s_and_not1_b32 vcc_lo, exec_lo, s24
	s_mov_b32 s9, -1
	s_delay_alu instid0(VALU_DEP_2) | instskip(NEXT) | instid1(VALU_DEP_2)
	v_fmac_f32_e32 v11, s7, v30
	v_fma_f32 v10, v30, s6, -v10
	s_wait_alu 0xfffe
	s_cbranch_vccnz .LBB383_27
; %bb.26:                               ;   in Loop: Header=BB383_8 Depth=1
	v_add_co_u32 v30, vcc_lo, v13, v8
	s_wait_alu 0xfffd
	v_add_co_ci_u32_e64 v31, null, v14, v9, vcc_lo
	s_mov_b32 s9, 0
	flat_load_b64 v[32:33], v[30:31]
	s_wait_loadcnt_dscnt 0x0
	v_mul_f32_e32 v15, s21, v33
	s_delay_alu instid0(VALU_DEP_1) | instskip(SKIP_1) | instid1(VALU_DEP_1)
	v_fma_f32 v15, v32, s20, -v15
	v_mul_f32_e32 v33, s20, v33
	v_dual_fmac_f32 v33, s21, v32 :: v_dual_add_f32 v32, v10, v15
	s_delay_alu instid0(VALU_DEP_1)
	v_add_f32_e32 v33, v11, v33
	flat_store_b64 v[30:31], v[32:33]
.LBB383_27:                             ;   in Loop: Header=BB383_8 Depth=1
	s_wait_alu 0xfffe
	s_and_not1_b32 vcc_lo, exec_lo, s9
	s_wait_alu 0xfffe
	s_cbranch_vccnz .LBB383_29
; %bb.28:                               ;   in Loop: Header=BB383_8 Depth=1
	v_add_co_u32 v13, vcc_lo, v13, v8
	s_wait_alu 0xfffd
	v_add_co_ci_u32_e64 v14, null, v14, v9, vcc_lo
	flat_store_b64 v[13:14], v[10:11]
.LBB383_29:                             ;   in Loop: Header=BB383_8 Depth=1
	s_wait_alu 0xfffe
	s_or_b32 exec_lo, exec_lo, s8
	v_add_co_u32 v1, vcc_lo, v1, v4
	s_wait_alu 0xfffd
	v_add_co_ci_u32_e64 v12, null, v12, v5, vcc_lo
	s_and_saveexec_b32 s8, s4
	s_cbranch_execz .LBB383_34
; %bb.30:                               ;   in Loop: Header=BB383_8 Depth=1
	v_mul_f32_e32 v11, s6, v29
	v_mul_f32_e32 v10, s7, v29
	s_and_not1_b32 vcc_lo, exec_lo, s24
	s_mov_b32 s9, -1
	s_delay_alu instid0(VALU_DEP_2) | instskip(NEXT) | instid1(VALU_DEP_2)
	v_fmac_f32_e32 v11, s7, v28
	v_fma_f32 v10, v28, s6, -v10
	s_wait_alu 0xfffe
	s_cbranch_vccnz .LBB383_32
; %bb.31:                               ;   in Loop: Header=BB383_8 Depth=1
	v_add_co_u32 v13, vcc_lo, v1, v6
	s_wait_alu 0xfffd
	v_add_co_ci_u32_e64 v14, null, v12, v7, vcc_lo
	s_mov_b32 s9, 0
	flat_load_b64 v[28:29], v[13:14]
	s_wait_loadcnt_dscnt 0x0
	v_mul_f32_e32 v15, s21, v29
	s_delay_alu instid0(VALU_DEP_1) | instskip(SKIP_1) | instid1(VALU_DEP_1)
	v_fma_f32 v15, v28, s20, -v15
	v_mul_f32_e32 v29, s20, v29
	v_dual_fmac_f32 v29, s21, v28 :: v_dual_add_f32 v28, v10, v15
	s_delay_alu instid0(VALU_DEP_1)
	v_add_f32_e32 v29, v11, v29
	flat_store_b64 v[13:14], v[28:29]
.LBB383_32:                             ;   in Loop: Header=BB383_8 Depth=1
	s_wait_alu 0xfffe
	s_and_not1_b32 vcc_lo, exec_lo, s9
	s_wait_alu 0xfffe
	s_cbranch_vccnz .LBB383_34
; %bb.33:                               ;   in Loop: Header=BB383_8 Depth=1
	v_add_co_u32 v13, vcc_lo, v1, v6
	s_wait_alu 0xfffd
	v_add_co_ci_u32_e64 v14, null, v12, v7, vcc_lo
	flat_store_b64 v[13:14], v[10:11]
.LBB383_34:                             ;   in Loop: Header=BB383_8 Depth=1
	s_wait_alu 0xfffe
	s_or_b32 exec_lo, exec_lo, s8
	s_and_saveexec_b32 s8, s14
	s_cbranch_execz .LBB383_7
; %bb.35:                               ;   in Loop: Header=BB383_8 Depth=1
	v_mul_f32_e32 v11, s6, v26
	v_mul_f32_e32 v10, s7, v26
	s_and_not1_b32 vcc_lo, exec_lo, s24
	s_mov_b32 s9, -1
	s_delay_alu instid0(VALU_DEP_2) | instskip(NEXT) | instid1(VALU_DEP_2)
	v_fmac_f32_e32 v11, s7, v27
	v_fma_f32 v10, v27, s6, -v10
	s_wait_alu 0xfffe
	s_cbranch_vccnz .LBB383_37
; %bb.36:                               ;   in Loop: Header=BB383_8 Depth=1
	v_add_co_u32 v13, vcc_lo, v1, v8
	s_wait_alu 0xfffd
	v_add_co_ci_u32_e64 v14, null, v12, v9, vcc_lo
	s_mov_b32 s9, 0
	flat_load_b64 v[26:27], v[13:14]
	s_wait_loadcnt_dscnt 0x0
	v_mul_f32_e32 v15, s21, v27
	v_mul_f32_e32 v27, s20, v27
	s_delay_alu instid0(VALU_DEP_2) | instskip(NEXT) | instid1(VALU_DEP_1)
	v_fma_f32 v15, v26, s20, -v15
	v_dual_fmac_f32 v27, s21, v26 :: v_dual_add_f32 v26, v10, v15
	s_delay_alu instid0(VALU_DEP_1)
	v_add_f32_e32 v27, v11, v27
	flat_store_b64 v[13:14], v[26:27]
.LBB383_37:                             ;   in Loop: Header=BB383_8 Depth=1
	s_wait_alu 0xfffe
	s_and_not1_b32 vcc_lo, exec_lo, s9
	s_wait_alu 0xfffe
	s_cbranch_vccnz .LBB383_7
; %bb.38:                               ;   in Loop: Header=BB383_8 Depth=1
	v_add_co_u32 v13, vcc_lo, v1, v8
	s_wait_alu 0xfffd
	v_add_co_ci_u32_e64 v14, null, v12, v9, vcc_lo
	flat_store_b64 v[13:14], v[10:11]
	s_branch .LBB383_7
.LBB383_39:
	s_endpgm
	.section	.rodata,"a",@progbits
	.p2align	6, 0x0
	.amdhsa_kernel _ZL29rocblas_internal_gemmt_kernelIiLi16ELi32ELi8ELc84ELc67ELc85ELb0ELb1E19rocblas_complex_numIfES1_PKPKS1_PKPS1_EviT_T9_T10_S9_lSB_S9_lSA_T11_S9_li
		.amdhsa_group_segment_fixed_size 4096
		.amdhsa_private_segment_fixed_size 0
		.amdhsa_kernarg_size 100
		.amdhsa_user_sgpr_count 2
		.amdhsa_user_sgpr_dispatch_ptr 0
		.amdhsa_user_sgpr_queue_ptr 0
		.amdhsa_user_sgpr_kernarg_segment_ptr 1
		.amdhsa_user_sgpr_dispatch_id 0
		.amdhsa_user_sgpr_private_segment_size 0
		.amdhsa_wavefront_size32 1
		.amdhsa_uses_dynamic_stack 0
		.amdhsa_enable_private_segment 0
		.amdhsa_system_sgpr_workgroup_id_x 1
		.amdhsa_system_sgpr_workgroup_id_y 1
		.amdhsa_system_sgpr_workgroup_id_z 1
		.amdhsa_system_sgpr_workgroup_info 0
		.amdhsa_system_vgpr_workitem_id 1
		.amdhsa_next_free_vgpr 71
		.amdhsa_next_free_sgpr 36
		.amdhsa_reserve_vcc 1
		.amdhsa_float_round_mode_32 0
		.amdhsa_float_round_mode_16_64 0
		.amdhsa_float_denorm_mode_32 3
		.amdhsa_float_denorm_mode_16_64 3
		.amdhsa_fp16_overflow 0
		.amdhsa_workgroup_processor_mode 1
		.amdhsa_memory_ordered 1
		.amdhsa_forward_progress 1
		.amdhsa_inst_pref_size 25
		.amdhsa_round_robin_scheduling 0
		.amdhsa_exception_fp_ieee_invalid_op 0
		.amdhsa_exception_fp_denorm_src 0
		.amdhsa_exception_fp_ieee_div_zero 0
		.amdhsa_exception_fp_ieee_overflow 0
		.amdhsa_exception_fp_ieee_underflow 0
		.amdhsa_exception_fp_ieee_inexact 0
		.amdhsa_exception_int_div_zero 0
	.end_amdhsa_kernel
	.section	.text._ZL29rocblas_internal_gemmt_kernelIiLi16ELi32ELi8ELc84ELc67ELc85ELb0ELb1E19rocblas_complex_numIfES1_PKPKS1_PKPS1_EviT_T9_T10_S9_lSB_S9_lSA_T11_S9_li,"axG",@progbits,_ZL29rocblas_internal_gemmt_kernelIiLi16ELi32ELi8ELc84ELc67ELc85ELb0ELb1E19rocblas_complex_numIfES1_PKPKS1_PKPS1_EviT_T9_T10_S9_lSB_S9_lSA_T11_S9_li,comdat
.Lfunc_end383:
	.size	_ZL29rocblas_internal_gemmt_kernelIiLi16ELi32ELi8ELc84ELc67ELc85ELb0ELb1E19rocblas_complex_numIfES1_PKPKS1_PKPS1_EviT_T9_T10_S9_lSB_S9_lSA_T11_S9_li, .Lfunc_end383-_ZL29rocblas_internal_gemmt_kernelIiLi16ELi32ELi8ELc84ELc67ELc85ELb0ELb1E19rocblas_complex_numIfES1_PKPKS1_PKPS1_EviT_T9_T10_S9_lSB_S9_lSA_T11_S9_li
                                        ; -- End function
	.set _ZL29rocblas_internal_gemmt_kernelIiLi16ELi32ELi8ELc84ELc67ELc85ELb0ELb1E19rocblas_complex_numIfES1_PKPKS1_PKPS1_EviT_T9_T10_S9_lSB_S9_lSA_T11_S9_li.num_vgpr, 71
	.set _ZL29rocblas_internal_gemmt_kernelIiLi16ELi32ELi8ELc84ELc67ELc85ELb0ELb1E19rocblas_complex_numIfES1_PKPKS1_PKPS1_EviT_T9_T10_S9_lSB_S9_lSA_T11_S9_li.num_agpr, 0
	.set _ZL29rocblas_internal_gemmt_kernelIiLi16ELi32ELi8ELc84ELc67ELc85ELb0ELb1E19rocblas_complex_numIfES1_PKPKS1_PKPS1_EviT_T9_T10_S9_lSB_S9_lSA_T11_S9_li.numbered_sgpr, 36
	.set _ZL29rocblas_internal_gemmt_kernelIiLi16ELi32ELi8ELc84ELc67ELc85ELb0ELb1E19rocblas_complex_numIfES1_PKPKS1_PKPS1_EviT_T9_T10_S9_lSB_S9_lSA_T11_S9_li.num_named_barrier, 0
	.set _ZL29rocblas_internal_gemmt_kernelIiLi16ELi32ELi8ELc84ELc67ELc85ELb0ELb1E19rocblas_complex_numIfES1_PKPKS1_PKPS1_EviT_T9_T10_S9_lSB_S9_lSA_T11_S9_li.private_seg_size, 0
	.set _ZL29rocblas_internal_gemmt_kernelIiLi16ELi32ELi8ELc84ELc67ELc85ELb0ELb1E19rocblas_complex_numIfES1_PKPKS1_PKPS1_EviT_T9_T10_S9_lSB_S9_lSA_T11_S9_li.uses_vcc, 1
	.set _ZL29rocblas_internal_gemmt_kernelIiLi16ELi32ELi8ELc84ELc67ELc85ELb0ELb1E19rocblas_complex_numIfES1_PKPKS1_PKPS1_EviT_T9_T10_S9_lSB_S9_lSA_T11_S9_li.uses_flat_scratch, 0
	.set _ZL29rocblas_internal_gemmt_kernelIiLi16ELi32ELi8ELc84ELc67ELc85ELb0ELb1E19rocblas_complex_numIfES1_PKPKS1_PKPS1_EviT_T9_T10_S9_lSB_S9_lSA_T11_S9_li.has_dyn_sized_stack, 0
	.set _ZL29rocblas_internal_gemmt_kernelIiLi16ELi32ELi8ELc84ELc67ELc85ELb0ELb1E19rocblas_complex_numIfES1_PKPKS1_PKPS1_EviT_T9_T10_S9_lSB_S9_lSA_T11_S9_li.has_recursion, 0
	.set _ZL29rocblas_internal_gemmt_kernelIiLi16ELi32ELi8ELc84ELc67ELc85ELb0ELb1E19rocblas_complex_numIfES1_PKPKS1_PKPS1_EviT_T9_T10_S9_lSB_S9_lSA_T11_S9_li.has_indirect_call, 0
	.section	.AMDGPU.csdata,"",@progbits
; Kernel info:
; codeLenInByte = 3168
; TotalNumSgprs: 38
; NumVgprs: 71
; ScratchSize: 0
; MemoryBound: 1
; FloatMode: 240
; IeeeMode: 1
; LDSByteSize: 4096 bytes/workgroup (compile time only)
; SGPRBlocks: 0
; VGPRBlocks: 8
; NumSGPRsForWavesPerEU: 38
; NumVGPRsForWavesPerEU: 71
; Occupancy: 16
; WaveLimiterHint : 1
; COMPUTE_PGM_RSRC2:SCRATCH_EN: 0
; COMPUTE_PGM_RSRC2:USER_SGPR: 2
; COMPUTE_PGM_RSRC2:TRAP_HANDLER: 0
; COMPUTE_PGM_RSRC2:TGID_X_EN: 1
; COMPUTE_PGM_RSRC2:TGID_Y_EN: 1
; COMPUTE_PGM_RSRC2:TGID_Z_EN: 1
; COMPUTE_PGM_RSRC2:TIDIG_COMP_CNT: 1
	.section	.text._ZL29rocblas_internal_gemmt_kernelIiLi16ELi32ELi8ELc67ELc78ELc85ELb1ELb0E19rocblas_complex_numIfES1_PKPKS1_PKPS1_EviT_T9_T10_S9_lSB_S9_lSA_T11_S9_li,"axG",@progbits,_ZL29rocblas_internal_gemmt_kernelIiLi16ELi32ELi8ELc67ELc78ELc85ELb1ELb0E19rocblas_complex_numIfES1_PKPKS1_PKPS1_EviT_T9_T10_S9_lSB_S9_lSA_T11_S9_li,comdat
	.globl	_ZL29rocblas_internal_gemmt_kernelIiLi16ELi32ELi8ELc67ELc78ELc85ELb1ELb0E19rocblas_complex_numIfES1_PKPKS1_PKPS1_EviT_T9_T10_S9_lSB_S9_lSA_T11_S9_li ; -- Begin function _ZL29rocblas_internal_gemmt_kernelIiLi16ELi32ELi8ELc67ELc78ELc85ELb1ELb0E19rocblas_complex_numIfES1_PKPKS1_PKPS1_EviT_T9_T10_S9_lSB_S9_lSA_T11_S9_li
	.p2align	8
	.type	_ZL29rocblas_internal_gemmt_kernelIiLi16ELi32ELi8ELc67ELc78ELc85ELb1ELb0E19rocblas_complex_numIfES1_PKPKS1_PKPS1_EviT_T9_T10_S9_lSB_S9_lSA_T11_S9_li,@function
_ZL29rocblas_internal_gemmt_kernelIiLi16ELi32ELi8ELc67ELc78ELc85ELb1ELb0E19rocblas_complex_numIfES1_PKPKS1_PKPS1_EviT_T9_T10_S9_lSB_S9_lSA_T11_S9_li: ; @_ZL29rocblas_internal_gemmt_kernelIiLi16ELi32ELi8ELc67ELc78ELc85ELb1ELb0E19rocblas_complex_numIfES1_PKPKS1_PKPS1_EviT_T9_T10_S9_lSB_S9_lSA_T11_S9_li
; %bb.0:
	s_clause 0x1
	s_load_b64 s[20:21], s[0:1], 0x40
	s_load_b128 s[4:7], s[0:1], 0x0
	s_wait_kmcnt 0x0
	s_cmp_eq_f32 s20, 1.0
	s_cselect_b32 s3, -1, 0
	s_and_b32 s2, s21, 0x7fffffff
	s_delay_alu instid0(SALU_CYCLE_1) | instskip(SKIP_1) | instid1(SALU_CYCLE_1)
	s_cmp_eq_u32 s2, 0
	s_cselect_b32 s2, -1, 0
	s_and_b32 s8, s3, s2
	s_mov_b32 s3, 0
	s_and_not1_b32 vcc_lo, exec_lo, s8
	s_mov_b32 s8, -1
	s_cbranch_vccnz .LBB384_4
; %bb.1:
	s_cmp_lg_u32 s5, 0
	s_cbranch_scc0 .LBB384_3
; %bb.2:
	s_cmp_neq_f32 s6, 0
	s_cselect_b32 s3, -1, 0
	s_cmp_neq_f32 s7, 0
	s_cselect_b32 s8, -1, 0
	s_delay_alu instid0(SALU_CYCLE_1)
	s_or_b32 s3, s3, s8
.LBB384_3:
	s_delay_alu instid0(SALU_CYCLE_1)
	s_mov_b32 s8, s3
.LBB384_4:
	s_delay_alu instid0(SALU_CYCLE_1)
	s_and_b32 vcc_lo, exec_lo, s8
	s_cbranch_vccz .LBB384_39
; %bb.5:
	s_load_b32 s15, s[0:1], 0x60
	s_lshr_b32 s22, ttmp7, 16
	s_wait_kmcnt 0x0
	s_cmp_ge_u32 s22, s15
	s_cbranch_scc1 .LBB384_39
; %bb.6:
	v_and_b32_e32 v1, 0x3ff, v0
	v_bfe_u32 v2, v0, 10, 10
	s_clause 0x1
	s_load_b96 s[12:14], s[0:1], 0x10
	s_load_b128 s[8:11], s[0:1], 0x20
	v_and_b32_e32 v16, 7, v0
	s_lshl_b32 s3, ttmp7, 5
	s_lshl_b32 s19, ttmp9, 5
	v_lshl_add_u32 v0, v2, 4, v1
	s_and_b32 s3, s3, 0x1fffe0
	s_cmp_neq_f32 s6, 0
	v_lshlrev_b32_e32 v14, 3, v16
	s_clause 0x3
	s_load_b32 s27, s[0:1], 0x30
	s_load_b64 s[28:29], s[0:1], 0x38
	s_load_b96 s[16:18], s[0:1], 0x48
	s_load_b64 s[24:25], s[0:1], 0x58
	v_lshrrev_b32_e32 v17, 5, v0
	v_lshrrev_b32_e32 v3, 3, v0
	v_and_b32_e32 v0, 31, v0
	s_cselect_b32 s26, -1, 0
	s_cmp_neq_f32 s7, 0
	v_add_nc_u32_e32 v6, s19, v1
	v_add_nc_u32_e32 v5, s3, v3
	v_or_b32_e32 v4, s19, v0
	v_lshlrev_b32_e32 v0, 3, v0
	s_cselect_b32 s0, -1, 0
	v_lshl_or_b32 v3, v3, 6, v14
	s_or_b32 s30, s26, s0
	s_cmp_gt_i32 s5, 0
	v_lshl_or_b32 v18, v17, 8, v0
	v_add_nc_u32_e32 v0, s3, v2
	v_add_nc_u32_e32 v8, 16, v6
	s_cselect_b32 s31, -1, 0
	s_cmp_neq_f32 s20, 0
	v_cmp_gt_i32_e32 vcc_lo, s4, v4
	v_add_nc_u32_e32 v19, 0x800, v3
	s_wait_kmcnt 0x0
	v_mad_co_i64_i32 v[3:4], null, s14, v4, 0
	s_cselect_b32 s33, -1, 0
	s_xor_b32 s34, s2, -1
	v_cmp_gt_i32_e64 s1, s4, v0
	v_cmp_le_i32_e64 s2, v6, v0
	v_cmp_le_i32_e64 s3, v8, v0
	v_add_nc_u32_e32 v10, 16, v0
	v_lshlrev_b64_e32 v[3:4], 3, v[3:4]
	v_mad_co_i64_i32 v[12:13], null, s27, v5, 0
	s_and_b32 s19, s1, s2
	s_and_b32 s26, s1, s3
	v_cmp_gt_i32_e64 s1, s4, v10
	v_cmp_le_i32_e64 s2, v6, v10
	v_cmp_le_i32_e64 s3, v8, v10
	v_cmp_gt_i32_e64 s0, s4, v5
	v_lshlrev_b32_e32 v5, 3, v17
	v_lshlrev_b32_e32 v20, 3, v1
	s_and_b32 s4, s1, s2
	s_and_b32 s14, s1, s3
	s_lshl_b64 s[2:3], s[8:9], 3
	v_lshl_add_u32 v21, v2, 6, 0x800
	s_wait_alu 0xfffe
	v_add_co_u32 v15, s1, v3, s2
	s_delay_alu instid0(VALU_DEP_1) | instskip(SKIP_1) | instid1(VALU_DEP_3)
	v_add_co_ci_u32_e64 v22, null, s3, v4, s1
	v_lshlrev_b64_e32 v[3:4], 3, v[12:13]
	v_add_co_u32 v5, s1, v15, v5
	s_lshl_b64 s[2:3], s[28:29], 3
	v_mad_co_i64_i32 v[1:2], null, v0, s18, 0
	v_mad_co_i64_i32 v[10:11], null, v10, s18, 0
	s_wait_alu 0xf1ff
	v_add_co_ci_u32_e64 v22, null, 0, v22, s1
	s_wait_alu 0xfffe
	v_add_co_u32 v3, s1, v3, s2
	v_ashrrev_i32_e32 v7, 31, v6
	v_ashrrev_i32_e32 v9, 31, v8
	s_wait_alu 0xf1ff
	v_add_co_ci_u32_e64 v4, null, s3, v4, s1
	v_add_co_u32 v24, s1, v3, v14
	v_or_b32_e32 v23, 4, v5
	s_wait_alu 0xf1ff
	s_delay_alu instid0(VALU_DEP_3)
	v_add_co_ci_u32_e64 v25, null, 0, v4, s1
	v_lshlrev_b64_e32 v[2:3], 3, v[1:2]
	v_lshlrev_b64_e32 v[4:5], 3, v[10:11]
	;; [unrolled: 1-line block ×4, first 2 shown]
	v_mov_b32_e32 v0, 0
	s_mov_b32 s23, 0
	s_and_b32 s8, s30, s31
	s_or_b32 s9, s33, s34
	s_xor_b32 s18, vcc_lo, -1
	s_xor_b32 s27, s0, -1
	s_lshl_b64 s[0:1], s[24:25], 3
	s_branch .LBB384_8
.LBB384_7:                              ;   in Loop: Header=BB384_8 Depth=1
	s_wait_alu 0xfffe
	s_or_b32 exec_lo, exec_lo, s2
	s_add_co_i32 s22, s22, 0x10000
	s_delay_alu instid0(SALU_CYCLE_1)
	s_cmp_lt_u32 s22, s15
	s_cbranch_scc0 .LBB384_39
.LBB384_8:                              ; =>This Loop Header: Depth=1
                                        ;     Child Loop BB384_11 Depth 2
	s_lshl_b64 s[2:3], s[22:23], 3
	v_dual_mov_b32 v33, v0 :: v_dual_mov_b32 v32, v0
	s_wait_alu 0xfffe
	s_add_nc_u64 s[24:25], s[16:17], s[2:3]
	v_dual_mov_b32 v30, v0 :: v_dual_mov_b32 v31, v0
	global_load_b64 v[10:11], v0, s[24:25]
	v_dual_mov_b32 v28, v0 :: v_dual_mov_b32 v29, v0
	v_dual_mov_b32 v27, v0 :: v_dual_mov_b32 v26, v0
	s_and_not1_b32 vcc_lo, exec_lo, s8
	s_wait_alu 0xfffe
	s_cbranch_vccnz .LBB384_19
; %bb.9:                                ;   in Loop: Header=BB384_8 Depth=1
	s_add_nc_u64 s[24:25], s[12:13], s[2:3]
	s_add_nc_u64 s[2:3], s[10:11], s[2:3]
	s_clause 0x1
	global_load_b64 v[12:13], v0, s[24:25]
	global_load_b64 v[14:15], v0, s[2:3]
	v_dual_mov_b32 v26, 0 :: v_dual_mov_b32 v27, 0
	v_dual_mov_b32 v29, 0 :: v_dual_mov_b32 v28, 0
	;; [unrolled: 1-line block ×4, first 2 shown]
	s_mov_b32 s2, 0
	s_wait_loadcnt 0x1
	v_add_co_u32 v12, vcc_lo, v12, v23
	s_wait_alu 0xfffd
	v_add_co_ci_u32_e64 v13, null, v13, v22, vcc_lo
	s_wait_loadcnt 0x0
	v_add_co_u32 v14, vcc_lo, v14, v24
	s_wait_alu 0xfffd
	v_add_co_ci_u32_e64 v15, null, v15, v25, vcc_lo
	s_branch .LBB384_11
.LBB384_10:                             ;   in Loop: Header=BB384_11 Depth=2
	s_wait_alu 0xfffe
	s_or_b32 exec_lo, exec_lo, s3
	s_wait_dscnt 0x0
	s_barrier_signal -1
	s_barrier_wait -1
	global_inv scope:SCOPE_SE
	ds_load_b128 v[34:37], v21
	ds_load_2addr_b64 v[38:41], v20 offset1:16
	ds_load_b128 v[42:45], v21 offset:1024
	ds_load_b128 v[46:49], v21 offset:16
	;; [unrolled: 1-line block ×4, first 2 shown]
	ds_load_2addr_b64 v[58:61], v20 offset0:32 offset1:48
	ds_load_b128 v[62:65], v21 offset:1040
	v_add_co_u32 v12, vcc_lo, v12, 64
	s_wait_alu 0xfffd
	v_add_co_ci_u32_e64 v13, null, 0, v13, vcc_lo
	v_add_co_u32 v14, vcc_lo, v14, 64
	s_wait_alu 0xfffd
	v_add_co_ci_u32_e64 v15, null, 0, v15, vcc_lo
	s_add_co_i32 s2, s2, 8
	s_wait_alu 0xfffe
	s_cmp_lt_i32 s2, s5
	s_wait_dscnt 0x6
	v_dual_mul_f32 v1, v35, v39 :: v_dual_mul_f32 v68, v34, v41
	v_dual_mul_f32 v66, v34, v39 :: v_dual_mul_f32 v67, v35, v41
	s_wait_dscnt 0x5
	v_mul_f32_e32 v70, v43, v41
	s_delay_alu instid0(VALU_DEP_3) | instskip(SKIP_3) | instid1(VALU_DEP_4)
	v_fma_f32 v1, v34, v38, -v1
	v_dual_mul_f32 v41, v42, v41 :: v_dual_fmac_f32 v68, v35, v40
	v_fmac_f32_e32 v66, v35, v38
	v_fma_f32 v34, v34, v40, -v67
	v_add_f32_e32 v1, v33, v1
	v_mul_f32_e32 v69, v43, v39
	s_delay_alu instid0(VALU_DEP_4) | instskip(NEXT) | instid1(VALU_DEP_4)
	v_dual_mul_f32 v39, v42, v39 :: v_dual_add_f32 v32, v32, v66
	v_add_f32_e32 v33, v30, v34
	v_fmac_f32_e32 v41, v43, v40
	s_delay_alu instid0(VALU_DEP_4) | instskip(NEXT) | instid1(VALU_DEP_4)
	v_fma_f32 v35, v42, v38, -v69
	v_fmac_f32_e32 v39, v43, v38
	v_fma_f32 v38, v42, v40, -v70
	s_wait_dscnt 0x1
	v_dual_mul_f32 v40, v36, v59 :: v_dual_add_f32 v31, v31, v68
	v_mul_f32_e32 v42, v37, v61
	v_add_f32_e32 v34, v28, v35
	v_dual_add_f32 v35, v29, v39 :: v_dual_add_f32 v38, v27, v38
	ds_load_2addr_b64 v[27:30], v20 offset0:64 offset1:80
	v_fmac_f32_e32 v40, v37, v58
	v_dual_mul_f32 v39, v37, v59 :: v_dual_add_f32 v26, v26, v41
	v_mul_f32_e32 v41, v36, v61
	s_delay_alu instid0(VALU_DEP_3) | instskip(NEXT) | instid1(VALU_DEP_3)
	v_add_f32_e32 v40, v32, v40
	v_fma_f32 v39, v36, v58, -v39
	v_fma_f32 v36, v36, v60, -v42
	v_mul_f32_e32 v32, v44, v59
	s_delay_alu instid0(VALU_DEP_3) | instskip(SKIP_1) | instid1(VALU_DEP_4)
	v_add_f32_e32 v1, v1, v39
	v_mul_f32_e32 v39, v45, v59
	v_add_f32_e32 v36, v33, v36
	v_fmac_f32_e32 v41, v37, v60
	v_mul_f32_e32 v37, v45, v61
	v_fmac_f32_e32 v32, v45, v58
	v_fma_f32 v33, v44, v58, -v39
	s_delay_alu instid0(VALU_DEP_4) | instskip(SKIP_4) | instid1(VALU_DEP_3)
	v_add_f32_e32 v39, v31, v41
	v_mul_f32_e32 v41, v44, v61
	v_fma_f32 v31, v44, v60, -v37
	s_wait_dscnt 0x0
	v_dual_add_f32 v42, v34, v33 :: v_dual_mul_f32 v33, v47, v28
	v_dual_mul_f32 v44, v47, v30 :: v_dual_fmac_f32 v41, v45, v60
	v_mul_f32_e32 v37, v46, v28
	v_add_f32_e32 v38, v38, v31
	s_delay_alu instid0(VALU_DEP_3) | instskip(SKIP_3) | instid1(VALU_DEP_2)
	v_add_f32_e32 v41, v26, v41
	v_mul_f32_e32 v26, v46, v30
	v_fma_f32 v43, v46, v27, -v33
	v_fmac_f32_e32 v37, v47, v27
	v_dual_fmac_f32 v26, v47, v29 :: v_dual_add_f32 v1, v1, v43
	v_fma_f32 v43, v46, v29, -v44
	v_add_f32_e32 v35, v35, v32
	ds_load_2addr_b64 v[31:34], v20 offset0:96 offset1:112
	v_dual_add_f32 v37, v40, v37 :: v_dual_mul_f32 v40, v63, v28
	v_mul_f32_e32 v28, v62, v28
	v_dual_add_f32 v36, v36, v43 :: v_dual_mul_f32 v43, v63, v30
	v_mul_f32_e32 v30, v62, v30
	s_delay_alu instid0(VALU_DEP_4) | instskip(NEXT) | instid1(VALU_DEP_4)
	v_fma_f32 v40, v62, v27, -v40
	v_fmac_f32_e32 v28, v63, v27
	v_add_f32_e32 v39, v39, v26
	v_fma_f32 v26, v62, v29, -v43
	v_fmac_f32_e32 v30, v63, v29
	v_add_f32_e32 v40, v42, v40
	s_delay_alu instid0(VALU_DEP_3)
	v_dual_add_f32 v42, v35, v28 :: v_dual_add_f32 v43, v38, v26
	ds_load_2addr_b64 v[26:29], v20 offset0:128 offset1:144
	s_wait_dscnt 0x1
	v_mul_f32_e32 v35, v49, v32
	v_mul_f32_e32 v38, v48, v32
	;; [unrolled: 1-line block ×4, first 2 shown]
	s_delay_alu instid0(VALU_DEP_4) | instskip(NEXT) | instid1(VALU_DEP_4)
	v_fma_f32 v35, v48, v31, -v35
	v_fmac_f32_e32 v38, v49, v31
	s_delay_alu instid0(VALU_DEP_2) | instskip(SKIP_1) | instid1(VALU_DEP_3)
	v_add_f32_e32 v1, v1, v35
	v_mul_f32_e32 v35, v65, v32
	v_dual_mul_f32 v32, v64, v32 :: v_dual_add_f32 v45, v37, v38
	s_delay_alu instid0(VALU_DEP_2) | instskip(NEXT) | instid1(VALU_DEP_2)
	v_fma_f32 v46, v64, v31, -v35
	v_fmac_f32_e32 v32, v65, v31
	s_wait_dscnt 0x0
	v_mul_f32_e32 v31, v51, v27
	v_fma_f32 v44, v48, v33, -v44
	v_add_f32_e32 v41, v41, v30
	v_mul_f32_e32 v30, v48, v34
	v_mul_f32_e32 v58, v50, v29
	s_delay_alu instid0(VALU_DEP_4) | instskip(SKIP_2) | instid1(VALU_DEP_1)
	v_add_f32_e32 v44, v36, v44
	ds_load_b128 v[35:38], v21 offset:1056
	v_dual_fmac_f32 v30, v49, v33 :: v_dual_mul_f32 v49, v50, v27
	v_add_f32_e32 v48, v39, v30
	v_fma_f32 v30, v64, v33, -v47
	v_fma_f32 v39, v50, v26, -v31
	v_mul_f32_e32 v34, v64, v34
	v_fmac_f32_e32 v49, v51, v26
	v_add_f32_e32 v46, v40, v46
	v_add_f32_e32 v43, v43, v30
	;; [unrolled: 1-line block ×4, first 2 shown]
	v_fmac_f32_e32 v34, v65, v33
	ds_load_2addr_b64 v[30:33], v20 offset0:160 offset1:176
	v_mul_f32_e32 v40, v51, v29
	v_add_f32_e32 v45, v45, v49
	v_add_f32_e32 v34, v41, v34
	s_delay_alu instid0(VALU_DEP_3)
	v_fma_f32 v50, v50, v28, -v40
	ds_load_b128 v[39:42], v21 offset:1072
	s_wait_dscnt 0x2
	v_mul_f32_e32 v59, v36, v27
	v_dual_mul_f32 v27, v35, v27 :: v_dual_add_f32 v44, v44, v50
	v_fmac_f32_e32 v58, v51, v28
	v_mul_f32_e32 v50, v36, v29
	s_delay_alu instid0(VALU_DEP_4) | instskip(NEXT) | instid1(VALU_DEP_4)
	v_fma_f32 v49, v35, v26, -v59
	v_fmac_f32_e32 v27, v36, v26
	s_delay_alu instid0(VALU_DEP_4) | instskip(SKIP_1) | instid1(VALU_DEP_3)
	v_dual_mul_f32 v51, v35, v29 :: v_dual_add_f32 v48, v48, v58
	s_wait_dscnt 0x1
	v_dual_add_f32 v46, v46, v49 :: v_dual_mul_f32 v29, v53, v31
	v_fma_f32 v26, v35, v28, -v50
	v_add_f32_e32 v35, v47, v27
	v_fmac_f32_e32 v51, v36, v28
	v_mul_f32_e32 v36, v52, v31
	v_fma_f32 v47, v52, v30, -v29
	v_add_f32_e32 v43, v43, v26
	ds_load_2addr_b64 v[26:29], v20 offset0:192 offset1:208
	v_fmac_f32_e32 v36, v53, v30
	v_dual_mul_f32 v49, v53, v33 :: v_dual_add_f32 v50, v34, v51
	v_dual_add_f32 v1, v1, v47 :: v_dual_mul_f32 v34, v52, v33
	s_delay_alu instid0(VALU_DEP_3) | instskip(NEXT) | instid1(VALU_DEP_3)
	v_dual_add_f32 v45, v45, v36 :: v_dual_mul_f32 v36, v38, v31
	v_fma_f32 v47, v52, v32, -v49
	s_delay_alu instid0(VALU_DEP_3) | instskip(NEXT) | instid1(VALU_DEP_3)
	v_fmac_f32_e32 v34, v53, v32
	v_fma_f32 v36, v37, v30, -v36
	s_delay_alu instid0(VALU_DEP_3) | instskip(SKIP_1) | instid1(VALU_DEP_3)
	v_dual_add_f32 v44, v44, v47 :: v_dual_mul_f32 v47, v38, v33
	v_mul_f32_e32 v31, v37, v31
	v_dual_mul_f32 v33, v37, v33 :: v_dual_add_f32 v46, v46, v36
	s_delay_alu instid0(VALU_DEP_2) | instskip(SKIP_2) | instid1(VALU_DEP_4)
	v_fmac_f32_e32 v31, v38, v30
	v_add_f32_e32 v30, v48, v34
	v_fma_f32 v34, v37, v32, -v47
	v_fmac_f32_e32 v33, v38, v32
	s_wait_dscnt 0x0
	v_mul_f32_e32 v38, v54, v27
	v_dual_add_f32 v31, v35, v31 :: v_dual_mul_f32 v48, v54, v29
	v_add_f32_e32 v32, v43, v34
	ds_load_2addr_b64 v[34:37], v20 offset0:224 offset1:240
	v_dual_add_f32 v33, v50, v33 :: v_dual_fmac_f32 v38, v55, v26
	v_mul_f32_e32 v47, v55, v27
	v_fmac_f32_e32 v48, v55, v28
	s_wait_loadcnt_dscnt 0x0
	s_barrier_signal -1
	v_add_f32_e32 v38, v45, v38
	v_fma_f32 v43, v54, v26, -v47
	v_mul_f32_e32 v47, v55, v29
	v_mul_f32_e32 v45, v40, v29
	;; [unrolled: 1-line block ×3, first 2 shown]
	s_barrier_wait -1
	v_add_f32_e32 v1, v1, v43
	v_fma_f32 v47, v54, v28, -v47
	v_mul_f32_e32 v43, v40, v27
	v_fmac_f32_e32 v29, v40, v28
	global_inv scope:SCOPE_SE
	v_dual_add_f32 v44, v44, v47 :: v_dual_add_f32 v47, v30, v48
	v_fma_f32 v30, v39, v28, -v45
	v_mul_f32_e32 v27, v39, v27
	s_delay_alu instid0(VALU_DEP_1) | instskip(NEXT) | instid1(VALU_DEP_3)
	v_fmac_f32_e32 v27, v40, v26
	v_add_f32_e32 v40, v32, v30
	v_mul_f32_e32 v30, v57, v37
	v_fma_f32 v43, v39, v26, -v43
	v_mul_f32_e32 v39, v57, v35
	s_delay_alu instid0(VALU_DEP_2) | instskip(NEXT) | instid1(VALU_DEP_2)
	v_add_f32_e32 v26, v46, v43
	v_fma_f32 v28, v56, v34, -v39
	v_add_f32_e32 v39, v33, v29
	v_mul_f32_e32 v29, v41, v35
	s_delay_alu instid0(VALU_DEP_3) | instskip(SKIP_2) | instid1(VALU_DEP_2)
	v_add_f32_e32 v33, v1, v28
	v_fma_f32 v1, v56, v36, -v30
	v_mul_f32_e32 v28, v42, v35
	v_dual_fmac_f32 v29, v42, v34 :: v_dual_add_f32 v30, v44, v1
	s_delay_alu instid0(VALU_DEP_2) | instskip(SKIP_2) | instid1(VALU_DEP_2)
	v_fma_f32 v1, v41, v34, -v28
	v_mul_f32_e32 v43, v56, v35
	v_mul_f32_e32 v35, v42, v37
	v_dual_add_f32 v28, v26, v1 :: v_dual_fmac_f32 v43, v57, v34
	s_delay_alu instid0(VALU_DEP_2) | instskip(NEXT) | instid1(VALU_DEP_2)
	v_fma_f32 v34, v41, v36, -v35
	v_add_f32_e32 v32, v38, v43
	v_add_f32_e32 v27, v31, v27
	v_mul_f32_e32 v31, v56, v37
	v_mul_f32_e32 v37, v41, v37
	s_delay_alu instid0(VALU_DEP_3) | instskip(NEXT) | instid1(VALU_DEP_3)
	v_add_f32_e32 v29, v27, v29
	v_fmac_f32_e32 v31, v57, v36
	s_delay_alu instid0(VALU_DEP_3) | instskip(SKIP_1) | instid1(VALU_DEP_3)
	v_fmac_f32_e32 v37, v42, v36
	v_add_f32_e32 v27, v40, v34
	v_add_f32_e32 v31, v47, v31
	s_delay_alu instid0(VALU_DEP_3)
	v_add_f32_e32 v26, v39, v37
	s_cbranch_scc0 .LBB384_19
.LBB384_11:                             ;   Parent Loop BB384_8 Depth=1
                                        ; =>  This Inner Loop Header: Depth=2
	s_wait_alu 0xfffe
	v_add_nc_u32_e32 v1, s2, v17
	s_delay_alu instid0(VALU_DEP_1) | instskip(SKIP_3) | instid1(SALU_CYCLE_1)
	v_cmp_le_i32_e32 vcc_lo, s5, v1
	s_or_b32 s3, s18, vcc_lo
	s_wait_alu 0xfffe
	s_and_saveexec_b32 s24, s3
	s_xor_b32 s3, exec_lo, s24
; %bb.12:                               ;   in Loop: Header=BB384_11 Depth=2
	ds_store_b32 v18, v0
; %bb.13:                               ;   in Loop: Header=BB384_11 Depth=2
	s_wait_alu 0xfffe
	s_or_saveexec_b32 s3, s3
	v_mov_b32_e32 v1, 0
	s_wait_alu 0xfffe
	s_xor_b32 exec_lo, exec_lo, s3
	s_cbranch_execz .LBB384_15
; %bb.14:                               ;   in Loop: Header=BB384_11 Depth=2
	flat_load_b64 v[34:35], v[12:13] offset:-4
	s_wait_loadcnt_dscnt 0x0
	v_xor_b32_e32 v1, 0x80000000, v35
	ds_store_b32 v18, v34
.LBB384_15:                             ;   in Loop: Header=BB384_11 Depth=2
	s_or_b32 exec_lo, exec_lo, s3
	v_add_nc_u32_e32 v34, s2, v16
	ds_store_b32 v18, v1 offset:4
	v_cmp_le_i32_e32 vcc_lo, s5, v34
	s_or_b32 s3, vcc_lo, s27
	s_wait_alu 0xfffe
	s_and_saveexec_b32 s24, s3
	s_delay_alu instid0(SALU_CYCLE_1)
	s_xor_b32 s3, exec_lo, s24
; %bb.16:                               ;   in Loop: Header=BB384_11 Depth=2
	v_mov_b32_e32 v1, v0
	ds_store_b64 v19, v[0:1]
; %bb.17:                               ;   in Loop: Header=BB384_11 Depth=2
	s_wait_alu 0xfffe
	s_and_not1_saveexec_b32 s3, s3
	s_cbranch_execz .LBB384_10
; %bb.18:                               ;   in Loop: Header=BB384_11 Depth=2
	flat_load_b64 v[34:35], v[14:15]
	s_wait_loadcnt_dscnt 0x0
	ds_store_b64 v19, v[34:35]
	s_branch .LBB384_10
.LBB384_19:                             ;   in Loop: Header=BB384_8 Depth=1
	s_wait_loadcnt 0x0
	v_add_co_u32 v1, vcc_lo, v10, s0
	s_wait_alu 0xfffd
	v_add_co_ci_u32_e64 v12, null, s1, v11, vcc_lo
	s_delay_alu instid0(VALU_DEP_2) | instskip(SKIP_1) | instid1(VALU_DEP_2)
	v_add_co_u32 v13, vcc_lo, v1, v2
	s_wait_alu 0xfffd
	v_add_co_ci_u32_e64 v14, null, v12, v3, vcc_lo
	s_and_saveexec_b32 s2, s19
	s_cbranch_execz .LBB384_24
; %bb.20:                               ;   in Loop: Header=BB384_8 Depth=1
	v_mul_f32_e32 v11, s6, v32
	v_mul_f32_e32 v10, s7, v32
	s_and_b32 vcc_lo, exec_lo, s9
	s_mov_b32 s3, -1
	s_delay_alu instid0(VALU_DEP_2) | instskip(NEXT) | instid1(VALU_DEP_2)
	v_fmac_f32_e32 v11, s7, v33
	v_fma_f32 v10, v33, s6, -v10
	s_wait_alu 0xfffe
	s_cbranch_vccz .LBB384_22
; %bb.21:                               ;   in Loop: Header=BB384_8 Depth=1
	v_add_co_u32 v32, vcc_lo, v13, v6
	s_wait_alu 0xfffd
	v_add_co_ci_u32_e64 v33, null, v14, v7, vcc_lo
	s_mov_b32 s3, 0
	flat_load_b64 v[34:35], v[32:33]
	s_wait_loadcnt_dscnt 0x0
	v_mul_f32_e32 v15, s21, v35
	v_mul_f32_e32 v35, s20, v35
	s_delay_alu instid0(VALU_DEP_2) | instskip(NEXT) | instid1(VALU_DEP_1)
	v_fma_f32 v15, v34, s20, -v15
	v_dual_fmac_f32 v35, s21, v34 :: v_dual_add_f32 v34, v10, v15
	s_delay_alu instid0(VALU_DEP_1)
	v_add_f32_e32 v35, v11, v35
	flat_store_b64 v[32:33], v[34:35]
.LBB384_22:                             ;   in Loop: Header=BB384_8 Depth=1
	s_wait_alu 0xfffe
	s_and_not1_b32 vcc_lo, exec_lo, s3
	s_wait_alu 0xfffe
	s_cbranch_vccnz .LBB384_24
; %bb.23:                               ;   in Loop: Header=BB384_8 Depth=1
	v_add_co_u32 v32, vcc_lo, v13, v6
	s_wait_alu 0xfffd
	v_add_co_ci_u32_e64 v33, null, v14, v7, vcc_lo
	flat_store_b64 v[32:33], v[10:11]
.LBB384_24:                             ;   in Loop: Header=BB384_8 Depth=1
	s_wait_alu 0xfffe
	s_or_b32 exec_lo, exec_lo, s2
	s_and_saveexec_b32 s2, s26
	s_cbranch_execz .LBB384_29
; %bb.25:                               ;   in Loop: Header=BB384_8 Depth=1
	v_mul_f32_e32 v11, s6, v31
	v_mul_f32_e32 v10, s7, v31
	s_and_not1_b32 vcc_lo, exec_lo, s9
	s_mov_b32 s3, -1
	s_delay_alu instid0(VALU_DEP_2) | instskip(NEXT) | instid1(VALU_DEP_2)
	v_fmac_f32_e32 v11, s7, v30
	v_fma_f32 v10, v30, s6, -v10
	s_wait_alu 0xfffe
	s_cbranch_vccnz .LBB384_27
; %bb.26:                               ;   in Loop: Header=BB384_8 Depth=1
	v_add_co_u32 v30, vcc_lo, v13, v8
	s_wait_alu 0xfffd
	v_add_co_ci_u32_e64 v31, null, v14, v9, vcc_lo
	s_mov_b32 s3, 0
	flat_load_b64 v[32:33], v[30:31]
	s_wait_loadcnt_dscnt 0x0
	v_mul_f32_e32 v15, s21, v33
	s_delay_alu instid0(VALU_DEP_1) | instskip(SKIP_1) | instid1(VALU_DEP_1)
	v_fma_f32 v15, v32, s20, -v15
	v_mul_f32_e32 v33, s20, v33
	v_dual_fmac_f32 v33, s21, v32 :: v_dual_add_f32 v32, v10, v15
	s_delay_alu instid0(VALU_DEP_1)
	v_add_f32_e32 v33, v11, v33
	flat_store_b64 v[30:31], v[32:33]
.LBB384_27:                             ;   in Loop: Header=BB384_8 Depth=1
	s_wait_alu 0xfffe
	s_and_not1_b32 vcc_lo, exec_lo, s3
	s_wait_alu 0xfffe
	s_cbranch_vccnz .LBB384_29
; %bb.28:                               ;   in Loop: Header=BB384_8 Depth=1
	v_add_co_u32 v13, vcc_lo, v13, v8
	s_wait_alu 0xfffd
	v_add_co_ci_u32_e64 v14, null, v14, v9, vcc_lo
	flat_store_b64 v[13:14], v[10:11]
.LBB384_29:                             ;   in Loop: Header=BB384_8 Depth=1
	s_wait_alu 0xfffe
	s_or_b32 exec_lo, exec_lo, s2
	v_add_co_u32 v1, vcc_lo, v1, v4
	s_wait_alu 0xfffd
	v_add_co_ci_u32_e64 v12, null, v12, v5, vcc_lo
	s_and_saveexec_b32 s2, s4
	s_cbranch_execz .LBB384_34
; %bb.30:                               ;   in Loop: Header=BB384_8 Depth=1
	v_mul_f32_e32 v11, s6, v29
	v_mul_f32_e32 v10, s7, v29
	s_and_not1_b32 vcc_lo, exec_lo, s9
	s_mov_b32 s3, -1
	s_delay_alu instid0(VALU_DEP_2) | instskip(NEXT) | instid1(VALU_DEP_2)
	v_fmac_f32_e32 v11, s7, v28
	v_fma_f32 v10, v28, s6, -v10
	s_wait_alu 0xfffe
	s_cbranch_vccnz .LBB384_32
; %bb.31:                               ;   in Loop: Header=BB384_8 Depth=1
	v_add_co_u32 v13, vcc_lo, v1, v6
	s_wait_alu 0xfffd
	v_add_co_ci_u32_e64 v14, null, v12, v7, vcc_lo
	s_mov_b32 s3, 0
	flat_load_b64 v[28:29], v[13:14]
	s_wait_loadcnt_dscnt 0x0
	v_mul_f32_e32 v15, s21, v29
	s_delay_alu instid0(VALU_DEP_1) | instskip(SKIP_1) | instid1(VALU_DEP_1)
	v_fma_f32 v15, v28, s20, -v15
	v_mul_f32_e32 v29, s20, v29
	v_dual_fmac_f32 v29, s21, v28 :: v_dual_add_f32 v28, v10, v15
	s_delay_alu instid0(VALU_DEP_1)
	v_add_f32_e32 v29, v11, v29
	flat_store_b64 v[13:14], v[28:29]
.LBB384_32:                             ;   in Loop: Header=BB384_8 Depth=1
	s_wait_alu 0xfffe
	s_and_not1_b32 vcc_lo, exec_lo, s3
	s_wait_alu 0xfffe
	s_cbranch_vccnz .LBB384_34
; %bb.33:                               ;   in Loop: Header=BB384_8 Depth=1
	v_add_co_u32 v13, vcc_lo, v1, v6
	s_wait_alu 0xfffd
	v_add_co_ci_u32_e64 v14, null, v12, v7, vcc_lo
	flat_store_b64 v[13:14], v[10:11]
.LBB384_34:                             ;   in Loop: Header=BB384_8 Depth=1
	s_wait_alu 0xfffe
	s_or_b32 exec_lo, exec_lo, s2
	s_and_saveexec_b32 s2, s14
	s_cbranch_execz .LBB384_7
; %bb.35:                               ;   in Loop: Header=BB384_8 Depth=1
	v_mul_f32_e32 v11, s6, v26
	v_mul_f32_e32 v10, s7, v26
	s_and_not1_b32 vcc_lo, exec_lo, s9
	s_mov_b32 s3, -1
	s_delay_alu instid0(VALU_DEP_2) | instskip(NEXT) | instid1(VALU_DEP_2)
	v_fmac_f32_e32 v11, s7, v27
	v_fma_f32 v10, v27, s6, -v10
	s_wait_alu 0xfffe
	s_cbranch_vccnz .LBB384_37
; %bb.36:                               ;   in Loop: Header=BB384_8 Depth=1
	v_add_co_u32 v13, vcc_lo, v1, v8
	s_wait_alu 0xfffd
	v_add_co_ci_u32_e64 v14, null, v12, v9, vcc_lo
	s_mov_b32 s3, 0
	flat_load_b64 v[26:27], v[13:14]
	s_wait_loadcnt_dscnt 0x0
	v_mul_f32_e32 v15, s21, v27
	v_mul_f32_e32 v27, s20, v27
	s_delay_alu instid0(VALU_DEP_2) | instskip(NEXT) | instid1(VALU_DEP_1)
	v_fma_f32 v15, v26, s20, -v15
	v_dual_fmac_f32 v27, s21, v26 :: v_dual_add_f32 v26, v10, v15
	s_delay_alu instid0(VALU_DEP_1)
	v_add_f32_e32 v27, v11, v27
	flat_store_b64 v[13:14], v[26:27]
.LBB384_37:                             ;   in Loop: Header=BB384_8 Depth=1
	s_wait_alu 0xfffe
	s_and_not1_b32 vcc_lo, exec_lo, s3
	s_wait_alu 0xfffe
	s_cbranch_vccnz .LBB384_7
; %bb.38:                               ;   in Loop: Header=BB384_8 Depth=1
	v_add_co_u32 v13, vcc_lo, v1, v8
	s_wait_alu 0xfffd
	v_add_co_ci_u32_e64 v14, null, v12, v9, vcc_lo
	flat_store_b64 v[13:14], v[10:11]
	s_branch .LBB384_7
.LBB384_39:
	s_endpgm
	.section	.rodata,"a",@progbits
	.p2align	6, 0x0
	.amdhsa_kernel _ZL29rocblas_internal_gemmt_kernelIiLi16ELi32ELi8ELc67ELc78ELc85ELb1ELb0E19rocblas_complex_numIfES1_PKPKS1_PKPS1_EviT_T9_T10_S9_lSB_S9_lSA_T11_S9_li
		.amdhsa_group_segment_fixed_size 4096
		.amdhsa_private_segment_fixed_size 0
		.amdhsa_kernarg_size 100
		.amdhsa_user_sgpr_count 2
		.amdhsa_user_sgpr_dispatch_ptr 0
		.amdhsa_user_sgpr_queue_ptr 0
		.amdhsa_user_sgpr_kernarg_segment_ptr 1
		.amdhsa_user_sgpr_dispatch_id 0
		.amdhsa_user_sgpr_private_segment_size 0
		.amdhsa_wavefront_size32 1
		.amdhsa_uses_dynamic_stack 0
		.amdhsa_enable_private_segment 0
		.amdhsa_system_sgpr_workgroup_id_x 1
		.amdhsa_system_sgpr_workgroup_id_y 1
		.amdhsa_system_sgpr_workgroup_id_z 1
		.amdhsa_system_sgpr_workgroup_info 0
		.amdhsa_system_vgpr_workitem_id 1
		.amdhsa_next_free_vgpr 71
		.amdhsa_next_free_sgpr 35
		.amdhsa_reserve_vcc 1
		.amdhsa_float_round_mode_32 0
		.amdhsa_float_round_mode_16_64 0
		.amdhsa_float_denorm_mode_32 3
		.amdhsa_float_denorm_mode_16_64 3
		.amdhsa_fp16_overflow 0
		.amdhsa_workgroup_processor_mode 1
		.amdhsa_memory_ordered 1
		.amdhsa_forward_progress 1
		.amdhsa_inst_pref_size 25
		.amdhsa_round_robin_scheduling 0
		.amdhsa_exception_fp_ieee_invalid_op 0
		.amdhsa_exception_fp_denorm_src 0
		.amdhsa_exception_fp_ieee_div_zero 0
		.amdhsa_exception_fp_ieee_overflow 0
		.amdhsa_exception_fp_ieee_underflow 0
		.amdhsa_exception_fp_ieee_inexact 0
		.amdhsa_exception_int_div_zero 0
	.end_amdhsa_kernel
	.section	.text._ZL29rocblas_internal_gemmt_kernelIiLi16ELi32ELi8ELc67ELc78ELc85ELb1ELb0E19rocblas_complex_numIfES1_PKPKS1_PKPS1_EviT_T9_T10_S9_lSB_S9_lSA_T11_S9_li,"axG",@progbits,_ZL29rocblas_internal_gemmt_kernelIiLi16ELi32ELi8ELc67ELc78ELc85ELb1ELb0E19rocblas_complex_numIfES1_PKPKS1_PKPS1_EviT_T9_T10_S9_lSB_S9_lSA_T11_S9_li,comdat
.Lfunc_end384:
	.size	_ZL29rocblas_internal_gemmt_kernelIiLi16ELi32ELi8ELc67ELc78ELc85ELb1ELb0E19rocblas_complex_numIfES1_PKPKS1_PKPS1_EviT_T9_T10_S9_lSB_S9_lSA_T11_S9_li, .Lfunc_end384-_ZL29rocblas_internal_gemmt_kernelIiLi16ELi32ELi8ELc67ELc78ELc85ELb1ELb0E19rocblas_complex_numIfES1_PKPKS1_PKPS1_EviT_T9_T10_S9_lSB_S9_lSA_T11_S9_li
                                        ; -- End function
	.set _ZL29rocblas_internal_gemmt_kernelIiLi16ELi32ELi8ELc67ELc78ELc85ELb1ELb0E19rocblas_complex_numIfES1_PKPKS1_PKPS1_EviT_T9_T10_S9_lSB_S9_lSA_T11_S9_li.num_vgpr, 71
	.set _ZL29rocblas_internal_gemmt_kernelIiLi16ELi32ELi8ELc67ELc78ELc85ELb1ELb0E19rocblas_complex_numIfES1_PKPKS1_PKPS1_EviT_T9_T10_S9_lSB_S9_lSA_T11_S9_li.num_agpr, 0
	.set _ZL29rocblas_internal_gemmt_kernelIiLi16ELi32ELi8ELc67ELc78ELc85ELb1ELb0E19rocblas_complex_numIfES1_PKPKS1_PKPS1_EviT_T9_T10_S9_lSB_S9_lSA_T11_S9_li.numbered_sgpr, 35
	.set _ZL29rocblas_internal_gemmt_kernelIiLi16ELi32ELi8ELc67ELc78ELc85ELb1ELb0E19rocblas_complex_numIfES1_PKPKS1_PKPS1_EviT_T9_T10_S9_lSB_S9_lSA_T11_S9_li.num_named_barrier, 0
	.set _ZL29rocblas_internal_gemmt_kernelIiLi16ELi32ELi8ELc67ELc78ELc85ELb1ELb0E19rocblas_complex_numIfES1_PKPKS1_PKPS1_EviT_T9_T10_S9_lSB_S9_lSA_T11_S9_li.private_seg_size, 0
	.set _ZL29rocblas_internal_gemmt_kernelIiLi16ELi32ELi8ELc67ELc78ELc85ELb1ELb0E19rocblas_complex_numIfES1_PKPKS1_PKPS1_EviT_T9_T10_S9_lSB_S9_lSA_T11_S9_li.uses_vcc, 1
	.set _ZL29rocblas_internal_gemmt_kernelIiLi16ELi32ELi8ELc67ELc78ELc85ELb1ELb0E19rocblas_complex_numIfES1_PKPKS1_PKPS1_EviT_T9_T10_S9_lSB_S9_lSA_T11_S9_li.uses_flat_scratch, 0
	.set _ZL29rocblas_internal_gemmt_kernelIiLi16ELi32ELi8ELc67ELc78ELc85ELb1ELb0E19rocblas_complex_numIfES1_PKPKS1_PKPS1_EviT_T9_T10_S9_lSB_S9_lSA_T11_S9_li.has_dyn_sized_stack, 0
	.set _ZL29rocblas_internal_gemmt_kernelIiLi16ELi32ELi8ELc67ELc78ELc85ELb1ELb0E19rocblas_complex_numIfES1_PKPKS1_PKPS1_EviT_T9_T10_S9_lSB_S9_lSA_T11_S9_li.has_recursion, 0
	.set _ZL29rocblas_internal_gemmt_kernelIiLi16ELi32ELi8ELc67ELc78ELc85ELb1ELb0E19rocblas_complex_numIfES1_PKPKS1_PKPS1_EviT_T9_T10_S9_lSB_S9_lSA_T11_S9_li.has_indirect_call, 0
	.section	.AMDGPU.csdata,"",@progbits
; Kernel info:
; codeLenInByte = 3184
; TotalNumSgprs: 37
; NumVgprs: 71
; ScratchSize: 0
; MemoryBound: 1
; FloatMode: 240
; IeeeMode: 1
; LDSByteSize: 4096 bytes/workgroup (compile time only)
; SGPRBlocks: 0
; VGPRBlocks: 8
; NumSGPRsForWavesPerEU: 37
; NumVGPRsForWavesPerEU: 71
; Occupancy: 16
; WaveLimiterHint : 1
; COMPUTE_PGM_RSRC2:SCRATCH_EN: 0
; COMPUTE_PGM_RSRC2:USER_SGPR: 2
; COMPUTE_PGM_RSRC2:TRAP_HANDLER: 0
; COMPUTE_PGM_RSRC2:TGID_X_EN: 1
; COMPUTE_PGM_RSRC2:TGID_Y_EN: 1
; COMPUTE_PGM_RSRC2:TGID_Z_EN: 1
; COMPUTE_PGM_RSRC2:TIDIG_COMP_CNT: 1
	.section	.text._ZL29rocblas_internal_gemmt_kernelIiLi16ELi32ELi8ELc67ELc84ELc85ELb1ELb0E19rocblas_complex_numIfES1_PKPKS1_PKPS1_EviT_T9_T10_S9_lSB_S9_lSA_T11_S9_li,"axG",@progbits,_ZL29rocblas_internal_gemmt_kernelIiLi16ELi32ELi8ELc67ELc84ELc85ELb1ELb0E19rocblas_complex_numIfES1_PKPKS1_PKPS1_EviT_T9_T10_S9_lSB_S9_lSA_T11_S9_li,comdat
	.globl	_ZL29rocblas_internal_gemmt_kernelIiLi16ELi32ELi8ELc67ELc84ELc85ELb1ELb0E19rocblas_complex_numIfES1_PKPKS1_PKPS1_EviT_T9_T10_S9_lSB_S9_lSA_T11_S9_li ; -- Begin function _ZL29rocblas_internal_gemmt_kernelIiLi16ELi32ELi8ELc67ELc84ELc85ELb1ELb0E19rocblas_complex_numIfES1_PKPKS1_PKPS1_EviT_T9_T10_S9_lSB_S9_lSA_T11_S9_li
	.p2align	8
	.type	_ZL29rocblas_internal_gemmt_kernelIiLi16ELi32ELi8ELc67ELc84ELc85ELb1ELb0E19rocblas_complex_numIfES1_PKPKS1_PKPS1_EviT_T9_T10_S9_lSB_S9_lSA_T11_S9_li,@function
_ZL29rocblas_internal_gemmt_kernelIiLi16ELi32ELi8ELc67ELc84ELc85ELb1ELb0E19rocblas_complex_numIfES1_PKPKS1_PKPS1_EviT_T9_T10_S9_lSB_S9_lSA_T11_S9_li: ; @_ZL29rocblas_internal_gemmt_kernelIiLi16ELi32ELi8ELc67ELc84ELc85ELb1ELb0E19rocblas_complex_numIfES1_PKPKS1_PKPS1_EviT_T9_T10_S9_lSB_S9_lSA_T11_S9_li
; %bb.0:
	s_clause 0x1
	s_load_b64 s[20:21], s[0:1], 0x40
	s_load_b128 s[4:7], s[0:1], 0x0
	s_wait_kmcnt 0x0
	s_cmp_eq_f32 s20, 1.0
	s_cselect_b32 s3, -1, 0
	s_and_b32 s2, s21, 0x7fffffff
	s_delay_alu instid0(SALU_CYCLE_1) | instskip(SKIP_1) | instid1(SALU_CYCLE_1)
	s_cmp_eq_u32 s2, 0
	s_cselect_b32 s2, -1, 0
	s_and_b32 s8, s3, s2
	s_mov_b32 s3, 0
	s_and_not1_b32 vcc_lo, exec_lo, s8
	s_mov_b32 s8, -1
	s_cbranch_vccnz .LBB385_4
; %bb.1:
	s_cmp_lg_u32 s5, 0
	s_cbranch_scc0 .LBB385_3
; %bb.2:
	s_cmp_neq_f32 s6, 0
	s_cselect_b32 s3, -1, 0
	s_cmp_neq_f32 s7, 0
	s_cselect_b32 s8, -1, 0
	s_delay_alu instid0(SALU_CYCLE_1)
	s_or_b32 s3, s3, s8
.LBB385_3:
	s_delay_alu instid0(SALU_CYCLE_1)
	s_mov_b32 s8, s3
.LBB385_4:
	s_delay_alu instid0(SALU_CYCLE_1)
	s_and_b32 vcc_lo, exec_lo, s8
	s_cbranch_vccz .LBB385_39
; %bb.5:
	s_load_b32 s15, s[0:1], 0x60
	s_lshr_b32 s22, ttmp7, 16
	s_wait_kmcnt 0x0
	s_cmp_ge_u32 s22, s15
	s_cbranch_scc1 .LBB385_39
; %bb.6:
	s_load_b32 s24, s[0:1], 0x30
	v_and_b32_e32 v1, 0x3ff, v0
	v_bfe_u32 v2, v0, 10, 10
	s_clause 0x4
	s_load_b96 s[12:14], s[0:1], 0x10
	s_load_b128 s[8:11], s[0:1], 0x20
	s_load_b64 s[28:29], s[0:1], 0x38
	s_load_b96 s[16:18], s[0:1], 0x48
	s_load_b64 s[26:27], s[0:1], 0x58
	v_and_b32_e32 v16, 7, v0
	s_lshl_b32 s1, ttmp7, 5
	s_lshl_b32 s0, ttmp9, 5
	v_lshl_add_u32 v0, v2, 4, v1
	s_and_b32 s1, s1, 0x1fffe0
	v_lshlrev_b32_e32 v3, 3, v16
	v_lshl_add_u32 v21, v2, 6, 0x800
	s_mov_b32 s23, 0
	v_and_b32_e32 v4, 31, v0
	v_lshrrev_b32_e32 v5, 3, v0
	v_lshrrev_b32_e32 v17, 5, v0
	s_delay_alu instid0(VALU_DEP_3) | instskip(SKIP_1) | instid1(VALU_DEP_4)
	v_or_b32_e32 v0, s0, v4
	v_lshlrev_b32_e32 v4, 3, v4
	v_lshl_or_b32 v3, v5, 6, v3
	s_wait_kmcnt 0x0
	s_ashr_i32 s25, s24, 31
	s_cmp_neq_f32 s6, 0
	v_cmp_gt_i32_e32 vcc_lo, s4, v0
	v_lshl_or_b32 v18, v17, 8, v4
	v_add_nc_u32_e32 v19, 0x800, v3
	s_cselect_b32 s3, -1, 0
	s_cmp_neq_f32 s7, 0
	v_mad_co_i64_i32 v[3:4], null, s14, v0, 0
	v_mov_b32_e32 v0, 0
	v_add_nc_u32_e32 v6, s0, v1
	s_cselect_b32 s19, -1, 0
	v_lshlrev_b32_e32 v20, 3, v1
	s_or_b32 s31, s3, s19
	s_cmp_gt_i32 s5, 0
	v_add_nc_u32_e32 v1, s1, v2
	v_add_nc_u32_e32 v8, 16, v6
	s_cselect_b32 s33, -1, 0
	s_cmp_neq_f32 s20, 0
	v_add_nc_u32_e32 v14, s1, v5
	v_cmp_gt_i32_e64 s1, s4, v1
	v_cmp_le_i32_e64 s3, v8, v1
	s_cselect_b32 s34, -1, 0
	s_xor_b32 s35, s2, -1
	v_cmp_le_i32_e64 s2, v6, v1
	v_add_nc_u32_e32 v5, 16, v1
	s_and_b32 s30, s1, s3
	v_lshlrev_b64_e32 v[3:4], 3, v[3:4]
	v_mad_co_i64_i32 v[12:13], null, s24, v16, 0
	s_and_b32 s19, s1, s2
	v_cmp_gt_i32_e64 s1, s4, v5
	v_cmp_le_i32_e64 s2, v6, v5
	v_cmp_le_i32_e64 s3, v8, v5
	v_cmp_gt_i32_e64 s0, s4, v14
	v_mad_co_i64_i32 v[10:11], null, v5, s18, 0
	s_and_b32 s4, s1, s2
	s_and_b32 s14, s1, s3
	s_lshl_b64 s[2:3], s[8:9], 3
	v_lshlrev_b32_e32 v5, 3, v17
	v_add_co_u32 v15, s1, v3, s2
	s_wait_alu 0xf1ff
	v_add_co_ci_u32_e64 v22, null, s3, v4, s1
	v_lshlrev_b64_e32 v[3:4], 3, v[12:13]
	s_delay_alu instid0(VALU_DEP_3)
	v_add_co_u32 v5, s1, v15, v5
	s_lshl_b64 s[2:3], s[28:29], 3
	v_mad_co_i64_i32 v[1:2], null, v1, s18, 0
	s_wait_alu 0xf1ff
	v_add_co_ci_u32_e64 v22, null, 0, v22, s1
	v_lshlrev_b32_e32 v12, 3, v14
	s_wait_alu 0xfffe
	v_add_co_u32 v3, s1, v3, s2
	v_ashrrev_i32_e32 v7, 31, v6
	v_ashrrev_i32_e32 v9, 31, v8
	s_wait_alu 0xf1ff
	v_add_co_ci_u32_e64 v4, null, s3, v4, s1
	v_add_co_u32 v24, s1, v3, v12
	v_or_b32_e32 v23, 4, v5
	s_wait_alu 0xf1ff
	s_delay_alu instid0(VALU_DEP_3)
	v_add_co_ci_u32_e64 v25, null, 0, v4, s1
	v_lshlrev_b64_e32 v[2:3], 3, v[1:2]
	v_lshlrev_b64_e32 v[4:5], 3, v[10:11]
	;; [unrolled: 1-line block ×4, first 2 shown]
	s_lshl_b64 s[2:3], s[24:25], 6
	s_and_b32 s18, s31, s33
	s_or_b32 s24, s34, s35
	s_xor_b32 s25, vcc_lo, -1
	s_xor_b32 s28, s0, -1
	s_lshl_b64 s[0:1], s[26:27], 3
	s_branch .LBB385_8
.LBB385_7:                              ;   in Loop: Header=BB385_8 Depth=1
	s_wait_alu 0xfffe
	s_or_b32 exec_lo, exec_lo, s8
	s_add_co_i32 s22, s22, 0x10000
	s_delay_alu instid0(SALU_CYCLE_1)
	s_cmp_lt_u32 s22, s15
	s_cbranch_scc0 .LBB385_39
.LBB385_8:                              ; =>This Loop Header: Depth=1
                                        ;     Child Loop BB385_11 Depth 2
	s_lshl_b64 s[8:9], s[22:23], 3
	v_dual_mov_b32 v33, v0 :: v_dual_mov_b32 v32, v0
	s_wait_alu 0xfffe
	s_add_nc_u64 s[26:27], s[16:17], s[8:9]
	v_dual_mov_b32 v30, v0 :: v_dual_mov_b32 v31, v0
	global_load_b64 v[10:11], v0, s[26:27]
	v_dual_mov_b32 v28, v0 :: v_dual_mov_b32 v29, v0
	v_dual_mov_b32 v27, v0 :: v_dual_mov_b32 v26, v0
	s_and_not1_b32 vcc_lo, exec_lo, s18
	s_wait_alu 0xfffe
	s_cbranch_vccnz .LBB385_19
; %bb.9:                                ;   in Loop: Header=BB385_8 Depth=1
	s_add_nc_u64 s[26:27], s[12:13], s[8:9]
	s_add_nc_u64 s[8:9], s[10:11], s[8:9]
	s_clause 0x1
	global_load_b64 v[12:13], v0, s[26:27]
	global_load_b64 v[14:15], v0, s[8:9]
	v_dual_mov_b32 v26, 0 :: v_dual_mov_b32 v27, 0
	v_dual_mov_b32 v29, 0 :: v_dual_mov_b32 v28, 0
	;; [unrolled: 1-line block ×4, first 2 shown]
	s_mov_b32 s8, 0
	s_wait_loadcnt 0x1
	v_add_co_u32 v12, vcc_lo, v12, v23
	s_wait_alu 0xfffd
	v_add_co_ci_u32_e64 v13, null, v13, v22, vcc_lo
	s_wait_loadcnt 0x0
	v_add_co_u32 v14, vcc_lo, v14, v24
	s_wait_alu 0xfffd
	v_add_co_ci_u32_e64 v15, null, v15, v25, vcc_lo
	s_branch .LBB385_11
.LBB385_10:                             ;   in Loop: Header=BB385_11 Depth=2
	s_wait_alu 0xfffe
	s_or_b32 exec_lo, exec_lo, s9
	s_wait_dscnt 0x0
	s_barrier_signal -1
	s_barrier_wait -1
	global_inv scope:SCOPE_SE
	ds_load_b128 v[34:37], v21
	ds_load_2addr_b64 v[38:41], v20 offset1:16
	ds_load_b128 v[42:45], v21 offset:1024
	ds_load_b128 v[46:49], v21 offset:16
	;; [unrolled: 1-line block ×4, first 2 shown]
	ds_load_2addr_b64 v[58:61], v20 offset0:32 offset1:48
	ds_load_b128 v[62:65], v21 offset:1040
	v_add_co_u32 v12, vcc_lo, v12, 64
	s_wait_alu 0xfffd
	v_add_co_ci_u32_e64 v13, null, 0, v13, vcc_lo
	v_add_co_u32 v14, vcc_lo, v14, s2
	s_wait_alu 0xfffd
	v_add_co_ci_u32_e64 v15, null, s3, v15, vcc_lo
	s_add_co_i32 s8, s8, 8
	s_wait_alu 0xfffe
	s_cmp_lt_i32 s8, s5
	s_wait_dscnt 0x6
	v_dual_mul_f32 v1, v35, v39 :: v_dual_mul_f32 v68, v34, v41
	v_dual_mul_f32 v66, v34, v39 :: v_dual_mul_f32 v67, v35, v41
	s_wait_dscnt 0x5
	v_mul_f32_e32 v70, v43, v41
	s_delay_alu instid0(VALU_DEP_3) | instskip(SKIP_3) | instid1(VALU_DEP_4)
	v_fma_f32 v1, v34, v38, -v1
	v_dual_mul_f32 v41, v42, v41 :: v_dual_fmac_f32 v68, v35, v40
	v_fmac_f32_e32 v66, v35, v38
	v_fma_f32 v34, v34, v40, -v67
	v_add_f32_e32 v1, v33, v1
	v_mul_f32_e32 v69, v43, v39
	s_delay_alu instid0(VALU_DEP_4) | instskip(NEXT) | instid1(VALU_DEP_4)
	v_dual_mul_f32 v39, v42, v39 :: v_dual_add_f32 v32, v32, v66
	v_add_f32_e32 v33, v30, v34
	v_fmac_f32_e32 v41, v43, v40
	s_delay_alu instid0(VALU_DEP_4) | instskip(NEXT) | instid1(VALU_DEP_4)
	v_fma_f32 v35, v42, v38, -v69
	v_fmac_f32_e32 v39, v43, v38
	v_fma_f32 v38, v42, v40, -v70
	s_wait_dscnt 0x1
	v_dual_mul_f32 v40, v36, v59 :: v_dual_add_f32 v31, v31, v68
	v_mul_f32_e32 v42, v37, v61
	v_add_f32_e32 v34, v28, v35
	v_dual_add_f32 v35, v29, v39 :: v_dual_add_f32 v38, v27, v38
	ds_load_2addr_b64 v[27:30], v20 offset0:64 offset1:80
	v_fmac_f32_e32 v40, v37, v58
	v_dual_mul_f32 v39, v37, v59 :: v_dual_add_f32 v26, v26, v41
	v_mul_f32_e32 v41, v36, v61
	s_delay_alu instid0(VALU_DEP_3) | instskip(NEXT) | instid1(VALU_DEP_3)
	v_add_f32_e32 v40, v32, v40
	v_fma_f32 v39, v36, v58, -v39
	v_fma_f32 v36, v36, v60, -v42
	v_mul_f32_e32 v32, v44, v59
	s_delay_alu instid0(VALU_DEP_3) | instskip(SKIP_1) | instid1(VALU_DEP_4)
	v_add_f32_e32 v1, v1, v39
	v_mul_f32_e32 v39, v45, v59
	v_add_f32_e32 v36, v33, v36
	v_fmac_f32_e32 v41, v37, v60
	v_mul_f32_e32 v37, v45, v61
	v_fmac_f32_e32 v32, v45, v58
	v_fma_f32 v33, v44, v58, -v39
	s_delay_alu instid0(VALU_DEP_4) | instskip(SKIP_4) | instid1(VALU_DEP_3)
	v_add_f32_e32 v39, v31, v41
	v_mul_f32_e32 v41, v44, v61
	v_fma_f32 v31, v44, v60, -v37
	s_wait_dscnt 0x0
	v_dual_add_f32 v42, v34, v33 :: v_dual_mul_f32 v33, v47, v28
	v_dual_mul_f32 v44, v47, v30 :: v_dual_fmac_f32 v41, v45, v60
	v_mul_f32_e32 v37, v46, v28
	v_add_f32_e32 v38, v38, v31
	s_delay_alu instid0(VALU_DEP_3) | instskip(SKIP_3) | instid1(VALU_DEP_2)
	v_add_f32_e32 v41, v26, v41
	v_mul_f32_e32 v26, v46, v30
	v_fma_f32 v43, v46, v27, -v33
	v_fmac_f32_e32 v37, v47, v27
	v_dual_fmac_f32 v26, v47, v29 :: v_dual_add_f32 v1, v1, v43
	v_fma_f32 v43, v46, v29, -v44
	v_add_f32_e32 v35, v35, v32
	ds_load_2addr_b64 v[31:34], v20 offset0:96 offset1:112
	v_dual_add_f32 v37, v40, v37 :: v_dual_mul_f32 v40, v63, v28
	v_mul_f32_e32 v28, v62, v28
	v_dual_add_f32 v36, v36, v43 :: v_dual_mul_f32 v43, v63, v30
	v_mul_f32_e32 v30, v62, v30
	s_delay_alu instid0(VALU_DEP_4) | instskip(NEXT) | instid1(VALU_DEP_4)
	v_fma_f32 v40, v62, v27, -v40
	v_fmac_f32_e32 v28, v63, v27
	v_add_f32_e32 v39, v39, v26
	v_fma_f32 v26, v62, v29, -v43
	v_fmac_f32_e32 v30, v63, v29
	v_add_f32_e32 v40, v42, v40
	s_delay_alu instid0(VALU_DEP_3)
	v_dual_add_f32 v42, v35, v28 :: v_dual_add_f32 v43, v38, v26
	ds_load_2addr_b64 v[26:29], v20 offset0:128 offset1:144
	s_wait_dscnt 0x1
	v_mul_f32_e32 v35, v49, v32
	v_mul_f32_e32 v38, v48, v32
	;; [unrolled: 1-line block ×4, first 2 shown]
	s_delay_alu instid0(VALU_DEP_4) | instskip(NEXT) | instid1(VALU_DEP_4)
	v_fma_f32 v35, v48, v31, -v35
	v_fmac_f32_e32 v38, v49, v31
	s_delay_alu instid0(VALU_DEP_2) | instskip(SKIP_1) | instid1(VALU_DEP_3)
	v_add_f32_e32 v1, v1, v35
	v_mul_f32_e32 v35, v65, v32
	v_dual_mul_f32 v32, v64, v32 :: v_dual_add_f32 v45, v37, v38
	s_delay_alu instid0(VALU_DEP_2) | instskip(NEXT) | instid1(VALU_DEP_2)
	v_fma_f32 v46, v64, v31, -v35
	v_fmac_f32_e32 v32, v65, v31
	s_wait_dscnt 0x0
	v_mul_f32_e32 v31, v51, v27
	v_fma_f32 v44, v48, v33, -v44
	v_add_f32_e32 v41, v41, v30
	v_mul_f32_e32 v30, v48, v34
	v_mul_f32_e32 v58, v50, v29
	s_delay_alu instid0(VALU_DEP_4) | instskip(SKIP_2) | instid1(VALU_DEP_1)
	v_add_f32_e32 v44, v36, v44
	ds_load_b128 v[35:38], v21 offset:1056
	v_dual_fmac_f32 v30, v49, v33 :: v_dual_mul_f32 v49, v50, v27
	v_add_f32_e32 v48, v39, v30
	v_fma_f32 v30, v64, v33, -v47
	v_fma_f32 v39, v50, v26, -v31
	v_mul_f32_e32 v34, v64, v34
	v_fmac_f32_e32 v49, v51, v26
	v_add_f32_e32 v46, v40, v46
	v_add_f32_e32 v43, v43, v30
	;; [unrolled: 1-line block ×4, first 2 shown]
	v_fmac_f32_e32 v34, v65, v33
	ds_load_2addr_b64 v[30:33], v20 offset0:160 offset1:176
	v_mul_f32_e32 v40, v51, v29
	v_add_f32_e32 v45, v45, v49
	v_add_f32_e32 v34, v41, v34
	s_delay_alu instid0(VALU_DEP_3)
	v_fma_f32 v50, v50, v28, -v40
	ds_load_b128 v[39:42], v21 offset:1072
	s_wait_dscnt 0x2
	v_mul_f32_e32 v59, v36, v27
	v_dual_mul_f32 v27, v35, v27 :: v_dual_add_f32 v44, v44, v50
	v_fmac_f32_e32 v58, v51, v28
	v_mul_f32_e32 v50, v36, v29
	s_delay_alu instid0(VALU_DEP_4) | instskip(NEXT) | instid1(VALU_DEP_4)
	v_fma_f32 v49, v35, v26, -v59
	v_fmac_f32_e32 v27, v36, v26
	s_delay_alu instid0(VALU_DEP_4) | instskip(SKIP_1) | instid1(VALU_DEP_3)
	v_dual_mul_f32 v51, v35, v29 :: v_dual_add_f32 v48, v48, v58
	s_wait_dscnt 0x1
	v_dual_add_f32 v46, v46, v49 :: v_dual_mul_f32 v29, v53, v31
	v_fma_f32 v26, v35, v28, -v50
	v_add_f32_e32 v35, v47, v27
	v_fmac_f32_e32 v51, v36, v28
	v_mul_f32_e32 v36, v52, v31
	v_fma_f32 v47, v52, v30, -v29
	v_add_f32_e32 v43, v43, v26
	ds_load_2addr_b64 v[26:29], v20 offset0:192 offset1:208
	v_fmac_f32_e32 v36, v53, v30
	v_dual_mul_f32 v49, v53, v33 :: v_dual_add_f32 v50, v34, v51
	v_dual_add_f32 v1, v1, v47 :: v_dual_mul_f32 v34, v52, v33
	s_delay_alu instid0(VALU_DEP_3) | instskip(NEXT) | instid1(VALU_DEP_3)
	v_dual_add_f32 v45, v45, v36 :: v_dual_mul_f32 v36, v38, v31
	v_fma_f32 v47, v52, v32, -v49
	s_delay_alu instid0(VALU_DEP_3) | instskip(NEXT) | instid1(VALU_DEP_3)
	v_fmac_f32_e32 v34, v53, v32
	v_fma_f32 v36, v37, v30, -v36
	s_delay_alu instid0(VALU_DEP_3) | instskip(SKIP_1) | instid1(VALU_DEP_3)
	v_dual_add_f32 v44, v44, v47 :: v_dual_mul_f32 v47, v38, v33
	v_mul_f32_e32 v31, v37, v31
	v_dual_mul_f32 v33, v37, v33 :: v_dual_add_f32 v46, v46, v36
	s_delay_alu instid0(VALU_DEP_2) | instskip(SKIP_2) | instid1(VALU_DEP_4)
	v_fmac_f32_e32 v31, v38, v30
	v_add_f32_e32 v30, v48, v34
	v_fma_f32 v34, v37, v32, -v47
	v_fmac_f32_e32 v33, v38, v32
	s_wait_dscnt 0x0
	v_mul_f32_e32 v38, v54, v27
	v_dual_add_f32 v31, v35, v31 :: v_dual_mul_f32 v48, v54, v29
	v_add_f32_e32 v32, v43, v34
	ds_load_2addr_b64 v[34:37], v20 offset0:224 offset1:240
	v_dual_add_f32 v33, v50, v33 :: v_dual_fmac_f32 v38, v55, v26
	v_mul_f32_e32 v47, v55, v27
	v_fmac_f32_e32 v48, v55, v28
	s_wait_loadcnt_dscnt 0x0
	s_barrier_signal -1
	v_add_f32_e32 v38, v45, v38
	v_fma_f32 v43, v54, v26, -v47
	v_mul_f32_e32 v47, v55, v29
	v_mul_f32_e32 v45, v40, v29
	;; [unrolled: 1-line block ×3, first 2 shown]
	s_barrier_wait -1
	v_add_f32_e32 v1, v1, v43
	v_fma_f32 v47, v54, v28, -v47
	v_mul_f32_e32 v43, v40, v27
	v_fmac_f32_e32 v29, v40, v28
	global_inv scope:SCOPE_SE
	v_dual_add_f32 v44, v44, v47 :: v_dual_add_f32 v47, v30, v48
	v_fma_f32 v30, v39, v28, -v45
	v_mul_f32_e32 v27, v39, v27
	s_delay_alu instid0(VALU_DEP_1) | instskip(NEXT) | instid1(VALU_DEP_3)
	v_fmac_f32_e32 v27, v40, v26
	v_add_f32_e32 v40, v32, v30
	v_mul_f32_e32 v30, v57, v37
	v_fma_f32 v43, v39, v26, -v43
	v_mul_f32_e32 v39, v57, v35
	s_delay_alu instid0(VALU_DEP_2) | instskip(NEXT) | instid1(VALU_DEP_2)
	v_add_f32_e32 v26, v46, v43
	v_fma_f32 v28, v56, v34, -v39
	v_add_f32_e32 v39, v33, v29
	v_mul_f32_e32 v29, v41, v35
	s_delay_alu instid0(VALU_DEP_3) | instskip(SKIP_2) | instid1(VALU_DEP_2)
	v_add_f32_e32 v33, v1, v28
	v_fma_f32 v1, v56, v36, -v30
	v_mul_f32_e32 v28, v42, v35
	v_dual_fmac_f32 v29, v42, v34 :: v_dual_add_f32 v30, v44, v1
	s_delay_alu instid0(VALU_DEP_2) | instskip(SKIP_2) | instid1(VALU_DEP_2)
	v_fma_f32 v1, v41, v34, -v28
	v_mul_f32_e32 v43, v56, v35
	v_mul_f32_e32 v35, v42, v37
	v_dual_add_f32 v28, v26, v1 :: v_dual_fmac_f32 v43, v57, v34
	s_delay_alu instid0(VALU_DEP_2) | instskip(NEXT) | instid1(VALU_DEP_2)
	v_fma_f32 v34, v41, v36, -v35
	v_add_f32_e32 v32, v38, v43
	v_add_f32_e32 v27, v31, v27
	v_mul_f32_e32 v31, v56, v37
	v_mul_f32_e32 v37, v41, v37
	s_delay_alu instid0(VALU_DEP_3) | instskip(NEXT) | instid1(VALU_DEP_3)
	v_add_f32_e32 v29, v27, v29
	v_fmac_f32_e32 v31, v57, v36
	s_delay_alu instid0(VALU_DEP_3) | instskip(SKIP_1) | instid1(VALU_DEP_3)
	v_fmac_f32_e32 v37, v42, v36
	v_add_f32_e32 v27, v40, v34
	v_add_f32_e32 v31, v47, v31
	s_delay_alu instid0(VALU_DEP_3)
	v_add_f32_e32 v26, v39, v37
	s_cbranch_scc0 .LBB385_19
.LBB385_11:                             ;   Parent Loop BB385_8 Depth=1
                                        ; =>  This Inner Loop Header: Depth=2
	s_wait_alu 0xfffe
	v_add_nc_u32_e32 v1, s8, v17
	s_delay_alu instid0(VALU_DEP_1) | instskip(SKIP_3) | instid1(SALU_CYCLE_1)
	v_cmp_le_i32_e32 vcc_lo, s5, v1
	s_or_b32 s9, s25, vcc_lo
	s_wait_alu 0xfffe
	s_and_saveexec_b32 s26, s9
	s_xor_b32 s9, exec_lo, s26
; %bb.12:                               ;   in Loop: Header=BB385_11 Depth=2
	ds_store_b32 v18, v0
; %bb.13:                               ;   in Loop: Header=BB385_11 Depth=2
	s_wait_alu 0xfffe
	s_or_saveexec_b32 s9, s9
	v_mov_b32_e32 v1, 0
	s_wait_alu 0xfffe
	s_xor_b32 exec_lo, exec_lo, s9
	s_cbranch_execz .LBB385_15
; %bb.14:                               ;   in Loop: Header=BB385_11 Depth=2
	flat_load_b64 v[34:35], v[12:13] offset:-4
	s_wait_loadcnt_dscnt 0x0
	v_xor_b32_e32 v1, 0x80000000, v35
	ds_store_b32 v18, v34
.LBB385_15:                             ;   in Loop: Header=BB385_11 Depth=2
	s_or_b32 exec_lo, exec_lo, s9
	v_add_nc_u32_e32 v34, s8, v16
	ds_store_b32 v18, v1 offset:4
	v_cmp_le_i32_e32 vcc_lo, s5, v34
	s_or_b32 s9, vcc_lo, s28
	s_wait_alu 0xfffe
	s_and_saveexec_b32 s26, s9
	s_delay_alu instid0(SALU_CYCLE_1)
	s_xor_b32 s9, exec_lo, s26
; %bb.16:                               ;   in Loop: Header=BB385_11 Depth=2
	v_mov_b32_e32 v1, v0
	ds_store_b64 v19, v[0:1]
; %bb.17:                               ;   in Loop: Header=BB385_11 Depth=2
	s_wait_alu 0xfffe
	s_and_not1_saveexec_b32 s9, s9
	s_cbranch_execz .LBB385_10
; %bb.18:                               ;   in Loop: Header=BB385_11 Depth=2
	flat_load_b64 v[34:35], v[14:15]
	s_wait_loadcnt_dscnt 0x0
	ds_store_b64 v19, v[34:35]
	s_branch .LBB385_10
.LBB385_19:                             ;   in Loop: Header=BB385_8 Depth=1
	s_wait_loadcnt 0x0
	v_add_co_u32 v1, vcc_lo, v10, s0
	s_wait_alu 0xfffd
	v_add_co_ci_u32_e64 v12, null, s1, v11, vcc_lo
	s_delay_alu instid0(VALU_DEP_2) | instskip(SKIP_1) | instid1(VALU_DEP_2)
	v_add_co_u32 v13, vcc_lo, v1, v2
	s_wait_alu 0xfffd
	v_add_co_ci_u32_e64 v14, null, v12, v3, vcc_lo
	s_and_saveexec_b32 s8, s19
	s_cbranch_execz .LBB385_24
; %bb.20:                               ;   in Loop: Header=BB385_8 Depth=1
	v_mul_f32_e32 v11, s6, v32
	v_mul_f32_e32 v10, s7, v32
	s_and_b32 vcc_lo, exec_lo, s24
	s_mov_b32 s9, -1
	s_delay_alu instid0(VALU_DEP_2) | instskip(NEXT) | instid1(VALU_DEP_2)
	v_fmac_f32_e32 v11, s7, v33
	v_fma_f32 v10, v33, s6, -v10
	s_wait_alu 0xfffe
	s_cbranch_vccz .LBB385_22
; %bb.21:                               ;   in Loop: Header=BB385_8 Depth=1
	v_add_co_u32 v32, vcc_lo, v13, v6
	s_wait_alu 0xfffd
	v_add_co_ci_u32_e64 v33, null, v14, v7, vcc_lo
	s_mov_b32 s9, 0
	flat_load_b64 v[34:35], v[32:33]
	s_wait_loadcnt_dscnt 0x0
	v_mul_f32_e32 v15, s21, v35
	v_mul_f32_e32 v35, s20, v35
	s_delay_alu instid0(VALU_DEP_2) | instskip(NEXT) | instid1(VALU_DEP_1)
	v_fma_f32 v15, v34, s20, -v15
	v_dual_fmac_f32 v35, s21, v34 :: v_dual_add_f32 v34, v10, v15
	s_delay_alu instid0(VALU_DEP_1)
	v_add_f32_e32 v35, v11, v35
	flat_store_b64 v[32:33], v[34:35]
.LBB385_22:                             ;   in Loop: Header=BB385_8 Depth=1
	s_wait_alu 0xfffe
	s_and_not1_b32 vcc_lo, exec_lo, s9
	s_wait_alu 0xfffe
	s_cbranch_vccnz .LBB385_24
; %bb.23:                               ;   in Loop: Header=BB385_8 Depth=1
	v_add_co_u32 v32, vcc_lo, v13, v6
	s_wait_alu 0xfffd
	v_add_co_ci_u32_e64 v33, null, v14, v7, vcc_lo
	flat_store_b64 v[32:33], v[10:11]
.LBB385_24:                             ;   in Loop: Header=BB385_8 Depth=1
	s_wait_alu 0xfffe
	s_or_b32 exec_lo, exec_lo, s8
	s_and_saveexec_b32 s8, s30
	s_cbranch_execz .LBB385_29
; %bb.25:                               ;   in Loop: Header=BB385_8 Depth=1
	v_mul_f32_e32 v11, s6, v31
	v_mul_f32_e32 v10, s7, v31
	s_and_not1_b32 vcc_lo, exec_lo, s24
	s_mov_b32 s9, -1
	s_delay_alu instid0(VALU_DEP_2) | instskip(NEXT) | instid1(VALU_DEP_2)
	v_fmac_f32_e32 v11, s7, v30
	v_fma_f32 v10, v30, s6, -v10
	s_wait_alu 0xfffe
	s_cbranch_vccnz .LBB385_27
; %bb.26:                               ;   in Loop: Header=BB385_8 Depth=1
	v_add_co_u32 v30, vcc_lo, v13, v8
	s_wait_alu 0xfffd
	v_add_co_ci_u32_e64 v31, null, v14, v9, vcc_lo
	s_mov_b32 s9, 0
	flat_load_b64 v[32:33], v[30:31]
	s_wait_loadcnt_dscnt 0x0
	v_mul_f32_e32 v15, s21, v33
	s_delay_alu instid0(VALU_DEP_1) | instskip(SKIP_1) | instid1(VALU_DEP_1)
	v_fma_f32 v15, v32, s20, -v15
	v_mul_f32_e32 v33, s20, v33
	v_dual_fmac_f32 v33, s21, v32 :: v_dual_add_f32 v32, v10, v15
	s_delay_alu instid0(VALU_DEP_1)
	v_add_f32_e32 v33, v11, v33
	flat_store_b64 v[30:31], v[32:33]
.LBB385_27:                             ;   in Loop: Header=BB385_8 Depth=1
	s_wait_alu 0xfffe
	s_and_not1_b32 vcc_lo, exec_lo, s9
	s_wait_alu 0xfffe
	s_cbranch_vccnz .LBB385_29
; %bb.28:                               ;   in Loop: Header=BB385_8 Depth=1
	v_add_co_u32 v13, vcc_lo, v13, v8
	s_wait_alu 0xfffd
	v_add_co_ci_u32_e64 v14, null, v14, v9, vcc_lo
	flat_store_b64 v[13:14], v[10:11]
.LBB385_29:                             ;   in Loop: Header=BB385_8 Depth=1
	s_wait_alu 0xfffe
	s_or_b32 exec_lo, exec_lo, s8
	v_add_co_u32 v1, vcc_lo, v1, v4
	s_wait_alu 0xfffd
	v_add_co_ci_u32_e64 v12, null, v12, v5, vcc_lo
	s_and_saveexec_b32 s8, s4
	s_cbranch_execz .LBB385_34
; %bb.30:                               ;   in Loop: Header=BB385_8 Depth=1
	v_mul_f32_e32 v11, s6, v29
	v_mul_f32_e32 v10, s7, v29
	s_and_not1_b32 vcc_lo, exec_lo, s24
	s_mov_b32 s9, -1
	s_delay_alu instid0(VALU_DEP_2) | instskip(NEXT) | instid1(VALU_DEP_2)
	v_fmac_f32_e32 v11, s7, v28
	v_fma_f32 v10, v28, s6, -v10
	s_wait_alu 0xfffe
	s_cbranch_vccnz .LBB385_32
; %bb.31:                               ;   in Loop: Header=BB385_8 Depth=1
	v_add_co_u32 v13, vcc_lo, v1, v6
	s_wait_alu 0xfffd
	v_add_co_ci_u32_e64 v14, null, v12, v7, vcc_lo
	s_mov_b32 s9, 0
	flat_load_b64 v[28:29], v[13:14]
	s_wait_loadcnt_dscnt 0x0
	v_mul_f32_e32 v15, s21, v29
	s_delay_alu instid0(VALU_DEP_1) | instskip(SKIP_1) | instid1(VALU_DEP_1)
	v_fma_f32 v15, v28, s20, -v15
	v_mul_f32_e32 v29, s20, v29
	v_dual_fmac_f32 v29, s21, v28 :: v_dual_add_f32 v28, v10, v15
	s_delay_alu instid0(VALU_DEP_1)
	v_add_f32_e32 v29, v11, v29
	flat_store_b64 v[13:14], v[28:29]
.LBB385_32:                             ;   in Loop: Header=BB385_8 Depth=1
	s_wait_alu 0xfffe
	s_and_not1_b32 vcc_lo, exec_lo, s9
	s_wait_alu 0xfffe
	s_cbranch_vccnz .LBB385_34
; %bb.33:                               ;   in Loop: Header=BB385_8 Depth=1
	v_add_co_u32 v13, vcc_lo, v1, v6
	s_wait_alu 0xfffd
	v_add_co_ci_u32_e64 v14, null, v12, v7, vcc_lo
	flat_store_b64 v[13:14], v[10:11]
.LBB385_34:                             ;   in Loop: Header=BB385_8 Depth=1
	s_wait_alu 0xfffe
	s_or_b32 exec_lo, exec_lo, s8
	s_and_saveexec_b32 s8, s14
	s_cbranch_execz .LBB385_7
; %bb.35:                               ;   in Loop: Header=BB385_8 Depth=1
	v_mul_f32_e32 v11, s6, v26
	v_mul_f32_e32 v10, s7, v26
	s_and_not1_b32 vcc_lo, exec_lo, s24
	s_mov_b32 s9, -1
	s_delay_alu instid0(VALU_DEP_2) | instskip(NEXT) | instid1(VALU_DEP_2)
	v_fmac_f32_e32 v11, s7, v27
	v_fma_f32 v10, v27, s6, -v10
	s_wait_alu 0xfffe
	s_cbranch_vccnz .LBB385_37
; %bb.36:                               ;   in Loop: Header=BB385_8 Depth=1
	v_add_co_u32 v13, vcc_lo, v1, v8
	s_wait_alu 0xfffd
	v_add_co_ci_u32_e64 v14, null, v12, v9, vcc_lo
	s_mov_b32 s9, 0
	flat_load_b64 v[26:27], v[13:14]
	s_wait_loadcnt_dscnt 0x0
	v_mul_f32_e32 v15, s21, v27
	v_mul_f32_e32 v27, s20, v27
	s_delay_alu instid0(VALU_DEP_2) | instskip(NEXT) | instid1(VALU_DEP_1)
	v_fma_f32 v15, v26, s20, -v15
	v_dual_fmac_f32 v27, s21, v26 :: v_dual_add_f32 v26, v10, v15
	s_delay_alu instid0(VALU_DEP_1)
	v_add_f32_e32 v27, v11, v27
	flat_store_b64 v[13:14], v[26:27]
.LBB385_37:                             ;   in Loop: Header=BB385_8 Depth=1
	s_wait_alu 0xfffe
	s_and_not1_b32 vcc_lo, exec_lo, s9
	s_wait_alu 0xfffe
	s_cbranch_vccnz .LBB385_7
; %bb.38:                               ;   in Loop: Header=BB385_8 Depth=1
	v_add_co_u32 v13, vcc_lo, v1, v8
	s_wait_alu 0xfffd
	v_add_co_ci_u32_e64 v14, null, v12, v9, vcc_lo
	flat_store_b64 v[13:14], v[10:11]
	s_branch .LBB385_7
.LBB385_39:
	s_endpgm
	.section	.rodata,"a",@progbits
	.p2align	6, 0x0
	.amdhsa_kernel _ZL29rocblas_internal_gemmt_kernelIiLi16ELi32ELi8ELc67ELc84ELc85ELb1ELb0E19rocblas_complex_numIfES1_PKPKS1_PKPS1_EviT_T9_T10_S9_lSB_S9_lSA_T11_S9_li
		.amdhsa_group_segment_fixed_size 4096
		.amdhsa_private_segment_fixed_size 0
		.amdhsa_kernarg_size 100
		.amdhsa_user_sgpr_count 2
		.amdhsa_user_sgpr_dispatch_ptr 0
		.amdhsa_user_sgpr_queue_ptr 0
		.amdhsa_user_sgpr_kernarg_segment_ptr 1
		.amdhsa_user_sgpr_dispatch_id 0
		.amdhsa_user_sgpr_private_segment_size 0
		.amdhsa_wavefront_size32 1
		.amdhsa_uses_dynamic_stack 0
		.amdhsa_enable_private_segment 0
		.amdhsa_system_sgpr_workgroup_id_x 1
		.amdhsa_system_sgpr_workgroup_id_y 1
		.amdhsa_system_sgpr_workgroup_id_z 1
		.amdhsa_system_sgpr_workgroup_info 0
		.amdhsa_system_vgpr_workitem_id 1
		.amdhsa_next_free_vgpr 71
		.amdhsa_next_free_sgpr 36
		.amdhsa_reserve_vcc 1
		.amdhsa_float_round_mode_32 0
		.amdhsa_float_round_mode_16_64 0
		.amdhsa_float_denorm_mode_32 3
		.amdhsa_float_denorm_mode_16_64 3
		.amdhsa_fp16_overflow 0
		.amdhsa_workgroup_processor_mode 1
		.amdhsa_memory_ordered 1
		.amdhsa_forward_progress 1
		.amdhsa_inst_pref_size 25
		.amdhsa_round_robin_scheduling 0
		.amdhsa_exception_fp_ieee_invalid_op 0
		.amdhsa_exception_fp_denorm_src 0
		.amdhsa_exception_fp_ieee_div_zero 0
		.amdhsa_exception_fp_ieee_overflow 0
		.amdhsa_exception_fp_ieee_underflow 0
		.amdhsa_exception_fp_ieee_inexact 0
		.amdhsa_exception_int_div_zero 0
	.end_amdhsa_kernel
	.section	.text._ZL29rocblas_internal_gemmt_kernelIiLi16ELi32ELi8ELc67ELc84ELc85ELb1ELb0E19rocblas_complex_numIfES1_PKPKS1_PKPS1_EviT_T9_T10_S9_lSB_S9_lSA_T11_S9_li,"axG",@progbits,_ZL29rocblas_internal_gemmt_kernelIiLi16ELi32ELi8ELc67ELc84ELc85ELb1ELb0E19rocblas_complex_numIfES1_PKPKS1_PKPS1_EviT_T9_T10_S9_lSB_S9_lSA_T11_S9_li,comdat
.Lfunc_end385:
	.size	_ZL29rocblas_internal_gemmt_kernelIiLi16ELi32ELi8ELc67ELc84ELc85ELb1ELb0E19rocblas_complex_numIfES1_PKPKS1_PKPS1_EviT_T9_T10_S9_lSB_S9_lSA_T11_S9_li, .Lfunc_end385-_ZL29rocblas_internal_gemmt_kernelIiLi16ELi32ELi8ELc67ELc84ELc85ELb1ELb0E19rocblas_complex_numIfES1_PKPKS1_PKPS1_EviT_T9_T10_S9_lSB_S9_lSA_T11_S9_li
                                        ; -- End function
	.set _ZL29rocblas_internal_gemmt_kernelIiLi16ELi32ELi8ELc67ELc84ELc85ELb1ELb0E19rocblas_complex_numIfES1_PKPKS1_PKPS1_EviT_T9_T10_S9_lSB_S9_lSA_T11_S9_li.num_vgpr, 71
	.set _ZL29rocblas_internal_gemmt_kernelIiLi16ELi32ELi8ELc67ELc84ELc85ELb1ELb0E19rocblas_complex_numIfES1_PKPKS1_PKPS1_EviT_T9_T10_S9_lSB_S9_lSA_T11_S9_li.num_agpr, 0
	.set _ZL29rocblas_internal_gemmt_kernelIiLi16ELi32ELi8ELc67ELc84ELc85ELb1ELb0E19rocblas_complex_numIfES1_PKPKS1_PKPS1_EviT_T9_T10_S9_lSB_S9_lSA_T11_S9_li.numbered_sgpr, 36
	.set _ZL29rocblas_internal_gemmt_kernelIiLi16ELi32ELi8ELc67ELc84ELc85ELb1ELb0E19rocblas_complex_numIfES1_PKPKS1_PKPS1_EviT_T9_T10_S9_lSB_S9_lSA_T11_S9_li.num_named_barrier, 0
	.set _ZL29rocblas_internal_gemmt_kernelIiLi16ELi32ELi8ELc67ELc84ELc85ELb1ELb0E19rocblas_complex_numIfES1_PKPKS1_PKPS1_EviT_T9_T10_S9_lSB_S9_lSA_T11_S9_li.private_seg_size, 0
	.set _ZL29rocblas_internal_gemmt_kernelIiLi16ELi32ELi8ELc67ELc84ELc85ELb1ELb0E19rocblas_complex_numIfES1_PKPKS1_PKPS1_EviT_T9_T10_S9_lSB_S9_lSA_T11_S9_li.uses_vcc, 1
	.set _ZL29rocblas_internal_gemmt_kernelIiLi16ELi32ELi8ELc67ELc84ELc85ELb1ELb0E19rocblas_complex_numIfES1_PKPKS1_PKPS1_EviT_T9_T10_S9_lSB_S9_lSA_T11_S9_li.uses_flat_scratch, 0
	.set _ZL29rocblas_internal_gemmt_kernelIiLi16ELi32ELi8ELc67ELc84ELc85ELb1ELb0E19rocblas_complex_numIfES1_PKPKS1_PKPS1_EviT_T9_T10_S9_lSB_S9_lSA_T11_S9_li.has_dyn_sized_stack, 0
	.set _ZL29rocblas_internal_gemmt_kernelIiLi16ELi32ELi8ELc67ELc84ELc85ELb1ELb0E19rocblas_complex_numIfES1_PKPKS1_PKPS1_EviT_T9_T10_S9_lSB_S9_lSA_T11_S9_li.has_recursion, 0
	.set _ZL29rocblas_internal_gemmt_kernelIiLi16ELi32ELi8ELc67ELc84ELc85ELb1ELb0E19rocblas_complex_numIfES1_PKPKS1_PKPS1_EviT_T9_T10_S9_lSB_S9_lSA_T11_S9_li.has_indirect_call, 0
	.section	.AMDGPU.csdata,"",@progbits
; Kernel info:
; codeLenInByte = 3196
; TotalNumSgprs: 38
; NumVgprs: 71
; ScratchSize: 0
; MemoryBound: 1
; FloatMode: 240
; IeeeMode: 1
; LDSByteSize: 4096 bytes/workgroup (compile time only)
; SGPRBlocks: 0
; VGPRBlocks: 8
; NumSGPRsForWavesPerEU: 38
; NumVGPRsForWavesPerEU: 71
; Occupancy: 16
; WaveLimiterHint : 1
; COMPUTE_PGM_RSRC2:SCRATCH_EN: 0
; COMPUTE_PGM_RSRC2:USER_SGPR: 2
; COMPUTE_PGM_RSRC2:TRAP_HANDLER: 0
; COMPUTE_PGM_RSRC2:TGID_X_EN: 1
; COMPUTE_PGM_RSRC2:TGID_Y_EN: 1
; COMPUTE_PGM_RSRC2:TGID_Z_EN: 1
; COMPUTE_PGM_RSRC2:TIDIG_COMP_CNT: 1
	.section	.text._ZL29rocblas_internal_gemmt_kernelIiLi16ELi32ELi8ELc67ELc67ELc85ELb1ELb1E19rocblas_complex_numIfES1_PKPKS1_PKPS1_EviT_T9_T10_S9_lSB_S9_lSA_T11_S9_li,"axG",@progbits,_ZL29rocblas_internal_gemmt_kernelIiLi16ELi32ELi8ELc67ELc67ELc85ELb1ELb1E19rocblas_complex_numIfES1_PKPKS1_PKPS1_EviT_T9_T10_S9_lSB_S9_lSA_T11_S9_li,comdat
	.globl	_ZL29rocblas_internal_gemmt_kernelIiLi16ELi32ELi8ELc67ELc67ELc85ELb1ELb1E19rocblas_complex_numIfES1_PKPKS1_PKPS1_EviT_T9_T10_S9_lSB_S9_lSA_T11_S9_li ; -- Begin function _ZL29rocblas_internal_gemmt_kernelIiLi16ELi32ELi8ELc67ELc67ELc85ELb1ELb1E19rocblas_complex_numIfES1_PKPKS1_PKPS1_EviT_T9_T10_S9_lSB_S9_lSA_T11_S9_li
	.p2align	8
	.type	_ZL29rocblas_internal_gemmt_kernelIiLi16ELi32ELi8ELc67ELc67ELc85ELb1ELb1E19rocblas_complex_numIfES1_PKPKS1_PKPS1_EviT_T9_T10_S9_lSB_S9_lSA_T11_S9_li,@function
_ZL29rocblas_internal_gemmt_kernelIiLi16ELi32ELi8ELc67ELc67ELc85ELb1ELb1E19rocblas_complex_numIfES1_PKPKS1_PKPS1_EviT_T9_T10_S9_lSB_S9_lSA_T11_S9_li: ; @_ZL29rocblas_internal_gemmt_kernelIiLi16ELi32ELi8ELc67ELc67ELc85ELb1ELb1E19rocblas_complex_numIfES1_PKPKS1_PKPS1_EviT_T9_T10_S9_lSB_S9_lSA_T11_S9_li
; %bb.0:
	s_clause 0x1
	s_load_b64 s[20:21], s[0:1], 0x40
	s_load_b128 s[4:7], s[0:1], 0x0
	s_wait_kmcnt 0x0
	s_cmp_eq_f32 s20, 1.0
	s_cselect_b32 s2, -1, 0
	s_and_b32 s3, s21, 0x7fffffff
	s_delay_alu instid0(SALU_CYCLE_1) | instskip(SKIP_1) | instid1(SALU_CYCLE_1)
	s_cmp_eq_u32 s3, 0
	s_cselect_b32 s3, -1, 0
	s_and_b32 s8, s2, s3
	s_mov_b32 s2, 0
	s_and_not1_b32 vcc_lo, exec_lo, s8
	s_mov_b32 s8, -1
	s_cbranch_vccnz .LBB386_4
; %bb.1:
	s_cmp_lg_u32 s5, 0
	s_cbranch_scc0 .LBB386_3
; %bb.2:
	s_cmp_neq_f32 s6, 0
	s_cselect_b32 s2, -1, 0
	s_cmp_neq_f32 s7, 0
	s_cselect_b32 s8, -1, 0
	s_delay_alu instid0(SALU_CYCLE_1)
	s_or_b32 s2, s2, s8
.LBB386_3:
	s_delay_alu instid0(SALU_CYCLE_1)
	s_mov_b32 s8, s2
.LBB386_4:
	s_delay_alu instid0(SALU_CYCLE_1)
	s_and_b32 vcc_lo, exec_lo, s8
	s_cbranch_vccz .LBB386_39
; %bb.5:
	s_load_b32 s15, s[0:1], 0x60
	s_lshr_b32 s22, ttmp7, 16
	s_wait_kmcnt 0x0
	s_cmp_ge_u32 s22, s15
	s_cbranch_scc1 .LBB386_39
; %bb.6:
	s_load_b32 s24, s[0:1], 0x30
	v_dual_mov_b32 v20, 0 :: v_dual_and_b32 v1, 0x3ff, v0
	v_bfe_u32 v2, v0, 10, 10
	v_and_b32_e32 v14, 7, v0
	s_clause 0x4
	s_load_b96 s[12:14], s[0:1], 0x10
	s_load_b128 s[8:11], s[0:1], 0x20
	s_load_b64 s[28:29], s[0:1], 0x38
	s_load_b96 s[16:18], s[0:1], 0x48
	s_load_b64 s[26:27], s[0:1], 0x58
	s_lshl_b32 s1, ttmp7, 5
	s_lshl_b32 s0, ttmp9, 5
	v_lshl_add_u32 v0, v2, 4, v1
	s_and_b32 s1, s1, 0x1fffe0
	v_lshlrev_b32_e32 v3, 3, v14
	v_add_nc_u32_e32 v4, s0, v1
	v_lshlrev_b32_e32 v18, 3, v1
	v_lshrrev_b32_e32 v6, 3, v0
	v_and_b32_e32 v5, 31, v0
	v_lshrrev_b32_e32 v15, 5, v0
	v_lshl_add_u32 v19, v2, 6, 0x800
	s_mov_b32 s23, 0
	v_lshl_or_b32 v3, v6, 6, v3
	v_or_b32_e32 v8, s0, v5
	s_wait_kmcnt 0x0
	s_ashr_i32 s25, s24, 31
	s_cmp_neq_f32 s6, 0
	v_add_nc_u32_e32 v12, s1, v6
	v_lshlrev_b32_e32 v0, 3, v5
	v_add_nc_u32_e32 v17, 0x800, v3
	s_cselect_b32 s2, -1, 0
	s_cmp_neq_f32 s7, 0
	v_add_nc_u32_e32 v3, s1, v2
	v_add_nc_u32_e32 v6, 16, v4
	v_lshl_or_b32 v16, v15, 8, v0
	s_cselect_b32 s19, -1, 0
	v_cmp_gt_i32_e32 vcc_lo, s4, v8
	s_or_b32 s31, s2, s19
	s_cmp_gt_i32 s5, 0
	v_cmp_gt_i32_e64 s1, s4, v3
	s_cselect_b32 s33, -1, 0
	s_cmp_neq_f32 s20, 0
	v_cmp_le_i32_e64 s2, v4, v3
	v_mad_co_i64_i32 v[0:1], null, v3, s18, 0
	s_cselect_b32 s34, -1, 0
	s_xor_b32 s35, s3, -1
	v_cmp_le_i32_e64 s3, v6, v3
	v_add_nc_u32_e32 v10, 16, v3
	v_mad_co_i64_i32 v[2:3], null, s14, v8, 0
	v_mad_co_i64_i32 v[8:9], null, s24, v14, 0
	s_and_b32 s19, s1, s2
	s_and_b32 s30, s1, s3
	v_cmp_gt_i32_e64 s1, s4, v10
	v_cmp_le_i32_e64 s2, v4, v10
	v_cmp_le_i32_e64 s3, v6, v10
	v_lshlrev_b64_e32 v[2:3], 3, v[2:3]
	v_cmp_gt_i32_e64 s0, s4, v12
	v_lshlrev_b64_e32 v[8:9], 3, v[8:9]
	s_and_b32 s4, s1, s2
	s_and_b32 s14, s1, s3
	s_lshl_b64 s[2:3], s[8:9], 3
	v_lshlrev_b32_e32 v12, 3, v12
	v_add_co_u32 v2, s1, v2, s2
	s_wait_alu 0xf1ff
	v_add_co_ci_u32_e64 v3, null, s3, v3, s1
	s_lshl_b64 s[2:3], s[28:29], 3
	v_mad_co_i64_i32 v[10:11], null, v10, s18, 0
	s_wait_alu 0xfffe
	v_add_co_u32 v8, s1, v8, s2
	v_lshlrev_b32_e32 v13, 3, v15
	v_ashrrev_i32_e32 v5, 31, v4
	v_ashrrev_i32_e32 v7, 31, v6
	s_wait_alu 0xf1ff
	v_add_co_ci_u32_e64 v9, null, s3, v9, s1
	v_add_co_u32 v8, s1, v8, v12
	v_add_co_u32 v21, s2, v2, v13
	s_wait_alu 0xf1ff
	v_add_co_ci_u32_e64 v22, null, 0, v3, s2
	v_lshlrev_b64_e32 v[0:1], 3, v[0:1]
	v_lshlrev_b64_e32 v[2:3], 3, v[10:11]
	;; [unrolled: 1-line block ×4, first 2 shown]
	v_add_co_ci_u32_e64 v23, null, 0, v9, s1
	v_or_b32_e32 v24, 4, v8
	s_lshl_b64 s[2:3], s[24:25], 6
	s_and_b32 s18, s31, s33
	s_or_b32 s24, s34, s35
	s_xor_b32 s25, vcc_lo, -1
	s_xor_b32 s28, s0, -1
	s_lshl_b64 s[0:1], s[26:27], 3
	s_branch .LBB386_8
.LBB386_7:                              ;   in Loop: Header=BB386_8 Depth=1
	s_wait_alu 0xfffe
	s_or_b32 exec_lo, exec_lo, s8
	s_add_co_i32 s22, s22, 0x10000
	s_delay_alu instid0(SALU_CYCLE_1)
	s_cmp_lt_u32 s22, s15
	s_cbranch_scc0 .LBB386_39
.LBB386_8:                              ; =>This Loop Header: Depth=1
                                        ;     Child Loop BB386_11 Depth 2
	s_lshl_b64 s[8:9], s[22:23], 3
	v_dual_mov_b32 v32, 0 :: v_dual_mov_b32 v31, 0
	s_wait_alu 0xfffe
	s_add_nc_u64 s[26:27], s[16:17], s[8:9]
	v_dual_mov_b32 v29, 0 :: v_dual_mov_b32 v30, 0
	global_load_b64 v[8:9], v20, s[26:27]
	v_dual_mov_b32 v27, 0 :: v_dual_mov_b32 v28, 0
	v_dual_mov_b32 v26, 0 :: v_dual_mov_b32 v25, 0
	s_and_not1_b32 vcc_lo, exec_lo, s18
	s_wait_alu 0xfffe
	s_cbranch_vccnz .LBB386_19
; %bb.9:                                ;   in Loop: Header=BB386_8 Depth=1
	s_add_nc_u64 s[26:27], s[12:13], s[8:9]
	s_add_nc_u64 s[8:9], s[10:11], s[8:9]
	s_clause 0x1
	global_load_b64 v[10:11], v20, s[26:27]
	global_load_b64 v[12:13], v20, s[8:9]
	v_dual_mov_b32 v25, 0 :: v_dual_mov_b32 v26, 0
	v_dual_mov_b32 v28, 0 :: v_dual_mov_b32 v27, 0
	;; [unrolled: 1-line block ×4, first 2 shown]
	s_mov_b32 s8, 0
	s_wait_loadcnt 0x1
	v_add_co_u32 v10, vcc_lo, v10, v21
	s_wait_alu 0xfffd
	v_add_co_ci_u32_e64 v11, null, v11, v22, vcc_lo
	s_wait_loadcnt 0x0
	v_add_co_u32 v12, vcc_lo, v12, v24
	s_wait_alu 0xfffd
	v_add_co_ci_u32_e64 v13, null, v13, v23, vcc_lo
	s_branch .LBB386_11
.LBB386_10:                             ;   in Loop: Header=BB386_11 Depth=2
	s_or_b32 exec_lo, exec_lo, s9
	ds_store_b32 v17, v33 offset:4
	s_wait_dscnt 0x0
	s_barrier_signal -1
	s_barrier_wait -1
	global_inv scope:SCOPE_SE
	ds_load_b128 v[33:36], v19
	ds_load_2addr_b64 v[37:40], v18 offset1:16
	ds_load_b128 v[41:44], v19 offset:1024
	ds_load_b128 v[45:48], v19 offset:16
	;; [unrolled: 1-line block ×4, first 2 shown]
	ds_load_2addr_b64 v[57:60], v18 offset0:32 offset1:48
	ds_load_b128 v[61:64], v19 offset:1040
	v_add_co_u32 v10, vcc_lo, v10, 64
	s_wait_alu 0xfffd
	v_add_co_ci_u32_e64 v11, null, 0, v11, vcc_lo
	v_add_co_u32 v12, vcc_lo, v12, s2
	s_wait_alu 0xfffd
	v_add_co_ci_u32_e64 v13, null, s3, v13, vcc_lo
	s_add_co_i32 s8, s8, 8
	s_wait_alu 0xfffe
	s_cmp_lt_i32 s8, s5
	s_wait_dscnt 0x6
	v_dual_mul_f32 v65, v34, v38 :: v_dual_mul_f32 v68, v33, v40
	v_dual_mul_f32 v66, v33, v38 :: v_dual_mul_f32 v67, v34, v40
	s_wait_dscnt 0x5
	v_mul_f32_e32 v69, v42, v38
	s_delay_alu instid0(VALU_DEP_3) | instskip(NEXT) | instid1(VALU_DEP_3)
	v_fma_f32 v65, v33, v37, -v65
	v_fmac_f32_e32 v66, v34, v37
	v_mul_f32_e32 v70, v42, v40
	v_fma_f32 v33, v33, v39, -v67
	v_mul_f32_e32 v40, v41, v40
	s_delay_alu instid0(VALU_DEP_4) | instskip(SKIP_1) | instid1(VALU_DEP_4)
	v_dual_fmac_f32 v68, v34, v39 :: v_dual_add_f32 v31, v31, v66
	v_fma_f32 v34, v41, v37, -v69
	v_add_f32_e32 v33, v29, v33
	v_fma_f32 v29, v41, v39, -v70
	v_mul_f32_e32 v38, v41, v38
	v_fmac_f32_e32 v40, v42, v39
	v_add_f32_e32 v34, v27, v34
	s_wait_dscnt 0x1
	v_mul_f32_e32 v41, v35, v58
	v_add_f32_e32 v39, v26, v29
	v_fmac_f32_e32 v38, v42, v37
	v_add_f32_e32 v30, v30, v68
	v_dual_add_f32 v32, v32, v65 :: v_dual_add_f32 v25, v25, v40
	v_fmac_f32_e32 v41, v36, v57
	s_delay_alu instid0(VALU_DEP_4)
	v_add_f32_e32 v37, v28, v38
	ds_load_2addr_b64 v[26:29], v18 offset0:64 offset1:80
	v_mul_f32_e32 v38, v36, v58
	v_dual_mul_f32 v42, v36, v60 :: v_dual_add_f32 v41, v31, v41
	v_mul_f32_e32 v31, v43, v58
	v_mul_f32_e32 v40, v35, v60
	s_delay_alu instid0(VALU_DEP_4) | instskip(NEXT) | instid1(VALU_DEP_3)
	v_fma_f32 v38, v35, v57, -v38
	v_fmac_f32_e32 v31, v44, v57
	s_delay_alu instid0(VALU_DEP_3) | instskip(NEXT) | instid1(VALU_DEP_3)
	v_fmac_f32_e32 v40, v36, v59
	v_add_f32_e32 v38, v32, v38
	v_fma_f32 v32, v35, v59, -v42
	v_mul_f32_e32 v35, v44, v58
	v_add_f32_e32 v37, v37, v31
	s_delay_alu instid0(VALU_DEP_3) | instskip(NEXT) | instid1(VALU_DEP_3)
	v_add_f32_e32 v36, v33, v32
	v_fma_f32 v32, v43, v57, -v35
	s_wait_dscnt 0x0
	v_dual_mul_f32 v33, v44, v60 :: v_dual_mul_f32 v42, v45, v27
	v_add_f32_e32 v35, v30, v40
	v_mul_f32_e32 v40, v43, v60
	v_add_f32_e32 v34, v34, v32
	s_delay_alu instid0(VALU_DEP_4) | instskip(SKIP_3) | instid1(VALU_DEP_4)
	v_fma_f32 v30, v43, v59, -v33
	v_fmac_f32_e32 v42, v46, v26
	v_mul_f32_e32 v32, v46, v27
	v_fmac_f32_e32 v40, v44, v59
	v_dual_mul_f32 v44, v46, v29 :: v_dual_add_f32 v39, v39, v30
	s_delay_alu instid0(VALU_DEP_4) | instskip(NEXT) | instid1(VALU_DEP_4)
	v_add_f32_e32 v41, v41, v42
	v_fma_f32 v43, v45, v26, -v32
	ds_load_2addr_b64 v[30:33], v18 offset0:96 offset1:112
	v_add_f32_e32 v40, v25, v40
	v_dual_mul_f32 v25, v45, v29 :: v_dual_mul_f32 v42, v62, v27
	v_add_f32_e32 v38, v38, v43
	v_mul_f32_e32 v27, v61, v27
	v_fma_f32 v43, v45, v28, -v44
	s_delay_alu instid0(VALU_DEP_4) | instskip(NEXT) | instid1(VALU_DEP_2)
	v_fmac_f32_e32 v25, v46, v28
	v_dual_fmac_f32 v27, v62, v26 :: v_dual_add_f32 v36, v36, v43
	v_mul_f32_e32 v43, v62, v29
	v_mul_f32_e32 v29, v61, v29
	s_delay_alu instid0(VALU_DEP_4) | instskip(NEXT) | instid1(VALU_DEP_3)
	v_add_f32_e32 v44, v35, v25
	v_fma_f32 v25, v61, v28, -v43
	s_delay_alu instid0(VALU_DEP_3)
	v_fmac_f32_e32 v29, v62, v28
	v_add_f32_e32 v43, v37, v27
	s_wait_dscnt 0x0
	v_mul_f32_e32 v37, v48, v33
	v_add_f32_e32 v39, v39, v25
	v_dual_mul_f32 v35, v47, v31 :: v_dual_add_f32 v40, v40, v29
	v_mul_f32_e32 v29, v47, v33
	s_delay_alu instid0(VALU_DEP_4) | instskip(NEXT) | instid1(VALU_DEP_3)
	v_fma_f32 v37, v47, v32, -v37
	v_fmac_f32_e32 v35, v48, v30
	v_fma_f32 v42, v61, v26, -v42
	ds_load_2addr_b64 v[25:28], v18 offset0:128 offset1:144
	v_dual_add_f32 v46, v36, v37 :: v_dual_add_f32 v45, v41, v35
	v_add_f32_e32 v42, v34, v42
	v_mul_f32_e32 v34, v48, v31
	v_fmac_f32_e32 v29, v48, v32
	s_delay_alu instid0(VALU_DEP_2) | instskip(SKIP_1) | instid1(VALU_DEP_3)
	v_fma_f32 v34, v47, v30, -v34
	v_mul_f32_e32 v47, v64, v33
	v_add_f32_e32 v44, v44, v29
	s_delay_alu instid0(VALU_DEP_3) | instskip(NEXT) | instid1(VALU_DEP_3)
	v_dual_mul_f32 v33, v63, v33 :: v_dual_add_f32 v38, v38, v34
	v_fma_f32 v29, v63, v32, -v47
	v_mul_f32_e32 v34, v64, v31
	v_mul_f32_e32 v31, v63, v31
	s_wait_dscnt 0x0
	v_dual_fmac_f32 v33, v64, v32 :: v_dual_mul_f32 v48, v49, v26
	v_add_f32_e32 v47, v39, v29
	v_fma_f32 v41, v63, v30, -v34
	ds_load_b128 v[34:37], v19 offset:1056
	v_dual_fmac_f32 v31, v64, v30 :: v_dual_fmac_f32 v48, v50, v25
	v_dual_mul_f32 v30, v50, v26 :: v_dual_add_f32 v33, v40, v33
	s_delay_alu instid0(VALU_DEP_2) | instskip(SKIP_1) | instid1(VALU_DEP_3)
	v_dual_mul_f32 v58, v49, v28 :: v_dual_add_f32 v43, v43, v31
	v_add_f32_e32 v42, v42, v41
	v_fma_f32 v39, v49, v25, -v30
	ds_load_2addr_b64 v[29:32], v18 offset0:160 offset1:176
	v_dual_add_f32 v45, v45, v48 :: v_dual_fmac_f32 v58, v50, v27
	v_mul_f32_e32 v41, v50, v28
	s_delay_alu instid0(VALU_DEP_2) | instskip(NEXT) | instid1(VALU_DEP_2)
	v_dual_add_f32 v57, v38, v39 :: v_dual_add_f32 v44, v44, v58
	v_fma_f32 v49, v49, v27, -v41
	ds_load_b128 v[38:41], v19 offset:1072
	s_wait_dscnt 0x2
	v_mul_f32_e32 v59, v35, v26
	v_mul_f32_e32 v26, v34, v26
	v_dual_add_f32 v46, v46, v49 :: v_dual_mul_f32 v49, v35, v28
	v_mul_f32_e32 v50, v34, v28
	s_delay_alu instid0(VALU_DEP_4) | instskip(NEXT) | instid1(VALU_DEP_4)
	v_fma_f32 v48, v34, v25, -v59
	v_fmac_f32_e32 v26, v35, v25
	s_delay_alu instid0(VALU_DEP_4)
	v_fma_f32 v25, v34, v27, -v49
	s_wait_dscnt 0x1
	v_mul_f32_e32 v28, v52, v30
	v_fmac_f32_e32 v50, v35, v27
	v_dual_mul_f32 v35, v51, v30 :: v_dual_add_f32 v42, v42, v48
	v_add_f32_e32 v34, v43, v26
	v_add_f32_e32 v43, v47, v25
	v_fma_f32 v47, v51, v29, -v28
	ds_load_2addr_b64 v[25:28], v18 offset0:192 offset1:208
	v_fmac_f32_e32 v35, v52, v29
	v_add_f32_e32 v47, v57, v47
	s_delay_alu instid0(VALU_DEP_2) | instskip(SKIP_3) | instid1(VALU_DEP_3)
	v_add_f32_e32 v45, v45, v35
	v_dual_mul_f32 v35, v37, v30 :: v_dual_mul_f32 v48, v52, v32
	v_add_f32_e32 v49, v33, v50
	v_dual_mul_f32 v33, v51, v32 :: v_dual_mul_f32 v30, v36, v30
	v_fma_f32 v35, v36, v29, -v35
	s_delay_alu instid0(VALU_DEP_4) | instskip(NEXT) | instid1(VALU_DEP_3)
	v_fma_f32 v48, v51, v31, -v48
	v_dual_fmac_f32 v33, v52, v31 :: v_dual_fmac_f32 v30, v37, v29
	s_delay_alu instid0(VALU_DEP_3) | instskip(NEXT) | instid1(VALU_DEP_3)
	v_add_f32_e32 v42, v42, v35
	v_add_f32_e32 v46, v46, v48
	s_delay_alu instid0(VALU_DEP_3) | instskip(NEXT) | instid1(VALU_DEP_1)
	v_dual_mul_f32 v48, v37, v32 :: v_dual_add_f32 v29, v44, v33
	v_fma_f32 v33, v36, v31, -v48
	v_mul_f32_e32 v32, v36, v32
	s_wait_dscnt 0x0
	v_mul_f32_e32 v48, v53, v28
	s_delay_alu instid0(VALU_DEP_2) | instskip(NEXT) | instid1(VALU_DEP_2)
	v_dual_fmac_f32 v32, v37, v31 :: v_dual_add_f32 v31, v43, v33
	v_fmac_f32_e32 v48, v54, v27
	v_mul_f32_e32 v44, v54, v26
	v_mul_f32_e32 v37, v53, v26
	s_delay_alu instid0(VALU_DEP_2) | instskip(SKIP_1) | instid1(VALU_DEP_3)
	v_fma_f32 v43, v53, v25, -v44
	v_mul_f32_e32 v44, v54, v28
	v_dual_fmac_f32 v37, v54, v25 :: v_dual_add_f32 v32, v49, v32
	s_delay_alu instid0(VALU_DEP_3) | instskip(NEXT) | instid1(VALU_DEP_2)
	v_dual_add_f32 v43, v47, v43 :: v_dual_add_f32 v30, v34, v30
	v_add_f32_e32 v37, v45, v37
	ds_load_2addr_b64 v[33:36], v18 offset0:224 offset1:240
	v_mul_f32_e32 v47, v39, v26
	v_mul_f32_e32 v26, v38, v26
	v_fma_f32 v44, v53, v27, -v44
	s_wait_loadcnt_dscnt 0x0
	s_barrier_signal -1
	v_fma_f32 v45, v38, v25, -v47
	v_dual_fmac_f32 v26, v39, v25 :: v_dual_add_f32 v47, v29, v48
	s_barrier_wait -1
	global_inv scope:SCOPE_SE
	v_dual_add_f32 v25, v42, v45 :: v_dual_mul_f32 v42, v55, v34
	s_delay_alu instid0(VALU_DEP_1) | instskip(SKIP_3) | instid1(VALU_DEP_2)
	v_fmac_f32_e32 v42, v56, v33
	v_add_f32_e32 v44, v46, v44
	v_mul_f32_e32 v46, v39, v28
	v_mul_f32_e32 v28, v38, v28
	v_fma_f32 v29, v38, v27, -v46
	v_mul_f32_e32 v38, v56, v34
	s_delay_alu instid0(VALU_DEP_3) | instskip(NEXT) | instid1(VALU_DEP_3)
	v_fmac_f32_e32 v28, v39, v27
	v_add_f32_e32 v39, v31, v29
	s_delay_alu instid0(VALU_DEP_3) | instskip(SKIP_1) | instid1(VALU_DEP_4)
	v_fma_f32 v27, v55, v33, -v38
	v_mul_f32_e32 v29, v56, v36
	v_dual_add_f32 v38, v32, v28 :: v_dual_add_f32 v31, v37, v42
	v_mul_f32_e32 v28, v41, v34
	s_delay_alu instid0(VALU_DEP_4) | instskip(NEXT) | instid1(VALU_DEP_4)
	v_add_f32_e32 v32, v43, v27
	v_fma_f32 v27, v55, v35, -v29
	v_dual_mul_f32 v34, v40, v34 :: v_dual_mul_f32 v37, v41, v36
	v_add_f32_e32 v26, v30, v26
	v_mul_f32_e32 v30, v55, v36
	v_mul_f32_e32 v36, v40, v36
	v_add_f32_e32 v29, v44, v27
	v_fma_f32 v27, v40, v33, -v28
	v_fmac_f32_e32 v34, v41, v33
	v_fmac_f32_e32 v30, v56, v35
	v_fma_f32 v33, v40, v35, -v37
	v_fmac_f32_e32 v36, v41, v35
	s_delay_alu instid0(VALU_DEP_4) | instskip(NEXT) | instid1(VALU_DEP_4)
	v_dual_add_f32 v27, v25, v27 :: v_dual_add_f32 v28, v26, v34
	v_add_f32_e32 v30, v47, v30
	s_delay_alu instid0(VALU_DEP_3)
	v_dual_add_f32 v26, v39, v33 :: v_dual_add_f32 v25, v38, v36
	s_cbranch_scc0 .LBB386_19
.LBB386_11:                             ;   Parent Loop BB386_8 Depth=1
                                        ; =>  This Inner Loop Header: Depth=2
	s_wait_alu 0xfffe
	v_add_nc_u32_e32 v33, s8, v15
	s_delay_alu instid0(VALU_DEP_1) | instskip(SKIP_3) | instid1(SALU_CYCLE_1)
	v_cmp_le_i32_e32 vcc_lo, s5, v33
	s_or_b32 s9, s25, vcc_lo
	s_wait_alu 0xfffe
	s_and_saveexec_b32 s26, s9
	s_xor_b32 s9, exec_lo, s26
; %bb.12:                               ;   in Loop: Header=BB386_11 Depth=2
	ds_store_b32 v16, v20
; %bb.13:                               ;   in Loop: Header=BB386_11 Depth=2
	s_wait_alu 0xfffe
	s_or_saveexec_b32 s9, s9
	v_mov_b32_e32 v33, 0
	s_wait_alu 0xfffe
	s_xor_b32 exec_lo, exec_lo, s9
	s_cbranch_execz .LBB386_15
; %bb.14:                               ;   in Loop: Header=BB386_11 Depth=2
	flat_load_b64 v[34:35], v[10:11]
	s_wait_loadcnt_dscnt 0x0
	v_xor_b32_e32 v33, 0x80000000, v35
	ds_store_b32 v16, v34
.LBB386_15:                             ;   in Loop: Header=BB386_11 Depth=2
	s_or_b32 exec_lo, exec_lo, s9
	v_add_nc_u32_e32 v34, s8, v14
	ds_store_b32 v16, v33 offset:4
	v_cmp_le_i32_e32 vcc_lo, s5, v34
	s_or_b32 s9, vcc_lo, s28
	s_wait_alu 0xfffe
	s_and_saveexec_b32 s26, s9
	s_delay_alu instid0(SALU_CYCLE_1)
	s_xor_b32 s9, exec_lo, s26
; %bb.16:                               ;   in Loop: Header=BB386_11 Depth=2
	ds_store_b32 v17, v20
; %bb.17:                               ;   in Loop: Header=BB386_11 Depth=2
	s_wait_alu 0xfffe
	s_or_saveexec_b32 s9, s9
	v_mov_b32_e32 v33, 0
	s_wait_alu 0xfffe
	s_xor_b32 exec_lo, exec_lo, s9
	s_cbranch_execz .LBB386_10
; %bb.18:                               ;   in Loop: Header=BB386_11 Depth=2
	flat_load_b64 v[34:35], v[12:13] offset:-4
	s_wait_loadcnt_dscnt 0x0
	v_xor_b32_e32 v33, 0x80000000, v35
	ds_store_b32 v17, v34
	s_branch .LBB386_10
.LBB386_19:                             ;   in Loop: Header=BB386_8 Depth=1
	s_wait_loadcnt 0x0
	v_add_co_u32 v10, vcc_lo, v8, s0
	s_wait_alu 0xfffd
	v_add_co_ci_u32_e64 v11, null, s1, v9, vcc_lo
	s_delay_alu instid0(VALU_DEP_2) | instskip(SKIP_1) | instid1(VALU_DEP_2)
	v_add_co_u32 v12, vcc_lo, v10, v0
	s_wait_alu 0xfffd
	v_add_co_ci_u32_e64 v13, null, v11, v1, vcc_lo
	s_and_saveexec_b32 s8, s19
	s_cbranch_execz .LBB386_24
; %bb.20:                               ;   in Loop: Header=BB386_8 Depth=1
	v_mul_f32_e32 v9, s6, v31
	v_mul_f32_e32 v8, s7, v31
	s_and_b32 vcc_lo, exec_lo, s24
	s_mov_b32 s9, -1
	s_delay_alu instid0(VALU_DEP_2) | instskip(NEXT) | instid1(VALU_DEP_2)
	v_fmac_f32_e32 v9, s7, v32
	v_fma_f32 v8, v32, s6, -v8
	s_wait_alu 0xfffe
	s_cbranch_vccz .LBB386_22
; %bb.21:                               ;   in Loop: Header=BB386_8 Depth=1
	v_add_co_u32 v31, vcc_lo, v12, v4
	s_wait_alu 0xfffd
	v_add_co_ci_u32_e64 v32, null, v13, v5, vcc_lo
	s_mov_b32 s9, 0
	flat_load_b64 v[33:34], v[31:32]
	s_wait_loadcnt_dscnt 0x0
	v_mul_f32_e32 v35, s21, v34
	v_mul_f32_e32 v34, s20, v34
	s_delay_alu instid0(VALU_DEP_1) | instskip(NEXT) | instid1(VALU_DEP_3)
	v_fmac_f32_e32 v34, s21, v33
	v_fma_f32 v35, v33, s20, -v35
	s_delay_alu instid0(VALU_DEP_1)
	v_dual_add_f32 v34, v9, v34 :: v_dual_add_f32 v33, v8, v35
	flat_store_b64 v[31:32], v[33:34]
.LBB386_22:                             ;   in Loop: Header=BB386_8 Depth=1
	s_wait_alu 0xfffe
	s_and_not1_b32 vcc_lo, exec_lo, s9
	s_wait_alu 0xfffe
	s_cbranch_vccnz .LBB386_24
; %bb.23:                               ;   in Loop: Header=BB386_8 Depth=1
	v_add_co_u32 v31, vcc_lo, v12, v4
	s_wait_alu 0xfffd
	v_add_co_ci_u32_e64 v32, null, v13, v5, vcc_lo
	flat_store_b64 v[31:32], v[8:9]
.LBB386_24:                             ;   in Loop: Header=BB386_8 Depth=1
	s_wait_alu 0xfffe
	s_or_b32 exec_lo, exec_lo, s8
	s_and_saveexec_b32 s8, s30
	s_cbranch_execz .LBB386_29
; %bb.25:                               ;   in Loop: Header=BB386_8 Depth=1
	v_mul_f32_e32 v9, s6, v30
	v_mul_f32_e32 v8, s7, v30
	s_and_not1_b32 vcc_lo, exec_lo, s24
	s_mov_b32 s9, -1
	s_delay_alu instid0(VALU_DEP_2) | instskip(NEXT) | instid1(VALU_DEP_2)
	v_fmac_f32_e32 v9, s7, v29
	v_fma_f32 v8, v29, s6, -v8
	s_wait_alu 0xfffe
	s_cbranch_vccnz .LBB386_27
; %bb.26:                               ;   in Loop: Header=BB386_8 Depth=1
	v_add_co_u32 v29, vcc_lo, v12, v6
	s_wait_alu 0xfffd
	v_add_co_ci_u32_e64 v30, null, v13, v7, vcc_lo
	s_mov_b32 s9, 0
	flat_load_b64 v[31:32], v[29:30]
	s_wait_loadcnt_dscnt 0x0
	v_mul_f32_e32 v33, s21, v32
	v_mul_f32_e32 v32, s20, v32
	s_delay_alu instid0(VALU_DEP_1) | instskip(NEXT) | instid1(VALU_DEP_3)
	v_fmac_f32_e32 v32, s21, v31
	v_fma_f32 v33, v31, s20, -v33
	s_delay_alu instid0(VALU_DEP_1)
	v_dual_add_f32 v32, v9, v32 :: v_dual_add_f32 v31, v8, v33
	flat_store_b64 v[29:30], v[31:32]
.LBB386_27:                             ;   in Loop: Header=BB386_8 Depth=1
	s_wait_alu 0xfffe
	s_and_not1_b32 vcc_lo, exec_lo, s9
	s_wait_alu 0xfffe
	s_cbranch_vccnz .LBB386_29
; %bb.28:                               ;   in Loop: Header=BB386_8 Depth=1
	v_add_co_u32 v12, vcc_lo, v12, v6
	s_wait_alu 0xfffd
	v_add_co_ci_u32_e64 v13, null, v13, v7, vcc_lo
	flat_store_b64 v[12:13], v[8:9]
.LBB386_29:                             ;   in Loop: Header=BB386_8 Depth=1
	s_wait_alu 0xfffe
	s_or_b32 exec_lo, exec_lo, s8
	v_add_co_u32 v10, vcc_lo, v10, v2
	s_wait_alu 0xfffd
	v_add_co_ci_u32_e64 v11, null, v11, v3, vcc_lo
	s_and_saveexec_b32 s8, s4
	s_cbranch_execz .LBB386_34
; %bb.30:                               ;   in Loop: Header=BB386_8 Depth=1
	v_mul_f32_e32 v9, s6, v28
	v_mul_f32_e32 v8, s7, v28
	s_and_not1_b32 vcc_lo, exec_lo, s24
	s_mov_b32 s9, -1
	s_delay_alu instid0(VALU_DEP_2) | instskip(NEXT) | instid1(VALU_DEP_2)
	v_fmac_f32_e32 v9, s7, v27
	v_fma_f32 v8, v27, s6, -v8
	s_wait_alu 0xfffe
	s_cbranch_vccnz .LBB386_32
; %bb.31:                               ;   in Loop: Header=BB386_8 Depth=1
	v_add_co_u32 v12, vcc_lo, v10, v4
	s_wait_alu 0xfffd
	v_add_co_ci_u32_e64 v13, null, v11, v5, vcc_lo
	s_mov_b32 s9, 0
	flat_load_b64 v[27:28], v[12:13]
	s_wait_loadcnt_dscnt 0x0
	v_mul_f32_e32 v29, s21, v28
	v_mul_f32_e32 v28, s20, v28
	s_delay_alu instid0(VALU_DEP_1) | instskip(NEXT) | instid1(VALU_DEP_3)
	v_fmac_f32_e32 v28, s21, v27
	v_fma_f32 v29, v27, s20, -v29
	s_delay_alu instid0(VALU_DEP_1)
	v_dual_add_f32 v28, v9, v28 :: v_dual_add_f32 v27, v8, v29
	flat_store_b64 v[12:13], v[27:28]
.LBB386_32:                             ;   in Loop: Header=BB386_8 Depth=1
	s_wait_alu 0xfffe
	s_and_not1_b32 vcc_lo, exec_lo, s9
	s_wait_alu 0xfffe
	s_cbranch_vccnz .LBB386_34
; %bb.33:                               ;   in Loop: Header=BB386_8 Depth=1
	v_add_co_u32 v12, vcc_lo, v10, v4
	s_wait_alu 0xfffd
	v_add_co_ci_u32_e64 v13, null, v11, v5, vcc_lo
	flat_store_b64 v[12:13], v[8:9]
.LBB386_34:                             ;   in Loop: Header=BB386_8 Depth=1
	s_wait_alu 0xfffe
	s_or_b32 exec_lo, exec_lo, s8
	s_and_saveexec_b32 s8, s14
	s_cbranch_execz .LBB386_7
; %bb.35:                               ;   in Loop: Header=BB386_8 Depth=1
	v_mul_f32_e32 v9, s6, v25
	v_mul_f32_e32 v8, s7, v25
	s_and_not1_b32 vcc_lo, exec_lo, s24
	s_mov_b32 s9, -1
	s_delay_alu instid0(VALU_DEP_2) | instskip(NEXT) | instid1(VALU_DEP_2)
	v_fmac_f32_e32 v9, s7, v26
	v_fma_f32 v8, v26, s6, -v8
	s_wait_alu 0xfffe
	s_cbranch_vccnz .LBB386_37
; %bb.36:                               ;   in Loop: Header=BB386_8 Depth=1
	v_add_co_u32 v12, vcc_lo, v10, v6
	s_wait_alu 0xfffd
	v_add_co_ci_u32_e64 v13, null, v11, v7, vcc_lo
	s_mov_b32 s9, 0
	flat_load_b64 v[25:26], v[12:13]
	s_wait_loadcnt_dscnt 0x0
	v_mul_f32_e32 v27, s21, v26
	v_mul_f32_e32 v26, s20, v26
	s_delay_alu instid0(VALU_DEP_1) | instskip(NEXT) | instid1(VALU_DEP_3)
	v_fmac_f32_e32 v26, s21, v25
	v_fma_f32 v27, v25, s20, -v27
	s_delay_alu instid0(VALU_DEP_1)
	v_dual_add_f32 v26, v9, v26 :: v_dual_add_f32 v25, v8, v27
	flat_store_b64 v[12:13], v[25:26]
.LBB386_37:                             ;   in Loop: Header=BB386_8 Depth=1
	s_wait_alu 0xfffe
	s_and_not1_b32 vcc_lo, exec_lo, s9
	s_wait_alu 0xfffe
	s_cbranch_vccnz .LBB386_7
; %bb.38:                               ;   in Loop: Header=BB386_8 Depth=1
	v_add_co_u32 v10, vcc_lo, v10, v6
	s_wait_alu 0xfffd
	v_add_co_ci_u32_e64 v11, null, v11, v7, vcc_lo
	flat_store_b64 v[10:11], v[8:9]
	s_branch .LBB386_7
.LBB386_39:
	s_endpgm
	.section	.rodata,"a",@progbits
	.p2align	6, 0x0
	.amdhsa_kernel _ZL29rocblas_internal_gemmt_kernelIiLi16ELi32ELi8ELc67ELc67ELc85ELb1ELb1E19rocblas_complex_numIfES1_PKPKS1_PKPS1_EviT_T9_T10_S9_lSB_S9_lSA_T11_S9_li
		.amdhsa_group_segment_fixed_size 4096
		.amdhsa_private_segment_fixed_size 0
		.amdhsa_kernarg_size 100
		.amdhsa_user_sgpr_count 2
		.amdhsa_user_sgpr_dispatch_ptr 0
		.amdhsa_user_sgpr_queue_ptr 0
		.amdhsa_user_sgpr_kernarg_segment_ptr 1
		.amdhsa_user_sgpr_dispatch_id 0
		.amdhsa_user_sgpr_private_segment_size 0
		.amdhsa_wavefront_size32 1
		.amdhsa_uses_dynamic_stack 0
		.amdhsa_enable_private_segment 0
		.amdhsa_system_sgpr_workgroup_id_x 1
		.amdhsa_system_sgpr_workgroup_id_y 1
		.amdhsa_system_sgpr_workgroup_id_z 1
		.amdhsa_system_sgpr_workgroup_info 0
		.amdhsa_system_vgpr_workitem_id 1
		.amdhsa_next_free_vgpr 71
		.amdhsa_next_free_sgpr 36
		.amdhsa_reserve_vcc 1
		.amdhsa_float_round_mode_32 0
		.amdhsa_float_round_mode_16_64 0
		.amdhsa_float_denorm_mode_32 3
		.amdhsa_float_denorm_mode_16_64 3
		.amdhsa_fp16_overflow 0
		.amdhsa_workgroup_processor_mode 1
		.amdhsa_memory_ordered 1
		.amdhsa_forward_progress 1
		.amdhsa_inst_pref_size 26
		.amdhsa_round_robin_scheduling 0
		.amdhsa_exception_fp_ieee_invalid_op 0
		.amdhsa_exception_fp_denorm_src 0
		.amdhsa_exception_fp_ieee_div_zero 0
		.amdhsa_exception_fp_ieee_overflow 0
		.amdhsa_exception_fp_ieee_underflow 0
		.amdhsa_exception_fp_ieee_inexact 0
		.amdhsa_exception_int_div_zero 0
	.end_amdhsa_kernel
	.section	.text._ZL29rocblas_internal_gemmt_kernelIiLi16ELi32ELi8ELc67ELc67ELc85ELb1ELb1E19rocblas_complex_numIfES1_PKPKS1_PKPS1_EviT_T9_T10_S9_lSB_S9_lSA_T11_S9_li,"axG",@progbits,_ZL29rocblas_internal_gemmt_kernelIiLi16ELi32ELi8ELc67ELc67ELc85ELb1ELb1E19rocblas_complex_numIfES1_PKPKS1_PKPS1_EviT_T9_T10_S9_lSB_S9_lSA_T11_S9_li,comdat
.Lfunc_end386:
	.size	_ZL29rocblas_internal_gemmt_kernelIiLi16ELi32ELi8ELc67ELc67ELc85ELb1ELb1E19rocblas_complex_numIfES1_PKPKS1_PKPS1_EviT_T9_T10_S9_lSB_S9_lSA_T11_S9_li, .Lfunc_end386-_ZL29rocblas_internal_gemmt_kernelIiLi16ELi32ELi8ELc67ELc67ELc85ELb1ELb1E19rocblas_complex_numIfES1_PKPKS1_PKPS1_EviT_T9_T10_S9_lSB_S9_lSA_T11_S9_li
                                        ; -- End function
	.set _ZL29rocblas_internal_gemmt_kernelIiLi16ELi32ELi8ELc67ELc67ELc85ELb1ELb1E19rocblas_complex_numIfES1_PKPKS1_PKPS1_EviT_T9_T10_S9_lSB_S9_lSA_T11_S9_li.num_vgpr, 71
	.set _ZL29rocblas_internal_gemmt_kernelIiLi16ELi32ELi8ELc67ELc67ELc85ELb1ELb1E19rocblas_complex_numIfES1_PKPKS1_PKPS1_EviT_T9_T10_S9_lSB_S9_lSA_T11_S9_li.num_agpr, 0
	.set _ZL29rocblas_internal_gemmt_kernelIiLi16ELi32ELi8ELc67ELc67ELc85ELb1ELb1E19rocblas_complex_numIfES1_PKPKS1_PKPS1_EviT_T9_T10_S9_lSB_S9_lSA_T11_S9_li.numbered_sgpr, 36
	.set _ZL29rocblas_internal_gemmt_kernelIiLi16ELi32ELi8ELc67ELc67ELc85ELb1ELb1E19rocblas_complex_numIfES1_PKPKS1_PKPS1_EviT_T9_T10_S9_lSB_S9_lSA_T11_S9_li.num_named_barrier, 0
	.set _ZL29rocblas_internal_gemmt_kernelIiLi16ELi32ELi8ELc67ELc67ELc85ELb1ELb1E19rocblas_complex_numIfES1_PKPKS1_PKPS1_EviT_T9_T10_S9_lSB_S9_lSA_T11_S9_li.private_seg_size, 0
	.set _ZL29rocblas_internal_gemmt_kernelIiLi16ELi32ELi8ELc67ELc67ELc85ELb1ELb1E19rocblas_complex_numIfES1_PKPKS1_PKPS1_EviT_T9_T10_S9_lSB_S9_lSA_T11_S9_li.uses_vcc, 1
	.set _ZL29rocblas_internal_gemmt_kernelIiLi16ELi32ELi8ELc67ELc67ELc85ELb1ELb1E19rocblas_complex_numIfES1_PKPKS1_PKPS1_EviT_T9_T10_S9_lSB_S9_lSA_T11_S9_li.uses_flat_scratch, 0
	.set _ZL29rocblas_internal_gemmt_kernelIiLi16ELi32ELi8ELc67ELc67ELc85ELb1ELb1E19rocblas_complex_numIfES1_PKPKS1_PKPS1_EviT_T9_T10_S9_lSB_S9_lSA_T11_S9_li.has_dyn_sized_stack, 0
	.set _ZL29rocblas_internal_gemmt_kernelIiLi16ELi32ELi8ELc67ELc67ELc85ELb1ELb1E19rocblas_complex_numIfES1_PKPKS1_PKPS1_EviT_T9_T10_S9_lSB_S9_lSA_T11_S9_li.has_recursion, 0
	.set _ZL29rocblas_internal_gemmt_kernelIiLi16ELi32ELi8ELc67ELc67ELc85ELb1ELb1E19rocblas_complex_numIfES1_PKPKS1_PKPS1_EviT_T9_T10_S9_lSB_S9_lSA_T11_S9_li.has_indirect_call, 0
	.section	.AMDGPU.csdata,"",@progbits
; Kernel info:
; codeLenInByte = 3212
; TotalNumSgprs: 38
; NumVgprs: 71
; ScratchSize: 0
; MemoryBound: 0
; FloatMode: 240
; IeeeMode: 1
; LDSByteSize: 4096 bytes/workgroup (compile time only)
; SGPRBlocks: 0
; VGPRBlocks: 8
; NumSGPRsForWavesPerEU: 38
; NumVGPRsForWavesPerEU: 71
; Occupancy: 16
; WaveLimiterHint : 1
; COMPUTE_PGM_RSRC2:SCRATCH_EN: 0
; COMPUTE_PGM_RSRC2:USER_SGPR: 2
; COMPUTE_PGM_RSRC2:TRAP_HANDLER: 0
; COMPUTE_PGM_RSRC2:TGID_X_EN: 1
; COMPUTE_PGM_RSRC2:TGID_Y_EN: 1
; COMPUTE_PGM_RSRC2:TGID_Z_EN: 1
; COMPUTE_PGM_RSRC2:TIDIG_COMP_CNT: 1
	.section	.text._ZL29rocblas_internal_gemmt_kernelIiLi16ELi32ELi8ELc78ELc78ELc76ELb0ELb0E19rocblas_complex_numIfES1_PKPKS1_PKPS1_EviT_T9_T10_S9_lSB_S9_lSA_T11_S9_li,"axG",@progbits,_ZL29rocblas_internal_gemmt_kernelIiLi16ELi32ELi8ELc78ELc78ELc76ELb0ELb0E19rocblas_complex_numIfES1_PKPKS1_PKPS1_EviT_T9_T10_S9_lSB_S9_lSA_T11_S9_li,comdat
	.globl	_ZL29rocblas_internal_gemmt_kernelIiLi16ELi32ELi8ELc78ELc78ELc76ELb0ELb0E19rocblas_complex_numIfES1_PKPKS1_PKPS1_EviT_T9_T10_S9_lSB_S9_lSA_T11_S9_li ; -- Begin function _ZL29rocblas_internal_gemmt_kernelIiLi16ELi32ELi8ELc78ELc78ELc76ELb0ELb0E19rocblas_complex_numIfES1_PKPKS1_PKPS1_EviT_T9_T10_S9_lSB_S9_lSA_T11_S9_li
	.p2align	8
	.type	_ZL29rocblas_internal_gemmt_kernelIiLi16ELi32ELi8ELc78ELc78ELc76ELb0ELb0E19rocblas_complex_numIfES1_PKPKS1_PKPS1_EviT_T9_T10_S9_lSB_S9_lSA_T11_S9_li,@function
_ZL29rocblas_internal_gemmt_kernelIiLi16ELi32ELi8ELc78ELc78ELc76ELb0ELb0E19rocblas_complex_numIfES1_PKPKS1_PKPS1_EviT_T9_T10_S9_lSB_S9_lSA_T11_S9_li: ; @_ZL29rocblas_internal_gemmt_kernelIiLi16ELi32ELi8ELc78ELc78ELc76ELb0ELb0E19rocblas_complex_numIfES1_PKPKS1_PKPS1_EviT_T9_T10_S9_lSB_S9_lSA_T11_S9_li
; %bb.0:
	s_clause 0x1
	s_load_b64 s[20:21], s[0:1], 0x40
	s_load_b128 s[4:7], s[0:1], 0x0
	s_wait_kmcnt 0x0
	s_cmp_eq_f32 s20, 1.0
	s_cselect_b32 s2, -1, 0
	s_and_b32 s3, s21, 0x7fffffff
	s_delay_alu instid0(SALU_CYCLE_1) | instskip(SKIP_1) | instid1(SALU_CYCLE_1)
	s_cmp_eq_u32 s3, 0
	s_cselect_b32 s3, -1, 0
	s_and_b32 s8, s2, s3
	s_mov_b32 s2, 0
	s_and_not1_b32 vcc_lo, exec_lo, s8
	s_mov_b32 s8, -1
	s_cbranch_vccnz .LBB387_4
; %bb.1:
	s_cmp_lg_u32 s5, 0
	s_cbranch_scc0 .LBB387_3
; %bb.2:
	s_cmp_neq_f32 s6, 0
	s_cselect_b32 s2, -1, 0
	s_cmp_neq_f32 s7, 0
	s_cselect_b32 s8, -1, 0
	s_delay_alu instid0(SALU_CYCLE_1)
	s_or_b32 s2, s2, s8
.LBB387_3:
	s_delay_alu instid0(SALU_CYCLE_1)
	s_mov_b32 s8, s2
.LBB387_4:
	s_delay_alu instid0(SALU_CYCLE_1)
	s_and_b32 vcc_lo, exec_lo, s8
	s_cbranch_vccz .LBB387_39
; %bb.5:
	s_load_b32 s15, s[0:1], 0x60
	s_lshr_b32 s22, ttmp7, 16
	s_wait_kmcnt 0x0
	s_cmp_ge_u32 s22, s15
	s_cbranch_scc1 .LBB387_39
; %bb.6:
	s_load_b96 s[12:14], s[0:1], 0x10
	v_and_b32_e32 v1, 0x3ff, v0
	v_bfe_u32 v2, v0, 10, 10
	v_and_b32_e32 v16, 7, v0
	s_clause 0x4
	s_load_b128 s[8:11], s[0:1], 0x20
	s_load_b32 s30, s[0:1], 0x30
	s_load_b64 s[26:27], s[0:1], 0x38
	s_load_b96 s[16:18], s[0:1], 0x48
	s_load_b64 s[24:25], s[0:1], 0x58
	s_lshl_b32 s1, ttmp7, 5
	s_lshl_b32 s0, ttmp9, 5
	v_lshl_add_u32 v0, v2, 4, v1
	s_and_b32 s1, s1, 0x1fffe0
	v_add_nc_u32_e32 v6, s0, v1
	v_lshlrev_b32_e32 v14, 3, v16
	v_add_nc_u32_e32 v5, s1, v2
	v_and_b32_e32 v3, 31, v0
	v_lshrrev_b32_e32 v4, 3, v0
	v_lshrrev_b32_e32 v17, 5, v0
	v_add_nc_u32_e32 v8, 16, v6
	v_lshlrev_b32_e32 v20, 3, v1
	v_or_b32_e32 v0, s0, v3
	v_add_nc_u32_e32 v12, s1, v4
	v_lshlrev_b32_e32 v3, 3, v3
	s_wait_kmcnt 0x0
	s_ashr_i32 s29, s14, 31
	s_cmp_neq_f32 s6, 0
	v_lshl_or_b32 v4, v4, 6, v14
	v_cmp_le_i32_e64 s1, v5, v6
	v_lshl_or_b32 v18, v17, 8, v3
	s_cselect_b32 s0, -1, 0
	s_cmp_neq_f32 s7, 0
	v_add_nc_u32_e32 v19, 0x800, v4
	v_lshl_add_u32 v21, v2, 6, 0x800
	v_mad_co_i64_i32 v[2:3], null, v5, s18, 0
	s_cselect_b32 s2, -1, 0
	v_add_nc_u32_e32 v1, 16, v5
	s_wait_alu 0xfffe
	s_or_b32 s31, s0, s2
	s_cmp_gt_i32 s5, 0
	v_cmp_gt_i32_e64 s2, s4, v6
	s_cselect_b32 s33, -1, 0
	s_cmp_neq_f32 s20, 0
	s_mov_b32 s28, s14
	v_cmp_gt_i32_e32 vcc_lo, s4, v0
	v_cmp_gt_i32_e64 s0, s4, v12
	s_cselect_b32 s34, -1, 0
	s_and_b32 s19, s1, s2
	v_cmp_le_i32_e64 s1, v5, v8
	v_mad_co_i64_i32 v[4:5], null, v17, s14, 0
	s_xor_b32 s35, s3, -1
	v_cmp_gt_i32_e64 s3, s4, v8
	v_cmp_le_i32_e64 s4, v1, v6
	v_mad_co_i64_i32 v[12:13], null, s30, v12, 0
	v_mad_co_i64_i32 v[10:11], null, v1, s18, 0
	s_and_b32 s14, s1, s3
	v_cmp_le_i32_e64 s1, v1, v8
	v_lshlrev_b64_e32 v[4:5], 3, v[4:5]
	v_ashrrev_i32_e32 v1, 31, v0
	s_and_b32 s4, s4, s2
	v_ashrrev_i32_e32 v7, 31, v6
	s_and_b32 s18, s1, s3
	s_lshl_b64 s[2:3], s[8:9], 3
	v_lshlrev_b64_e32 v[0:1], 3, v[0:1]
	v_add_co_u32 v15, s1, v4, s2
	s_wait_alu 0xf1ff
	v_add_co_ci_u32_e64 v23, null, s3, v5, s1
	v_lshlrev_b64_e32 v[4:5], 3, v[12:13]
	s_delay_alu instid0(VALU_DEP_3)
	v_add_co_u32 v22, s1, v15, v0
	s_lshl_b64 s[8:9], s[26:27], 3
	s_wait_alu 0xf1ff
	v_add_co_ci_u32_e64 v23, null, v23, v1, s1
	v_add_co_u32 v1, s1, v4, s8
	v_ashrrev_i32_e32 v9, 31, v8
	s_wait_alu 0xf1ff
	v_add_co_ci_u32_e64 v4, null, s9, v5, s1
	s_delay_alu instid0(VALU_DEP_3) | instskip(SKIP_2) | instid1(VALU_DEP_3)
	v_add_co_u32 v24, s1, v1, v14
	v_lshlrev_b64_e32 v[2:3], 3, v[2:3]
	s_wait_alu 0xf1ff
	v_add_co_ci_u32_e64 v25, null, 0, v4, s1
	v_lshlrev_b64_e32 v[4:5], 3, v[10:11]
	v_lshlrev_b64_e32 v[6:7], 3, v[6:7]
	;; [unrolled: 1-line block ×3, first 2 shown]
	v_mov_b32_e32 v0, 0
	s_mov_b32 s23, 0
	s_lshl_b64 s[2:3], s[28:29], 6
	s_and_b32 s26, s31, s33
	s_or_b32 s27, s34, s35
	s_xor_b32 s28, vcc_lo, -1
	s_xor_b32 s29, s0, -1
	s_lshl_b64 s[0:1], s[24:25], 3
	s_branch .LBB387_8
.LBB387_7:                              ;   in Loop: Header=BB387_8 Depth=1
	s_wait_alu 0xfffe
	s_or_b32 exec_lo, exec_lo, s8
	s_add_co_i32 s22, s22, 0x10000
	s_delay_alu instid0(SALU_CYCLE_1)
	s_cmp_lt_u32 s22, s15
	s_cbranch_scc0 .LBB387_39
.LBB387_8:                              ; =>This Loop Header: Depth=1
                                        ;     Child Loop BB387_11 Depth 2
	s_lshl_b64 s[8:9], s[22:23], 3
	v_dual_mov_b32 v33, v0 :: v_dual_mov_b32 v32, v0
	s_wait_alu 0xfffe
	s_add_nc_u64 s[24:25], s[16:17], s[8:9]
	v_dual_mov_b32 v30, v0 :: v_dual_mov_b32 v31, v0
	global_load_b64 v[10:11], v0, s[24:25]
	v_dual_mov_b32 v28, v0 :: v_dual_mov_b32 v29, v0
	v_dual_mov_b32 v27, v0 :: v_dual_mov_b32 v26, v0
	s_and_not1_b32 vcc_lo, exec_lo, s26
	s_wait_alu 0xfffe
	s_cbranch_vccnz .LBB387_19
; %bb.9:                                ;   in Loop: Header=BB387_8 Depth=1
	s_add_nc_u64 s[24:25], s[12:13], s[8:9]
	s_add_nc_u64 s[8:9], s[10:11], s[8:9]
	s_clause 0x1
	global_load_b64 v[12:13], v0, s[24:25]
	global_load_b64 v[14:15], v0, s[8:9]
	v_dual_mov_b32 v26, 0 :: v_dual_mov_b32 v27, 0
	v_dual_mov_b32 v29, 0 :: v_dual_mov_b32 v28, 0
	v_dual_mov_b32 v31, 0 :: v_dual_mov_b32 v30, 0
	v_dual_mov_b32 v32, 0 :: v_dual_mov_b32 v33, 0
	s_mov_b32 s8, 0
	s_wait_loadcnt 0x1
	v_add_co_u32 v12, vcc_lo, v12, v22
	s_wait_alu 0xfffd
	v_add_co_ci_u32_e64 v13, null, v13, v23, vcc_lo
	s_wait_loadcnt 0x0
	v_add_co_u32 v14, vcc_lo, v14, v24
	s_wait_alu 0xfffd
	v_add_co_ci_u32_e64 v15, null, v15, v25, vcc_lo
	s_branch .LBB387_11
.LBB387_10:                             ;   in Loop: Header=BB387_11 Depth=2
	s_wait_alu 0xfffe
	s_or_b32 exec_lo, exec_lo, s9
	s_wait_dscnt 0x0
	s_barrier_signal -1
	s_barrier_wait -1
	global_inv scope:SCOPE_SE
	ds_load_b128 v[34:37], v21
	ds_load_2addr_b64 v[38:41], v20 offset1:16
	ds_load_b128 v[42:45], v21 offset:1024
	ds_load_b128 v[46:49], v21 offset:16
	ds_load_b128 v[50:53], v21 offset:32
	ds_load_b128 v[54:57], v21 offset:48
	ds_load_2addr_b64 v[58:61], v20 offset0:32 offset1:48
	ds_load_b128 v[62:65], v21 offset:1040
	v_add_co_u32 v12, vcc_lo, v12, s2
	s_wait_alu 0xfffd
	v_add_co_ci_u32_e64 v13, null, s3, v13, vcc_lo
	v_add_co_u32 v14, vcc_lo, v14, 64
	s_wait_alu 0xfffd
	v_add_co_ci_u32_e64 v15, null, 0, v15, vcc_lo
	s_add_co_i32 s8, s8, 8
	s_wait_alu 0xfffe
	s_cmp_lt_i32 s8, s5
	s_wait_dscnt 0x6
	v_dual_mul_f32 v1, v35, v39 :: v_dual_mul_f32 v68, v34, v41
	v_dual_mul_f32 v66, v34, v39 :: v_dual_mul_f32 v67, v35, v41
	s_wait_dscnt 0x5
	v_mul_f32_e32 v70, v43, v41
	s_delay_alu instid0(VALU_DEP_3) | instskip(SKIP_3) | instid1(VALU_DEP_4)
	v_fma_f32 v1, v34, v38, -v1
	v_dual_mul_f32 v41, v42, v41 :: v_dual_fmac_f32 v68, v35, v40
	v_fmac_f32_e32 v66, v35, v38
	v_fma_f32 v34, v34, v40, -v67
	v_add_f32_e32 v1, v33, v1
	v_mul_f32_e32 v69, v43, v39
	s_delay_alu instid0(VALU_DEP_4) | instskip(NEXT) | instid1(VALU_DEP_4)
	v_dual_mul_f32 v39, v42, v39 :: v_dual_add_f32 v32, v32, v66
	v_add_f32_e32 v33, v30, v34
	v_fmac_f32_e32 v41, v43, v40
	s_delay_alu instid0(VALU_DEP_4) | instskip(NEXT) | instid1(VALU_DEP_4)
	v_fma_f32 v35, v42, v38, -v69
	v_fmac_f32_e32 v39, v43, v38
	v_fma_f32 v38, v42, v40, -v70
	s_wait_dscnt 0x1
	v_dual_mul_f32 v40, v36, v59 :: v_dual_add_f32 v31, v31, v68
	v_mul_f32_e32 v42, v37, v61
	v_add_f32_e32 v34, v28, v35
	v_dual_add_f32 v35, v29, v39 :: v_dual_add_f32 v38, v27, v38
	ds_load_2addr_b64 v[27:30], v20 offset0:64 offset1:80
	v_fmac_f32_e32 v40, v37, v58
	v_dual_mul_f32 v39, v37, v59 :: v_dual_add_f32 v26, v26, v41
	v_mul_f32_e32 v41, v36, v61
	s_delay_alu instid0(VALU_DEP_3) | instskip(NEXT) | instid1(VALU_DEP_3)
	v_add_f32_e32 v40, v32, v40
	v_fma_f32 v39, v36, v58, -v39
	v_fma_f32 v36, v36, v60, -v42
	v_mul_f32_e32 v32, v44, v59
	s_delay_alu instid0(VALU_DEP_3) | instskip(SKIP_1) | instid1(VALU_DEP_4)
	v_add_f32_e32 v1, v1, v39
	v_mul_f32_e32 v39, v45, v59
	v_add_f32_e32 v36, v33, v36
	v_fmac_f32_e32 v41, v37, v60
	v_mul_f32_e32 v37, v45, v61
	v_fmac_f32_e32 v32, v45, v58
	v_fma_f32 v33, v44, v58, -v39
	s_delay_alu instid0(VALU_DEP_4) | instskip(SKIP_4) | instid1(VALU_DEP_3)
	v_add_f32_e32 v39, v31, v41
	v_mul_f32_e32 v41, v44, v61
	v_fma_f32 v31, v44, v60, -v37
	s_wait_dscnt 0x0
	v_dual_add_f32 v42, v34, v33 :: v_dual_mul_f32 v33, v47, v28
	v_dual_mul_f32 v44, v47, v30 :: v_dual_fmac_f32 v41, v45, v60
	v_mul_f32_e32 v37, v46, v28
	v_add_f32_e32 v38, v38, v31
	s_delay_alu instid0(VALU_DEP_3) | instskip(SKIP_3) | instid1(VALU_DEP_2)
	v_add_f32_e32 v41, v26, v41
	v_mul_f32_e32 v26, v46, v30
	v_fma_f32 v43, v46, v27, -v33
	v_fmac_f32_e32 v37, v47, v27
	v_dual_fmac_f32 v26, v47, v29 :: v_dual_add_f32 v1, v1, v43
	v_fma_f32 v43, v46, v29, -v44
	v_add_f32_e32 v35, v35, v32
	ds_load_2addr_b64 v[31:34], v20 offset0:96 offset1:112
	v_dual_add_f32 v37, v40, v37 :: v_dual_mul_f32 v40, v63, v28
	v_mul_f32_e32 v28, v62, v28
	v_dual_add_f32 v36, v36, v43 :: v_dual_mul_f32 v43, v63, v30
	v_mul_f32_e32 v30, v62, v30
	s_delay_alu instid0(VALU_DEP_4) | instskip(NEXT) | instid1(VALU_DEP_4)
	v_fma_f32 v40, v62, v27, -v40
	v_fmac_f32_e32 v28, v63, v27
	v_add_f32_e32 v39, v39, v26
	v_fma_f32 v26, v62, v29, -v43
	v_fmac_f32_e32 v30, v63, v29
	v_add_f32_e32 v40, v42, v40
	s_delay_alu instid0(VALU_DEP_3)
	v_dual_add_f32 v42, v35, v28 :: v_dual_add_f32 v43, v38, v26
	ds_load_2addr_b64 v[26:29], v20 offset0:128 offset1:144
	s_wait_dscnt 0x1
	v_mul_f32_e32 v35, v49, v32
	v_mul_f32_e32 v38, v48, v32
	;; [unrolled: 1-line block ×4, first 2 shown]
	s_delay_alu instid0(VALU_DEP_4) | instskip(NEXT) | instid1(VALU_DEP_4)
	v_fma_f32 v35, v48, v31, -v35
	v_fmac_f32_e32 v38, v49, v31
	s_delay_alu instid0(VALU_DEP_2) | instskip(SKIP_1) | instid1(VALU_DEP_3)
	v_add_f32_e32 v1, v1, v35
	v_mul_f32_e32 v35, v65, v32
	v_dual_mul_f32 v32, v64, v32 :: v_dual_add_f32 v45, v37, v38
	s_delay_alu instid0(VALU_DEP_2) | instskip(NEXT) | instid1(VALU_DEP_2)
	v_fma_f32 v46, v64, v31, -v35
	v_fmac_f32_e32 v32, v65, v31
	s_wait_dscnt 0x0
	v_mul_f32_e32 v31, v51, v27
	v_fma_f32 v44, v48, v33, -v44
	v_add_f32_e32 v41, v41, v30
	v_mul_f32_e32 v30, v48, v34
	v_mul_f32_e32 v58, v50, v29
	s_delay_alu instid0(VALU_DEP_4) | instskip(SKIP_2) | instid1(VALU_DEP_1)
	v_add_f32_e32 v44, v36, v44
	ds_load_b128 v[35:38], v21 offset:1056
	v_dual_fmac_f32 v30, v49, v33 :: v_dual_mul_f32 v49, v50, v27
	v_add_f32_e32 v48, v39, v30
	v_fma_f32 v30, v64, v33, -v47
	v_fma_f32 v39, v50, v26, -v31
	v_mul_f32_e32 v34, v64, v34
	v_fmac_f32_e32 v49, v51, v26
	v_add_f32_e32 v46, v40, v46
	v_add_f32_e32 v43, v43, v30
	v_add_f32_e32 v47, v42, v32
	v_add_f32_e32 v1, v1, v39
	v_fmac_f32_e32 v34, v65, v33
	ds_load_2addr_b64 v[30:33], v20 offset0:160 offset1:176
	v_mul_f32_e32 v40, v51, v29
	v_add_f32_e32 v45, v45, v49
	v_add_f32_e32 v34, v41, v34
	s_delay_alu instid0(VALU_DEP_3)
	v_fma_f32 v50, v50, v28, -v40
	ds_load_b128 v[39:42], v21 offset:1072
	s_wait_dscnt 0x2
	v_mul_f32_e32 v59, v36, v27
	v_dual_mul_f32 v27, v35, v27 :: v_dual_add_f32 v44, v44, v50
	v_fmac_f32_e32 v58, v51, v28
	v_mul_f32_e32 v50, v36, v29
	s_delay_alu instid0(VALU_DEP_4) | instskip(NEXT) | instid1(VALU_DEP_4)
	v_fma_f32 v49, v35, v26, -v59
	v_fmac_f32_e32 v27, v36, v26
	s_delay_alu instid0(VALU_DEP_4) | instskip(SKIP_1) | instid1(VALU_DEP_3)
	v_dual_mul_f32 v51, v35, v29 :: v_dual_add_f32 v48, v48, v58
	s_wait_dscnt 0x1
	v_dual_add_f32 v46, v46, v49 :: v_dual_mul_f32 v29, v53, v31
	v_fma_f32 v26, v35, v28, -v50
	v_add_f32_e32 v35, v47, v27
	v_fmac_f32_e32 v51, v36, v28
	v_mul_f32_e32 v36, v52, v31
	v_fma_f32 v47, v52, v30, -v29
	v_add_f32_e32 v43, v43, v26
	ds_load_2addr_b64 v[26:29], v20 offset0:192 offset1:208
	v_fmac_f32_e32 v36, v53, v30
	v_dual_mul_f32 v49, v53, v33 :: v_dual_add_f32 v50, v34, v51
	v_dual_add_f32 v1, v1, v47 :: v_dual_mul_f32 v34, v52, v33
	s_delay_alu instid0(VALU_DEP_3) | instskip(NEXT) | instid1(VALU_DEP_3)
	v_dual_add_f32 v45, v45, v36 :: v_dual_mul_f32 v36, v38, v31
	v_fma_f32 v47, v52, v32, -v49
	s_delay_alu instid0(VALU_DEP_3) | instskip(NEXT) | instid1(VALU_DEP_3)
	v_fmac_f32_e32 v34, v53, v32
	v_fma_f32 v36, v37, v30, -v36
	s_delay_alu instid0(VALU_DEP_3) | instskip(SKIP_1) | instid1(VALU_DEP_3)
	v_dual_add_f32 v44, v44, v47 :: v_dual_mul_f32 v47, v38, v33
	v_mul_f32_e32 v31, v37, v31
	v_dual_mul_f32 v33, v37, v33 :: v_dual_add_f32 v46, v46, v36
	s_delay_alu instid0(VALU_DEP_2) | instskip(SKIP_2) | instid1(VALU_DEP_4)
	v_fmac_f32_e32 v31, v38, v30
	v_add_f32_e32 v30, v48, v34
	v_fma_f32 v34, v37, v32, -v47
	v_fmac_f32_e32 v33, v38, v32
	s_wait_dscnt 0x0
	v_mul_f32_e32 v38, v54, v27
	v_dual_add_f32 v31, v35, v31 :: v_dual_mul_f32 v48, v54, v29
	v_add_f32_e32 v32, v43, v34
	ds_load_2addr_b64 v[34:37], v20 offset0:224 offset1:240
	v_dual_add_f32 v33, v50, v33 :: v_dual_fmac_f32 v38, v55, v26
	v_mul_f32_e32 v47, v55, v27
	v_fmac_f32_e32 v48, v55, v28
	s_wait_loadcnt_dscnt 0x0
	s_barrier_signal -1
	v_add_f32_e32 v38, v45, v38
	v_fma_f32 v43, v54, v26, -v47
	v_mul_f32_e32 v47, v55, v29
	v_mul_f32_e32 v45, v40, v29
	;; [unrolled: 1-line block ×3, first 2 shown]
	s_barrier_wait -1
	v_add_f32_e32 v1, v1, v43
	v_fma_f32 v47, v54, v28, -v47
	v_mul_f32_e32 v43, v40, v27
	v_fmac_f32_e32 v29, v40, v28
	global_inv scope:SCOPE_SE
	v_dual_add_f32 v44, v44, v47 :: v_dual_add_f32 v47, v30, v48
	v_fma_f32 v30, v39, v28, -v45
	v_mul_f32_e32 v27, v39, v27
	s_delay_alu instid0(VALU_DEP_1) | instskip(NEXT) | instid1(VALU_DEP_3)
	v_fmac_f32_e32 v27, v40, v26
	v_add_f32_e32 v40, v32, v30
	v_mul_f32_e32 v30, v57, v37
	v_fma_f32 v43, v39, v26, -v43
	v_mul_f32_e32 v39, v57, v35
	s_delay_alu instid0(VALU_DEP_2) | instskip(NEXT) | instid1(VALU_DEP_2)
	v_add_f32_e32 v26, v46, v43
	v_fma_f32 v28, v56, v34, -v39
	v_add_f32_e32 v39, v33, v29
	v_mul_f32_e32 v29, v41, v35
	s_delay_alu instid0(VALU_DEP_3) | instskip(SKIP_2) | instid1(VALU_DEP_2)
	v_add_f32_e32 v33, v1, v28
	v_fma_f32 v1, v56, v36, -v30
	v_mul_f32_e32 v28, v42, v35
	v_dual_fmac_f32 v29, v42, v34 :: v_dual_add_f32 v30, v44, v1
	s_delay_alu instid0(VALU_DEP_2) | instskip(SKIP_2) | instid1(VALU_DEP_2)
	v_fma_f32 v1, v41, v34, -v28
	v_mul_f32_e32 v43, v56, v35
	v_mul_f32_e32 v35, v42, v37
	v_dual_add_f32 v28, v26, v1 :: v_dual_fmac_f32 v43, v57, v34
	s_delay_alu instid0(VALU_DEP_2) | instskip(NEXT) | instid1(VALU_DEP_2)
	v_fma_f32 v34, v41, v36, -v35
	v_add_f32_e32 v32, v38, v43
	v_add_f32_e32 v27, v31, v27
	v_mul_f32_e32 v31, v56, v37
	v_mul_f32_e32 v37, v41, v37
	s_delay_alu instid0(VALU_DEP_3) | instskip(NEXT) | instid1(VALU_DEP_3)
	v_add_f32_e32 v29, v27, v29
	v_fmac_f32_e32 v31, v57, v36
	s_delay_alu instid0(VALU_DEP_3) | instskip(SKIP_1) | instid1(VALU_DEP_3)
	v_fmac_f32_e32 v37, v42, v36
	v_add_f32_e32 v27, v40, v34
	v_add_f32_e32 v31, v47, v31
	s_delay_alu instid0(VALU_DEP_3)
	v_add_f32_e32 v26, v39, v37
	s_cbranch_scc0 .LBB387_19
.LBB387_11:                             ;   Parent Loop BB387_8 Depth=1
                                        ; =>  This Inner Loop Header: Depth=2
	s_wait_alu 0xfffe
	v_add_nc_u32_e32 v1, s8, v17
	s_delay_alu instid0(VALU_DEP_1) | instskip(SKIP_3) | instid1(SALU_CYCLE_1)
	v_cmp_le_i32_e32 vcc_lo, s5, v1
	s_or_b32 s9, s28, vcc_lo
	s_wait_alu 0xfffe
	s_and_saveexec_b32 s24, s9
	s_xor_b32 s9, exec_lo, s24
; %bb.12:                               ;   in Loop: Header=BB387_11 Depth=2
	v_mov_b32_e32 v1, v0
	ds_store_b64 v18, v[0:1]
; %bb.13:                               ;   in Loop: Header=BB387_11 Depth=2
	s_wait_alu 0xfffe
	s_and_not1_saveexec_b32 s9, s9
	s_cbranch_execz .LBB387_15
; %bb.14:                               ;   in Loop: Header=BB387_11 Depth=2
	flat_load_b64 v[34:35], v[12:13]
	s_wait_loadcnt_dscnt 0x0
	ds_store_b64 v18, v[34:35]
.LBB387_15:                             ;   in Loop: Header=BB387_11 Depth=2
	s_wait_alu 0xfffe
	s_or_b32 exec_lo, exec_lo, s9
	v_add_nc_u32_e32 v1, s8, v16
	s_delay_alu instid0(VALU_DEP_1) | instskip(SKIP_3) | instid1(SALU_CYCLE_1)
	v_cmp_le_i32_e32 vcc_lo, s5, v1
	s_or_b32 s9, vcc_lo, s29
	s_wait_alu 0xfffe
	s_and_saveexec_b32 s24, s9
	s_xor_b32 s9, exec_lo, s24
; %bb.16:                               ;   in Loop: Header=BB387_11 Depth=2
	v_mov_b32_e32 v1, v0
	ds_store_b64 v19, v[0:1]
; %bb.17:                               ;   in Loop: Header=BB387_11 Depth=2
	s_wait_alu 0xfffe
	s_and_not1_saveexec_b32 s9, s9
	s_cbranch_execz .LBB387_10
; %bb.18:                               ;   in Loop: Header=BB387_11 Depth=2
	flat_load_b64 v[34:35], v[14:15]
	s_wait_loadcnt_dscnt 0x0
	ds_store_b64 v19, v[34:35]
	s_branch .LBB387_10
.LBB387_19:                             ;   in Loop: Header=BB387_8 Depth=1
	s_wait_loadcnt 0x0
	v_add_co_u32 v1, vcc_lo, v10, s0
	s_wait_alu 0xfffd
	v_add_co_ci_u32_e64 v12, null, s1, v11, vcc_lo
	s_delay_alu instid0(VALU_DEP_2) | instskip(SKIP_1) | instid1(VALU_DEP_2)
	v_add_co_u32 v13, vcc_lo, v1, v2
	s_wait_alu 0xfffd
	v_add_co_ci_u32_e64 v14, null, v12, v3, vcc_lo
	s_and_saveexec_b32 s8, s19
	s_cbranch_execz .LBB387_24
; %bb.20:                               ;   in Loop: Header=BB387_8 Depth=1
	v_mul_f32_e32 v11, s6, v32
	v_mul_f32_e32 v10, s7, v32
	s_and_b32 vcc_lo, exec_lo, s27
	s_mov_b32 s9, -1
	s_delay_alu instid0(VALU_DEP_2) | instskip(NEXT) | instid1(VALU_DEP_2)
	v_fmac_f32_e32 v11, s7, v33
	v_fma_f32 v10, v33, s6, -v10
	s_wait_alu 0xfffe
	s_cbranch_vccz .LBB387_22
; %bb.21:                               ;   in Loop: Header=BB387_8 Depth=1
	v_add_co_u32 v32, vcc_lo, v13, v6
	s_wait_alu 0xfffd
	v_add_co_ci_u32_e64 v33, null, v14, v7, vcc_lo
	s_mov_b32 s9, 0
	flat_load_b64 v[34:35], v[32:33]
	s_wait_loadcnt_dscnt 0x0
	v_mul_f32_e32 v15, s21, v35
	v_mul_f32_e32 v35, s20, v35
	s_delay_alu instid0(VALU_DEP_2) | instskip(NEXT) | instid1(VALU_DEP_1)
	v_fma_f32 v15, v34, s20, -v15
	v_dual_fmac_f32 v35, s21, v34 :: v_dual_add_f32 v34, v10, v15
	s_delay_alu instid0(VALU_DEP_1)
	v_add_f32_e32 v35, v11, v35
	flat_store_b64 v[32:33], v[34:35]
.LBB387_22:                             ;   in Loop: Header=BB387_8 Depth=1
	s_wait_alu 0xfffe
	s_and_not1_b32 vcc_lo, exec_lo, s9
	s_wait_alu 0xfffe
	s_cbranch_vccnz .LBB387_24
; %bb.23:                               ;   in Loop: Header=BB387_8 Depth=1
	v_add_co_u32 v32, vcc_lo, v13, v6
	s_wait_alu 0xfffd
	v_add_co_ci_u32_e64 v33, null, v14, v7, vcc_lo
	flat_store_b64 v[32:33], v[10:11]
.LBB387_24:                             ;   in Loop: Header=BB387_8 Depth=1
	s_wait_alu 0xfffe
	s_or_b32 exec_lo, exec_lo, s8
	s_and_saveexec_b32 s8, s14
	s_cbranch_execz .LBB387_29
; %bb.25:                               ;   in Loop: Header=BB387_8 Depth=1
	v_mul_f32_e32 v11, s6, v31
	v_mul_f32_e32 v10, s7, v31
	s_and_not1_b32 vcc_lo, exec_lo, s27
	s_mov_b32 s9, -1
	s_delay_alu instid0(VALU_DEP_2) | instskip(NEXT) | instid1(VALU_DEP_2)
	v_fmac_f32_e32 v11, s7, v30
	v_fma_f32 v10, v30, s6, -v10
	s_wait_alu 0xfffe
	s_cbranch_vccnz .LBB387_27
; %bb.26:                               ;   in Loop: Header=BB387_8 Depth=1
	v_add_co_u32 v30, vcc_lo, v13, v8
	s_wait_alu 0xfffd
	v_add_co_ci_u32_e64 v31, null, v14, v9, vcc_lo
	s_mov_b32 s9, 0
	flat_load_b64 v[32:33], v[30:31]
	s_wait_loadcnt_dscnt 0x0
	v_mul_f32_e32 v15, s21, v33
	s_delay_alu instid0(VALU_DEP_1) | instskip(SKIP_1) | instid1(VALU_DEP_1)
	v_fma_f32 v15, v32, s20, -v15
	v_mul_f32_e32 v33, s20, v33
	v_dual_fmac_f32 v33, s21, v32 :: v_dual_add_f32 v32, v10, v15
	s_delay_alu instid0(VALU_DEP_1)
	v_add_f32_e32 v33, v11, v33
	flat_store_b64 v[30:31], v[32:33]
.LBB387_27:                             ;   in Loop: Header=BB387_8 Depth=1
	s_wait_alu 0xfffe
	s_and_not1_b32 vcc_lo, exec_lo, s9
	s_wait_alu 0xfffe
	s_cbranch_vccnz .LBB387_29
; %bb.28:                               ;   in Loop: Header=BB387_8 Depth=1
	v_add_co_u32 v13, vcc_lo, v13, v8
	s_wait_alu 0xfffd
	v_add_co_ci_u32_e64 v14, null, v14, v9, vcc_lo
	flat_store_b64 v[13:14], v[10:11]
.LBB387_29:                             ;   in Loop: Header=BB387_8 Depth=1
	s_wait_alu 0xfffe
	s_or_b32 exec_lo, exec_lo, s8
	v_add_co_u32 v1, vcc_lo, v1, v4
	s_wait_alu 0xfffd
	v_add_co_ci_u32_e64 v12, null, v12, v5, vcc_lo
	s_and_saveexec_b32 s8, s4
	s_cbranch_execz .LBB387_34
; %bb.30:                               ;   in Loop: Header=BB387_8 Depth=1
	v_mul_f32_e32 v11, s6, v29
	v_mul_f32_e32 v10, s7, v29
	s_and_not1_b32 vcc_lo, exec_lo, s27
	s_mov_b32 s9, -1
	s_delay_alu instid0(VALU_DEP_2) | instskip(NEXT) | instid1(VALU_DEP_2)
	v_fmac_f32_e32 v11, s7, v28
	v_fma_f32 v10, v28, s6, -v10
	s_wait_alu 0xfffe
	s_cbranch_vccnz .LBB387_32
; %bb.31:                               ;   in Loop: Header=BB387_8 Depth=1
	v_add_co_u32 v13, vcc_lo, v1, v6
	s_wait_alu 0xfffd
	v_add_co_ci_u32_e64 v14, null, v12, v7, vcc_lo
	s_mov_b32 s9, 0
	flat_load_b64 v[28:29], v[13:14]
	s_wait_loadcnt_dscnt 0x0
	v_mul_f32_e32 v15, s21, v29
	s_delay_alu instid0(VALU_DEP_1) | instskip(SKIP_1) | instid1(VALU_DEP_1)
	v_fma_f32 v15, v28, s20, -v15
	v_mul_f32_e32 v29, s20, v29
	v_dual_fmac_f32 v29, s21, v28 :: v_dual_add_f32 v28, v10, v15
	s_delay_alu instid0(VALU_DEP_1)
	v_add_f32_e32 v29, v11, v29
	flat_store_b64 v[13:14], v[28:29]
.LBB387_32:                             ;   in Loop: Header=BB387_8 Depth=1
	s_wait_alu 0xfffe
	s_and_not1_b32 vcc_lo, exec_lo, s9
	s_wait_alu 0xfffe
	s_cbranch_vccnz .LBB387_34
; %bb.33:                               ;   in Loop: Header=BB387_8 Depth=1
	v_add_co_u32 v13, vcc_lo, v1, v6
	s_wait_alu 0xfffd
	v_add_co_ci_u32_e64 v14, null, v12, v7, vcc_lo
	flat_store_b64 v[13:14], v[10:11]
.LBB387_34:                             ;   in Loop: Header=BB387_8 Depth=1
	s_wait_alu 0xfffe
	s_or_b32 exec_lo, exec_lo, s8
	s_and_saveexec_b32 s8, s18
	s_cbranch_execz .LBB387_7
; %bb.35:                               ;   in Loop: Header=BB387_8 Depth=1
	v_mul_f32_e32 v11, s6, v26
	v_mul_f32_e32 v10, s7, v26
	s_and_not1_b32 vcc_lo, exec_lo, s27
	s_mov_b32 s9, -1
	s_delay_alu instid0(VALU_DEP_2) | instskip(NEXT) | instid1(VALU_DEP_2)
	v_fmac_f32_e32 v11, s7, v27
	v_fma_f32 v10, v27, s6, -v10
	s_wait_alu 0xfffe
	s_cbranch_vccnz .LBB387_37
; %bb.36:                               ;   in Loop: Header=BB387_8 Depth=1
	v_add_co_u32 v13, vcc_lo, v1, v8
	s_wait_alu 0xfffd
	v_add_co_ci_u32_e64 v14, null, v12, v9, vcc_lo
	s_mov_b32 s9, 0
	flat_load_b64 v[26:27], v[13:14]
	s_wait_loadcnt_dscnt 0x0
	v_mul_f32_e32 v15, s21, v27
	v_mul_f32_e32 v27, s20, v27
	s_delay_alu instid0(VALU_DEP_2) | instskip(NEXT) | instid1(VALU_DEP_1)
	v_fma_f32 v15, v26, s20, -v15
	v_dual_fmac_f32 v27, s21, v26 :: v_dual_add_f32 v26, v10, v15
	s_delay_alu instid0(VALU_DEP_1)
	v_add_f32_e32 v27, v11, v27
	flat_store_b64 v[13:14], v[26:27]
.LBB387_37:                             ;   in Loop: Header=BB387_8 Depth=1
	s_wait_alu 0xfffe
	s_and_not1_b32 vcc_lo, exec_lo, s9
	s_wait_alu 0xfffe
	s_cbranch_vccnz .LBB387_7
; %bb.38:                               ;   in Loop: Header=BB387_8 Depth=1
	v_add_co_u32 v13, vcc_lo, v1, v8
	s_wait_alu 0xfffd
	v_add_co_ci_u32_e64 v14, null, v12, v9, vcc_lo
	flat_store_b64 v[13:14], v[10:11]
	s_branch .LBB387_7
.LBB387_39:
	s_endpgm
	.section	.rodata,"a",@progbits
	.p2align	6, 0x0
	.amdhsa_kernel _ZL29rocblas_internal_gemmt_kernelIiLi16ELi32ELi8ELc78ELc78ELc76ELb0ELb0E19rocblas_complex_numIfES1_PKPKS1_PKPS1_EviT_T9_T10_S9_lSB_S9_lSA_T11_S9_li
		.amdhsa_group_segment_fixed_size 4096
		.amdhsa_private_segment_fixed_size 0
		.amdhsa_kernarg_size 100
		.amdhsa_user_sgpr_count 2
		.amdhsa_user_sgpr_dispatch_ptr 0
		.amdhsa_user_sgpr_queue_ptr 0
		.amdhsa_user_sgpr_kernarg_segment_ptr 1
		.amdhsa_user_sgpr_dispatch_id 0
		.amdhsa_user_sgpr_private_segment_size 0
		.amdhsa_wavefront_size32 1
		.amdhsa_uses_dynamic_stack 0
		.amdhsa_enable_private_segment 0
		.amdhsa_system_sgpr_workgroup_id_x 1
		.amdhsa_system_sgpr_workgroup_id_y 1
		.amdhsa_system_sgpr_workgroup_id_z 1
		.amdhsa_system_sgpr_workgroup_info 0
		.amdhsa_system_vgpr_workitem_id 1
		.amdhsa_next_free_vgpr 71
		.amdhsa_next_free_sgpr 36
		.amdhsa_reserve_vcc 1
		.amdhsa_float_round_mode_32 0
		.amdhsa_float_round_mode_16_64 0
		.amdhsa_float_denorm_mode_32 3
		.amdhsa_float_denorm_mode_16_64 3
		.amdhsa_fp16_overflow 0
		.amdhsa_workgroup_processor_mode 1
		.amdhsa_memory_ordered 1
		.amdhsa_forward_progress 1
		.amdhsa_inst_pref_size 25
		.amdhsa_round_robin_scheduling 0
		.amdhsa_exception_fp_ieee_invalid_op 0
		.amdhsa_exception_fp_denorm_src 0
		.amdhsa_exception_fp_ieee_div_zero 0
		.amdhsa_exception_fp_ieee_overflow 0
		.amdhsa_exception_fp_ieee_underflow 0
		.amdhsa_exception_fp_ieee_inexact 0
		.amdhsa_exception_int_div_zero 0
	.end_amdhsa_kernel
	.section	.text._ZL29rocblas_internal_gemmt_kernelIiLi16ELi32ELi8ELc78ELc78ELc76ELb0ELb0E19rocblas_complex_numIfES1_PKPKS1_PKPS1_EviT_T9_T10_S9_lSB_S9_lSA_T11_S9_li,"axG",@progbits,_ZL29rocblas_internal_gemmt_kernelIiLi16ELi32ELi8ELc78ELc78ELc76ELb0ELb0E19rocblas_complex_numIfES1_PKPKS1_PKPS1_EviT_T9_T10_S9_lSB_S9_lSA_T11_S9_li,comdat
.Lfunc_end387:
	.size	_ZL29rocblas_internal_gemmt_kernelIiLi16ELi32ELi8ELc78ELc78ELc76ELb0ELb0E19rocblas_complex_numIfES1_PKPKS1_PKPS1_EviT_T9_T10_S9_lSB_S9_lSA_T11_S9_li, .Lfunc_end387-_ZL29rocblas_internal_gemmt_kernelIiLi16ELi32ELi8ELc78ELc78ELc76ELb0ELb0E19rocblas_complex_numIfES1_PKPKS1_PKPS1_EviT_T9_T10_S9_lSB_S9_lSA_T11_S9_li
                                        ; -- End function
	.set _ZL29rocblas_internal_gemmt_kernelIiLi16ELi32ELi8ELc78ELc78ELc76ELb0ELb0E19rocblas_complex_numIfES1_PKPKS1_PKPS1_EviT_T9_T10_S9_lSB_S9_lSA_T11_S9_li.num_vgpr, 71
	.set _ZL29rocblas_internal_gemmt_kernelIiLi16ELi32ELi8ELc78ELc78ELc76ELb0ELb0E19rocblas_complex_numIfES1_PKPKS1_PKPS1_EviT_T9_T10_S9_lSB_S9_lSA_T11_S9_li.num_agpr, 0
	.set _ZL29rocblas_internal_gemmt_kernelIiLi16ELi32ELi8ELc78ELc78ELc76ELb0ELb0E19rocblas_complex_numIfES1_PKPKS1_PKPS1_EviT_T9_T10_S9_lSB_S9_lSA_T11_S9_li.numbered_sgpr, 36
	.set _ZL29rocblas_internal_gemmt_kernelIiLi16ELi32ELi8ELc78ELc78ELc76ELb0ELb0E19rocblas_complex_numIfES1_PKPKS1_PKPS1_EviT_T9_T10_S9_lSB_S9_lSA_T11_S9_li.num_named_barrier, 0
	.set _ZL29rocblas_internal_gemmt_kernelIiLi16ELi32ELi8ELc78ELc78ELc76ELb0ELb0E19rocblas_complex_numIfES1_PKPKS1_PKPS1_EviT_T9_T10_S9_lSB_S9_lSA_T11_S9_li.private_seg_size, 0
	.set _ZL29rocblas_internal_gemmt_kernelIiLi16ELi32ELi8ELc78ELc78ELc76ELb0ELb0E19rocblas_complex_numIfES1_PKPKS1_PKPS1_EviT_T9_T10_S9_lSB_S9_lSA_T11_S9_li.uses_vcc, 1
	.set _ZL29rocblas_internal_gemmt_kernelIiLi16ELi32ELi8ELc78ELc78ELc76ELb0ELb0E19rocblas_complex_numIfES1_PKPKS1_PKPS1_EviT_T9_T10_S9_lSB_S9_lSA_T11_S9_li.uses_flat_scratch, 0
	.set _ZL29rocblas_internal_gemmt_kernelIiLi16ELi32ELi8ELc78ELc78ELc76ELb0ELb0E19rocblas_complex_numIfES1_PKPKS1_PKPS1_EviT_T9_T10_S9_lSB_S9_lSA_T11_S9_li.has_dyn_sized_stack, 0
	.set _ZL29rocblas_internal_gemmt_kernelIiLi16ELi32ELi8ELc78ELc78ELc76ELb0ELb0E19rocblas_complex_numIfES1_PKPKS1_PKPS1_EviT_T9_T10_S9_lSB_S9_lSA_T11_S9_li.has_recursion, 0
	.set _ZL29rocblas_internal_gemmt_kernelIiLi16ELi32ELi8ELc78ELc78ELc76ELb0ELb0E19rocblas_complex_numIfES1_PKPKS1_PKPS1_EviT_T9_T10_S9_lSB_S9_lSA_T11_S9_li.has_indirect_call, 0
	.section	.AMDGPU.csdata,"",@progbits
; Kernel info:
; codeLenInByte = 3172
; TotalNumSgprs: 38
; NumVgprs: 71
; ScratchSize: 0
; MemoryBound: 1
; FloatMode: 240
; IeeeMode: 1
; LDSByteSize: 4096 bytes/workgroup (compile time only)
; SGPRBlocks: 0
; VGPRBlocks: 8
; NumSGPRsForWavesPerEU: 38
; NumVGPRsForWavesPerEU: 71
; Occupancy: 16
; WaveLimiterHint : 1
; COMPUTE_PGM_RSRC2:SCRATCH_EN: 0
; COMPUTE_PGM_RSRC2:USER_SGPR: 2
; COMPUTE_PGM_RSRC2:TRAP_HANDLER: 0
; COMPUTE_PGM_RSRC2:TGID_X_EN: 1
; COMPUTE_PGM_RSRC2:TGID_Y_EN: 1
; COMPUTE_PGM_RSRC2:TGID_Z_EN: 1
; COMPUTE_PGM_RSRC2:TIDIG_COMP_CNT: 1
	.section	.text._ZL29rocblas_internal_gemmt_kernelIiLi16ELi32ELi8ELc78ELc84ELc76ELb0ELb0E19rocblas_complex_numIfES1_PKPKS1_PKPS1_EviT_T9_T10_S9_lSB_S9_lSA_T11_S9_li,"axG",@progbits,_ZL29rocblas_internal_gemmt_kernelIiLi16ELi32ELi8ELc78ELc84ELc76ELb0ELb0E19rocblas_complex_numIfES1_PKPKS1_PKPS1_EviT_T9_T10_S9_lSB_S9_lSA_T11_S9_li,comdat
	.globl	_ZL29rocblas_internal_gemmt_kernelIiLi16ELi32ELi8ELc78ELc84ELc76ELb0ELb0E19rocblas_complex_numIfES1_PKPKS1_PKPS1_EviT_T9_T10_S9_lSB_S9_lSA_T11_S9_li ; -- Begin function _ZL29rocblas_internal_gemmt_kernelIiLi16ELi32ELi8ELc78ELc84ELc76ELb0ELb0E19rocblas_complex_numIfES1_PKPKS1_PKPS1_EviT_T9_T10_S9_lSB_S9_lSA_T11_S9_li
	.p2align	8
	.type	_ZL29rocblas_internal_gemmt_kernelIiLi16ELi32ELi8ELc78ELc84ELc76ELb0ELb0E19rocblas_complex_numIfES1_PKPKS1_PKPS1_EviT_T9_T10_S9_lSB_S9_lSA_T11_S9_li,@function
_ZL29rocblas_internal_gemmt_kernelIiLi16ELi32ELi8ELc78ELc84ELc76ELb0ELb0E19rocblas_complex_numIfES1_PKPKS1_PKPS1_EviT_T9_T10_S9_lSB_S9_lSA_T11_S9_li: ; @_ZL29rocblas_internal_gemmt_kernelIiLi16ELi32ELi8ELc78ELc84ELc76ELb0ELb0E19rocblas_complex_numIfES1_PKPKS1_PKPS1_EviT_T9_T10_S9_lSB_S9_lSA_T11_S9_li
; %bb.0:
	s_clause 0x1
	s_load_b64 s[20:21], s[0:1], 0x40
	s_load_b128 s[4:7], s[0:1], 0x0
	s_wait_kmcnt 0x0
	s_cmp_eq_f32 s20, 1.0
	s_cselect_b32 s2, -1, 0
	s_and_b32 s3, s21, 0x7fffffff
	s_delay_alu instid0(SALU_CYCLE_1) | instskip(SKIP_1) | instid1(SALU_CYCLE_1)
	s_cmp_eq_u32 s3, 0
	s_cselect_b32 s3, -1, 0
	s_and_b32 s8, s2, s3
	s_mov_b32 s2, 0
	s_and_not1_b32 vcc_lo, exec_lo, s8
	s_mov_b32 s8, -1
	s_cbranch_vccnz .LBB388_4
; %bb.1:
	s_cmp_lg_u32 s5, 0
	s_cbranch_scc0 .LBB388_3
; %bb.2:
	s_cmp_neq_f32 s6, 0
	s_cselect_b32 s2, -1, 0
	s_cmp_neq_f32 s7, 0
	s_cselect_b32 s8, -1, 0
	s_delay_alu instid0(SALU_CYCLE_1)
	s_or_b32 s2, s2, s8
.LBB388_3:
	s_delay_alu instid0(SALU_CYCLE_1)
	s_mov_b32 s8, s2
.LBB388_4:
	s_delay_alu instid0(SALU_CYCLE_1)
	s_and_b32 vcc_lo, exec_lo, s8
	s_cbranch_vccz .LBB388_39
; %bb.5:
	s_load_b32 s19, s[0:1], 0x60
	s_lshr_b32 s22, ttmp7, 16
	s_wait_kmcnt 0x0
	s_cmp_ge_u32 s22, s19
	s_cbranch_scc1 .LBB388_39
; %bb.6:
	s_clause 0x1
	s_load_b96 s[12:14], s[0:1], 0x10
	s_load_b32 s24, s[0:1], 0x30
	v_and_b32_e32 v1, 0x3ff, v0
	v_bfe_u32 v2, v0, 10, 10
	v_and_b32_e32 v16, 7, v0
	s_clause 0x3
	s_load_b128 s[8:11], s[0:1], 0x20
	s_load_b64 s[28:29], s[0:1], 0x38
	s_load_b96 s[16:18], s[0:1], 0x48
	s_load_b64 s[26:27], s[0:1], 0x58
	s_lshl_b32 s0, ttmp7, 5
	s_lshl_b32 s1, ttmp9, 5
	v_lshl_add_u32 v0, v2, 4, v1
	s_and_b32 s2, s0, 0x1fffe0
	v_lshlrev_b32_e32 v3, 3, v16
	v_add_nc_u32_e32 v6, s1, v1
	v_lshlrev_b32_e32 v20, 3, v1
	v_and_b32_e32 v4, 31, v0
	v_lshrrev_b32_e32 v17, 5, v0
	v_lshrrev_b32_e32 v5, 3, v0
	v_add_nc_u32_e32 v8, 16, v6
	v_lshl_add_u32 v21, v2, 6, 0x800
	v_or_b32_e32 v0, s1, v4
	v_lshlrev_b32_e32 v4, 3, v4
	s_wait_kmcnt 0x0
	s_ashr_i32 s35, s14, 31
	s_ashr_i32 s25, s24, 31
	s_cmp_neq_f32 s6, 0
	v_add_nc_u32_e32 v14, s2, v5
	v_lshl_or_b32 v18, v17, 8, v4
	v_add_nc_u32_e32 v4, s2, v2
	s_cselect_b32 s0, -1, 0
	s_cmp_neq_f32 s7, 0
	v_lshl_or_b32 v3, v5, 6, v3
	v_cmp_gt_i32_e64 s2, s4, v6
	v_cmp_le_i32_e64 s1, v4, v6
	s_cselect_b32 s15, -1, 0
	v_add_nc_u32_e32 v1, 16, v4
	s_wait_alu 0xfffe
	s_or_b32 s15, s0, s15
	s_cmp_gt_i32 s5, 0
	v_add_nc_u32_e32 v19, 0x800, v3
	s_cselect_b32 s33, -1, 0
	s_cmp_neq_f32 s20, 0
	v_mad_co_i64_i32 v[2:3], null, v4, s18, 0
	v_cmp_gt_i32_e32 vcc_lo, s4, v0
	s_cselect_b32 s36, -1, 0
	s_and_b32 s30, s1, s2
	v_cmp_le_i32_e64 s1, v4, v8
	v_mad_co_i64_i32 v[4:5], null, v17, s14, 0
	s_xor_b32 s37, s3, -1
	v_cmp_gt_i32_e64 s3, s4, v8
	v_cmp_gt_i32_e64 s0, s4, v14
	v_cmp_le_i32_e64 s4, v1, v6
	v_mad_co_i64_i32 v[12:13], null, s24, v16, 0
	s_and_b32 s31, s1, s3
	v_cmp_le_i32_e64 s1, v1, v8
	v_lshlrev_b64_e32 v[4:5], 3, v[4:5]
	v_mad_co_i64_i32 v[10:11], null, v1, s18, 0
	v_ashrrev_i32_e32 v1, 31, v0
	s_and_b32 s4, s4, s2
	s_and_b32 s18, s1, s3
	s_lshl_b64 s[2:3], s[8:9], 3
	s_lshl_b64 s[8:9], s[28:29], 3
	v_lshlrev_b64_e32 v[0:1], 3, v[0:1]
	s_wait_alu 0xfffe
	v_add_co_u32 v15, s1, v4, s2
	s_wait_alu 0xf1ff
	v_add_co_ci_u32_e64 v23, null, s3, v5, s1
	v_lshlrev_b64_e32 v[4:5], 3, v[12:13]
	s_delay_alu instid0(VALU_DEP_3) | instskip(SKIP_1) | instid1(VALU_DEP_3)
	v_add_co_u32 v22, s1, v15, v0
	s_wait_alu 0xf1ff
	v_add_co_ci_u32_e64 v23, null, v23, v1, s1
	v_lshlrev_b32_e32 v1, 3, v14
	s_delay_alu instid0(VALU_DEP_4)
	v_add_co_u32 v4, s1, v4, s8
	v_ashrrev_i32_e32 v7, 31, v6
	v_ashrrev_i32_e32 v9, 31, v8
	s_wait_alu 0xf1ff
	v_add_co_ci_u32_e64 v5, null, s9, v5, s1
	v_add_co_u32 v24, s1, v4, v1
	v_lshlrev_b64_e32 v[2:3], 3, v[2:3]
	s_wait_alu 0xf1ff
	s_delay_alu instid0(VALU_DEP_3)
	v_add_co_ci_u32_e64 v25, null, 0, v5, s1
	v_lshlrev_b64_e32 v[4:5], 3, v[10:11]
	v_lshlrev_b64_e32 v[6:7], 3, v[6:7]
	v_lshlrev_b64_e32 v[8:9], 3, v[8:9]
	v_mov_b32_e32 v0, 0
	s_mov_b32 s34, s14
	s_mov_b32 s23, 0
	s_lshl_b64 s[2:3], s[34:35], 6
	s_lshl_b64 s[8:9], s[24:25], 6
	s_and_b32 s24, s15, s33
	s_or_b32 s25, s36, s37
	s_xor_b32 s28, vcc_lo, -1
	s_xor_b32 s29, s0, -1
	s_lshl_b64 s[0:1], s[26:27], 3
	s_branch .LBB388_8
.LBB388_7:                              ;   in Loop: Header=BB388_8 Depth=1
	s_wait_alu 0xfffe
	s_or_b32 exec_lo, exec_lo, s14
	s_add_co_i32 s22, s22, 0x10000
	s_delay_alu instid0(SALU_CYCLE_1)
	s_cmp_lt_u32 s22, s19
	s_cbranch_scc0 .LBB388_39
.LBB388_8:                              ; =>This Loop Header: Depth=1
                                        ;     Child Loop BB388_11 Depth 2
	s_lshl_b64 s[14:15], s[22:23], 3
	v_dual_mov_b32 v33, v0 :: v_dual_mov_b32 v32, v0
	s_wait_alu 0xfffe
	s_add_nc_u64 s[26:27], s[16:17], s[14:15]
	v_dual_mov_b32 v30, v0 :: v_dual_mov_b32 v31, v0
	global_load_b64 v[10:11], v0, s[26:27]
	v_dual_mov_b32 v28, v0 :: v_dual_mov_b32 v29, v0
	v_dual_mov_b32 v27, v0 :: v_dual_mov_b32 v26, v0
	s_and_not1_b32 vcc_lo, exec_lo, s24
	s_wait_alu 0xfffe
	s_cbranch_vccnz .LBB388_19
; %bb.9:                                ;   in Loop: Header=BB388_8 Depth=1
	s_add_nc_u64 s[26:27], s[12:13], s[14:15]
	s_add_nc_u64 s[14:15], s[10:11], s[14:15]
	s_clause 0x1
	global_load_b64 v[12:13], v0, s[26:27]
	global_load_b64 v[14:15], v0, s[14:15]
	v_dual_mov_b32 v26, 0 :: v_dual_mov_b32 v27, 0
	v_dual_mov_b32 v29, 0 :: v_dual_mov_b32 v28, 0
	;; [unrolled: 1-line block ×4, first 2 shown]
	s_mov_b32 s14, 0
	s_wait_loadcnt 0x1
	v_add_co_u32 v12, vcc_lo, v12, v22
	s_wait_alu 0xfffd
	v_add_co_ci_u32_e64 v13, null, v13, v23, vcc_lo
	s_wait_loadcnt 0x0
	v_add_co_u32 v14, vcc_lo, v14, v24
	s_wait_alu 0xfffd
	v_add_co_ci_u32_e64 v15, null, v15, v25, vcc_lo
	s_branch .LBB388_11
.LBB388_10:                             ;   in Loop: Header=BB388_11 Depth=2
	s_wait_alu 0xfffe
	s_or_b32 exec_lo, exec_lo, s15
	s_wait_dscnt 0x0
	s_barrier_signal -1
	s_barrier_wait -1
	global_inv scope:SCOPE_SE
	ds_load_b128 v[34:37], v21
	ds_load_2addr_b64 v[38:41], v20 offset1:16
	ds_load_b128 v[42:45], v21 offset:1024
	ds_load_b128 v[46:49], v21 offset:16
	;; [unrolled: 1-line block ×4, first 2 shown]
	ds_load_2addr_b64 v[58:61], v20 offset0:32 offset1:48
	ds_load_b128 v[62:65], v21 offset:1040
	v_add_co_u32 v12, vcc_lo, v12, s2
	s_wait_alu 0xfffd
	v_add_co_ci_u32_e64 v13, null, s3, v13, vcc_lo
	v_add_co_u32 v14, vcc_lo, v14, s8
	s_wait_alu 0xfffd
	v_add_co_ci_u32_e64 v15, null, s9, v15, vcc_lo
	s_add_co_i32 s14, s14, 8
	s_wait_alu 0xfffe
	s_cmp_lt_i32 s14, s5
	s_wait_dscnt 0x6
	v_dual_mul_f32 v1, v35, v39 :: v_dual_mul_f32 v68, v34, v41
	v_dual_mul_f32 v66, v34, v39 :: v_dual_mul_f32 v67, v35, v41
	s_wait_dscnt 0x5
	v_mul_f32_e32 v70, v43, v41
	s_delay_alu instid0(VALU_DEP_3) | instskip(SKIP_3) | instid1(VALU_DEP_4)
	v_fma_f32 v1, v34, v38, -v1
	v_dual_mul_f32 v41, v42, v41 :: v_dual_fmac_f32 v68, v35, v40
	v_fmac_f32_e32 v66, v35, v38
	v_fma_f32 v34, v34, v40, -v67
	v_add_f32_e32 v1, v33, v1
	v_mul_f32_e32 v69, v43, v39
	s_delay_alu instid0(VALU_DEP_4) | instskip(NEXT) | instid1(VALU_DEP_4)
	v_dual_mul_f32 v39, v42, v39 :: v_dual_add_f32 v32, v32, v66
	v_add_f32_e32 v33, v30, v34
	v_fmac_f32_e32 v41, v43, v40
	s_delay_alu instid0(VALU_DEP_4) | instskip(NEXT) | instid1(VALU_DEP_4)
	v_fma_f32 v35, v42, v38, -v69
	v_fmac_f32_e32 v39, v43, v38
	v_fma_f32 v38, v42, v40, -v70
	s_wait_dscnt 0x1
	v_dual_mul_f32 v40, v36, v59 :: v_dual_add_f32 v31, v31, v68
	v_mul_f32_e32 v42, v37, v61
	v_add_f32_e32 v34, v28, v35
	v_dual_add_f32 v35, v29, v39 :: v_dual_add_f32 v38, v27, v38
	ds_load_2addr_b64 v[27:30], v20 offset0:64 offset1:80
	v_fmac_f32_e32 v40, v37, v58
	v_dual_mul_f32 v39, v37, v59 :: v_dual_add_f32 v26, v26, v41
	v_mul_f32_e32 v41, v36, v61
	s_delay_alu instid0(VALU_DEP_3) | instskip(NEXT) | instid1(VALU_DEP_3)
	v_add_f32_e32 v40, v32, v40
	v_fma_f32 v39, v36, v58, -v39
	v_fma_f32 v36, v36, v60, -v42
	v_mul_f32_e32 v32, v44, v59
	s_delay_alu instid0(VALU_DEP_3) | instskip(SKIP_1) | instid1(VALU_DEP_4)
	v_add_f32_e32 v1, v1, v39
	v_mul_f32_e32 v39, v45, v59
	v_add_f32_e32 v36, v33, v36
	v_fmac_f32_e32 v41, v37, v60
	v_mul_f32_e32 v37, v45, v61
	v_fmac_f32_e32 v32, v45, v58
	v_fma_f32 v33, v44, v58, -v39
	s_delay_alu instid0(VALU_DEP_4) | instskip(SKIP_4) | instid1(VALU_DEP_3)
	v_add_f32_e32 v39, v31, v41
	v_mul_f32_e32 v41, v44, v61
	v_fma_f32 v31, v44, v60, -v37
	s_wait_dscnt 0x0
	v_dual_add_f32 v42, v34, v33 :: v_dual_mul_f32 v33, v47, v28
	v_dual_mul_f32 v44, v47, v30 :: v_dual_fmac_f32 v41, v45, v60
	v_mul_f32_e32 v37, v46, v28
	v_add_f32_e32 v38, v38, v31
	s_delay_alu instid0(VALU_DEP_3) | instskip(SKIP_3) | instid1(VALU_DEP_2)
	v_add_f32_e32 v41, v26, v41
	v_mul_f32_e32 v26, v46, v30
	v_fma_f32 v43, v46, v27, -v33
	v_fmac_f32_e32 v37, v47, v27
	v_dual_fmac_f32 v26, v47, v29 :: v_dual_add_f32 v1, v1, v43
	v_fma_f32 v43, v46, v29, -v44
	v_add_f32_e32 v35, v35, v32
	ds_load_2addr_b64 v[31:34], v20 offset0:96 offset1:112
	v_dual_add_f32 v37, v40, v37 :: v_dual_mul_f32 v40, v63, v28
	v_mul_f32_e32 v28, v62, v28
	v_dual_add_f32 v36, v36, v43 :: v_dual_mul_f32 v43, v63, v30
	v_mul_f32_e32 v30, v62, v30
	s_delay_alu instid0(VALU_DEP_4) | instskip(NEXT) | instid1(VALU_DEP_4)
	v_fma_f32 v40, v62, v27, -v40
	v_fmac_f32_e32 v28, v63, v27
	v_add_f32_e32 v39, v39, v26
	v_fma_f32 v26, v62, v29, -v43
	v_fmac_f32_e32 v30, v63, v29
	v_add_f32_e32 v40, v42, v40
	s_delay_alu instid0(VALU_DEP_3)
	v_dual_add_f32 v42, v35, v28 :: v_dual_add_f32 v43, v38, v26
	ds_load_2addr_b64 v[26:29], v20 offset0:128 offset1:144
	s_wait_dscnt 0x1
	v_mul_f32_e32 v35, v49, v32
	v_mul_f32_e32 v38, v48, v32
	;; [unrolled: 1-line block ×4, first 2 shown]
	s_delay_alu instid0(VALU_DEP_4) | instskip(NEXT) | instid1(VALU_DEP_4)
	v_fma_f32 v35, v48, v31, -v35
	v_fmac_f32_e32 v38, v49, v31
	s_delay_alu instid0(VALU_DEP_2) | instskip(SKIP_1) | instid1(VALU_DEP_3)
	v_add_f32_e32 v1, v1, v35
	v_mul_f32_e32 v35, v65, v32
	v_dual_mul_f32 v32, v64, v32 :: v_dual_add_f32 v45, v37, v38
	s_delay_alu instid0(VALU_DEP_2) | instskip(NEXT) | instid1(VALU_DEP_2)
	v_fma_f32 v46, v64, v31, -v35
	v_fmac_f32_e32 v32, v65, v31
	s_wait_dscnt 0x0
	v_mul_f32_e32 v31, v51, v27
	v_fma_f32 v44, v48, v33, -v44
	v_add_f32_e32 v41, v41, v30
	v_mul_f32_e32 v30, v48, v34
	v_mul_f32_e32 v58, v50, v29
	s_delay_alu instid0(VALU_DEP_4) | instskip(SKIP_2) | instid1(VALU_DEP_1)
	v_add_f32_e32 v44, v36, v44
	ds_load_b128 v[35:38], v21 offset:1056
	v_dual_fmac_f32 v30, v49, v33 :: v_dual_mul_f32 v49, v50, v27
	v_add_f32_e32 v48, v39, v30
	v_fma_f32 v30, v64, v33, -v47
	v_fma_f32 v39, v50, v26, -v31
	v_mul_f32_e32 v34, v64, v34
	v_fmac_f32_e32 v49, v51, v26
	v_add_f32_e32 v46, v40, v46
	v_add_f32_e32 v43, v43, v30
	;; [unrolled: 1-line block ×4, first 2 shown]
	v_fmac_f32_e32 v34, v65, v33
	ds_load_2addr_b64 v[30:33], v20 offset0:160 offset1:176
	v_mul_f32_e32 v40, v51, v29
	v_add_f32_e32 v45, v45, v49
	v_add_f32_e32 v34, v41, v34
	s_delay_alu instid0(VALU_DEP_3)
	v_fma_f32 v50, v50, v28, -v40
	ds_load_b128 v[39:42], v21 offset:1072
	s_wait_dscnt 0x2
	v_mul_f32_e32 v59, v36, v27
	v_dual_mul_f32 v27, v35, v27 :: v_dual_add_f32 v44, v44, v50
	v_fmac_f32_e32 v58, v51, v28
	v_mul_f32_e32 v50, v36, v29
	s_delay_alu instid0(VALU_DEP_4) | instskip(NEXT) | instid1(VALU_DEP_4)
	v_fma_f32 v49, v35, v26, -v59
	v_fmac_f32_e32 v27, v36, v26
	s_delay_alu instid0(VALU_DEP_4) | instskip(SKIP_1) | instid1(VALU_DEP_3)
	v_dual_mul_f32 v51, v35, v29 :: v_dual_add_f32 v48, v48, v58
	s_wait_dscnt 0x1
	v_dual_add_f32 v46, v46, v49 :: v_dual_mul_f32 v29, v53, v31
	v_fma_f32 v26, v35, v28, -v50
	v_add_f32_e32 v35, v47, v27
	v_fmac_f32_e32 v51, v36, v28
	v_mul_f32_e32 v36, v52, v31
	v_fma_f32 v47, v52, v30, -v29
	v_add_f32_e32 v43, v43, v26
	ds_load_2addr_b64 v[26:29], v20 offset0:192 offset1:208
	v_fmac_f32_e32 v36, v53, v30
	v_dual_mul_f32 v49, v53, v33 :: v_dual_add_f32 v50, v34, v51
	v_dual_add_f32 v1, v1, v47 :: v_dual_mul_f32 v34, v52, v33
	s_delay_alu instid0(VALU_DEP_3) | instskip(NEXT) | instid1(VALU_DEP_3)
	v_dual_add_f32 v45, v45, v36 :: v_dual_mul_f32 v36, v38, v31
	v_fma_f32 v47, v52, v32, -v49
	s_delay_alu instid0(VALU_DEP_3) | instskip(NEXT) | instid1(VALU_DEP_3)
	v_fmac_f32_e32 v34, v53, v32
	v_fma_f32 v36, v37, v30, -v36
	s_delay_alu instid0(VALU_DEP_3) | instskip(SKIP_1) | instid1(VALU_DEP_3)
	v_dual_add_f32 v44, v44, v47 :: v_dual_mul_f32 v47, v38, v33
	v_mul_f32_e32 v31, v37, v31
	v_dual_mul_f32 v33, v37, v33 :: v_dual_add_f32 v46, v46, v36
	s_delay_alu instid0(VALU_DEP_2) | instskip(SKIP_2) | instid1(VALU_DEP_4)
	v_fmac_f32_e32 v31, v38, v30
	v_add_f32_e32 v30, v48, v34
	v_fma_f32 v34, v37, v32, -v47
	v_fmac_f32_e32 v33, v38, v32
	s_wait_dscnt 0x0
	v_mul_f32_e32 v38, v54, v27
	v_dual_add_f32 v31, v35, v31 :: v_dual_mul_f32 v48, v54, v29
	v_add_f32_e32 v32, v43, v34
	ds_load_2addr_b64 v[34:37], v20 offset0:224 offset1:240
	v_dual_add_f32 v33, v50, v33 :: v_dual_fmac_f32 v38, v55, v26
	v_mul_f32_e32 v47, v55, v27
	v_fmac_f32_e32 v48, v55, v28
	s_wait_loadcnt_dscnt 0x0
	s_barrier_signal -1
	v_add_f32_e32 v38, v45, v38
	v_fma_f32 v43, v54, v26, -v47
	v_mul_f32_e32 v47, v55, v29
	v_mul_f32_e32 v45, v40, v29
	v_mul_f32_e32 v29, v39, v29
	s_barrier_wait -1
	v_add_f32_e32 v1, v1, v43
	v_fma_f32 v47, v54, v28, -v47
	v_mul_f32_e32 v43, v40, v27
	v_fmac_f32_e32 v29, v40, v28
	global_inv scope:SCOPE_SE
	v_dual_add_f32 v44, v44, v47 :: v_dual_add_f32 v47, v30, v48
	v_fma_f32 v30, v39, v28, -v45
	v_mul_f32_e32 v27, v39, v27
	s_delay_alu instid0(VALU_DEP_1) | instskip(NEXT) | instid1(VALU_DEP_3)
	v_fmac_f32_e32 v27, v40, v26
	v_add_f32_e32 v40, v32, v30
	v_mul_f32_e32 v30, v57, v37
	v_fma_f32 v43, v39, v26, -v43
	v_mul_f32_e32 v39, v57, v35
	s_delay_alu instid0(VALU_DEP_2) | instskip(NEXT) | instid1(VALU_DEP_2)
	v_add_f32_e32 v26, v46, v43
	v_fma_f32 v28, v56, v34, -v39
	v_add_f32_e32 v39, v33, v29
	v_mul_f32_e32 v29, v41, v35
	s_delay_alu instid0(VALU_DEP_3) | instskip(SKIP_2) | instid1(VALU_DEP_2)
	v_add_f32_e32 v33, v1, v28
	v_fma_f32 v1, v56, v36, -v30
	v_mul_f32_e32 v28, v42, v35
	v_dual_fmac_f32 v29, v42, v34 :: v_dual_add_f32 v30, v44, v1
	s_delay_alu instid0(VALU_DEP_2) | instskip(SKIP_2) | instid1(VALU_DEP_2)
	v_fma_f32 v1, v41, v34, -v28
	v_mul_f32_e32 v43, v56, v35
	v_mul_f32_e32 v35, v42, v37
	v_dual_add_f32 v28, v26, v1 :: v_dual_fmac_f32 v43, v57, v34
	s_delay_alu instid0(VALU_DEP_2) | instskip(NEXT) | instid1(VALU_DEP_2)
	v_fma_f32 v34, v41, v36, -v35
	v_add_f32_e32 v32, v38, v43
	v_add_f32_e32 v27, v31, v27
	v_mul_f32_e32 v31, v56, v37
	v_mul_f32_e32 v37, v41, v37
	s_delay_alu instid0(VALU_DEP_3) | instskip(NEXT) | instid1(VALU_DEP_3)
	v_add_f32_e32 v29, v27, v29
	v_fmac_f32_e32 v31, v57, v36
	s_delay_alu instid0(VALU_DEP_3) | instskip(SKIP_1) | instid1(VALU_DEP_3)
	v_fmac_f32_e32 v37, v42, v36
	v_add_f32_e32 v27, v40, v34
	v_add_f32_e32 v31, v47, v31
	s_delay_alu instid0(VALU_DEP_3)
	v_add_f32_e32 v26, v39, v37
	s_cbranch_scc0 .LBB388_19
.LBB388_11:                             ;   Parent Loop BB388_8 Depth=1
                                        ; =>  This Inner Loop Header: Depth=2
	s_wait_alu 0xfffe
	v_add_nc_u32_e32 v1, s14, v17
	s_delay_alu instid0(VALU_DEP_1) | instskip(SKIP_3) | instid1(SALU_CYCLE_1)
	v_cmp_le_i32_e32 vcc_lo, s5, v1
	s_or_b32 s15, s28, vcc_lo
	s_wait_alu 0xfffe
	s_and_saveexec_b32 s26, s15
	s_xor_b32 s15, exec_lo, s26
; %bb.12:                               ;   in Loop: Header=BB388_11 Depth=2
	v_mov_b32_e32 v1, v0
	ds_store_b64 v18, v[0:1]
; %bb.13:                               ;   in Loop: Header=BB388_11 Depth=2
	s_wait_alu 0xfffe
	s_and_not1_saveexec_b32 s15, s15
	s_cbranch_execz .LBB388_15
; %bb.14:                               ;   in Loop: Header=BB388_11 Depth=2
	flat_load_b64 v[34:35], v[12:13]
	s_wait_loadcnt_dscnt 0x0
	ds_store_b64 v18, v[34:35]
.LBB388_15:                             ;   in Loop: Header=BB388_11 Depth=2
	s_wait_alu 0xfffe
	s_or_b32 exec_lo, exec_lo, s15
	v_add_nc_u32_e32 v1, s14, v16
	s_delay_alu instid0(VALU_DEP_1) | instskip(SKIP_3) | instid1(SALU_CYCLE_1)
	v_cmp_le_i32_e32 vcc_lo, s5, v1
	s_or_b32 s15, vcc_lo, s29
	s_wait_alu 0xfffe
	s_and_saveexec_b32 s26, s15
	s_xor_b32 s15, exec_lo, s26
; %bb.16:                               ;   in Loop: Header=BB388_11 Depth=2
	v_mov_b32_e32 v1, v0
	ds_store_b64 v19, v[0:1]
; %bb.17:                               ;   in Loop: Header=BB388_11 Depth=2
	s_wait_alu 0xfffe
	s_and_not1_saveexec_b32 s15, s15
	s_cbranch_execz .LBB388_10
; %bb.18:                               ;   in Loop: Header=BB388_11 Depth=2
	flat_load_b64 v[34:35], v[14:15]
	s_wait_loadcnt_dscnt 0x0
	ds_store_b64 v19, v[34:35]
	s_branch .LBB388_10
.LBB388_19:                             ;   in Loop: Header=BB388_8 Depth=1
	s_wait_loadcnt 0x0
	v_add_co_u32 v1, vcc_lo, v10, s0
	s_wait_alu 0xfffd
	v_add_co_ci_u32_e64 v12, null, s1, v11, vcc_lo
	s_delay_alu instid0(VALU_DEP_2) | instskip(SKIP_1) | instid1(VALU_DEP_2)
	v_add_co_u32 v13, vcc_lo, v1, v2
	s_wait_alu 0xfffd
	v_add_co_ci_u32_e64 v14, null, v12, v3, vcc_lo
	s_and_saveexec_b32 s14, s30
	s_cbranch_execz .LBB388_24
; %bb.20:                               ;   in Loop: Header=BB388_8 Depth=1
	v_mul_f32_e32 v11, s6, v32
	v_mul_f32_e32 v10, s7, v32
	s_and_b32 vcc_lo, exec_lo, s25
	s_mov_b32 s15, -1
	s_delay_alu instid0(VALU_DEP_2) | instskip(NEXT) | instid1(VALU_DEP_2)
	v_fmac_f32_e32 v11, s7, v33
	v_fma_f32 v10, v33, s6, -v10
	s_wait_alu 0xfffe
	s_cbranch_vccz .LBB388_22
; %bb.21:                               ;   in Loop: Header=BB388_8 Depth=1
	v_add_co_u32 v32, vcc_lo, v13, v6
	s_wait_alu 0xfffd
	v_add_co_ci_u32_e64 v33, null, v14, v7, vcc_lo
	s_mov_b32 s15, 0
	flat_load_b64 v[34:35], v[32:33]
	s_wait_loadcnt_dscnt 0x0
	v_mul_f32_e32 v15, s21, v35
	v_mul_f32_e32 v35, s20, v35
	s_delay_alu instid0(VALU_DEP_2) | instskip(NEXT) | instid1(VALU_DEP_1)
	v_fma_f32 v15, v34, s20, -v15
	v_dual_fmac_f32 v35, s21, v34 :: v_dual_add_f32 v34, v10, v15
	s_delay_alu instid0(VALU_DEP_1)
	v_add_f32_e32 v35, v11, v35
	flat_store_b64 v[32:33], v[34:35]
.LBB388_22:                             ;   in Loop: Header=BB388_8 Depth=1
	s_wait_alu 0xfffe
	s_and_not1_b32 vcc_lo, exec_lo, s15
	s_wait_alu 0xfffe
	s_cbranch_vccnz .LBB388_24
; %bb.23:                               ;   in Loop: Header=BB388_8 Depth=1
	v_add_co_u32 v32, vcc_lo, v13, v6
	s_wait_alu 0xfffd
	v_add_co_ci_u32_e64 v33, null, v14, v7, vcc_lo
	flat_store_b64 v[32:33], v[10:11]
.LBB388_24:                             ;   in Loop: Header=BB388_8 Depth=1
	s_wait_alu 0xfffe
	s_or_b32 exec_lo, exec_lo, s14
	s_and_saveexec_b32 s14, s31
	s_cbranch_execz .LBB388_29
; %bb.25:                               ;   in Loop: Header=BB388_8 Depth=1
	v_mul_f32_e32 v11, s6, v31
	v_mul_f32_e32 v10, s7, v31
	s_and_not1_b32 vcc_lo, exec_lo, s25
	s_mov_b32 s15, -1
	s_delay_alu instid0(VALU_DEP_2) | instskip(NEXT) | instid1(VALU_DEP_2)
	v_fmac_f32_e32 v11, s7, v30
	v_fma_f32 v10, v30, s6, -v10
	s_wait_alu 0xfffe
	s_cbranch_vccnz .LBB388_27
; %bb.26:                               ;   in Loop: Header=BB388_8 Depth=1
	v_add_co_u32 v30, vcc_lo, v13, v8
	s_wait_alu 0xfffd
	v_add_co_ci_u32_e64 v31, null, v14, v9, vcc_lo
	s_mov_b32 s15, 0
	flat_load_b64 v[32:33], v[30:31]
	s_wait_loadcnt_dscnt 0x0
	v_mul_f32_e32 v15, s21, v33
	s_delay_alu instid0(VALU_DEP_1) | instskip(SKIP_1) | instid1(VALU_DEP_1)
	v_fma_f32 v15, v32, s20, -v15
	v_mul_f32_e32 v33, s20, v33
	v_dual_fmac_f32 v33, s21, v32 :: v_dual_add_f32 v32, v10, v15
	s_delay_alu instid0(VALU_DEP_1)
	v_add_f32_e32 v33, v11, v33
	flat_store_b64 v[30:31], v[32:33]
.LBB388_27:                             ;   in Loop: Header=BB388_8 Depth=1
	s_wait_alu 0xfffe
	s_and_not1_b32 vcc_lo, exec_lo, s15
	s_wait_alu 0xfffe
	s_cbranch_vccnz .LBB388_29
; %bb.28:                               ;   in Loop: Header=BB388_8 Depth=1
	v_add_co_u32 v13, vcc_lo, v13, v8
	s_wait_alu 0xfffd
	v_add_co_ci_u32_e64 v14, null, v14, v9, vcc_lo
	flat_store_b64 v[13:14], v[10:11]
.LBB388_29:                             ;   in Loop: Header=BB388_8 Depth=1
	s_wait_alu 0xfffe
	s_or_b32 exec_lo, exec_lo, s14
	v_add_co_u32 v1, vcc_lo, v1, v4
	s_wait_alu 0xfffd
	v_add_co_ci_u32_e64 v12, null, v12, v5, vcc_lo
	s_and_saveexec_b32 s14, s4
	s_cbranch_execz .LBB388_34
; %bb.30:                               ;   in Loop: Header=BB388_8 Depth=1
	v_mul_f32_e32 v11, s6, v29
	v_mul_f32_e32 v10, s7, v29
	s_and_not1_b32 vcc_lo, exec_lo, s25
	s_mov_b32 s15, -1
	s_delay_alu instid0(VALU_DEP_2) | instskip(NEXT) | instid1(VALU_DEP_2)
	v_fmac_f32_e32 v11, s7, v28
	v_fma_f32 v10, v28, s6, -v10
	s_wait_alu 0xfffe
	s_cbranch_vccnz .LBB388_32
; %bb.31:                               ;   in Loop: Header=BB388_8 Depth=1
	v_add_co_u32 v13, vcc_lo, v1, v6
	s_wait_alu 0xfffd
	v_add_co_ci_u32_e64 v14, null, v12, v7, vcc_lo
	s_mov_b32 s15, 0
	flat_load_b64 v[28:29], v[13:14]
	s_wait_loadcnt_dscnt 0x0
	v_mul_f32_e32 v15, s21, v29
	s_delay_alu instid0(VALU_DEP_1) | instskip(SKIP_1) | instid1(VALU_DEP_1)
	v_fma_f32 v15, v28, s20, -v15
	v_mul_f32_e32 v29, s20, v29
	v_dual_fmac_f32 v29, s21, v28 :: v_dual_add_f32 v28, v10, v15
	s_delay_alu instid0(VALU_DEP_1)
	v_add_f32_e32 v29, v11, v29
	flat_store_b64 v[13:14], v[28:29]
.LBB388_32:                             ;   in Loop: Header=BB388_8 Depth=1
	s_wait_alu 0xfffe
	s_and_not1_b32 vcc_lo, exec_lo, s15
	s_wait_alu 0xfffe
	s_cbranch_vccnz .LBB388_34
; %bb.33:                               ;   in Loop: Header=BB388_8 Depth=1
	v_add_co_u32 v13, vcc_lo, v1, v6
	s_wait_alu 0xfffd
	v_add_co_ci_u32_e64 v14, null, v12, v7, vcc_lo
	flat_store_b64 v[13:14], v[10:11]
.LBB388_34:                             ;   in Loop: Header=BB388_8 Depth=1
	s_wait_alu 0xfffe
	s_or_b32 exec_lo, exec_lo, s14
	s_and_saveexec_b32 s14, s18
	s_cbranch_execz .LBB388_7
; %bb.35:                               ;   in Loop: Header=BB388_8 Depth=1
	v_mul_f32_e32 v11, s6, v26
	v_mul_f32_e32 v10, s7, v26
	s_and_not1_b32 vcc_lo, exec_lo, s25
	s_mov_b32 s15, -1
	s_delay_alu instid0(VALU_DEP_2) | instskip(NEXT) | instid1(VALU_DEP_2)
	v_fmac_f32_e32 v11, s7, v27
	v_fma_f32 v10, v27, s6, -v10
	s_wait_alu 0xfffe
	s_cbranch_vccnz .LBB388_37
; %bb.36:                               ;   in Loop: Header=BB388_8 Depth=1
	v_add_co_u32 v13, vcc_lo, v1, v8
	s_wait_alu 0xfffd
	v_add_co_ci_u32_e64 v14, null, v12, v9, vcc_lo
	s_mov_b32 s15, 0
	flat_load_b64 v[26:27], v[13:14]
	s_wait_loadcnt_dscnt 0x0
	v_mul_f32_e32 v15, s21, v27
	v_mul_f32_e32 v27, s20, v27
	s_delay_alu instid0(VALU_DEP_2) | instskip(NEXT) | instid1(VALU_DEP_1)
	v_fma_f32 v15, v26, s20, -v15
	v_dual_fmac_f32 v27, s21, v26 :: v_dual_add_f32 v26, v10, v15
	s_delay_alu instid0(VALU_DEP_1)
	v_add_f32_e32 v27, v11, v27
	flat_store_b64 v[13:14], v[26:27]
.LBB388_37:                             ;   in Loop: Header=BB388_8 Depth=1
	s_wait_alu 0xfffe
	s_and_not1_b32 vcc_lo, exec_lo, s15
	s_wait_alu 0xfffe
	s_cbranch_vccnz .LBB388_7
; %bb.38:                               ;   in Loop: Header=BB388_8 Depth=1
	v_add_co_u32 v13, vcc_lo, v1, v8
	s_wait_alu 0xfffd
	v_add_co_ci_u32_e64 v14, null, v12, v9, vcc_lo
	flat_store_b64 v[13:14], v[10:11]
	s_branch .LBB388_7
.LBB388_39:
	s_endpgm
	.section	.rodata,"a",@progbits
	.p2align	6, 0x0
	.amdhsa_kernel _ZL29rocblas_internal_gemmt_kernelIiLi16ELi32ELi8ELc78ELc84ELc76ELb0ELb0E19rocblas_complex_numIfES1_PKPKS1_PKPS1_EviT_T9_T10_S9_lSB_S9_lSA_T11_S9_li
		.amdhsa_group_segment_fixed_size 4096
		.amdhsa_private_segment_fixed_size 0
		.amdhsa_kernarg_size 100
		.amdhsa_user_sgpr_count 2
		.amdhsa_user_sgpr_dispatch_ptr 0
		.amdhsa_user_sgpr_queue_ptr 0
		.amdhsa_user_sgpr_kernarg_segment_ptr 1
		.amdhsa_user_sgpr_dispatch_id 0
		.amdhsa_user_sgpr_private_segment_size 0
		.amdhsa_wavefront_size32 1
		.amdhsa_uses_dynamic_stack 0
		.amdhsa_enable_private_segment 0
		.amdhsa_system_sgpr_workgroup_id_x 1
		.amdhsa_system_sgpr_workgroup_id_y 1
		.amdhsa_system_sgpr_workgroup_id_z 1
		.amdhsa_system_sgpr_workgroup_info 0
		.amdhsa_system_vgpr_workitem_id 1
		.amdhsa_next_free_vgpr 71
		.amdhsa_next_free_sgpr 38
		.amdhsa_reserve_vcc 1
		.amdhsa_float_round_mode_32 0
		.amdhsa_float_round_mode_16_64 0
		.amdhsa_float_denorm_mode_32 3
		.amdhsa_float_denorm_mode_16_64 3
		.amdhsa_fp16_overflow 0
		.amdhsa_workgroup_processor_mode 1
		.amdhsa_memory_ordered 1
		.amdhsa_forward_progress 1
		.amdhsa_inst_pref_size 25
		.amdhsa_round_robin_scheduling 0
		.amdhsa_exception_fp_ieee_invalid_op 0
		.amdhsa_exception_fp_denorm_src 0
		.amdhsa_exception_fp_ieee_div_zero 0
		.amdhsa_exception_fp_ieee_overflow 0
		.amdhsa_exception_fp_ieee_underflow 0
		.amdhsa_exception_fp_ieee_inexact 0
		.amdhsa_exception_int_div_zero 0
	.end_amdhsa_kernel
	.section	.text._ZL29rocblas_internal_gemmt_kernelIiLi16ELi32ELi8ELc78ELc84ELc76ELb0ELb0E19rocblas_complex_numIfES1_PKPKS1_PKPS1_EviT_T9_T10_S9_lSB_S9_lSA_T11_S9_li,"axG",@progbits,_ZL29rocblas_internal_gemmt_kernelIiLi16ELi32ELi8ELc78ELc84ELc76ELb0ELb0E19rocblas_complex_numIfES1_PKPKS1_PKPS1_EviT_T9_T10_S9_lSB_S9_lSA_T11_S9_li,comdat
.Lfunc_end388:
	.size	_ZL29rocblas_internal_gemmt_kernelIiLi16ELi32ELi8ELc78ELc84ELc76ELb0ELb0E19rocblas_complex_numIfES1_PKPKS1_PKPS1_EviT_T9_T10_S9_lSB_S9_lSA_T11_S9_li, .Lfunc_end388-_ZL29rocblas_internal_gemmt_kernelIiLi16ELi32ELi8ELc78ELc84ELc76ELb0ELb0E19rocblas_complex_numIfES1_PKPKS1_PKPS1_EviT_T9_T10_S9_lSB_S9_lSA_T11_S9_li
                                        ; -- End function
	.set _ZL29rocblas_internal_gemmt_kernelIiLi16ELi32ELi8ELc78ELc84ELc76ELb0ELb0E19rocblas_complex_numIfES1_PKPKS1_PKPS1_EviT_T9_T10_S9_lSB_S9_lSA_T11_S9_li.num_vgpr, 71
	.set _ZL29rocblas_internal_gemmt_kernelIiLi16ELi32ELi8ELc78ELc84ELc76ELb0ELb0E19rocblas_complex_numIfES1_PKPKS1_PKPS1_EviT_T9_T10_S9_lSB_S9_lSA_T11_S9_li.num_agpr, 0
	.set _ZL29rocblas_internal_gemmt_kernelIiLi16ELi32ELi8ELc78ELc84ELc76ELb0ELb0E19rocblas_complex_numIfES1_PKPKS1_PKPS1_EviT_T9_T10_S9_lSB_S9_lSA_T11_S9_li.numbered_sgpr, 38
	.set _ZL29rocblas_internal_gemmt_kernelIiLi16ELi32ELi8ELc78ELc84ELc76ELb0ELb0E19rocblas_complex_numIfES1_PKPKS1_PKPS1_EviT_T9_T10_S9_lSB_S9_lSA_T11_S9_li.num_named_barrier, 0
	.set _ZL29rocblas_internal_gemmt_kernelIiLi16ELi32ELi8ELc78ELc84ELc76ELb0ELb0E19rocblas_complex_numIfES1_PKPKS1_PKPS1_EviT_T9_T10_S9_lSB_S9_lSA_T11_S9_li.private_seg_size, 0
	.set _ZL29rocblas_internal_gemmt_kernelIiLi16ELi32ELi8ELc78ELc84ELc76ELb0ELb0E19rocblas_complex_numIfES1_PKPKS1_PKPS1_EviT_T9_T10_S9_lSB_S9_lSA_T11_S9_li.uses_vcc, 1
	.set _ZL29rocblas_internal_gemmt_kernelIiLi16ELi32ELi8ELc78ELc84ELc76ELb0ELb0E19rocblas_complex_numIfES1_PKPKS1_PKPS1_EviT_T9_T10_S9_lSB_S9_lSA_T11_S9_li.uses_flat_scratch, 0
	.set _ZL29rocblas_internal_gemmt_kernelIiLi16ELi32ELi8ELc78ELc84ELc76ELb0ELb0E19rocblas_complex_numIfES1_PKPKS1_PKPS1_EviT_T9_T10_S9_lSB_S9_lSA_T11_S9_li.has_dyn_sized_stack, 0
	.set _ZL29rocblas_internal_gemmt_kernelIiLi16ELi32ELi8ELc78ELc84ELc76ELb0ELb0E19rocblas_complex_numIfES1_PKPKS1_PKPS1_EviT_T9_T10_S9_lSB_S9_lSA_T11_S9_li.has_recursion, 0
	.set _ZL29rocblas_internal_gemmt_kernelIiLi16ELi32ELi8ELc78ELc84ELc76ELb0ELb0E19rocblas_complex_numIfES1_PKPKS1_PKPS1_EviT_T9_T10_S9_lSB_S9_lSA_T11_S9_li.has_indirect_call, 0
	.section	.AMDGPU.csdata,"",@progbits
; Kernel info:
; codeLenInByte = 3196
; TotalNumSgprs: 40
; NumVgprs: 71
; ScratchSize: 0
; MemoryBound: 1
; FloatMode: 240
; IeeeMode: 1
; LDSByteSize: 4096 bytes/workgroup (compile time only)
; SGPRBlocks: 0
; VGPRBlocks: 8
; NumSGPRsForWavesPerEU: 40
; NumVGPRsForWavesPerEU: 71
; Occupancy: 16
; WaveLimiterHint : 1
; COMPUTE_PGM_RSRC2:SCRATCH_EN: 0
; COMPUTE_PGM_RSRC2:USER_SGPR: 2
; COMPUTE_PGM_RSRC2:TRAP_HANDLER: 0
; COMPUTE_PGM_RSRC2:TGID_X_EN: 1
; COMPUTE_PGM_RSRC2:TGID_Y_EN: 1
; COMPUTE_PGM_RSRC2:TGID_Z_EN: 1
; COMPUTE_PGM_RSRC2:TIDIG_COMP_CNT: 1
	.section	.text._ZL29rocblas_internal_gemmt_kernelIiLi16ELi32ELi8ELc78ELc67ELc76ELb0ELb1E19rocblas_complex_numIfES1_PKPKS1_PKPS1_EviT_T9_T10_S9_lSB_S9_lSA_T11_S9_li,"axG",@progbits,_ZL29rocblas_internal_gemmt_kernelIiLi16ELi32ELi8ELc78ELc67ELc76ELb0ELb1E19rocblas_complex_numIfES1_PKPKS1_PKPS1_EviT_T9_T10_S9_lSB_S9_lSA_T11_S9_li,comdat
	.globl	_ZL29rocblas_internal_gemmt_kernelIiLi16ELi32ELi8ELc78ELc67ELc76ELb0ELb1E19rocblas_complex_numIfES1_PKPKS1_PKPS1_EviT_T9_T10_S9_lSB_S9_lSA_T11_S9_li ; -- Begin function _ZL29rocblas_internal_gemmt_kernelIiLi16ELi32ELi8ELc78ELc67ELc76ELb0ELb1E19rocblas_complex_numIfES1_PKPKS1_PKPS1_EviT_T9_T10_S9_lSB_S9_lSA_T11_S9_li
	.p2align	8
	.type	_ZL29rocblas_internal_gemmt_kernelIiLi16ELi32ELi8ELc78ELc67ELc76ELb0ELb1E19rocblas_complex_numIfES1_PKPKS1_PKPS1_EviT_T9_T10_S9_lSB_S9_lSA_T11_S9_li,@function
_ZL29rocblas_internal_gemmt_kernelIiLi16ELi32ELi8ELc78ELc67ELc76ELb0ELb1E19rocblas_complex_numIfES1_PKPKS1_PKPS1_EviT_T9_T10_S9_lSB_S9_lSA_T11_S9_li: ; @_ZL29rocblas_internal_gemmt_kernelIiLi16ELi32ELi8ELc78ELc67ELc76ELb0ELb1E19rocblas_complex_numIfES1_PKPKS1_PKPS1_EviT_T9_T10_S9_lSB_S9_lSA_T11_S9_li
; %bb.0:
	s_clause 0x1
	s_load_b64 s[20:21], s[0:1], 0x40
	s_load_b128 s[4:7], s[0:1], 0x0
	s_wait_kmcnt 0x0
	s_cmp_eq_f32 s20, 1.0
	s_cselect_b32 s3, -1, 0
	s_and_b32 s2, s21, 0x7fffffff
	s_delay_alu instid0(SALU_CYCLE_1) | instskip(SKIP_1) | instid1(SALU_CYCLE_1)
	s_cmp_eq_u32 s2, 0
	s_cselect_b32 s2, -1, 0
	s_and_b32 s8, s3, s2
	s_mov_b32 s3, 0
	s_and_not1_b32 vcc_lo, exec_lo, s8
	s_mov_b32 s8, -1
	s_cbranch_vccnz .LBB389_4
; %bb.1:
	s_cmp_lg_u32 s5, 0
	s_cbranch_scc0 .LBB389_3
; %bb.2:
	s_cmp_neq_f32 s6, 0
	s_cselect_b32 s3, -1, 0
	s_cmp_neq_f32 s7, 0
	s_cselect_b32 s8, -1, 0
	s_delay_alu instid0(SALU_CYCLE_1)
	s_or_b32 s3, s3, s8
.LBB389_3:
	s_delay_alu instid0(SALU_CYCLE_1)
	s_mov_b32 s8, s3
.LBB389_4:
	s_delay_alu instid0(SALU_CYCLE_1)
	s_and_b32 vcc_lo, exec_lo, s8
	s_cbranch_vccz .LBB389_39
; %bb.5:
	s_load_b32 s19, s[0:1], 0x60
	s_lshr_b32 s22, ttmp7, 16
	s_wait_kmcnt 0x0
	s_cmp_ge_u32 s22, s19
	s_cbranch_scc1 .LBB389_39
; %bb.6:
	s_clause 0x1
	s_load_b96 s[12:14], s[0:1], 0x10
	s_load_b32 s24, s[0:1], 0x30
	v_and_b32_e32 v1, 0x3ff, v0
	v_bfe_u32 v2, v0, 10, 10
	s_clause 0x3
	s_load_b128 s[8:11], s[0:1], 0x20
	s_load_b64 s[28:29], s[0:1], 0x38
	s_load_b96 s[16:18], s[0:1], 0x48
	s_load_b64 s[26:27], s[0:1], 0x58
	s_lshl_b32 s0, ttmp7, 5
	s_lshl_b32 s1, ttmp9, 5
	s_and_b32 s3, s0, 0x1fffe0
	v_and_b32_e32 v16, 7, v0
	v_lshl_add_u32 v0, v2, 4, v1
	v_add_nc_u32_e32 v6, s1, v1
	v_lshlrev_b32_e32 v20, 3, v1
	v_add_nc_u32_e32 v1, s3, v2
	v_lshlrev_b32_e32 v3, 3, v16
	v_and_b32_e32 v4, 31, v0
	v_lshrrev_b32_e32 v5, 3, v0
	v_lshrrev_b32_e32 v17, 5, v0
	v_add_nc_u32_e32 v8, 16, v6
	v_lshl_add_u32 v21, v2, 6, 0x800
	v_or_b32_e32 v0, s1, v4
	s_wait_kmcnt 0x0
	s_ashr_i32 s35, s14, 31
	s_ashr_i32 s25, s24, 31
	s_cmp_neq_f32 s6, 0
	v_lshlrev_b32_e32 v4, 3, v4
	v_add_nc_u32_e32 v14, s3, v5
	v_lshl_or_b32 v3, v5, 6, v3
	s_cselect_b32 s0, -1, 0
	s_cmp_neq_f32 s7, 0
	v_lshl_or_b32 v18, v17, 8, v4
	v_mad_co_i64_i32 v[4:5], null, v17, s14, 0
	s_cselect_b32 s15, -1, 0
	v_cmp_gt_i32_e32 vcc_lo, s4, v0
	s_wait_alu 0xfffe
	s_or_b32 s15, s0, s15
	s_cmp_gt_i32 s5, 0
	v_cmp_gt_i32_e64 s0, s4, v14
	s_cselect_b32 s33, -1, 0
	s_cmp_neq_f32 s20, 0
	v_add_nc_u32_e32 v19, 0x800, v3
	v_cmp_le_i32_e64 s1, v1, v6
	v_cmp_le_i32_e64 s3, v1, v8
	s_cselect_b32 s36, -1, 0
	s_xor_b32 s37, s2, -1
	v_cmp_gt_i32_e64 s2, s4, v6
	v_cmp_gt_i32_e64 s4, s4, v8
	v_mad_co_i64_i32 v[2:3], null, v1, s18, 0
	v_add_nc_u32_e32 v1, 16, v1
	v_mad_co_i64_i32 v[10:11], null, s24, v16, 0
	s_and_b32 s30, s1, s2
	s_and_b32 s31, s3, s4
	v_cmp_le_i32_e64 s1, v1, v6
	v_cmp_le_i32_e64 s3, v1, v8
	v_lshlrev_b64_e32 v[4:5], 3, v[4:5]
	v_mad_co_i64_i32 v[12:13], null, v1, s18, 0
	v_ashrrev_i32_e32 v1, 31, v0
	s_and_b32 s18, s1, s2
	s_and_b32 s4, s3, s4
	s_lshl_b64 s[2:3], s[8:9], 3
	v_lshlrev_b64_e32 v[10:11], 3, v[10:11]
	s_wait_alu 0xfffe
	v_add_co_u32 v4, s1, v4, s2
	v_lshlrev_b64_e32 v[0:1], 3, v[0:1]
	s_wait_alu 0xf1ff
	v_add_co_ci_u32_e64 v5, null, s3, v5, s1
	s_lshl_b64 s[2:3], s[28:29], 3
	v_lshlrev_b32_e32 v14, 3, v14
	s_wait_alu 0xfffe
	v_add_co_u32 v10, s1, v10, s2
	v_add_co_u32 v22, s2, v4, v0
	v_ashrrev_i32_e32 v7, 31, v6
	v_ashrrev_i32_e32 v9, 31, v8
	s_wait_alu 0xf1ff
	v_add_co_ci_u32_e64 v23, null, v5, v1, s2
	v_add_co_ci_u32_e64 v1, null, s3, v11, s1
	v_add_co_u32 v4, s1, v10, v14
	v_lshlrev_b64_e32 v[2:3], 3, v[2:3]
	v_lshlrev_b64_e32 v[6:7], 3, v[6:7]
	;; [unrolled: 1-line block ×3, first 2 shown]
	s_delay_alu instid0(VALU_DEP_4)
	v_or_b32_e32 v25, 4, v4
	v_lshlrev_b64_e32 v[4:5], 3, v[12:13]
	v_mov_b32_e32 v0, 0
	s_wait_alu 0xf1ff
	v_add_co_ci_u32_e64 v24, null, 0, v1, s1
	s_mov_b32 s34, s14
	s_mov_b32 s23, 0
	s_lshl_b64 s[2:3], s[34:35], 6
	s_lshl_b64 s[8:9], s[24:25], 6
	s_and_b32 s24, s15, s33
	s_or_b32 s25, s36, s37
	s_xor_b32 s28, vcc_lo, -1
	s_xor_b32 s29, s0, -1
	s_lshl_b64 s[0:1], s[26:27], 3
	s_branch .LBB389_8
.LBB389_7:                              ;   in Loop: Header=BB389_8 Depth=1
	s_wait_alu 0xfffe
	s_or_b32 exec_lo, exec_lo, s14
	s_add_co_i32 s22, s22, 0x10000
	s_delay_alu instid0(SALU_CYCLE_1)
	s_cmp_lt_u32 s22, s19
	s_cbranch_scc0 .LBB389_39
.LBB389_8:                              ; =>This Loop Header: Depth=1
                                        ;     Child Loop BB389_11 Depth 2
	s_lshl_b64 s[14:15], s[22:23], 3
	v_dual_mov_b32 v33, v0 :: v_dual_mov_b32 v32, v0
	s_wait_alu 0xfffe
	s_add_nc_u64 s[26:27], s[16:17], s[14:15]
	v_dual_mov_b32 v30, v0 :: v_dual_mov_b32 v31, v0
	global_load_b64 v[10:11], v0, s[26:27]
	v_dual_mov_b32 v28, v0 :: v_dual_mov_b32 v29, v0
	v_dual_mov_b32 v27, v0 :: v_dual_mov_b32 v26, v0
	s_and_not1_b32 vcc_lo, exec_lo, s24
	s_wait_alu 0xfffe
	s_cbranch_vccnz .LBB389_19
; %bb.9:                                ;   in Loop: Header=BB389_8 Depth=1
	s_add_nc_u64 s[26:27], s[12:13], s[14:15]
	s_add_nc_u64 s[14:15], s[10:11], s[14:15]
	s_clause 0x1
	global_load_b64 v[12:13], v0, s[26:27]
	global_load_b64 v[14:15], v0, s[14:15]
	v_dual_mov_b32 v26, 0 :: v_dual_mov_b32 v27, 0
	v_dual_mov_b32 v29, 0 :: v_dual_mov_b32 v28, 0
	;; [unrolled: 1-line block ×4, first 2 shown]
	s_mov_b32 s14, 0
	s_wait_loadcnt 0x1
	v_add_co_u32 v12, vcc_lo, v12, v22
	s_wait_alu 0xfffd
	v_add_co_ci_u32_e64 v13, null, v13, v23, vcc_lo
	s_wait_loadcnt 0x0
	v_add_co_u32 v14, vcc_lo, v14, v25
	s_wait_alu 0xfffd
	v_add_co_ci_u32_e64 v15, null, v15, v24, vcc_lo
	s_branch .LBB389_11
.LBB389_10:                             ;   in Loop: Header=BB389_11 Depth=2
	s_or_b32 exec_lo, exec_lo, s15
	ds_store_b32 v19, v1 offset:4
	s_wait_dscnt 0x0
	s_barrier_signal -1
	s_barrier_wait -1
	global_inv scope:SCOPE_SE
	ds_load_b128 v[34:37], v21
	ds_load_2addr_b64 v[38:41], v20 offset1:16
	ds_load_b128 v[42:45], v21 offset:1024
	ds_load_b128 v[46:49], v21 offset:16
	;; [unrolled: 1-line block ×4, first 2 shown]
	ds_load_2addr_b64 v[58:61], v20 offset0:32 offset1:48
	ds_load_b128 v[62:65], v21 offset:1040
	v_add_co_u32 v12, vcc_lo, v12, s2
	s_wait_alu 0xfffd
	v_add_co_ci_u32_e64 v13, null, s3, v13, vcc_lo
	v_add_co_u32 v14, vcc_lo, v14, s8
	s_wait_alu 0xfffd
	v_add_co_ci_u32_e64 v15, null, s9, v15, vcc_lo
	s_add_co_i32 s14, s14, 8
	s_wait_alu 0xfffe
	s_cmp_lt_i32 s14, s5
	s_wait_dscnt 0x6
	v_dual_mul_f32 v1, v35, v39 :: v_dual_mul_f32 v68, v34, v41
	v_dual_mul_f32 v66, v34, v39 :: v_dual_mul_f32 v67, v35, v41
	s_wait_dscnt 0x5
	v_mul_f32_e32 v70, v43, v41
	s_delay_alu instid0(VALU_DEP_3) | instskip(SKIP_3) | instid1(VALU_DEP_4)
	v_fma_f32 v1, v34, v38, -v1
	v_dual_mul_f32 v41, v42, v41 :: v_dual_fmac_f32 v68, v35, v40
	v_fmac_f32_e32 v66, v35, v38
	v_fma_f32 v34, v34, v40, -v67
	v_add_f32_e32 v1, v33, v1
	v_mul_f32_e32 v69, v43, v39
	s_delay_alu instid0(VALU_DEP_4) | instskip(NEXT) | instid1(VALU_DEP_4)
	v_dual_mul_f32 v39, v42, v39 :: v_dual_add_f32 v32, v32, v66
	v_add_f32_e32 v33, v30, v34
	v_fma_f32 v30, v42, v40, -v70
	s_delay_alu instid0(VALU_DEP_4) | instskip(NEXT) | instid1(VALU_DEP_4)
	v_fma_f32 v35, v42, v38, -v69
	v_fmac_f32_e32 v39, v43, v38
	s_wait_dscnt 0x1
	v_dual_add_f32 v31, v31, v68 :: v_dual_mul_f32 v38, v37, v59
	v_dual_fmac_f32 v41, v43, v40 :: v_dual_mul_f32 v42, v37, v61
	v_add_f32_e32 v34, v28, v35
	v_add_f32_e32 v35, v29, v39
	v_dual_add_f32 v39, v27, v30 :: v_dual_mul_f32 v40, v36, v59
	ds_load_2addr_b64 v[27:30], v20 offset0:64 offset1:80
	v_fma_f32 v38, v36, v58, -v38
	v_add_f32_e32 v26, v26, v41
	v_dual_mul_f32 v41, v36, v61 :: v_dual_fmac_f32 v40, v37, v58
	v_fma_f32 v36, v36, v60, -v42
	s_delay_alu instid0(VALU_DEP_4) | instskip(SKIP_1) | instid1(VALU_DEP_4)
	v_add_f32_e32 v1, v1, v38
	v_mul_f32_e32 v38, v45, v59
	v_fmac_f32_e32 v41, v37, v60
	v_add_f32_e32 v40, v32, v40
	v_mul_f32_e32 v32, v44, v59
	v_add_f32_e32 v36, v33, v36
	v_fma_f32 v33, v44, v58, -v38
	v_mul_f32_e32 v37, v45, v61
	v_add_f32_e32 v38, v31, v41
	v_dual_mul_f32 v41, v44, v61 :: v_dual_fmac_f32 v32, v45, v58
	s_delay_alu instid0(VALU_DEP_4) | instskip(NEXT) | instid1(VALU_DEP_4)
	v_add_f32_e32 v42, v34, v33
	v_fma_f32 v31, v44, v60, -v37
	s_wait_dscnt 0x0
	v_mul_f32_e32 v33, v47, v28
	v_fmac_f32_e32 v41, v45, v60
	v_add_f32_e32 v35, v35, v32
	v_add_f32_e32 v39, v39, v31
	v_mul_f32_e32 v44, v47, v30
	v_fma_f32 v43, v46, v27, -v33
	ds_load_2addr_b64 v[31:34], v20 offset0:96 offset1:112
	v_add_f32_e32 v41, v26, v41
	v_mul_f32_e32 v26, v46, v30
	v_mul_f32_e32 v37, v46, v28
	v_add_f32_e32 v1, v1, v43
	v_fma_f32 v43, v46, v29, -v44
	s_delay_alu instid0(VALU_DEP_4) | instskip(NEXT) | instid1(VALU_DEP_4)
	v_fmac_f32_e32 v26, v47, v29
	v_fmac_f32_e32 v37, v47, v27
	s_delay_alu instid0(VALU_DEP_3) | instskip(NEXT) | instid1(VALU_DEP_2)
	v_dual_add_f32 v36, v36, v43 :: v_dual_mul_f32 v43, v63, v30
	v_dual_mul_f32 v30, v62, v30 :: v_dual_add_f32 v37, v40, v37
	v_mul_f32_e32 v40, v63, v28
	v_mul_f32_e32 v28, v62, v28
	v_add_f32_e32 v44, v38, v26
	v_fma_f32 v26, v62, v29, -v43
	s_delay_alu instid0(VALU_DEP_4) | instskip(SKIP_2) | instid1(VALU_DEP_3)
	v_fma_f32 v40, v62, v27, -v40
	s_wait_dscnt 0x0
	v_dual_fmac_f32 v28, v63, v27 :: v_dual_mul_f32 v43, v49, v34
	v_add_f32_e32 v39, v39, v26
	s_delay_alu instid0(VALU_DEP_3) | instskip(NEXT) | instid1(VALU_DEP_3)
	v_dual_mul_f32 v47, v65, v34 :: v_dual_add_f32 v40, v42, v40
	v_add_f32_e32 v42, v35, v28
	v_mul_f32_e32 v35, v49, v32
	v_fma_f32 v43, v48, v33, -v43
	s_delay_alu instid0(VALU_DEP_2)
	v_fma_f32 v35, v48, v31, -v35
	v_fmac_f32_e32 v30, v63, v29
	ds_load_2addr_b64 v[26:29], v20 offset0:128 offset1:144
	v_add_f32_e32 v43, v36, v43
	v_dual_add_f32 v1, v1, v35 :: v_dual_mul_f32 v38, v48, v32
	v_add_f32_e32 v41, v41, v30
	v_dual_mul_f32 v30, v48, v34 :: v_dual_mul_f32 v35, v65, v32
	v_mul_f32_e32 v32, v64, v32
	v_mul_f32_e32 v34, v64, v34
	s_delay_alu instid0(VALU_DEP_3) | instskip(NEXT) | instid1(VALU_DEP_4)
	v_fmac_f32_e32 v30, v49, v33
	v_fma_f32 v46, v64, v31, -v35
	s_delay_alu instid0(VALU_DEP_4) | instskip(SKIP_1) | instid1(VALU_DEP_4)
	v_fmac_f32_e32 v32, v65, v31
	v_fmac_f32_e32 v38, v49, v31
	v_add_f32_e32 v44, v44, v30
	v_fma_f32 v30, v64, v33, -v47
	s_wait_dscnt 0x0
	v_mul_f32_e32 v49, v50, v27
	v_dual_mul_f32 v31, v51, v27 :: v_dual_mul_f32 v58, v50, v29
	s_delay_alu instid0(VALU_DEP_2)
	v_fmac_f32_e32 v49, v51, v26
	v_add_f32_e32 v47, v42, v32
	v_add_f32_e32 v45, v37, v38
	ds_load_b128 v[35:38], v21 offset:1056
	v_fmac_f32_e32 v34, v65, v33
	v_add_f32_e32 v48, v39, v30
	v_fma_f32 v39, v50, v26, -v31
	v_add_f32_e32 v46, v40, v46
	ds_load_2addr_b64 v[30:33], v20 offset0:160 offset1:176
	v_mul_f32_e32 v40, v51, v29
	v_add_f32_e32 v34, v41, v34
	v_add_f32_e32 v1, v1, v39
	;; [unrolled: 1-line block ×3, first 2 shown]
	s_delay_alu instid0(VALU_DEP_4)
	v_fma_f32 v50, v50, v28, -v40
	ds_load_b128 v[39:42], v21 offset:1072
	v_add_f32_e32 v43, v43, v50
	s_wait_dscnt 0x2
	v_mul_f32_e32 v59, v36, v27
	v_mul_f32_e32 v27, v35, v27
	v_fmac_f32_e32 v58, v51, v28
	v_mul_f32_e32 v50, v36, v29
	v_mul_f32_e32 v51, v35, v29
	v_fma_f32 v49, v35, v26, -v59
	v_fmac_f32_e32 v27, v36, v26
	s_wait_dscnt 0x1
	v_dual_add_f32 v44, v44, v58 :: v_dual_mul_f32 v29, v53, v31
	v_fma_f32 v26, v35, v28, -v50
	v_fmac_f32_e32 v51, v36, v28
	v_mul_f32_e32 v36, v52, v31
	v_dual_add_f32 v46, v46, v49 :: v_dual_add_f32 v35, v47, v27
	v_mul_f32_e32 v49, v53, v33
	s_delay_alu instid0(VALU_DEP_3)
	v_fmac_f32_e32 v36, v53, v30
	v_dual_add_f32 v47, v48, v26 :: v_dual_add_f32 v50, v34, v51
	v_fma_f32 v48, v52, v30, -v29
	ds_load_2addr_b64 v[26:29], v20 offset0:192 offset1:208
	v_dual_mul_f32 v34, v52, v33 :: v_dual_add_f32 v45, v45, v36
	v_dual_mul_f32 v36, v38, v31 :: v_dual_add_f32 v1, v1, v48
	v_fma_f32 v48, v52, v32, -v49
	v_mul_f32_e32 v31, v37, v31
	s_delay_alu instid0(VALU_DEP_3) | instskip(NEXT) | instid1(VALU_DEP_3)
	v_fma_f32 v36, v37, v30, -v36
	v_dual_add_f32 v43, v43, v48 :: v_dual_mul_f32 v48, v38, v33
	s_delay_alu instid0(VALU_DEP_3) | instskip(NEXT) | instid1(VALU_DEP_1)
	v_dual_fmac_f32 v34, v53, v32 :: v_dual_fmac_f32 v31, v38, v30
	v_dual_mul_f32 v33, v37, v33 :: v_dual_add_f32 v30, v44, v34
	s_delay_alu instid0(VALU_DEP_3) | instskip(NEXT) | instid1(VALU_DEP_3)
	v_fma_f32 v34, v37, v32, -v48
	v_dual_add_f32 v44, v46, v36 :: v_dual_add_f32 v31, v35, v31
	s_wait_dscnt 0x0
	v_mul_f32_e32 v48, v54, v29
	v_dual_mul_f32 v46, v55, v27 :: v_dual_fmac_f32 v33, v38, v32
	v_add_f32_e32 v32, v47, v34
	ds_load_2addr_b64 v[34:37], v20 offset0:224 offset1:240
	v_dual_mul_f32 v38, v54, v27 :: v_dual_mul_f32 v47, v55, v29
	v_fma_f32 v46, v54, v26, -v46
	v_dual_fmac_f32 v48, v55, v28 :: v_dual_add_f32 v33, v50, v33
	s_delay_alu instid0(VALU_DEP_3) | instskip(NEXT) | instid1(VALU_DEP_4)
	v_fmac_f32_e32 v38, v55, v26
	v_fma_f32 v47, v54, v28, -v47
	s_delay_alu instid0(VALU_DEP_4) | instskip(SKIP_2) | instid1(VALU_DEP_3)
	v_dual_add_f32 v1, v1, v46 :: v_dual_mul_f32 v46, v40, v27
	v_mul_f32_e32 v27, v39, v27
	s_wait_loadcnt_dscnt 0x0
	v_add_f32_e32 v43, v43, v47
	v_dual_add_f32 v47, v30, v48 :: v_dual_add_f32 v38, v45, v38
	v_fma_f32 v45, v39, v26, -v46
	v_mul_f32_e32 v46, v40, v29
	v_fmac_f32_e32 v27, v40, v26
	v_mul_f32_e32 v29, v39, v29
	s_barrier_signal -1
	v_add_f32_e32 v26, v44, v45
	v_fma_f32 v30, v39, v28, -v46
	v_mul_f32_e32 v39, v57, v35
	v_mul_f32_e32 v44, v56, v35
	v_fmac_f32_e32 v29, v40, v28
	s_delay_alu instid0(VALU_DEP_4) | instskip(NEXT) | instid1(VALU_DEP_4)
	v_dual_add_f32 v27, v31, v27 :: v_dual_add_f32 v40, v32, v30
	v_fma_f32 v28, v56, v34, -v39
	s_delay_alu instid0(VALU_DEP_4) | instskip(NEXT) | instid1(VALU_DEP_4)
	v_fmac_f32_e32 v44, v57, v34
	v_add_f32_e32 v39, v33, v29
	v_mul_f32_e32 v31, v56, v37
	s_barrier_wait -1
	v_dual_add_f32 v33, v1, v28 :: v_dual_mul_f32 v28, v42, v35
	v_mul_f32_e32 v29, v41, v35
	v_mul_f32_e32 v30, v57, v37
	;; [unrolled: 1-line block ×3, first 2 shown]
	v_dual_mul_f32 v37, v41, v37 :: v_dual_add_f32 v32, v38, v44
	s_delay_alu instid0(VALU_DEP_4) | instskip(NEXT) | instid1(VALU_DEP_4)
	v_fmac_f32_e32 v29, v42, v34
	v_fma_f32 v1, v56, v36, -v30
	global_inv scope:SCOPE_SE
	v_fmac_f32_e32 v37, v42, v36
	v_add_f32_e32 v29, v27, v29
	v_add_f32_e32 v30, v43, v1
	v_fma_f32 v1, v41, v34, -v28
	v_fmac_f32_e32 v31, v57, v36
	v_fma_f32 v34, v41, v36, -v35
	s_delay_alu instid0(VALU_DEP_2) | instskip(NEXT) | instid1(VALU_DEP_2)
	v_dual_add_f32 v28, v26, v1 :: v_dual_add_f32 v31, v47, v31
	v_dual_add_f32 v27, v40, v34 :: v_dual_add_f32 v26, v39, v37
	s_cbranch_scc0 .LBB389_19
.LBB389_11:                             ;   Parent Loop BB389_8 Depth=1
                                        ; =>  This Inner Loop Header: Depth=2
	s_wait_alu 0xfffe
	v_add_nc_u32_e32 v1, s14, v17
	s_delay_alu instid0(VALU_DEP_1) | instskip(SKIP_3) | instid1(SALU_CYCLE_1)
	v_cmp_le_i32_e32 vcc_lo, s5, v1
	s_or_b32 s15, s28, vcc_lo
	s_wait_alu 0xfffe
	s_and_saveexec_b32 s26, s15
	s_xor_b32 s15, exec_lo, s26
; %bb.12:                               ;   in Loop: Header=BB389_11 Depth=2
	v_mov_b32_e32 v1, v0
	ds_store_b64 v18, v[0:1]
; %bb.13:                               ;   in Loop: Header=BB389_11 Depth=2
	s_wait_alu 0xfffe
	s_and_not1_saveexec_b32 s15, s15
	s_cbranch_execz .LBB389_15
; %bb.14:                               ;   in Loop: Header=BB389_11 Depth=2
	flat_load_b64 v[34:35], v[12:13]
	s_wait_loadcnt_dscnt 0x0
	ds_store_b64 v18, v[34:35]
.LBB389_15:                             ;   in Loop: Header=BB389_11 Depth=2
	s_wait_alu 0xfffe
	s_or_b32 exec_lo, exec_lo, s15
	v_add_nc_u32_e32 v1, s14, v16
	s_delay_alu instid0(VALU_DEP_1) | instskip(SKIP_3) | instid1(SALU_CYCLE_1)
	v_cmp_le_i32_e32 vcc_lo, s5, v1
	s_or_b32 s15, vcc_lo, s29
	s_wait_alu 0xfffe
	s_and_saveexec_b32 s26, s15
	s_xor_b32 s15, exec_lo, s26
; %bb.16:                               ;   in Loop: Header=BB389_11 Depth=2
	ds_store_b32 v19, v0
; %bb.17:                               ;   in Loop: Header=BB389_11 Depth=2
	s_wait_alu 0xfffe
	s_or_saveexec_b32 s15, s15
	v_mov_b32_e32 v1, 0
	s_wait_alu 0xfffe
	s_xor_b32 exec_lo, exec_lo, s15
	s_cbranch_execz .LBB389_10
; %bb.18:                               ;   in Loop: Header=BB389_11 Depth=2
	flat_load_b64 v[34:35], v[14:15] offset:-4
	s_wait_loadcnt_dscnt 0x0
	v_xor_b32_e32 v1, 0x80000000, v35
	ds_store_b32 v19, v34
	s_branch .LBB389_10
.LBB389_19:                             ;   in Loop: Header=BB389_8 Depth=1
	s_wait_loadcnt 0x0
	v_add_co_u32 v1, vcc_lo, v10, s0
	s_wait_alu 0xfffd
	v_add_co_ci_u32_e64 v12, null, s1, v11, vcc_lo
	s_delay_alu instid0(VALU_DEP_2) | instskip(SKIP_1) | instid1(VALU_DEP_2)
	v_add_co_u32 v13, vcc_lo, v1, v2
	s_wait_alu 0xfffd
	v_add_co_ci_u32_e64 v14, null, v12, v3, vcc_lo
	s_and_saveexec_b32 s14, s30
	s_cbranch_execz .LBB389_24
; %bb.20:                               ;   in Loop: Header=BB389_8 Depth=1
	v_mul_f32_e32 v11, s6, v32
	v_mul_f32_e32 v10, s7, v32
	s_and_b32 vcc_lo, exec_lo, s25
	s_mov_b32 s15, -1
	s_delay_alu instid0(VALU_DEP_2) | instskip(NEXT) | instid1(VALU_DEP_2)
	v_fmac_f32_e32 v11, s7, v33
	v_fma_f32 v10, v33, s6, -v10
	s_wait_alu 0xfffe
	s_cbranch_vccz .LBB389_22
; %bb.21:                               ;   in Loop: Header=BB389_8 Depth=1
	v_add_co_u32 v32, vcc_lo, v13, v6
	s_wait_alu 0xfffd
	v_add_co_ci_u32_e64 v33, null, v14, v7, vcc_lo
	s_mov_b32 s15, 0
	flat_load_b64 v[34:35], v[32:33]
	s_wait_loadcnt_dscnt 0x0
	v_mul_f32_e32 v15, s21, v35
	v_mul_f32_e32 v35, s20, v35
	s_delay_alu instid0(VALU_DEP_2) | instskip(NEXT) | instid1(VALU_DEP_1)
	v_fma_f32 v15, v34, s20, -v15
	v_dual_fmac_f32 v35, s21, v34 :: v_dual_add_f32 v34, v10, v15
	s_delay_alu instid0(VALU_DEP_1)
	v_add_f32_e32 v35, v11, v35
	flat_store_b64 v[32:33], v[34:35]
.LBB389_22:                             ;   in Loop: Header=BB389_8 Depth=1
	s_wait_alu 0xfffe
	s_and_not1_b32 vcc_lo, exec_lo, s15
	s_wait_alu 0xfffe
	s_cbranch_vccnz .LBB389_24
; %bb.23:                               ;   in Loop: Header=BB389_8 Depth=1
	v_add_co_u32 v32, vcc_lo, v13, v6
	s_wait_alu 0xfffd
	v_add_co_ci_u32_e64 v33, null, v14, v7, vcc_lo
	flat_store_b64 v[32:33], v[10:11]
.LBB389_24:                             ;   in Loop: Header=BB389_8 Depth=1
	s_wait_alu 0xfffe
	s_or_b32 exec_lo, exec_lo, s14
	s_and_saveexec_b32 s14, s31
	s_cbranch_execz .LBB389_29
; %bb.25:                               ;   in Loop: Header=BB389_8 Depth=1
	v_mul_f32_e32 v11, s6, v31
	v_mul_f32_e32 v10, s7, v31
	s_and_not1_b32 vcc_lo, exec_lo, s25
	s_mov_b32 s15, -1
	s_delay_alu instid0(VALU_DEP_2) | instskip(NEXT) | instid1(VALU_DEP_2)
	v_fmac_f32_e32 v11, s7, v30
	v_fma_f32 v10, v30, s6, -v10
	s_wait_alu 0xfffe
	s_cbranch_vccnz .LBB389_27
; %bb.26:                               ;   in Loop: Header=BB389_8 Depth=1
	v_add_co_u32 v30, vcc_lo, v13, v8
	s_wait_alu 0xfffd
	v_add_co_ci_u32_e64 v31, null, v14, v9, vcc_lo
	s_mov_b32 s15, 0
	flat_load_b64 v[32:33], v[30:31]
	s_wait_loadcnt_dscnt 0x0
	v_mul_f32_e32 v15, s21, v33
	s_delay_alu instid0(VALU_DEP_1) | instskip(SKIP_1) | instid1(VALU_DEP_1)
	v_fma_f32 v15, v32, s20, -v15
	v_mul_f32_e32 v33, s20, v33
	v_dual_fmac_f32 v33, s21, v32 :: v_dual_add_f32 v32, v10, v15
	s_delay_alu instid0(VALU_DEP_1)
	v_add_f32_e32 v33, v11, v33
	flat_store_b64 v[30:31], v[32:33]
.LBB389_27:                             ;   in Loop: Header=BB389_8 Depth=1
	s_wait_alu 0xfffe
	s_and_not1_b32 vcc_lo, exec_lo, s15
	s_wait_alu 0xfffe
	s_cbranch_vccnz .LBB389_29
; %bb.28:                               ;   in Loop: Header=BB389_8 Depth=1
	v_add_co_u32 v13, vcc_lo, v13, v8
	s_wait_alu 0xfffd
	v_add_co_ci_u32_e64 v14, null, v14, v9, vcc_lo
	flat_store_b64 v[13:14], v[10:11]
.LBB389_29:                             ;   in Loop: Header=BB389_8 Depth=1
	s_wait_alu 0xfffe
	s_or_b32 exec_lo, exec_lo, s14
	v_add_co_u32 v1, vcc_lo, v1, v4
	s_wait_alu 0xfffd
	v_add_co_ci_u32_e64 v12, null, v12, v5, vcc_lo
	s_and_saveexec_b32 s14, s18
	s_cbranch_execz .LBB389_34
; %bb.30:                               ;   in Loop: Header=BB389_8 Depth=1
	v_mul_f32_e32 v11, s6, v29
	v_mul_f32_e32 v10, s7, v29
	s_and_not1_b32 vcc_lo, exec_lo, s25
	s_mov_b32 s15, -1
	s_delay_alu instid0(VALU_DEP_2) | instskip(NEXT) | instid1(VALU_DEP_2)
	v_fmac_f32_e32 v11, s7, v28
	v_fma_f32 v10, v28, s6, -v10
	s_wait_alu 0xfffe
	s_cbranch_vccnz .LBB389_32
; %bb.31:                               ;   in Loop: Header=BB389_8 Depth=1
	v_add_co_u32 v13, vcc_lo, v1, v6
	s_wait_alu 0xfffd
	v_add_co_ci_u32_e64 v14, null, v12, v7, vcc_lo
	s_mov_b32 s15, 0
	flat_load_b64 v[28:29], v[13:14]
	s_wait_loadcnt_dscnt 0x0
	v_mul_f32_e32 v15, s21, v29
	s_delay_alu instid0(VALU_DEP_1) | instskip(SKIP_1) | instid1(VALU_DEP_1)
	v_fma_f32 v15, v28, s20, -v15
	v_mul_f32_e32 v29, s20, v29
	v_dual_fmac_f32 v29, s21, v28 :: v_dual_add_f32 v28, v10, v15
	s_delay_alu instid0(VALU_DEP_1)
	v_add_f32_e32 v29, v11, v29
	flat_store_b64 v[13:14], v[28:29]
.LBB389_32:                             ;   in Loop: Header=BB389_8 Depth=1
	s_wait_alu 0xfffe
	s_and_not1_b32 vcc_lo, exec_lo, s15
	s_wait_alu 0xfffe
	s_cbranch_vccnz .LBB389_34
; %bb.33:                               ;   in Loop: Header=BB389_8 Depth=1
	v_add_co_u32 v13, vcc_lo, v1, v6
	s_wait_alu 0xfffd
	v_add_co_ci_u32_e64 v14, null, v12, v7, vcc_lo
	flat_store_b64 v[13:14], v[10:11]
.LBB389_34:                             ;   in Loop: Header=BB389_8 Depth=1
	s_wait_alu 0xfffe
	s_or_b32 exec_lo, exec_lo, s14
	s_and_saveexec_b32 s14, s4
	s_cbranch_execz .LBB389_7
; %bb.35:                               ;   in Loop: Header=BB389_8 Depth=1
	v_mul_f32_e32 v11, s6, v26
	v_mul_f32_e32 v10, s7, v26
	s_and_not1_b32 vcc_lo, exec_lo, s25
	s_mov_b32 s15, -1
	s_delay_alu instid0(VALU_DEP_2) | instskip(NEXT) | instid1(VALU_DEP_2)
	v_fmac_f32_e32 v11, s7, v27
	v_fma_f32 v10, v27, s6, -v10
	s_wait_alu 0xfffe
	s_cbranch_vccnz .LBB389_37
; %bb.36:                               ;   in Loop: Header=BB389_8 Depth=1
	v_add_co_u32 v13, vcc_lo, v1, v8
	s_wait_alu 0xfffd
	v_add_co_ci_u32_e64 v14, null, v12, v9, vcc_lo
	s_mov_b32 s15, 0
	flat_load_b64 v[26:27], v[13:14]
	s_wait_loadcnt_dscnt 0x0
	v_mul_f32_e32 v15, s21, v27
	v_mul_f32_e32 v27, s20, v27
	s_delay_alu instid0(VALU_DEP_2) | instskip(NEXT) | instid1(VALU_DEP_1)
	v_fma_f32 v15, v26, s20, -v15
	v_dual_fmac_f32 v27, s21, v26 :: v_dual_add_f32 v26, v10, v15
	s_delay_alu instid0(VALU_DEP_1)
	v_add_f32_e32 v27, v11, v27
	flat_store_b64 v[13:14], v[26:27]
.LBB389_37:                             ;   in Loop: Header=BB389_8 Depth=1
	s_wait_alu 0xfffe
	s_and_not1_b32 vcc_lo, exec_lo, s15
	s_wait_alu 0xfffe
	s_cbranch_vccnz .LBB389_7
; %bb.38:                               ;   in Loop: Header=BB389_8 Depth=1
	v_add_co_u32 v13, vcc_lo, v1, v8
	s_wait_alu 0xfffd
	v_add_co_ci_u32_e64 v14, null, v12, v9, vcc_lo
	flat_store_b64 v[13:14], v[10:11]
	s_branch .LBB389_7
.LBB389_39:
	s_endpgm
	.section	.rodata,"a",@progbits
	.p2align	6, 0x0
	.amdhsa_kernel _ZL29rocblas_internal_gemmt_kernelIiLi16ELi32ELi8ELc78ELc67ELc76ELb0ELb1E19rocblas_complex_numIfES1_PKPKS1_PKPS1_EviT_T9_T10_S9_lSB_S9_lSA_T11_S9_li
		.amdhsa_group_segment_fixed_size 4096
		.amdhsa_private_segment_fixed_size 0
		.amdhsa_kernarg_size 100
		.amdhsa_user_sgpr_count 2
		.amdhsa_user_sgpr_dispatch_ptr 0
		.amdhsa_user_sgpr_queue_ptr 0
		.amdhsa_user_sgpr_kernarg_segment_ptr 1
		.amdhsa_user_sgpr_dispatch_id 0
		.amdhsa_user_sgpr_private_segment_size 0
		.amdhsa_wavefront_size32 1
		.amdhsa_uses_dynamic_stack 0
		.amdhsa_enable_private_segment 0
		.amdhsa_system_sgpr_workgroup_id_x 1
		.amdhsa_system_sgpr_workgroup_id_y 1
		.amdhsa_system_sgpr_workgroup_id_z 1
		.amdhsa_system_sgpr_workgroup_info 0
		.amdhsa_system_vgpr_workitem_id 1
		.amdhsa_next_free_vgpr 71
		.amdhsa_next_free_sgpr 38
		.amdhsa_reserve_vcc 1
		.amdhsa_float_round_mode_32 0
		.amdhsa_float_round_mode_16_64 0
		.amdhsa_float_denorm_mode_32 3
		.amdhsa_float_denorm_mode_16_64 3
		.amdhsa_fp16_overflow 0
		.amdhsa_workgroup_processor_mode 1
		.amdhsa_memory_ordered 1
		.amdhsa_forward_progress 1
		.amdhsa_inst_pref_size 25
		.amdhsa_round_robin_scheduling 0
		.amdhsa_exception_fp_ieee_invalid_op 0
		.amdhsa_exception_fp_denorm_src 0
		.amdhsa_exception_fp_ieee_div_zero 0
		.amdhsa_exception_fp_ieee_overflow 0
		.amdhsa_exception_fp_ieee_underflow 0
		.amdhsa_exception_fp_ieee_inexact 0
		.amdhsa_exception_int_div_zero 0
	.end_amdhsa_kernel
	.section	.text._ZL29rocblas_internal_gemmt_kernelIiLi16ELi32ELi8ELc78ELc67ELc76ELb0ELb1E19rocblas_complex_numIfES1_PKPKS1_PKPS1_EviT_T9_T10_S9_lSB_S9_lSA_T11_S9_li,"axG",@progbits,_ZL29rocblas_internal_gemmt_kernelIiLi16ELi32ELi8ELc78ELc67ELc76ELb0ELb1E19rocblas_complex_numIfES1_PKPKS1_PKPS1_EviT_T9_T10_S9_lSB_S9_lSA_T11_S9_li,comdat
.Lfunc_end389:
	.size	_ZL29rocblas_internal_gemmt_kernelIiLi16ELi32ELi8ELc78ELc67ELc76ELb0ELb1E19rocblas_complex_numIfES1_PKPKS1_PKPS1_EviT_T9_T10_S9_lSB_S9_lSA_T11_S9_li, .Lfunc_end389-_ZL29rocblas_internal_gemmt_kernelIiLi16ELi32ELi8ELc78ELc67ELc76ELb0ELb1E19rocblas_complex_numIfES1_PKPKS1_PKPS1_EviT_T9_T10_S9_lSB_S9_lSA_T11_S9_li
                                        ; -- End function
	.set _ZL29rocblas_internal_gemmt_kernelIiLi16ELi32ELi8ELc78ELc67ELc76ELb0ELb1E19rocblas_complex_numIfES1_PKPKS1_PKPS1_EviT_T9_T10_S9_lSB_S9_lSA_T11_S9_li.num_vgpr, 71
	.set _ZL29rocblas_internal_gemmt_kernelIiLi16ELi32ELi8ELc78ELc67ELc76ELb0ELb1E19rocblas_complex_numIfES1_PKPKS1_PKPS1_EviT_T9_T10_S9_lSB_S9_lSA_T11_S9_li.num_agpr, 0
	.set _ZL29rocblas_internal_gemmt_kernelIiLi16ELi32ELi8ELc78ELc67ELc76ELb0ELb1E19rocblas_complex_numIfES1_PKPKS1_PKPS1_EviT_T9_T10_S9_lSB_S9_lSA_T11_S9_li.numbered_sgpr, 38
	.set _ZL29rocblas_internal_gemmt_kernelIiLi16ELi32ELi8ELc78ELc67ELc76ELb0ELb1E19rocblas_complex_numIfES1_PKPKS1_PKPS1_EviT_T9_T10_S9_lSB_S9_lSA_T11_S9_li.num_named_barrier, 0
	.set _ZL29rocblas_internal_gemmt_kernelIiLi16ELi32ELi8ELc78ELc67ELc76ELb0ELb1E19rocblas_complex_numIfES1_PKPKS1_PKPS1_EviT_T9_T10_S9_lSB_S9_lSA_T11_S9_li.private_seg_size, 0
	.set _ZL29rocblas_internal_gemmt_kernelIiLi16ELi32ELi8ELc78ELc67ELc76ELb0ELb1E19rocblas_complex_numIfES1_PKPKS1_PKPS1_EviT_T9_T10_S9_lSB_S9_lSA_T11_S9_li.uses_vcc, 1
	.set _ZL29rocblas_internal_gemmt_kernelIiLi16ELi32ELi8ELc78ELc67ELc76ELb0ELb1E19rocblas_complex_numIfES1_PKPKS1_PKPS1_EviT_T9_T10_S9_lSB_S9_lSA_T11_S9_li.uses_flat_scratch, 0
	.set _ZL29rocblas_internal_gemmt_kernelIiLi16ELi32ELi8ELc78ELc67ELc76ELb0ELb1E19rocblas_complex_numIfES1_PKPKS1_PKPS1_EviT_T9_T10_S9_lSB_S9_lSA_T11_S9_li.has_dyn_sized_stack, 0
	.set _ZL29rocblas_internal_gemmt_kernelIiLi16ELi32ELi8ELc78ELc67ELc76ELb0ELb1E19rocblas_complex_numIfES1_PKPKS1_PKPS1_EviT_T9_T10_S9_lSB_S9_lSA_T11_S9_li.has_recursion, 0
	.set _ZL29rocblas_internal_gemmt_kernelIiLi16ELi32ELi8ELc78ELc67ELc76ELb0ELb1E19rocblas_complex_numIfES1_PKPKS1_PKPS1_EviT_T9_T10_S9_lSB_S9_lSA_T11_S9_li.has_indirect_call, 0
	.section	.AMDGPU.csdata,"",@progbits
; Kernel info:
; codeLenInByte = 3196
; TotalNumSgprs: 40
; NumVgprs: 71
; ScratchSize: 0
; MemoryBound: 1
; FloatMode: 240
; IeeeMode: 1
; LDSByteSize: 4096 bytes/workgroup (compile time only)
; SGPRBlocks: 0
; VGPRBlocks: 8
; NumSGPRsForWavesPerEU: 40
; NumVGPRsForWavesPerEU: 71
; Occupancy: 16
; WaveLimiterHint : 1
; COMPUTE_PGM_RSRC2:SCRATCH_EN: 0
; COMPUTE_PGM_RSRC2:USER_SGPR: 2
; COMPUTE_PGM_RSRC2:TRAP_HANDLER: 0
; COMPUTE_PGM_RSRC2:TGID_X_EN: 1
; COMPUTE_PGM_RSRC2:TGID_Y_EN: 1
; COMPUTE_PGM_RSRC2:TGID_Z_EN: 1
; COMPUTE_PGM_RSRC2:TIDIG_COMP_CNT: 1
	.section	.text._ZL29rocblas_internal_gemmt_kernelIiLi16ELi32ELi8ELc84ELc78ELc76ELb0ELb0E19rocblas_complex_numIfES1_PKPKS1_PKPS1_EviT_T9_T10_S9_lSB_S9_lSA_T11_S9_li,"axG",@progbits,_ZL29rocblas_internal_gemmt_kernelIiLi16ELi32ELi8ELc84ELc78ELc76ELb0ELb0E19rocblas_complex_numIfES1_PKPKS1_PKPS1_EviT_T9_T10_S9_lSB_S9_lSA_T11_S9_li,comdat
	.globl	_ZL29rocblas_internal_gemmt_kernelIiLi16ELi32ELi8ELc84ELc78ELc76ELb0ELb0E19rocblas_complex_numIfES1_PKPKS1_PKPS1_EviT_T9_T10_S9_lSB_S9_lSA_T11_S9_li ; -- Begin function _ZL29rocblas_internal_gemmt_kernelIiLi16ELi32ELi8ELc84ELc78ELc76ELb0ELb0E19rocblas_complex_numIfES1_PKPKS1_PKPS1_EviT_T9_T10_S9_lSB_S9_lSA_T11_S9_li
	.p2align	8
	.type	_ZL29rocblas_internal_gemmt_kernelIiLi16ELi32ELi8ELc84ELc78ELc76ELb0ELb0E19rocblas_complex_numIfES1_PKPKS1_PKPS1_EviT_T9_T10_S9_lSB_S9_lSA_T11_S9_li,@function
_ZL29rocblas_internal_gemmt_kernelIiLi16ELi32ELi8ELc84ELc78ELc76ELb0ELb0E19rocblas_complex_numIfES1_PKPKS1_PKPS1_EviT_T9_T10_S9_lSB_S9_lSA_T11_S9_li: ; @_ZL29rocblas_internal_gemmt_kernelIiLi16ELi32ELi8ELc84ELc78ELc76ELb0ELb0E19rocblas_complex_numIfES1_PKPKS1_PKPS1_EviT_T9_T10_S9_lSB_S9_lSA_T11_S9_li
; %bb.0:
	s_clause 0x1
	s_load_b64 s[20:21], s[0:1], 0x40
	s_load_b128 s[4:7], s[0:1], 0x0
	s_wait_kmcnt 0x0
	s_cmp_eq_f32 s20, 1.0
	s_cselect_b32 s3, -1, 0
	s_and_b32 s2, s21, 0x7fffffff
	s_delay_alu instid0(SALU_CYCLE_1) | instskip(SKIP_1) | instid1(SALU_CYCLE_1)
	s_cmp_eq_u32 s2, 0
	s_cselect_b32 s2, -1, 0
	s_and_b32 s8, s3, s2
	s_mov_b32 s3, 0
	s_and_not1_b32 vcc_lo, exec_lo, s8
	s_mov_b32 s8, -1
	s_cbranch_vccnz .LBB390_4
; %bb.1:
	s_cmp_lg_u32 s5, 0
	s_cbranch_scc0 .LBB390_3
; %bb.2:
	s_cmp_neq_f32 s6, 0
	s_cselect_b32 s3, -1, 0
	s_cmp_neq_f32 s7, 0
	s_cselect_b32 s8, -1, 0
	s_delay_alu instid0(SALU_CYCLE_1)
	s_or_b32 s3, s3, s8
.LBB390_3:
	s_delay_alu instid0(SALU_CYCLE_1)
	s_mov_b32 s8, s3
.LBB390_4:
	s_delay_alu instid0(SALU_CYCLE_1)
	s_and_b32 vcc_lo, exec_lo, s8
	s_cbranch_vccz .LBB390_39
; %bb.5:
	s_load_b32 s15, s[0:1], 0x60
	s_lshr_b32 s22, ttmp7, 16
	s_wait_kmcnt 0x0
	s_cmp_ge_u32 s22, s15
	s_cbranch_scc1 .LBB390_39
; %bb.6:
	v_and_b32_e32 v1, 0x3ff, v0
	v_bfe_u32 v2, v0, 10, 10
	s_clause 0x1
	s_load_b96 s[12:14], s[0:1], 0x10
	s_load_b128 s[8:11], s[0:1], 0x20
	v_and_b32_e32 v16, 7, v0
	s_lshl_b32 s3, ttmp7, 5
	s_clause 0x3
	s_load_b32 s27, s[0:1], 0x30
	s_load_b64 s[28:29], s[0:1], 0x38
	s_load_b96 s[16:18], s[0:1], 0x48
	s_load_b64 s[24:25], s[0:1], 0x58
	v_lshl_add_u32 v0, v2, 4, v1
	s_lshl_b32 s19, ttmp9, 5
	s_and_b32 s3, s3, 0x1fffe0
	s_cmp_neq_f32 s6, 0
	v_lshlrev_b32_e32 v14, 3, v16
	v_lshrrev_b32_e32 v17, 5, v0
	v_lshrrev_b32_e32 v3, 3, v0
	v_and_b32_e32 v0, 31, v0
	s_cselect_b32 s26, -1, 0
	s_cmp_neq_f32 s7, 0
	v_add_nc_u32_e32 v6, s19, v1
	v_add_nc_u32_e32 v5, s3, v3
	v_or_b32_e32 v4, s19, v0
	v_lshlrev_b32_e32 v0, 3, v0
	s_cselect_b32 s0, -1, 0
	v_lshl_or_b32 v3, v3, 6, v14
	s_or_b32 s30, s26, s0
	s_cmp_gt_i32 s5, 0
	v_lshl_or_b32 v18, v17, 8, v0
	v_add_nc_u32_e32 v0, s3, v2
	v_add_nc_u32_e32 v8, 16, v6
	s_cselect_b32 s31, -1, 0
	s_cmp_neq_f32 s20, 0
	v_cmp_gt_i32_e32 vcc_lo, s4, v4
	v_add_nc_u32_e32 v19, 0x800, v3
	s_wait_kmcnt 0x0
	v_mad_co_i64_i32 v[3:4], null, s14, v4, 0
	v_cmp_gt_i32_e64 s0, s4, v5
	v_lshlrev_b32_e32 v20, 3, v1
	v_lshl_add_u32 v21, v2, 6, 0x800
	s_cselect_b32 s33, -1, 0
	s_xor_b32 s34, s2, -1
	v_cmp_le_i32_e64 s1, v0, v6
	v_cmp_gt_i32_e64 s2, s4, v6
	v_cmp_le_i32_e64 s3, v0, v8
	v_cmp_gt_i32_e64 s4, s4, v8
	v_mad_co_i64_i32 v[1:2], null, v0, s18, 0
	v_add_nc_u32_e32 v0, 16, v0
	v_mad_co_i64_i32 v[10:11], null, s27, v5, 0
	s_and_b32 s19, s1, s2
	s_and_b32 s26, s3, s4
	v_cmp_le_i32_e64 s1, v0, v6
	v_cmp_le_i32_e64 s3, v0, v8
	v_lshlrev_b64_e32 v[3:4], 3, v[3:4]
	v_mad_co_i64_i32 v[12:13], null, v0, s18, 0
	s_and_b32 s14, s1, s2
	s_and_b32 s4, s3, s4
	s_lshl_b64 s[2:3], s[8:9], 3
	v_lshlrev_b64_e32 v[10:11], 3, v[10:11]
	s_wait_alu 0xfffe
	v_add_co_u32 v3, s1, v3, s2
	s_delay_alu instid0(VALU_DEP_1)
	v_add_co_ci_u32_e64 v4, null, s3, v4, s1
	v_lshlrev_b32_e32 v5, 3, v17
	s_lshl_b64 s[2:3], s[28:29], 3
	v_ashrrev_i32_e32 v7, 31, v6
	s_wait_alu 0xfffe
	v_add_co_u32 v10, s1, v10, s2
	v_ashrrev_i32_e32 v9, 31, v8
	s_wait_alu 0xf1ff
	v_add_co_ci_u32_e64 v11, null, s3, v11, s1
	v_add_co_u32 v22, s1, v3, v5
	s_wait_alu 0xf1ff
	v_add_co_ci_u32_e64 v23, null, 0, v4, s1
	v_add_co_u32 v24, s1, v10, v14
	v_lshlrev_b64_e32 v[2:3], 3, v[1:2]
	v_lshlrev_b64_e32 v[4:5], 3, v[12:13]
	;; [unrolled: 1-line block ×4, first 2 shown]
	v_mov_b32_e32 v0, 0
	s_wait_alu 0xf1ff
	v_add_co_ci_u32_e64 v25, null, 0, v11, s1
	s_mov_b32 s23, 0
	s_and_b32 s8, s30, s31
	s_or_b32 s9, s33, s34
	s_xor_b32 s18, vcc_lo, -1
	s_xor_b32 s27, s0, -1
	s_lshl_b64 s[0:1], s[24:25], 3
	s_branch .LBB390_8
.LBB390_7:                              ;   in Loop: Header=BB390_8 Depth=1
	s_wait_alu 0xfffe
	s_or_b32 exec_lo, exec_lo, s2
	s_add_co_i32 s22, s22, 0x10000
	s_delay_alu instid0(SALU_CYCLE_1)
	s_cmp_lt_u32 s22, s15
	s_cbranch_scc0 .LBB390_39
.LBB390_8:                              ; =>This Loop Header: Depth=1
                                        ;     Child Loop BB390_11 Depth 2
	s_lshl_b64 s[2:3], s[22:23], 3
	v_dual_mov_b32 v33, v0 :: v_dual_mov_b32 v32, v0
	s_wait_alu 0xfffe
	s_add_nc_u64 s[24:25], s[16:17], s[2:3]
	v_dual_mov_b32 v30, v0 :: v_dual_mov_b32 v31, v0
	global_load_b64 v[10:11], v0, s[24:25]
	v_dual_mov_b32 v28, v0 :: v_dual_mov_b32 v29, v0
	v_dual_mov_b32 v27, v0 :: v_dual_mov_b32 v26, v0
	s_and_not1_b32 vcc_lo, exec_lo, s8
	s_wait_alu 0xfffe
	s_cbranch_vccnz .LBB390_19
; %bb.9:                                ;   in Loop: Header=BB390_8 Depth=1
	s_add_nc_u64 s[24:25], s[12:13], s[2:3]
	s_add_nc_u64 s[2:3], s[10:11], s[2:3]
	s_clause 0x1
	global_load_b64 v[12:13], v0, s[24:25]
	global_load_b64 v[14:15], v0, s[2:3]
	v_dual_mov_b32 v26, 0 :: v_dual_mov_b32 v27, 0
	v_dual_mov_b32 v29, 0 :: v_dual_mov_b32 v28, 0
	;; [unrolled: 1-line block ×4, first 2 shown]
	s_mov_b32 s2, 0
	s_wait_loadcnt 0x1
	v_add_co_u32 v12, vcc_lo, v12, v22
	s_wait_alu 0xfffd
	v_add_co_ci_u32_e64 v13, null, v13, v23, vcc_lo
	s_wait_loadcnt 0x0
	v_add_co_u32 v14, vcc_lo, v14, v24
	s_wait_alu 0xfffd
	v_add_co_ci_u32_e64 v15, null, v15, v25, vcc_lo
	s_branch .LBB390_11
.LBB390_10:                             ;   in Loop: Header=BB390_11 Depth=2
	s_wait_alu 0xfffe
	s_or_b32 exec_lo, exec_lo, s3
	s_wait_dscnt 0x0
	s_barrier_signal -1
	s_barrier_wait -1
	global_inv scope:SCOPE_SE
	ds_load_b128 v[34:37], v21
	ds_load_2addr_b64 v[38:41], v20 offset1:16
	ds_load_b128 v[42:45], v21 offset:1024
	ds_load_b128 v[46:49], v21 offset:16
	;; [unrolled: 1-line block ×4, first 2 shown]
	ds_load_2addr_b64 v[58:61], v20 offset0:32 offset1:48
	ds_load_b128 v[62:65], v21 offset:1040
	v_add_co_u32 v12, vcc_lo, v12, 64
	s_wait_alu 0xfffd
	v_add_co_ci_u32_e64 v13, null, 0, v13, vcc_lo
	v_add_co_u32 v14, vcc_lo, v14, 64
	s_wait_alu 0xfffd
	v_add_co_ci_u32_e64 v15, null, 0, v15, vcc_lo
	s_add_co_i32 s2, s2, 8
	s_wait_alu 0xfffe
	s_cmp_lt_i32 s2, s5
	s_wait_dscnt 0x6
	v_dual_mul_f32 v1, v35, v39 :: v_dual_mul_f32 v68, v34, v41
	v_dual_mul_f32 v66, v34, v39 :: v_dual_mul_f32 v67, v35, v41
	s_wait_dscnt 0x5
	v_mul_f32_e32 v70, v43, v41
	s_delay_alu instid0(VALU_DEP_3) | instskip(SKIP_3) | instid1(VALU_DEP_4)
	v_fma_f32 v1, v34, v38, -v1
	v_dual_mul_f32 v41, v42, v41 :: v_dual_fmac_f32 v68, v35, v40
	v_fmac_f32_e32 v66, v35, v38
	v_fma_f32 v34, v34, v40, -v67
	v_add_f32_e32 v1, v33, v1
	v_mul_f32_e32 v69, v43, v39
	s_delay_alu instid0(VALU_DEP_4) | instskip(NEXT) | instid1(VALU_DEP_4)
	v_dual_mul_f32 v39, v42, v39 :: v_dual_add_f32 v32, v32, v66
	v_add_f32_e32 v33, v30, v34
	v_fmac_f32_e32 v41, v43, v40
	s_delay_alu instid0(VALU_DEP_4) | instskip(NEXT) | instid1(VALU_DEP_4)
	v_fma_f32 v35, v42, v38, -v69
	v_fmac_f32_e32 v39, v43, v38
	v_fma_f32 v38, v42, v40, -v70
	s_wait_dscnt 0x1
	v_dual_mul_f32 v40, v36, v59 :: v_dual_add_f32 v31, v31, v68
	v_mul_f32_e32 v42, v37, v61
	v_add_f32_e32 v34, v28, v35
	v_dual_add_f32 v35, v29, v39 :: v_dual_add_f32 v38, v27, v38
	ds_load_2addr_b64 v[27:30], v20 offset0:64 offset1:80
	v_fmac_f32_e32 v40, v37, v58
	v_dual_mul_f32 v39, v37, v59 :: v_dual_add_f32 v26, v26, v41
	v_mul_f32_e32 v41, v36, v61
	s_delay_alu instid0(VALU_DEP_3) | instskip(NEXT) | instid1(VALU_DEP_3)
	v_add_f32_e32 v40, v32, v40
	v_fma_f32 v39, v36, v58, -v39
	v_fma_f32 v36, v36, v60, -v42
	v_mul_f32_e32 v32, v44, v59
	s_delay_alu instid0(VALU_DEP_3) | instskip(SKIP_1) | instid1(VALU_DEP_4)
	v_add_f32_e32 v1, v1, v39
	v_mul_f32_e32 v39, v45, v59
	v_add_f32_e32 v36, v33, v36
	v_fmac_f32_e32 v41, v37, v60
	v_mul_f32_e32 v37, v45, v61
	v_fmac_f32_e32 v32, v45, v58
	v_fma_f32 v33, v44, v58, -v39
	s_delay_alu instid0(VALU_DEP_4) | instskip(SKIP_4) | instid1(VALU_DEP_3)
	v_add_f32_e32 v39, v31, v41
	v_mul_f32_e32 v41, v44, v61
	v_fma_f32 v31, v44, v60, -v37
	s_wait_dscnt 0x0
	v_dual_add_f32 v42, v34, v33 :: v_dual_mul_f32 v33, v47, v28
	v_dual_mul_f32 v44, v47, v30 :: v_dual_fmac_f32 v41, v45, v60
	v_mul_f32_e32 v37, v46, v28
	v_add_f32_e32 v38, v38, v31
	s_delay_alu instid0(VALU_DEP_3) | instskip(SKIP_3) | instid1(VALU_DEP_2)
	v_add_f32_e32 v41, v26, v41
	v_mul_f32_e32 v26, v46, v30
	v_fma_f32 v43, v46, v27, -v33
	v_fmac_f32_e32 v37, v47, v27
	v_dual_fmac_f32 v26, v47, v29 :: v_dual_add_f32 v1, v1, v43
	v_fma_f32 v43, v46, v29, -v44
	v_add_f32_e32 v35, v35, v32
	ds_load_2addr_b64 v[31:34], v20 offset0:96 offset1:112
	v_dual_add_f32 v37, v40, v37 :: v_dual_mul_f32 v40, v63, v28
	v_mul_f32_e32 v28, v62, v28
	v_dual_add_f32 v36, v36, v43 :: v_dual_mul_f32 v43, v63, v30
	v_mul_f32_e32 v30, v62, v30
	s_delay_alu instid0(VALU_DEP_4) | instskip(NEXT) | instid1(VALU_DEP_4)
	v_fma_f32 v40, v62, v27, -v40
	v_fmac_f32_e32 v28, v63, v27
	v_add_f32_e32 v39, v39, v26
	v_fma_f32 v26, v62, v29, -v43
	v_fmac_f32_e32 v30, v63, v29
	v_add_f32_e32 v40, v42, v40
	s_delay_alu instid0(VALU_DEP_3)
	v_dual_add_f32 v42, v35, v28 :: v_dual_add_f32 v43, v38, v26
	ds_load_2addr_b64 v[26:29], v20 offset0:128 offset1:144
	s_wait_dscnt 0x1
	v_mul_f32_e32 v35, v49, v32
	v_mul_f32_e32 v38, v48, v32
	;; [unrolled: 1-line block ×4, first 2 shown]
	s_delay_alu instid0(VALU_DEP_4) | instskip(NEXT) | instid1(VALU_DEP_4)
	v_fma_f32 v35, v48, v31, -v35
	v_fmac_f32_e32 v38, v49, v31
	s_delay_alu instid0(VALU_DEP_2) | instskip(SKIP_1) | instid1(VALU_DEP_3)
	v_add_f32_e32 v1, v1, v35
	v_mul_f32_e32 v35, v65, v32
	v_dual_mul_f32 v32, v64, v32 :: v_dual_add_f32 v45, v37, v38
	s_delay_alu instid0(VALU_DEP_2) | instskip(NEXT) | instid1(VALU_DEP_2)
	v_fma_f32 v46, v64, v31, -v35
	v_fmac_f32_e32 v32, v65, v31
	s_wait_dscnt 0x0
	v_mul_f32_e32 v31, v51, v27
	v_fma_f32 v44, v48, v33, -v44
	v_add_f32_e32 v41, v41, v30
	v_mul_f32_e32 v30, v48, v34
	v_mul_f32_e32 v58, v50, v29
	s_delay_alu instid0(VALU_DEP_4) | instskip(SKIP_2) | instid1(VALU_DEP_1)
	v_add_f32_e32 v44, v36, v44
	ds_load_b128 v[35:38], v21 offset:1056
	v_dual_fmac_f32 v30, v49, v33 :: v_dual_mul_f32 v49, v50, v27
	v_add_f32_e32 v48, v39, v30
	v_fma_f32 v30, v64, v33, -v47
	v_fma_f32 v39, v50, v26, -v31
	v_mul_f32_e32 v34, v64, v34
	v_fmac_f32_e32 v49, v51, v26
	v_add_f32_e32 v46, v40, v46
	v_add_f32_e32 v43, v43, v30
	;; [unrolled: 1-line block ×4, first 2 shown]
	v_fmac_f32_e32 v34, v65, v33
	ds_load_2addr_b64 v[30:33], v20 offset0:160 offset1:176
	v_mul_f32_e32 v40, v51, v29
	v_add_f32_e32 v45, v45, v49
	v_add_f32_e32 v34, v41, v34
	s_delay_alu instid0(VALU_DEP_3)
	v_fma_f32 v50, v50, v28, -v40
	ds_load_b128 v[39:42], v21 offset:1072
	s_wait_dscnt 0x2
	v_mul_f32_e32 v59, v36, v27
	v_dual_mul_f32 v27, v35, v27 :: v_dual_add_f32 v44, v44, v50
	v_fmac_f32_e32 v58, v51, v28
	v_mul_f32_e32 v50, v36, v29
	s_delay_alu instid0(VALU_DEP_4) | instskip(NEXT) | instid1(VALU_DEP_4)
	v_fma_f32 v49, v35, v26, -v59
	v_fmac_f32_e32 v27, v36, v26
	s_delay_alu instid0(VALU_DEP_4) | instskip(SKIP_1) | instid1(VALU_DEP_3)
	v_dual_mul_f32 v51, v35, v29 :: v_dual_add_f32 v48, v48, v58
	s_wait_dscnt 0x1
	v_dual_add_f32 v46, v46, v49 :: v_dual_mul_f32 v29, v53, v31
	v_fma_f32 v26, v35, v28, -v50
	v_add_f32_e32 v35, v47, v27
	v_fmac_f32_e32 v51, v36, v28
	v_mul_f32_e32 v36, v52, v31
	v_fma_f32 v47, v52, v30, -v29
	v_add_f32_e32 v43, v43, v26
	ds_load_2addr_b64 v[26:29], v20 offset0:192 offset1:208
	v_fmac_f32_e32 v36, v53, v30
	v_dual_mul_f32 v49, v53, v33 :: v_dual_add_f32 v50, v34, v51
	v_dual_add_f32 v1, v1, v47 :: v_dual_mul_f32 v34, v52, v33
	s_delay_alu instid0(VALU_DEP_3) | instskip(NEXT) | instid1(VALU_DEP_3)
	v_dual_add_f32 v45, v45, v36 :: v_dual_mul_f32 v36, v38, v31
	v_fma_f32 v47, v52, v32, -v49
	s_delay_alu instid0(VALU_DEP_3) | instskip(NEXT) | instid1(VALU_DEP_3)
	v_fmac_f32_e32 v34, v53, v32
	v_fma_f32 v36, v37, v30, -v36
	s_delay_alu instid0(VALU_DEP_3) | instskip(SKIP_1) | instid1(VALU_DEP_3)
	v_dual_add_f32 v44, v44, v47 :: v_dual_mul_f32 v47, v38, v33
	v_mul_f32_e32 v31, v37, v31
	v_dual_mul_f32 v33, v37, v33 :: v_dual_add_f32 v46, v46, v36
	s_delay_alu instid0(VALU_DEP_2) | instskip(SKIP_2) | instid1(VALU_DEP_4)
	v_fmac_f32_e32 v31, v38, v30
	v_add_f32_e32 v30, v48, v34
	v_fma_f32 v34, v37, v32, -v47
	v_fmac_f32_e32 v33, v38, v32
	s_wait_dscnt 0x0
	v_mul_f32_e32 v38, v54, v27
	v_dual_add_f32 v31, v35, v31 :: v_dual_mul_f32 v48, v54, v29
	v_add_f32_e32 v32, v43, v34
	ds_load_2addr_b64 v[34:37], v20 offset0:224 offset1:240
	v_dual_add_f32 v33, v50, v33 :: v_dual_fmac_f32 v38, v55, v26
	v_mul_f32_e32 v47, v55, v27
	v_fmac_f32_e32 v48, v55, v28
	s_wait_loadcnt_dscnt 0x0
	s_barrier_signal -1
	v_add_f32_e32 v38, v45, v38
	v_fma_f32 v43, v54, v26, -v47
	v_mul_f32_e32 v47, v55, v29
	v_mul_f32_e32 v45, v40, v29
	;; [unrolled: 1-line block ×3, first 2 shown]
	s_barrier_wait -1
	v_add_f32_e32 v1, v1, v43
	v_fma_f32 v47, v54, v28, -v47
	v_mul_f32_e32 v43, v40, v27
	v_fmac_f32_e32 v29, v40, v28
	global_inv scope:SCOPE_SE
	v_dual_add_f32 v44, v44, v47 :: v_dual_add_f32 v47, v30, v48
	v_fma_f32 v30, v39, v28, -v45
	v_mul_f32_e32 v27, v39, v27
	s_delay_alu instid0(VALU_DEP_1) | instskip(NEXT) | instid1(VALU_DEP_3)
	v_fmac_f32_e32 v27, v40, v26
	v_add_f32_e32 v40, v32, v30
	v_mul_f32_e32 v30, v57, v37
	v_fma_f32 v43, v39, v26, -v43
	v_mul_f32_e32 v39, v57, v35
	s_delay_alu instid0(VALU_DEP_2) | instskip(NEXT) | instid1(VALU_DEP_2)
	v_add_f32_e32 v26, v46, v43
	v_fma_f32 v28, v56, v34, -v39
	v_add_f32_e32 v39, v33, v29
	v_mul_f32_e32 v29, v41, v35
	s_delay_alu instid0(VALU_DEP_3) | instskip(SKIP_2) | instid1(VALU_DEP_2)
	v_add_f32_e32 v33, v1, v28
	v_fma_f32 v1, v56, v36, -v30
	v_mul_f32_e32 v28, v42, v35
	v_dual_fmac_f32 v29, v42, v34 :: v_dual_add_f32 v30, v44, v1
	s_delay_alu instid0(VALU_DEP_2) | instskip(SKIP_2) | instid1(VALU_DEP_2)
	v_fma_f32 v1, v41, v34, -v28
	v_mul_f32_e32 v43, v56, v35
	v_mul_f32_e32 v35, v42, v37
	v_dual_add_f32 v28, v26, v1 :: v_dual_fmac_f32 v43, v57, v34
	s_delay_alu instid0(VALU_DEP_2) | instskip(NEXT) | instid1(VALU_DEP_2)
	v_fma_f32 v34, v41, v36, -v35
	v_add_f32_e32 v32, v38, v43
	v_add_f32_e32 v27, v31, v27
	v_mul_f32_e32 v31, v56, v37
	v_mul_f32_e32 v37, v41, v37
	s_delay_alu instid0(VALU_DEP_3) | instskip(NEXT) | instid1(VALU_DEP_3)
	v_add_f32_e32 v29, v27, v29
	v_fmac_f32_e32 v31, v57, v36
	s_delay_alu instid0(VALU_DEP_3) | instskip(SKIP_1) | instid1(VALU_DEP_3)
	v_fmac_f32_e32 v37, v42, v36
	v_add_f32_e32 v27, v40, v34
	v_add_f32_e32 v31, v47, v31
	s_delay_alu instid0(VALU_DEP_3)
	v_add_f32_e32 v26, v39, v37
	s_cbranch_scc0 .LBB390_19
.LBB390_11:                             ;   Parent Loop BB390_8 Depth=1
                                        ; =>  This Inner Loop Header: Depth=2
	s_wait_alu 0xfffe
	v_add_nc_u32_e32 v1, s2, v17
	s_delay_alu instid0(VALU_DEP_1) | instskip(SKIP_3) | instid1(SALU_CYCLE_1)
	v_cmp_le_i32_e32 vcc_lo, s5, v1
	s_or_b32 s3, s18, vcc_lo
	s_wait_alu 0xfffe
	s_and_saveexec_b32 s24, s3
	s_xor_b32 s3, exec_lo, s24
; %bb.12:                               ;   in Loop: Header=BB390_11 Depth=2
	v_mov_b32_e32 v1, v0
	ds_store_b64 v18, v[0:1]
; %bb.13:                               ;   in Loop: Header=BB390_11 Depth=2
	s_wait_alu 0xfffe
	s_and_not1_saveexec_b32 s3, s3
	s_cbranch_execz .LBB390_15
; %bb.14:                               ;   in Loop: Header=BB390_11 Depth=2
	flat_load_b64 v[34:35], v[12:13]
	s_wait_loadcnt_dscnt 0x0
	ds_store_b64 v18, v[34:35]
.LBB390_15:                             ;   in Loop: Header=BB390_11 Depth=2
	s_wait_alu 0xfffe
	s_or_b32 exec_lo, exec_lo, s3
	v_add_nc_u32_e32 v1, s2, v16
	s_delay_alu instid0(VALU_DEP_1) | instskip(SKIP_3) | instid1(SALU_CYCLE_1)
	v_cmp_le_i32_e32 vcc_lo, s5, v1
	s_or_b32 s3, vcc_lo, s27
	s_wait_alu 0xfffe
	s_and_saveexec_b32 s24, s3
	s_xor_b32 s3, exec_lo, s24
; %bb.16:                               ;   in Loop: Header=BB390_11 Depth=2
	v_mov_b32_e32 v1, v0
	ds_store_b64 v19, v[0:1]
; %bb.17:                               ;   in Loop: Header=BB390_11 Depth=2
	s_wait_alu 0xfffe
	s_and_not1_saveexec_b32 s3, s3
	s_cbranch_execz .LBB390_10
; %bb.18:                               ;   in Loop: Header=BB390_11 Depth=2
	flat_load_b64 v[34:35], v[14:15]
	s_wait_loadcnt_dscnt 0x0
	ds_store_b64 v19, v[34:35]
	s_branch .LBB390_10
.LBB390_19:                             ;   in Loop: Header=BB390_8 Depth=1
	s_wait_loadcnt 0x0
	v_add_co_u32 v1, vcc_lo, v10, s0
	s_wait_alu 0xfffd
	v_add_co_ci_u32_e64 v12, null, s1, v11, vcc_lo
	s_delay_alu instid0(VALU_DEP_2) | instskip(SKIP_1) | instid1(VALU_DEP_2)
	v_add_co_u32 v13, vcc_lo, v1, v2
	s_wait_alu 0xfffd
	v_add_co_ci_u32_e64 v14, null, v12, v3, vcc_lo
	s_and_saveexec_b32 s2, s19
	s_cbranch_execz .LBB390_24
; %bb.20:                               ;   in Loop: Header=BB390_8 Depth=1
	v_mul_f32_e32 v11, s6, v32
	v_mul_f32_e32 v10, s7, v32
	s_and_b32 vcc_lo, exec_lo, s9
	s_mov_b32 s3, -1
	s_delay_alu instid0(VALU_DEP_2) | instskip(NEXT) | instid1(VALU_DEP_2)
	v_fmac_f32_e32 v11, s7, v33
	v_fma_f32 v10, v33, s6, -v10
	s_wait_alu 0xfffe
	s_cbranch_vccz .LBB390_22
; %bb.21:                               ;   in Loop: Header=BB390_8 Depth=1
	v_add_co_u32 v32, vcc_lo, v13, v6
	s_wait_alu 0xfffd
	v_add_co_ci_u32_e64 v33, null, v14, v7, vcc_lo
	s_mov_b32 s3, 0
	flat_load_b64 v[34:35], v[32:33]
	s_wait_loadcnt_dscnt 0x0
	v_mul_f32_e32 v15, s21, v35
	v_mul_f32_e32 v35, s20, v35
	s_delay_alu instid0(VALU_DEP_2) | instskip(NEXT) | instid1(VALU_DEP_1)
	v_fma_f32 v15, v34, s20, -v15
	v_dual_fmac_f32 v35, s21, v34 :: v_dual_add_f32 v34, v10, v15
	s_delay_alu instid0(VALU_DEP_1)
	v_add_f32_e32 v35, v11, v35
	flat_store_b64 v[32:33], v[34:35]
.LBB390_22:                             ;   in Loop: Header=BB390_8 Depth=1
	s_wait_alu 0xfffe
	s_and_not1_b32 vcc_lo, exec_lo, s3
	s_wait_alu 0xfffe
	s_cbranch_vccnz .LBB390_24
; %bb.23:                               ;   in Loop: Header=BB390_8 Depth=1
	v_add_co_u32 v32, vcc_lo, v13, v6
	s_wait_alu 0xfffd
	v_add_co_ci_u32_e64 v33, null, v14, v7, vcc_lo
	flat_store_b64 v[32:33], v[10:11]
.LBB390_24:                             ;   in Loop: Header=BB390_8 Depth=1
	s_wait_alu 0xfffe
	s_or_b32 exec_lo, exec_lo, s2
	s_and_saveexec_b32 s2, s26
	s_cbranch_execz .LBB390_29
; %bb.25:                               ;   in Loop: Header=BB390_8 Depth=1
	v_mul_f32_e32 v11, s6, v31
	v_mul_f32_e32 v10, s7, v31
	s_and_not1_b32 vcc_lo, exec_lo, s9
	s_mov_b32 s3, -1
	s_delay_alu instid0(VALU_DEP_2) | instskip(NEXT) | instid1(VALU_DEP_2)
	v_fmac_f32_e32 v11, s7, v30
	v_fma_f32 v10, v30, s6, -v10
	s_wait_alu 0xfffe
	s_cbranch_vccnz .LBB390_27
; %bb.26:                               ;   in Loop: Header=BB390_8 Depth=1
	v_add_co_u32 v30, vcc_lo, v13, v8
	s_wait_alu 0xfffd
	v_add_co_ci_u32_e64 v31, null, v14, v9, vcc_lo
	s_mov_b32 s3, 0
	flat_load_b64 v[32:33], v[30:31]
	s_wait_loadcnt_dscnt 0x0
	v_mul_f32_e32 v15, s21, v33
	s_delay_alu instid0(VALU_DEP_1) | instskip(SKIP_1) | instid1(VALU_DEP_1)
	v_fma_f32 v15, v32, s20, -v15
	v_mul_f32_e32 v33, s20, v33
	v_dual_fmac_f32 v33, s21, v32 :: v_dual_add_f32 v32, v10, v15
	s_delay_alu instid0(VALU_DEP_1)
	v_add_f32_e32 v33, v11, v33
	flat_store_b64 v[30:31], v[32:33]
.LBB390_27:                             ;   in Loop: Header=BB390_8 Depth=1
	s_wait_alu 0xfffe
	s_and_not1_b32 vcc_lo, exec_lo, s3
	s_wait_alu 0xfffe
	s_cbranch_vccnz .LBB390_29
; %bb.28:                               ;   in Loop: Header=BB390_8 Depth=1
	v_add_co_u32 v13, vcc_lo, v13, v8
	s_wait_alu 0xfffd
	v_add_co_ci_u32_e64 v14, null, v14, v9, vcc_lo
	flat_store_b64 v[13:14], v[10:11]
.LBB390_29:                             ;   in Loop: Header=BB390_8 Depth=1
	s_wait_alu 0xfffe
	s_or_b32 exec_lo, exec_lo, s2
	v_add_co_u32 v1, vcc_lo, v1, v4
	s_wait_alu 0xfffd
	v_add_co_ci_u32_e64 v12, null, v12, v5, vcc_lo
	s_and_saveexec_b32 s2, s14
	s_cbranch_execz .LBB390_34
; %bb.30:                               ;   in Loop: Header=BB390_8 Depth=1
	v_mul_f32_e32 v11, s6, v29
	v_mul_f32_e32 v10, s7, v29
	s_and_not1_b32 vcc_lo, exec_lo, s9
	s_mov_b32 s3, -1
	s_delay_alu instid0(VALU_DEP_2) | instskip(NEXT) | instid1(VALU_DEP_2)
	v_fmac_f32_e32 v11, s7, v28
	v_fma_f32 v10, v28, s6, -v10
	s_wait_alu 0xfffe
	s_cbranch_vccnz .LBB390_32
; %bb.31:                               ;   in Loop: Header=BB390_8 Depth=1
	v_add_co_u32 v13, vcc_lo, v1, v6
	s_wait_alu 0xfffd
	v_add_co_ci_u32_e64 v14, null, v12, v7, vcc_lo
	s_mov_b32 s3, 0
	flat_load_b64 v[28:29], v[13:14]
	s_wait_loadcnt_dscnt 0x0
	v_mul_f32_e32 v15, s21, v29
	s_delay_alu instid0(VALU_DEP_1) | instskip(SKIP_1) | instid1(VALU_DEP_1)
	v_fma_f32 v15, v28, s20, -v15
	v_mul_f32_e32 v29, s20, v29
	v_dual_fmac_f32 v29, s21, v28 :: v_dual_add_f32 v28, v10, v15
	s_delay_alu instid0(VALU_DEP_1)
	v_add_f32_e32 v29, v11, v29
	flat_store_b64 v[13:14], v[28:29]
.LBB390_32:                             ;   in Loop: Header=BB390_8 Depth=1
	s_wait_alu 0xfffe
	s_and_not1_b32 vcc_lo, exec_lo, s3
	s_wait_alu 0xfffe
	s_cbranch_vccnz .LBB390_34
; %bb.33:                               ;   in Loop: Header=BB390_8 Depth=1
	v_add_co_u32 v13, vcc_lo, v1, v6
	s_wait_alu 0xfffd
	v_add_co_ci_u32_e64 v14, null, v12, v7, vcc_lo
	flat_store_b64 v[13:14], v[10:11]
.LBB390_34:                             ;   in Loop: Header=BB390_8 Depth=1
	s_wait_alu 0xfffe
	s_or_b32 exec_lo, exec_lo, s2
	s_and_saveexec_b32 s2, s4
	s_cbranch_execz .LBB390_7
; %bb.35:                               ;   in Loop: Header=BB390_8 Depth=1
	v_mul_f32_e32 v11, s6, v26
	v_mul_f32_e32 v10, s7, v26
	s_and_not1_b32 vcc_lo, exec_lo, s9
	s_mov_b32 s3, -1
	s_delay_alu instid0(VALU_DEP_2) | instskip(NEXT) | instid1(VALU_DEP_2)
	v_fmac_f32_e32 v11, s7, v27
	v_fma_f32 v10, v27, s6, -v10
	s_wait_alu 0xfffe
	s_cbranch_vccnz .LBB390_37
; %bb.36:                               ;   in Loop: Header=BB390_8 Depth=1
	v_add_co_u32 v13, vcc_lo, v1, v8
	s_wait_alu 0xfffd
	v_add_co_ci_u32_e64 v14, null, v12, v9, vcc_lo
	s_mov_b32 s3, 0
	flat_load_b64 v[26:27], v[13:14]
	s_wait_loadcnt_dscnt 0x0
	v_mul_f32_e32 v15, s21, v27
	v_mul_f32_e32 v27, s20, v27
	s_delay_alu instid0(VALU_DEP_2) | instskip(NEXT) | instid1(VALU_DEP_1)
	v_fma_f32 v15, v26, s20, -v15
	v_dual_fmac_f32 v27, s21, v26 :: v_dual_add_f32 v26, v10, v15
	s_delay_alu instid0(VALU_DEP_1)
	v_add_f32_e32 v27, v11, v27
	flat_store_b64 v[13:14], v[26:27]
.LBB390_37:                             ;   in Loop: Header=BB390_8 Depth=1
	s_wait_alu 0xfffe
	s_and_not1_b32 vcc_lo, exec_lo, s3
	s_wait_alu 0xfffe
	s_cbranch_vccnz .LBB390_7
; %bb.38:                               ;   in Loop: Header=BB390_8 Depth=1
	v_add_co_u32 v13, vcc_lo, v1, v8
	s_wait_alu 0xfffd
	v_add_co_ci_u32_e64 v14, null, v12, v9, vcc_lo
	flat_store_b64 v[13:14], v[10:11]
	s_branch .LBB390_7
.LBB390_39:
	s_endpgm
	.section	.rodata,"a",@progbits
	.p2align	6, 0x0
	.amdhsa_kernel _ZL29rocblas_internal_gemmt_kernelIiLi16ELi32ELi8ELc84ELc78ELc76ELb0ELb0E19rocblas_complex_numIfES1_PKPKS1_PKPS1_EviT_T9_T10_S9_lSB_S9_lSA_T11_S9_li
		.amdhsa_group_segment_fixed_size 4096
		.amdhsa_private_segment_fixed_size 0
		.amdhsa_kernarg_size 100
		.amdhsa_user_sgpr_count 2
		.amdhsa_user_sgpr_dispatch_ptr 0
		.amdhsa_user_sgpr_queue_ptr 0
		.amdhsa_user_sgpr_kernarg_segment_ptr 1
		.amdhsa_user_sgpr_dispatch_id 0
		.amdhsa_user_sgpr_private_segment_size 0
		.amdhsa_wavefront_size32 1
		.amdhsa_uses_dynamic_stack 0
		.amdhsa_enable_private_segment 0
		.amdhsa_system_sgpr_workgroup_id_x 1
		.amdhsa_system_sgpr_workgroup_id_y 1
		.amdhsa_system_sgpr_workgroup_id_z 1
		.amdhsa_system_sgpr_workgroup_info 0
		.amdhsa_system_vgpr_workitem_id 1
		.amdhsa_next_free_vgpr 71
		.amdhsa_next_free_sgpr 35
		.amdhsa_reserve_vcc 1
		.amdhsa_float_round_mode_32 0
		.amdhsa_float_round_mode_16_64 0
		.amdhsa_float_denorm_mode_32 3
		.amdhsa_float_denorm_mode_16_64 3
		.amdhsa_fp16_overflow 0
		.amdhsa_workgroup_processor_mode 1
		.amdhsa_memory_ordered 1
		.amdhsa_forward_progress 1
		.amdhsa_inst_pref_size 25
		.amdhsa_round_robin_scheduling 0
		.amdhsa_exception_fp_ieee_invalid_op 0
		.amdhsa_exception_fp_denorm_src 0
		.amdhsa_exception_fp_ieee_div_zero 0
		.amdhsa_exception_fp_ieee_overflow 0
		.amdhsa_exception_fp_ieee_underflow 0
		.amdhsa_exception_fp_ieee_inexact 0
		.amdhsa_exception_int_div_zero 0
	.end_amdhsa_kernel
	.section	.text._ZL29rocblas_internal_gemmt_kernelIiLi16ELi32ELi8ELc84ELc78ELc76ELb0ELb0E19rocblas_complex_numIfES1_PKPKS1_PKPS1_EviT_T9_T10_S9_lSB_S9_lSA_T11_S9_li,"axG",@progbits,_ZL29rocblas_internal_gemmt_kernelIiLi16ELi32ELi8ELc84ELc78ELc76ELb0ELb0E19rocblas_complex_numIfES1_PKPKS1_PKPS1_EviT_T9_T10_S9_lSB_S9_lSA_T11_S9_li,comdat
.Lfunc_end390:
	.size	_ZL29rocblas_internal_gemmt_kernelIiLi16ELi32ELi8ELc84ELc78ELc76ELb0ELb0E19rocblas_complex_numIfES1_PKPKS1_PKPS1_EviT_T9_T10_S9_lSB_S9_lSA_T11_S9_li, .Lfunc_end390-_ZL29rocblas_internal_gemmt_kernelIiLi16ELi32ELi8ELc84ELc78ELc76ELb0ELb0E19rocblas_complex_numIfES1_PKPKS1_PKPS1_EviT_T9_T10_S9_lSB_S9_lSA_T11_S9_li
                                        ; -- End function
	.set _ZL29rocblas_internal_gemmt_kernelIiLi16ELi32ELi8ELc84ELc78ELc76ELb0ELb0E19rocblas_complex_numIfES1_PKPKS1_PKPS1_EviT_T9_T10_S9_lSB_S9_lSA_T11_S9_li.num_vgpr, 71
	.set _ZL29rocblas_internal_gemmt_kernelIiLi16ELi32ELi8ELc84ELc78ELc76ELb0ELb0E19rocblas_complex_numIfES1_PKPKS1_PKPS1_EviT_T9_T10_S9_lSB_S9_lSA_T11_S9_li.num_agpr, 0
	.set _ZL29rocblas_internal_gemmt_kernelIiLi16ELi32ELi8ELc84ELc78ELc76ELb0ELb0E19rocblas_complex_numIfES1_PKPKS1_PKPS1_EviT_T9_T10_S9_lSB_S9_lSA_T11_S9_li.numbered_sgpr, 35
	.set _ZL29rocblas_internal_gemmt_kernelIiLi16ELi32ELi8ELc84ELc78ELc76ELb0ELb0E19rocblas_complex_numIfES1_PKPKS1_PKPS1_EviT_T9_T10_S9_lSB_S9_lSA_T11_S9_li.num_named_barrier, 0
	.set _ZL29rocblas_internal_gemmt_kernelIiLi16ELi32ELi8ELc84ELc78ELc76ELb0ELb0E19rocblas_complex_numIfES1_PKPKS1_PKPS1_EviT_T9_T10_S9_lSB_S9_lSA_T11_S9_li.private_seg_size, 0
	.set _ZL29rocblas_internal_gemmt_kernelIiLi16ELi32ELi8ELc84ELc78ELc76ELb0ELb0E19rocblas_complex_numIfES1_PKPKS1_PKPS1_EviT_T9_T10_S9_lSB_S9_lSA_T11_S9_li.uses_vcc, 1
	.set _ZL29rocblas_internal_gemmt_kernelIiLi16ELi32ELi8ELc84ELc78ELc76ELb0ELb0E19rocblas_complex_numIfES1_PKPKS1_PKPS1_EviT_T9_T10_S9_lSB_S9_lSA_T11_S9_li.uses_flat_scratch, 0
	.set _ZL29rocblas_internal_gemmt_kernelIiLi16ELi32ELi8ELc84ELc78ELc76ELb0ELb0E19rocblas_complex_numIfES1_PKPKS1_PKPS1_EviT_T9_T10_S9_lSB_S9_lSA_T11_S9_li.has_dyn_sized_stack, 0
	.set _ZL29rocblas_internal_gemmt_kernelIiLi16ELi32ELi8ELc84ELc78ELc76ELb0ELb0E19rocblas_complex_numIfES1_PKPKS1_PKPS1_EviT_T9_T10_S9_lSB_S9_lSA_T11_S9_li.has_recursion, 0
	.set _ZL29rocblas_internal_gemmt_kernelIiLi16ELi32ELi8ELc84ELc78ELc76ELb0ELb0E19rocblas_complex_numIfES1_PKPKS1_PKPS1_EviT_T9_T10_S9_lSB_S9_lSA_T11_S9_li.has_indirect_call, 0
	.section	.AMDGPU.csdata,"",@progbits
; Kernel info:
; codeLenInByte = 3156
; TotalNumSgprs: 37
; NumVgprs: 71
; ScratchSize: 0
; MemoryBound: 1
; FloatMode: 240
; IeeeMode: 1
; LDSByteSize: 4096 bytes/workgroup (compile time only)
; SGPRBlocks: 0
; VGPRBlocks: 8
; NumSGPRsForWavesPerEU: 37
; NumVGPRsForWavesPerEU: 71
; Occupancy: 16
; WaveLimiterHint : 1
; COMPUTE_PGM_RSRC2:SCRATCH_EN: 0
; COMPUTE_PGM_RSRC2:USER_SGPR: 2
; COMPUTE_PGM_RSRC2:TRAP_HANDLER: 0
; COMPUTE_PGM_RSRC2:TGID_X_EN: 1
; COMPUTE_PGM_RSRC2:TGID_Y_EN: 1
; COMPUTE_PGM_RSRC2:TGID_Z_EN: 1
; COMPUTE_PGM_RSRC2:TIDIG_COMP_CNT: 1
	.section	.text._ZL29rocblas_internal_gemmt_kernelIiLi16ELi32ELi8ELc84ELc84ELc76ELb0ELb0E19rocblas_complex_numIfES1_PKPKS1_PKPS1_EviT_T9_T10_S9_lSB_S9_lSA_T11_S9_li,"axG",@progbits,_ZL29rocblas_internal_gemmt_kernelIiLi16ELi32ELi8ELc84ELc84ELc76ELb0ELb0E19rocblas_complex_numIfES1_PKPKS1_PKPS1_EviT_T9_T10_S9_lSB_S9_lSA_T11_S9_li,comdat
	.globl	_ZL29rocblas_internal_gemmt_kernelIiLi16ELi32ELi8ELc84ELc84ELc76ELb0ELb0E19rocblas_complex_numIfES1_PKPKS1_PKPS1_EviT_T9_T10_S9_lSB_S9_lSA_T11_S9_li ; -- Begin function _ZL29rocblas_internal_gemmt_kernelIiLi16ELi32ELi8ELc84ELc84ELc76ELb0ELb0E19rocblas_complex_numIfES1_PKPKS1_PKPS1_EviT_T9_T10_S9_lSB_S9_lSA_T11_S9_li
	.p2align	8
	.type	_ZL29rocblas_internal_gemmt_kernelIiLi16ELi32ELi8ELc84ELc84ELc76ELb0ELb0E19rocblas_complex_numIfES1_PKPKS1_PKPS1_EviT_T9_T10_S9_lSB_S9_lSA_T11_S9_li,@function
_ZL29rocblas_internal_gemmt_kernelIiLi16ELi32ELi8ELc84ELc84ELc76ELb0ELb0E19rocblas_complex_numIfES1_PKPKS1_PKPS1_EviT_T9_T10_S9_lSB_S9_lSA_T11_S9_li: ; @_ZL29rocblas_internal_gemmt_kernelIiLi16ELi32ELi8ELc84ELc84ELc76ELb0ELb0E19rocblas_complex_numIfES1_PKPKS1_PKPS1_EviT_T9_T10_S9_lSB_S9_lSA_T11_S9_li
; %bb.0:
	s_clause 0x1
	s_load_b64 s[20:21], s[0:1], 0x40
	s_load_b128 s[4:7], s[0:1], 0x0
	s_wait_kmcnt 0x0
	s_cmp_eq_f32 s20, 1.0
	s_cselect_b32 s3, -1, 0
	s_and_b32 s2, s21, 0x7fffffff
	s_delay_alu instid0(SALU_CYCLE_1) | instskip(SKIP_1) | instid1(SALU_CYCLE_1)
	s_cmp_eq_u32 s2, 0
	s_cselect_b32 s2, -1, 0
	s_and_b32 s8, s3, s2
	s_mov_b32 s3, 0
	s_and_not1_b32 vcc_lo, exec_lo, s8
	s_mov_b32 s8, -1
	s_cbranch_vccnz .LBB391_4
; %bb.1:
	s_cmp_lg_u32 s5, 0
	s_cbranch_scc0 .LBB391_3
; %bb.2:
	s_cmp_neq_f32 s6, 0
	s_cselect_b32 s3, -1, 0
	s_cmp_neq_f32 s7, 0
	s_cselect_b32 s8, -1, 0
	s_delay_alu instid0(SALU_CYCLE_1)
	s_or_b32 s3, s3, s8
.LBB391_3:
	s_delay_alu instid0(SALU_CYCLE_1)
	s_mov_b32 s8, s3
.LBB391_4:
	s_delay_alu instid0(SALU_CYCLE_1)
	s_and_b32 vcc_lo, exec_lo, s8
	s_cbranch_vccz .LBB391_39
; %bb.5:
	s_load_b32 s15, s[0:1], 0x60
	s_lshr_b32 s22, ttmp7, 16
	s_wait_kmcnt 0x0
	s_cmp_ge_u32 s22, s15
	s_cbranch_scc1 .LBB391_39
; %bb.6:
	s_load_b32 s24, s[0:1], 0x30
	v_and_b32_e32 v1, 0x3ff, v0
	v_bfe_u32 v2, v0, 10, 10
	v_and_b32_e32 v16, 7, v0
	s_clause 0x4
	s_load_b96 s[12:14], s[0:1], 0x10
	s_load_b128 s[8:11], s[0:1], 0x20
	s_load_b64 s[28:29], s[0:1], 0x38
	s_load_b96 s[16:18], s[0:1], 0x48
	s_load_b64 s[26:27], s[0:1], 0x58
	s_lshl_b32 s1, ttmp7, 5
	s_lshl_b32 s0, ttmp9, 5
	v_lshl_add_u32 v0, v2, 4, v1
	s_and_b32 s1, s1, 0x1fffe0
	v_lshlrev_b32_e32 v3, 3, v16
	v_add_nc_u32_e32 v6, s0, v1
	v_lshlrev_b32_e32 v20, 3, v1
	v_lshrrev_b32_e32 v5, 3, v0
	v_and_b32_e32 v4, 31, v0
	v_lshrrev_b32_e32 v17, 5, v0
	v_add_nc_u32_e32 v8, 16, v6
	v_lshl_add_u32 v21, v2, 6, 0x800
	v_lshl_or_b32 v3, v5, 6, v3
	v_or_b32_e32 v0, s0, v4
	v_lshlrev_b32_e32 v4, 3, v4
	s_wait_kmcnt 0x0
	s_ashr_i32 s25, s24, 31
	s_cmp_neq_f32 s6, 0
	v_add_nc_u32_e32 v19, 0x800, v3
	v_add_nc_u32_e32 v3, s1, v2
	;; [unrolled: 1-line block ×3, first 2 shown]
	s_cselect_b32 s3, -1, 0
	s_cmp_neq_f32 s7, 0
	v_lshl_or_b32 v18, v17, 8, v4
	v_cmp_le_i32_e64 s1, v3, v6
	v_mad_co_i64_i32 v[1:2], null, v3, s18, 0
	s_cselect_b32 s19, -1, 0
	v_add_nc_u32_e32 v5, 16, v3
	s_wait_alu 0xfffe
	s_or_b32 s31, s3, s19
	s_cmp_gt_i32 s5, 0
	v_cmp_le_i32_e64 s3, v3, v8
	s_cselect_b32 s33, -1, 0
	s_cmp_neq_f32 s20, 0
	v_mad_co_i64_i32 v[3:4], null, s14, v0, 0
	v_cmp_gt_i32_e32 vcc_lo, s4, v0
	v_cmp_gt_i32_e64 s0, s4, v14
	s_cselect_b32 s34, -1, 0
	s_xor_b32 s35, s2, -1
	v_cmp_gt_i32_e64 s2, s4, v6
	v_cmp_gt_i32_e64 s4, s4, v8
	v_mad_co_i64_i32 v[10:11], null, s24, v16, 0
	v_lshlrev_b64_e32 v[3:4], 3, v[3:4]
	s_delay_alu instid0(VALU_DEP_4) | instskip(NEXT) | instid1(VALU_DEP_3)
	s_and_b32 s19, s1, s2
	s_and_b32 s30, s3, s4
	v_cmp_le_i32_e64 s1, v5, v6
	v_cmp_le_i32_e64 s3, v5, v8
	v_mad_co_i64_i32 v[12:13], null, v5, s18, 0
	v_lshlrev_b64_e32 v[10:11], 3, v[10:11]
	s_delay_alu instid0(VALU_DEP_4) | instskip(NEXT) | instid1(VALU_DEP_3)
	s_and_b32 s14, s1, s2
	s_and_b32 s4, s3, s4
	s_lshl_b64 s[2:3], s[8:9], 3
	v_lshlrev_b32_e32 v5, 3, v17
	v_add_co_u32 v3, s1, v3, s2
	s_wait_alu 0xf1ff
	v_add_co_ci_u32_e64 v4, null, s3, v4, s1
	s_lshl_b64 s[2:3], s[28:29], 3
	v_lshlrev_b32_e32 v14, 3, v14
	s_wait_alu 0xfffe
	v_add_co_u32 v10, s1, v10, s2
	v_ashrrev_i32_e32 v7, 31, v6
	v_ashrrev_i32_e32 v9, 31, v8
	s_wait_alu 0xf1ff
	v_add_co_ci_u32_e64 v11, null, s3, v11, s1
	v_add_co_u32 v22, s1, v3, v5
	s_wait_alu 0xf1ff
	v_add_co_ci_u32_e64 v23, null, 0, v4, s1
	v_add_co_u32 v24, s1, v10, v14
	v_lshlrev_b64_e32 v[2:3], 3, v[1:2]
	v_lshlrev_b64_e32 v[4:5], 3, v[12:13]
	;; [unrolled: 1-line block ×4, first 2 shown]
	v_mov_b32_e32 v0, 0
	s_wait_alu 0xf1ff
	v_add_co_ci_u32_e64 v25, null, 0, v11, s1
	s_mov_b32 s23, 0
	s_lshl_b64 s[2:3], s[24:25], 6
	s_and_b32 s18, s31, s33
	s_or_b32 s24, s34, s35
	s_xor_b32 s25, vcc_lo, -1
	s_xor_b32 s28, s0, -1
	s_lshl_b64 s[0:1], s[26:27], 3
	s_branch .LBB391_8
.LBB391_7:                              ;   in Loop: Header=BB391_8 Depth=1
	s_wait_alu 0xfffe
	s_or_b32 exec_lo, exec_lo, s8
	s_add_co_i32 s22, s22, 0x10000
	s_delay_alu instid0(SALU_CYCLE_1)
	s_cmp_lt_u32 s22, s15
	s_cbranch_scc0 .LBB391_39
.LBB391_8:                              ; =>This Loop Header: Depth=1
                                        ;     Child Loop BB391_11 Depth 2
	s_lshl_b64 s[8:9], s[22:23], 3
	v_dual_mov_b32 v33, v0 :: v_dual_mov_b32 v32, v0
	s_wait_alu 0xfffe
	s_add_nc_u64 s[26:27], s[16:17], s[8:9]
	v_dual_mov_b32 v30, v0 :: v_dual_mov_b32 v31, v0
	global_load_b64 v[10:11], v0, s[26:27]
	v_dual_mov_b32 v28, v0 :: v_dual_mov_b32 v29, v0
	v_dual_mov_b32 v27, v0 :: v_dual_mov_b32 v26, v0
	s_and_not1_b32 vcc_lo, exec_lo, s18
	s_wait_alu 0xfffe
	s_cbranch_vccnz .LBB391_19
; %bb.9:                                ;   in Loop: Header=BB391_8 Depth=1
	s_add_nc_u64 s[26:27], s[12:13], s[8:9]
	s_add_nc_u64 s[8:9], s[10:11], s[8:9]
	s_clause 0x1
	global_load_b64 v[12:13], v0, s[26:27]
	global_load_b64 v[14:15], v0, s[8:9]
	v_dual_mov_b32 v26, 0 :: v_dual_mov_b32 v27, 0
	v_dual_mov_b32 v29, 0 :: v_dual_mov_b32 v28, 0
	v_dual_mov_b32 v31, 0 :: v_dual_mov_b32 v30, 0
	v_dual_mov_b32 v32, 0 :: v_dual_mov_b32 v33, 0
	s_mov_b32 s8, 0
	s_wait_loadcnt 0x1
	v_add_co_u32 v12, vcc_lo, v12, v22
	s_wait_alu 0xfffd
	v_add_co_ci_u32_e64 v13, null, v13, v23, vcc_lo
	s_wait_loadcnt 0x0
	v_add_co_u32 v14, vcc_lo, v14, v24
	s_wait_alu 0xfffd
	v_add_co_ci_u32_e64 v15, null, v15, v25, vcc_lo
	s_branch .LBB391_11
.LBB391_10:                             ;   in Loop: Header=BB391_11 Depth=2
	s_wait_alu 0xfffe
	s_or_b32 exec_lo, exec_lo, s9
	s_wait_dscnt 0x0
	s_barrier_signal -1
	s_barrier_wait -1
	global_inv scope:SCOPE_SE
	ds_load_b128 v[34:37], v21
	ds_load_2addr_b64 v[38:41], v20 offset1:16
	ds_load_b128 v[42:45], v21 offset:1024
	ds_load_b128 v[46:49], v21 offset:16
	;; [unrolled: 1-line block ×4, first 2 shown]
	ds_load_2addr_b64 v[58:61], v20 offset0:32 offset1:48
	ds_load_b128 v[62:65], v21 offset:1040
	v_add_co_u32 v12, vcc_lo, v12, 64
	s_wait_alu 0xfffd
	v_add_co_ci_u32_e64 v13, null, 0, v13, vcc_lo
	v_add_co_u32 v14, vcc_lo, v14, s2
	s_wait_alu 0xfffd
	v_add_co_ci_u32_e64 v15, null, s3, v15, vcc_lo
	s_add_co_i32 s8, s8, 8
	s_wait_alu 0xfffe
	s_cmp_lt_i32 s8, s5
	s_wait_dscnt 0x6
	v_dual_mul_f32 v1, v35, v39 :: v_dual_mul_f32 v68, v34, v41
	v_dual_mul_f32 v66, v34, v39 :: v_dual_mul_f32 v67, v35, v41
	s_wait_dscnt 0x5
	v_mul_f32_e32 v70, v43, v41
	s_delay_alu instid0(VALU_DEP_3) | instskip(SKIP_3) | instid1(VALU_DEP_4)
	v_fma_f32 v1, v34, v38, -v1
	v_dual_mul_f32 v41, v42, v41 :: v_dual_fmac_f32 v68, v35, v40
	v_fmac_f32_e32 v66, v35, v38
	v_fma_f32 v34, v34, v40, -v67
	v_add_f32_e32 v1, v33, v1
	v_mul_f32_e32 v69, v43, v39
	s_delay_alu instid0(VALU_DEP_4) | instskip(NEXT) | instid1(VALU_DEP_4)
	v_dual_mul_f32 v39, v42, v39 :: v_dual_add_f32 v32, v32, v66
	v_add_f32_e32 v33, v30, v34
	v_fmac_f32_e32 v41, v43, v40
	s_delay_alu instid0(VALU_DEP_4) | instskip(NEXT) | instid1(VALU_DEP_4)
	v_fma_f32 v35, v42, v38, -v69
	v_fmac_f32_e32 v39, v43, v38
	v_fma_f32 v38, v42, v40, -v70
	s_wait_dscnt 0x1
	v_dual_mul_f32 v40, v36, v59 :: v_dual_add_f32 v31, v31, v68
	v_mul_f32_e32 v42, v37, v61
	v_add_f32_e32 v34, v28, v35
	v_dual_add_f32 v35, v29, v39 :: v_dual_add_f32 v38, v27, v38
	ds_load_2addr_b64 v[27:30], v20 offset0:64 offset1:80
	v_fmac_f32_e32 v40, v37, v58
	v_dual_mul_f32 v39, v37, v59 :: v_dual_add_f32 v26, v26, v41
	v_mul_f32_e32 v41, v36, v61
	s_delay_alu instid0(VALU_DEP_3) | instskip(NEXT) | instid1(VALU_DEP_3)
	v_add_f32_e32 v40, v32, v40
	v_fma_f32 v39, v36, v58, -v39
	v_fma_f32 v36, v36, v60, -v42
	v_mul_f32_e32 v32, v44, v59
	s_delay_alu instid0(VALU_DEP_3) | instskip(SKIP_1) | instid1(VALU_DEP_4)
	v_add_f32_e32 v1, v1, v39
	v_mul_f32_e32 v39, v45, v59
	v_add_f32_e32 v36, v33, v36
	v_fmac_f32_e32 v41, v37, v60
	v_mul_f32_e32 v37, v45, v61
	v_fmac_f32_e32 v32, v45, v58
	v_fma_f32 v33, v44, v58, -v39
	s_delay_alu instid0(VALU_DEP_4) | instskip(SKIP_4) | instid1(VALU_DEP_3)
	v_add_f32_e32 v39, v31, v41
	v_mul_f32_e32 v41, v44, v61
	v_fma_f32 v31, v44, v60, -v37
	s_wait_dscnt 0x0
	v_dual_add_f32 v42, v34, v33 :: v_dual_mul_f32 v33, v47, v28
	v_dual_mul_f32 v44, v47, v30 :: v_dual_fmac_f32 v41, v45, v60
	v_mul_f32_e32 v37, v46, v28
	v_add_f32_e32 v38, v38, v31
	s_delay_alu instid0(VALU_DEP_3) | instskip(SKIP_3) | instid1(VALU_DEP_2)
	v_add_f32_e32 v41, v26, v41
	v_mul_f32_e32 v26, v46, v30
	v_fma_f32 v43, v46, v27, -v33
	v_fmac_f32_e32 v37, v47, v27
	v_dual_fmac_f32 v26, v47, v29 :: v_dual_add_f32 v1, v1, v43
	v_fma_f32 v43, v46, v29, -v44
	v_add_f32_e32 v35, v35, v32
	ds_load_2addr_b64 v[31:34], v20 offset0:96 offset1:112
	v_dual_add_f32 v37, v40, v37 :: v_dual_mul_f32 v40, v63, v28
	v_mul_f32_e32 v28, v62, v28
	v_dual_add_f32 v36, v36, v43 :: v_dual_mul_f32 v43, v63, v30
	v_mul_f32_e32 v30, v62, v30
	s_delay_alu instid0(VALU_DEP_4) | instskip(NEXT) | instid1(VALU_DEP_4)
	v_fma_f32 v40, v62, v27, -v40
	v_fmac_f32_e32 v28, v63, v27
	v_add_f32_e32 v39, v39, v26
	v_fma_f32 v26, v62, v29, -v43
	v_fmac_f32_e32 v30, v63, v29
	v_add_f32_e32 v40, v42, v40
	s_delay_alu instid0(VALU_DEP_3)
	v_dual_add_f32 v42, v35, v28 :: v_dual_add_f32 v43, v38, v26
	ds_load_2addr_b64 v[26:29], v20 offset0:128 offset1:144
	s_wait_dscnt 0x1
	v_mul_f32_e32 v35, v49, v32
	v_mul_f32_e32 v38, v48, v32
	;; [unrolled: 1-line block ×4, first 2 shown]
	s_delay_alu instid0(VALU_DEP_4) | instskip(NEXT) | instid1(VALU_DEP_4)
	v_fma_f32 v35, v48, v31, -v35
	v_fmac_f32_e32 v38, v49, v31
	s_delay_alu instid0(VALU_DEP_2) | instskip(SKIP_1) | instid1(VALU_DEP_3)
	v_add_f32_e32 v1, v1, v35
	v_mul_f32_e32 v35, v65, v32
	v_dual_mul_f32 v32, v64, v32 :: v_dual_add_f32 v45, v37, v38
	s_delay_alu instid0(VALU_DEP_2) | instskip(NEXT) | instid1(VALU_DEP_2)
	v_fma_f32 v46, v64, v31, -v35
	v_fmac_f32_e32 v32, v65, v31
	s_wait_dscnt 0x0
	v_mul_f32_e32 v31, v51, v27
	v_fma_f32 v44, v48, v33, -v44
	v_add_f32_e32 v41, v41, v30
	v_mul_f32_e32 v30, v48, v34
	v_mul_f32_e32 v58, v50, v29
	s_delay_alu instid0(VALU_DEP_4) | instskip(SKIP_2) | instid1(VALU_DEP_1)
	v_add_f32_e32 v44, v36, v44
	ds_load_b128 v[35:38], v21 offset:1056
	v_dual_fmac_f32 v30, v49, v33 :: v_dual_mul_f32 v49, v50, v27
	v_add_f32_e32 v48, v39, v30
	v_fma_f32 v30, v64, v33, -v47
	v_fma_f32 v39, v50, v26, -v31
	v_mul_f32_e32 v34, v64, v34
	v_fmac_f32_e32 v49, v51, v26
	v_add_f32_e32 v46, v40, v46
	v_add_f32_e32 v43, v43, v30
	;; [unrolled: 1-line block ×4, first 2 shown]
	v_fmac_f32_e32 v34, v65, v33
	ds_load_2addr_b64 v[30:33], v20 offset0:160 offset1:176
	v_mul_f32_e32 v40, v51, v29
	v_add_f32_e32 v45, v45, v49
	v_add_f32_e32 v34, v41, v34
	s_delay_alu instid0(VALU_DEP_3)
	v_fma_f32 v50, v50, v28, -v40
	ds_load_b128 v[39:42], v21 offset:1072
	s_wait_dscnt 0x2
	v_mul_f32_e32 v59, v36, v27
	v_dual_mul_f32 v27, v35, v27 :: v_dual_add_f32 v44, v44, v50
	v_fmac_f32_e32 v58, v51, v28
	v_mul_f32_e32 v50, v36, v29
	s_delay_alu instid0(VALU_DEP_4) | instskip(NEXT) | instid1(VALU_DEP_4)
	v_fma_f32 v49, v35, v26, -v59
	v_fmac_f32_e32 v27, v36, v26
	s_delay_alu instid0(VALU_DEP_4) | instskip(SKIP_1) | instid1(VALU_DEP_3)
	v_dual_mul_f32 v51, v35, v29 :: v_dual_add_f32 v48, v48, v58
	s_wait_dscnt 0x1
	v_dual_add_f32 v46, v46, v49 :: v_dual_mul_f32 v29, v53, v31
	v_fma_f32 v26, v35, v28, -v50
	v_add_f32_e32 v35, v47, v27
	v_fmac_f32_e32 v51, v36, v28
	v_mul_f32_e32 v36, v52, v31
	v_fma_f32 v47, v52, v30, -v29
	v_add_f32_e32 v43, v43, v26
	ds_load_2addr_b64 v[26:29], v20 offset0:192 offset1:208
	v_fmac_f32_e32 v36, v53, v30
	v_dual_mul_f32 v49, v53, v33 :: v_dual_add_f32 v50, v34, v51
	v_dual_add_f32 v1, v1, v47 :: v_dual_mul_f32 v34, v52, v33
	s_delay_alu instid0(VALU_DEP_3) | instskip(NEXT) | instid1(VALU_DEP_3)
	v_dual_add_f32 v45, v45, v36 :: v_dual_mul_f32 v36, v38, v31
	v_fma_f32 v47, v52, v32, -v49
	s_delay_alu instid0(VALU_DEP_3) | instskip(NEXT) | instid1(VALU_DEP_3)
	v_fmac_f32_e32 v34, v53, v32
	v_fma_f32 v36, v37, v30, -v36
	s_delay_alu instid0(VALU_DEP_3) | instskip(SKIP_1) | instid1(VALU_DEP_3)
	v_dual_add_f32 v44, v44, v47 :: v_dual_mul_f32 v47, v38, v33
	v_mul_f32_e32 v31, v37, v31
	v_dual_mul_f32 v33, v37, v33 :: v_dual_add_f32 v46, v46, v36
	s_delay_alu instid0(VALU_DEP_2) | instskip(SKIP_2) | instid1(VALU_DEP_4)
	v_fmac_f32_e32 v31, v38, v30
	v_add_f32_e32 v30, v48, v34
	v_fma_f32 v34, v37, v32, -v47
	v_fmac_f32_e32 v33, v38, v32
	s_wait_dscnt 0x0
	v_mul_f32_e32 v38, v54, v27
	v_dual_add_f32 v31, v35, v31 :: v_dual_mul_f32 v48, v54, v29
	v_add_f32_e32 v32, v43, v34
	ds_load_2addr_b64 v[34:37], v20 offset0:224 offset1:240
	v_dual_add_f32 v33, v50, v33 :: v_dual_fmac_f32 v38, v55, v26
	v_mul_f32_e32 v47, v55, v27
	v_fmac_f32_e32 v48, v55, v28
	s_wait_loadcnt_dscnt 0x0
	s_barrier_signal -1
	v_add_f32_e32 v38, v45, v38
	v_fma_f32 v43, v54, v26, -v47
	v_mul_f32_e32 v47, v55, v29
	v_mul_f32_e32 v45, v40, v29
	;; [unrolled: 1-line block ×3, first 2 shown]
	s_barrier_wait -1
	v_add_f32_e32 v1, v1, v43
	v_fma_f32 v47, v54, v28, -v47
	v_mul_f32_e32 v43, v40, v27
	v_fmac_f32_e32 v29, v40, v28
	global_inv scope:SCOPE_SE
	v_dual_add_f32 v44, v44, v47 :: v_dual_add_f32 v47, v30, v48
	v_fma_f32 v30, v39, v28, -v45
	v_mul_f32_e32 v27, v39, v27
	s_delay_alu instid0(VALU_DEP_1) | instskip(NEXT) | instid1(VALU_DEP_3)
	v_fmac_f32_e32 v27, v40, v26
	v_add_f32_e32 v40, v32, v30
	v_mul_f32_e32 v30, v57, v37
	v_fma_f32 v43, v39, v26, -v43
	v_mul_f32_e32 v39, v57, v35
	s_delay_alu instid0(VALU_DEP_2) | instskip(NEXT) | instid1(VALU_DEP_2)
	v_add_f32_e32 v26, v46, v43
	v_fma_f32 v28, v56, v34, -v39
	v_add_f32_e32 v39, v33, v29
	v_mul_f32_e32 v29, v41, v35
	s_delay_alu instid0(VALU_DEP_3) | instskip(SKIP_2) | instid1(VALU_DEP_2)
	v_add_f32_e32 v33, v1, v28
	v_fma_f32 v1, v56, v36, -v30
	v_mul_f32_e32 v28, v42, v35
	v_dual_fmac_f32 v29, v42, v34 :: v_dual_add_f32 v30, v44, v1
	s_delay_alu instid0(VALU_DEP_2) | instskip(SKIP_2) | instid1(VALU_DEP_2)
	v_fma_f32 v1, v41, v34, -v28
	v_mul_f32_e32 v43, v56, v35
	v_mul_f32_e32 v35, v42, v37
	v_dual_add_f32 v28, v26, v1 :: v_dual_fmac_f32 v43, v57, v34
	s_delay_alu instid0(VALU_DEP_2) | instskip(NEXT) | instid1(VALU_DEP_2)
	v_fma_f32 v34, v41, v36, -v35
	v_add_f32_e32 v32, v38, v43
	v_add_f32_e32 v27, v31, v27
	v_mul_f32_e32 v31, v56, v37
	v_mul_f32_e32 v37, v41, v37
	s_delay_alu instid0(VALU_DEP_3) | instskip(NEXT) | instid1(VALU_DEP_3)
	v_add_f32_e32 v29, v27, v29
	v_fmac_f32_e32 v31, v57, v36
	s_delay_alu instid0(VALU_DEP_3) | instskip(SKIP_1) | instid1(VALU_DEP_3)
	v_fmac_f32_e32 v37, v42, v36
	v_add_f32_e32 v27, v40, v34
	v_add_f32_e32 v31, v47, v31
	s_delay_alu instid0(VALU_DEP_3)
	v_add_f32_e32 v26, v39, v37
	s_cbranch_scc0 .LBB391_19
.LBB391_11:                             ;   Parent Loop BB391_8 Depth=1
                                        ; =>  This Inner Loop Header: Depth=2
	s_wait_alu 0xfffe
	v_add_nc_u32_e32 v1, s8, v17
	s_delay_alu instid0(VALU_DEP_1) | instskip(SKIP_3) | instid1(SALU_CYCLE_1)
	v_cmp_le_i32_e32 vcc_lo, s5, v1
	s_or_b32 s9, s25, vcc_lo
	s_wait_alu 0xfffe
	s_and_saveexec_b32 s26, s9
	s_xor_b32 s9, exec_lo, s26
; %bb.12:                               ;   in Loop: Header=BB391_11 Depth=2
	v_mov_b32_e32 v1, v0
	ds_store_b64 v18, v[0:1]
; %bb.13:                               ;   in Loop: Header=BB391_11 Depth=2
	s_wait_alu 0xfffe
	s_and_not1_saveexec_b32 s9, s9
	s_cbranch_execz .LBB391_15
; %bb.14:                               ;   in Loop: Header=BB391_11 Depth=2
	flat_load_b64 v[34:35], v[12:13]
	s_wait_loadcnt_dscnt 0x0
	ds_store_b64 v18, v[34:35]
.LBB391_15:                             ;   in Loop: Header=BB391_11 Depth=2
	s_wait_alu 0xfffe
	s_or_b32 exec_lo, exec_lo, s9
	v_add_nc_u32_e32 v1, s8, v16
	s_delay_alu instid0(VALU_DEP_1) | instskip(SKIP_3) | instid1(SALU_CYCLE_1)
	v_cmp_le_i32_e32 vcc_lo, s5, v1
	s_or_b32 s9, vcc_lo, s28
	s_wait_alu 0xfffe
	s_and_saveexec_b32 s26, s9
	s_xor_b32 s9, exec_lo, s26
; %bb.16:                               ;   in Loop: Header=BB391_11 Depth=2
	v_mov_b32_e32 v1, v0
	ds_store_b64 v19, v[0:1]
; %bb.17:                               ;   in Loop: Header=BB391_11 Depth=2
	s_wait_alu 0xfffe
	s_and_not1_saveexec_b32 s9, s9
	s_cbranch_execz .LBB391_10
; %bb.18:                               ;   in Loop: Header=BB391_11 Depth=2
	flat_load_b64 v[34:35], v[14:15]
	s_wait_loadcnt_dscnt 0x0
	ds_store_b64 v19, v[34:35]
	s_branch .LBB391_10
.LBB391_19:                             ;   in Loop: Header=BB391_8 Depth=1
	s_wait_loadcnt 0x0
	v_add_co_u32 v1, vcc_lo, v10, s0
	s_wait_alu 0xfffd
	v_add_co_ci_u32_e64 v12, null, s1, v11, vcc_lo
	s_delay_alu instid0(VALU_DEP_2) | instskip(SKIP_1) | instid1(VALU_DEP_2)
	v_add_co_u32 v13, vcc_lo, v1, v2
	s_wait_alu 0xfffd
	v_add_co_ci_u32_e64 v14, null, v12, v3, vcc_lo
	s_and_saveexec_b32 s8, s19
	s_cbranch_execz .LBB391_24
; %bb.20:                               ;   in Loop: Header=BB391_8 Depth=1
	v_mul_f32_e32 v11, s6, v32
	v_mul_f32_e32 v10, s7, v32
	s_and_b32 vcc_lo, exec_lo, s24
	s_mov_b32 s9, -1
	s_delay_alu instid0(VALU_DEP_2) | instskip(NEXT) | instid1(VALU_DEP_2)
	v_fmac_f32_e32 v11, s7, v33
	v_fma_f32 v10, v33, s6, -v10
	s_wait_alu 0xfffe
	s_cbranch_vccz .LBB391_22
; %bb.21:                               ;   in Loop: Header=BB391_8 Depth=1
	v_add_co_u32 v32, vcc_lo, v13, v6
	s_wait_alu 0xfffd
	v_add_co_ci_u32_e64 v33, null, v14, v7, vcc_lo
	s_mov_b32 s9, 0
	flat_load_b64 v[34:35], v[32:33]
	s_wait_loadcnt_dscnt 0x0
	v_mul_f32_e32 v15, s21, v35
	v_mul_f32_e32 v35, s20, v35
	s_delay_alu instid0(VALU_DEP_2) | instskip(NEXT) | instid1(VALU_DEP_1)
	v_fma_f32 v15, v34, s20, -v15
	v_dual_fmac_f32 v35, s21, v34 :: v_dual_add_f32 v34, v10, v15
	s_delay_alu instid0(VALU_DEP_1)
	v_add_f32_e32 v35, v11, v35
	flat_store_b64 v[32:33], v[34:35]
.LBB391_22:                             ;   in Loop: Header=BB391_8 Depth=1
	s_wait_alu 0xfffe
	s_and_not1_b32 vcc_lo, exec_lo, s9
	s_wait_alu 0xfffe
	s_cbranch_vccnz .LBB391_24
; %bb.23:                               ;   in Loop: Header=BB391_8 Depth=1
	v_add_co_u32 v32, vcc_lo, v13, v6
	s_wait_alu 0xfffd
	v_add_co_ci_u32_e64 v33, null, v14, v7, vcc_lo
	flat_store_b64 v[32:33], v[10:11]
.LBB391_24:                             ;   in Loop: Header=BB391_8 Depth=1
	s_wait_alu 0xfffe
	s_or_b32 exec_lo, exec_lo, s8
	s_and_saveexec_b32 s8, s30
	s_cbranch_execz .LBB391_29
; %bb.25:                               ;   in Loop: Header=BB391_8 Depth=1
	v_mul_f32_e32 v11, s6, v31
	v_mul_f32_e32 v10, s7, v31
	s_and_not1_b32 vcc_lo, exec_lo, s24
	s_mov_b32 s9, -1
	s_delay_alu instid0(VALU_DEP_2) | instskip(NEXT) | instid1(VALU_DEP_2)
	v_fmac_f32_e32 v11, s7, v30
	v_fma_f32 v10, v30, s6, -v10
	s_wait_alu 0xfffe
	s_cbranch_vccnz .LBB391_27
; %bb.26:                               ;   in Loop: Header=BB391_8 Depth=1
	v_add_co_u32 v30, vcc_lo, v13, v8
	s_wait_alu 0xfffd
	v_add_co_ci_u32_e64 v31, null, v14, v9, vcc_lo
	s_mov_b32 s9, 0
	flat_load_b64 v[32:33], v[30:31]
	s_wait_loadcnt_dscnt 0x0
	v_mul_f32_e32 v15, s21, v33
	s_delay_alu instid0(VALU_DEP_1) | instskip(SKIP_1) | instid1(VALU_DEP_1)
	v_fma_f32 v15, v32, s20, -v15
	v_mul_f32_e32 v33, s20, v33
	v_dual_fmac_f32 v33, s21, v32 :: v_dual_add_f32 v32, v10, v15
	s_delay_alu instid0(VALU_DEP_1)
	v_add_f32_e32 v33, v11, v33
	flat_store_b64 v[30:31], v[32:33]
.LBB391_27:                             ;   in Loop: Header=BB391_8 Depth=1
	s_wait_alu 0xfffe
	s_and_not1_b32 vcc_lo, exec_lo, s9
	s_wait_alu 0xfffe
	s_cbranch_vccnz .LBB391_29
; %bb.28:                               ;   in Loop: Header=BB391_8 Depth=1
	v_add_co_u32 v13, vcc_lo, v13, v8
	s_wait_alu 0xfffd
	v_add_co_ci_u32_e64 v14, null, v14, v9, vcc_lo
	flat_store_b64 v[13:14], v[10:11]
.LBB391_29:                             ;   in Loop: Header=BB391_8 Depth=1
	s_wait_alu 0xfffe
	s_or_b32 exec_lo, exec_lo, s8
	v_add_co_u32 v1, vcc_lo, v1, v4
	s_wait_alu 0xfffd
	v_add_co_ci_u32_e64 v12, null, v12, v5, vcc_lo
	s_and_saveexec_b32 s8, s14
	s_cbranch_execz .LBB391_34
; %bb.30:                               ;   in Loop: Header=BB391_8 Depth=1
	v_mul_f32_e32 v11, s6, v29
	v_mul_f32_e32 v10, s7, v29
	s_and_not1_b32 vcc_lo, exec_lo, s24
	s_mov_b32 s9, -1
	s_delay_alu instid0(VALU_DEP_2) | instskip(NEXT) | instid1(VALU_DEP_2)
	v_fmac_f32_e32 v11, s7, v28
	v_fma_f32 v10, v28, s6, -v10
	s_wait_alu 0xfffe
	s_cbranch_vccnz .LBB391_32
; %bb.31:                               ;   in Loop: Header=BB391_8 Depth=1
	v_add_co_u32 v13, vcc_lo, v1, v6
	s_wait_alu 0xfffd
	v_add_co_ci_u32_e64 v14, null, v12, v7, vcc_lo
	s_mov_b32 s9, 0
	flat_load_b64 v[28:29], v[13:14]
	s_wait_loadcnt_dscnt 0x0
	v_mul_f32_e32 v15, s21, v29
	s_delay_alu instid0(VALU_DEP_1) | instskip(SKIP_1) | instid1(VALU_DEP_1)
	v_fma_f32 v15, v28, s20, -v15
	v_mul_f32_e32 v29, s20, v29
	v_dual_fmac_f32 v29, s21, v28 :: v_dual_add_f32 v28, v10, v15
	s_delay_alu instid0(VALU_DEP_1)
	v_add_f32_e32 v29, v11, v29
	flat_store_b64 v[13:14], v[28:29]
.LBB391_32:                             ;   in Loop: Header=BB391_8 Depth=1
	s_wait_alu 0xfffe
	s_and_not1_b32 vcc_lo, exec_lo, s9
	s_wait_alu 0xfffe
	s_cbranch_vccnz .LBB391_34
; %bb.33:                               ;   in Loop: Header=BB391_8 Depth=1
	v_add_co_u32 v13, vcc_lo, v1, v6
	s_wait_alu 0xfffd
	v_add_co_ci_u32_e64 v14, null, v12, v7, vcc_lo
	flat_store_b64 v[13:14], v[10:11]
.LBB391_34:                             ;   in Loop: Header=BB391_8 Depth=1
	s_wait_alu 0xfffe
	s_or_b32 exec_lo, exec_lo, s8
	s_and_saveexec_b32 s8, s4
	s_cbranch_execz .LBB391_7
; %bb.35:                               ;   in Loop: Header=BB391_8 Depth=1
	v_mul_f32_e32 v11, s6, v26
	v_mul_f32_e32 v10, s7, v26
	s_and_not1_b32 vcc_lo, exec_lo, s24
	s_mov_b32 s9, -1
	s_delay_alu instid0(VALU_DEP_2) | instskip(NEXT) | instid1(VALU_DEP_2)
	v_fmac_f32_e32 v11, s7, v27
	v_fma_f32 v10, v27, s6, -v10
	s_wait_alu 0xfffe
	s_cbranch_vccnz .LBB391_37
; %bb.36:                               ;   in Loop: Header=BB391_8 Depth=1
	v_add_co_u32 v13, vcc_lo, v1, v8
	s_wait_alu 0xfffd
	v_add_co_ci_u32_e64 v14, null, v12, v9, vcc_lo
	s_mov_b32 s9, 0
	flat_load_b64 v[26:27], v[13:14]
	s_wait_loadcnt_dscnt 0x0
	v_mul_f32_e32 v15, s21, v27
	v_mul_f32_e32 v27, s20, v27
	s_delay_alu instid0(VALU_DEP_2) | instskip(NEXT) | instid1(VALU_DEP_1)
	v_fma_f32 v15, v26, s20, -v15
	v_dual_fmac_f32 v27, s21, v26 :: v_dual_add_f32 v26, v10, v15
	s_delay_alu instid0(VALU_DEP_1)
	v_add_f32_e32 v27, v11, v27
	flat_store_b64 v[13:14], v[26:27]
.LBB391_37:                             ;   in Loop: Header=BB391_8 Depth=1
	s_wait_alu 0xfffe
	s_and_not1_b32 vcc_lo, exec_lo, s9
	s_wait_alu 0xfffe
	s_cbranch_vccnz .LBB391_7
; %bb.38:                               ;   in Loop: Header=BB391_8 Depth=1
	v_add_co_u32 v13, vcc_lo, v1, v8
	s_wait_alu 0xfffd
	v_add_co_ci_u32_e64 v14, null, v12, v9, vcc_lo
	flat_store_b64 v[13:14], v[10:11]
	s_branch .LBB391_7
.LBB391_39:
	s_endpgm
	.section	.rodata,"a",@progbits
	.p2align	6, 0x0
	.amdhsa_kernel _ZL29rocblas_internal_gemmt_kernelIiLi16ELi32ELi8ELc84ELc84ELc76ELb0ELb0E19rocblas_complex_numIfES1_PKPKS1_PKPS1_EviT_T9_T10_S9_lSB_S9_lSA_T11_S9_li
		.amdhsa_group_segment_fixed_size 4096
		.amdhsa_private_segment_fixed_size 0
		.amdhsa_kernarg_size 100
		.amdhsa_user_sgpr_count 2
		.amdhsa_user_sgpr_dispatch_ptr 0
		.amdhsa_user_sgpr_queue_ptr 0
		.amdhsa_user_sgpr_kernarg_segment_ptr 1
		.amdhsa_user_sgpr_dispatch_id 0
		.amdhsa_user_sgpr_private_segment_size 0
		.amdhsa_wavefront_size32 1
		.amdhsa_uses_dynamic_stack 0
		.amdhsa_enable_private_segment 0
		.amdhsa_system_sgpr_workgroup_id_x 1
		.amdhsa_system_sgpr_workgroup_id_y 1
		.amdhsa_system_sgpr_workgroup_id_z 1
		.amdhsa_system_sgpr_workgroup_info 0
		.amdhsa_system_vgpr_workitem_id 1
		.amdhsa_next_free_vgpr 71
		.amdhsa_next_free_sgpr 36
		.amdhsa_reserve_vcc 1
		.amdhsa_float_round_mode_32 0
		.amdhsa_float_round_mode_16_64 0
		.amdhsa_float_denorm_mode_32 3
		.amdhsa_float_denorm_mode_16_64 3
		.amdhsa_fp16_overflow 0
		.amdhsa_workgroup_processor_mode 1
		.amdhsa_memory_ordered 1
		.amdhsa_forward_progress 1
		.amdhsa_inst_pref_size 25
		.amdhsa_round_robin_scheduling 0
		.amdhsa_exception_fp_ieee_invalid_op 0
		.amdhsa_exception_fp_denorm_src 0
		.amdhsa_exception_fp_ieee_div_zero 0
		.amdhsa_exception_fp_ieee_overflow 0
		.amdhsa_exception_fp_ieee_underflow 0
		.amdhsa_exception_fp_ieee_inexact 0
		.amdhsa_exception_int_div_zero 0
	.end_amdhsa_kernel
	.section	.text._ZL29rocblas_internal_gemmt_kernelIiLi16ELi32ELi8ELc84ELc84ELc76ELb0ELb0E19rocblas_complex_numIfES1_PKPKS1_PKPS1_EviT_T9_T10_S9_lSB_S9_lSA_T11_S9_li,"axG",@progbits,_ZL29rocblas_internal_gemmt_kernelIiLi16ELi32ELi8ELc84ELc84ELc76ELb0ELb0E19rocblas_complex_numIfES1_PKPKS1_PKPS1_EviT_T9_T10_S9_lSB_S9_lSA_T11_S9_li,comdat
.Lfunc_end391:
	.size	_ZL29rocblas_internal_gemmt_kernelIiLi16ELi32ELi8ELc84ELc84ELc76ELb0ELb0E19rocblas_complex_numIfES1_PKPKS1_PKPS1_EviT_T9_T10_S9_lSB_S9_lSA_T11_S9_li, .Lfunc_end391-_ZL29rocblas_internal_gemmt_kernelIiLi16ELi32ELi8ELc84ELc84ELc76ELb0ELb0E19rocblas_complex_numIfES1_PKPKS1_PKPS1_EviT_T9_T10_S9_lSB_S9_lSA_T11_S9_li
                                        ; -- End function
	.set _ZL29rocblas_internal_gemmt_kernelIiLi16ELi32ELi8ELc84ELc84ELc76ELb0ELb0E19rocblas_complex_numIfES1_PKPKS1_PKPS1_EviT_T9_T10_S9_lSB_S9_lSA_T11_S9_li.num_vgpr, 71
	.set _ZL29rocblas_internal_gemmt_kernelIiLi16ELi32ELi8ELc84ELc84ELc76ELb0ELb0E19rocblas_complex_numIfES1_PKPKS1_PKPS1_EviT_T9_T10_S9_lSB_S9_lSA_T11_S9_li.num_agpr, 0
	.set _ZL29rocblas_internal_gemmt_kernelIiLi16ELi32ELi8ELc84ELc84ELc76ELb0ELb0E19rocblas_complex_numIfES1_PKPKS1_PKPS1_EviT_T9_T10_S9_lSB_S9_lSA_T11_S9_li.numbered_sgpr, 36
	.set _ZL29rocblas_internal_gemmt_kernelIiLi16ELi32ELi8ELc84ELc84ELc76ELb0ELb0E19rocblas_complex_numIfES1_PKPKS1_PKPS1_EviT_T9_T10_S9_lSB_S9_lSA_T11_S9_li.num_named_barrier, 0
	.set _ZL29rocblas_internal_gemmt_kernelIiLi16ELi32ELi8ELc84ELc84ELc76ELb0ELb0E19rocblas_complex_numIfES1_PKPKS1_PKPS1_EviT_T9_T10_S9_lSB_S9_lSA_T11_S9_li.private_seg_size, 0
	.set _ZL29rocblas_internal_gemmt_kernelIiLi16ELi32ELi8ELc84ELc84ELc76ELb0ELb0E19rocblas_complex_numIfES1_PKPKS1_PKPS1_EviT_T9_T10_S9_lSB_S9_lSA_T11_S9_li.uses_vcc, 1
	.set _ZL29rocblas_internal_gemmt_kernelIiLi16ELi32ELi8ELc84ELc84ELc76ELb0ELb0E19rocblas_complex_numIfES1_PKPKS1_PKPS1_EviT_T9_T10_S9_lSB_S9_lSA_T11_S9_li.uses_flat_scratch, 0
	.set _ZL29rocblas_internal_gemmt_kernelIiLi16ELi32ELi8ELc84ELc84ELc76ELb0ELb0E19rocblas_complex_numIfES1_PKPKS1_PKPS1_EviT_T9_T10_S9_lSB_S9_lSA_T11_S9_li.has_dyn_sized_stack, 0
	.set _ZL29rocblas_internal_gemmt_kernelIiLi16ELi32ELi8ELc84ELc84ELc76ELb0ELb0E19rocblas_complex_numIfES1_PKPKS1_PKPS1_EviT_T9_T10_S9_lSB_S9_lSA_T11_S9_li.has_recursion, 0
	.set _ZL29rocblas_internal_gemmt_kernelIiLi16ELi32ELi8ELc84ELc84ELc76ELb0ELb0E19rocblas_complex_numIfES1_PKPKS1_PKPS1_EviT_T9_T10_S9_lSB_S9_lSA_T11_S9_li.has_indirect_call, 0
	.section	.AMDGPU.csdata,"",@progbits
; Kernel info:
; codeLenInByte = 3172
; TotalNumSgprs: 38
; NumVgprs: 71
; ScratchSize: 0
; MemoryBound: 1
; FloatMode: 240
; IeeeMode: 1
; LDSByteSize: 4096 bytes/workgroup (compile time only)
; SGPRBlocks: 0
; VGPRBlocks: 8
; NumSGPRsForWavesPerEU: 38
; NumVGPRsForWavesPerEU: 71
; Occupancy: 16
; WaveLimiterHint : 1
; COMPUTE_PGM_RSRC2:SCRATCH_EN: 0
; COMPUTE_PGM_RSRC2:USER_SGPR: 2
; COMPUTE_PGM_RSRC2:TRAP_HANDLER: 0
; COMPUTE_PGM_RSRC2:TGID_X_EN: 1
; COMPUTE_PGM_RSRC2:TGID_Y_EN: 1
; COMPUTE_PGM_RSRC2:TGID_Z_EN: 1
; COMPUTE_PGM_RSRC2:TIDIG_COMP_CNT: 1
	.section	.text._ZL29rocblas_internal_gemmt_kernelIiLi16ELi32ELi8ELc84ELc67ELc76ELb0ELb1E19rocblas_complex_numIfES1_PKPKS1_PKPS1_EviT_T9_T10_S9_lSB_S9_lSA_T11_S9_li,"axG",@progbits,_ZL29rocblas_internal_gemmt_kernelIiLi16ELi32ELi8ELc84ELc67ELc76ELb0ELb1E19rocblas_complex_numIfES1_PKPKS1_PKPS1_EviT_T9_T10_S9_lSB_S9_lSA_T11_S9_li,comdat
	.globl	_ZL29rocblas_internal_gemmt_kernelIiLi16ELi32ELi8ELc84ELc67ELc76ELb0ELb1E19rocblas_complex_numIfES1_PKPKS1_PKPS1_EviT_T9_T10_S9_lSB_S9_lSA_T11_S9_li ; -- Begin function _ZL29rocblas_internal_gemmt_kernelIiLi16ELi32ELi8ELc84ELc67ELc76ELb0ELb1E19rocblas_complex_numIfES1_PKPKS1_PKPS1_EviT_T9_T10_S9_lSB_S9_lSA_T11_S9_li
	.p2align	8
	.type	_ZL29rocblas_internal_gemmt_kernelIiLi16ELi32ELi8ELc84ELc67ELc76ELb0ELb1E19rocblas_complex_numIfES1_PKPKS1_PKPS1_EviT_T9_T10_S9_lSB_S9_lSA_T11_S9_li,@function
_ZL29rocblas_internal_gemmt_kernelIiLi16ELi32ELi8ELc84ELc67ELc76ELb0ELb1E19rocblas_complex_numIfES1_PKPKS1_PKPS1_EviT_T9_T10_S9_lSB_S9_lSA_T11_S9_li: ; @_ZL29rocblas_internal_gemmt_kernelIiLi16ELi32ELi8ELc84ELc67ELc76ELb0ELb1E19rocblas_complex_numIfES1_PKPKS1_PKPS1_EviT_T9_T10_S9_lSB_S9_lSA_T11_S9_li
; %bb.0:
	s_clause 0x1
	s_load_b64 s[20:21], s[0:1], 0x40
	s_load_b128 s[4:7], s[0:1], 0x0
	s_wait_kmcnt 0x0
	s_cmp_eq_f32 s20, 1.0
	s_cselect_b32 s3, -1, 0
	s_and_b32 s2, s21, 0x7fffffff
	s_delay_alu instid0(SALU_CYCLE_1) | instskip(SKIP_1) | instid1(SALU_CYCLE_1)
	s_cmp_eq_u32 s2, 0
	s_cselect_b32 s2, -1, 0
	s_and_b32 s8, s3, s2
	s_mov_b32 s3, 0
	s_and_not1_b32 vcc_lo, exec_lo, s8
	s_mov_b32 s8, -1
	s_cbranch_vccnz .LBB392_4
; %bb.1:
	s_cmp_lg_u32 s5, 0
	s_cbranch_scc0 .LBB392_3
; %bb.2:
	s_cmp_neq_f32 s6, 0
	s_cselect_b32 s3, -1, 0
	s_cmp_neq_f32 s7, 0
	s_cselect_b32 s8, -1, 0
	s_delay_alu instid0(SALU_CYCLE_1)
	s_or_b32 s3, s3, s8
.LBB392_3:
	s_delay_alu instid0(SALU_CYCLE_1)
	s_mov_b32 s8, s3
.LBB392_4:
	s_delay_alu instid0(SALU_CYCLE_1)
	s_and_b32 vcc_lo, exec_lo, s8
	s_cbranch_vccz .LBB392_39
; %bb.5:
	s_load_b32 s15, s[0:1], 0x60
	s_lshr_b32 s22, ttmp7, 16
	s_wait_kmcnt 0x0
	s_cmp_ge_u32 s22, s15
	s_cbranch_scc1 .LBB392_39
; %bb.6:
	s_load_b32 s24, s[0:1], 0x30
	v_and_b32_e32 v1, 0x3ff, v0
	v_bfe_u32 v2, v0, 10, 10
	v_and_b32_e32 v16, 7, v0
	s_clause 0x4
	s_load_b96 s[12:14], s[0:1], 0x10
	s_load_b128 s[8:11], s[0:1], 0x20
	s_load_b64 s[28:29], s[0:1], 0x38
	s_load_b96 s[16:18], s[0:1], 0x48
	s_load_b64 s[26:27], s[0:1], 0x58
	s_lshl_b32 s1, ttmp7, 5
	s_lshl_b32 s0, ttmp9, 5
	v_lshl_add_u32 v0, v2, 4, v1
	s_and_b32 s1, s1, 0x1fffe0
	v_lshlrev_b32_e32 v3, 3, v16
	v_add_nc_u32_e32 v6, s0, v1
	v_lshlrev_b32_e32 v20, 3, v1
	v_lshrrev_b32_e32 v5, 3, v0
	v_and_b32_e32 v4, 31, v0
	v_lshrrev_b32_e32 v17, 5, v0
	v_add_nc_u32_e32 v8, 16, v6
	v_lshl_add_u32 v21, v2, 6, 0x800
	v_lshl_or_b32 v3, v5, 6, v3
	v_or_b32_e32 v0, s0, v4
	v_lshlrev_b32_e32 v4, 3, v4
	s_wait_kmcnt 0x0
	s_ashr_i32 s25, s24, 31
	s_cmp_neq_f32 s6, 0
	v_add_nc_u32_e32 v19, 0x800, v3
	v_add_nc_u32_e32 v3, s1, v2
	;; [unrolled: 1-line block ×3, first 2 shown]
	s_cselect_b32 s3, -1, 0
	s_cmp_neq_f32 s7, 0
	v_lshl_or_b32 v18, v17, 8, v4
	v_cmp_le_i32_e64 s1, v3, v6
	v_mad_co_i64_i32 v[1:2], null, v3, s18, 0
	s_cselect_b32 s19, -1, 0
	v_add_nc_u32_e32 v5, 16, v3
	s_wait_alu 0xfffe
	s_or_b32 s31, s3, s19
	s_cmp_gt_i32 s5, 0
	v_cmp_le_i32_e64 s3, v3, v8
	s_cselect_b32 s33, -1, 0
	s_cmp_neq_f32 s20, 0
	v_mad_co_i64_i32 v[3:4], null, s14, v0, 0
	v_cmp_gt_i32_e32 vcc_lo, s4, v0
	v_cmp_gt_i32_e64 s0, s4, v14
	s_cselect_b32 s34, -1, 0
	s_xor_b32 s35, s2, -1
	v_cmp_gt_i32_e64 s2, s4, v6
	v_cmp_gt_i32_e64 s4, s4, v8
	v_mad_co_i64_i32 v[10:11], null, s24, v16, 0
	v_lshlrev_b64_e32 v[3:4], 3, v[3:4]
	s_delay_alu instid0(VALU_DEP_4) | instskip(NEXT) | instid1(VALU_DEP_3)
	s_and_b32 s19, s1, s2
	s_and_b32 s30, s3, s4
	v_cmp_le_i32_e64 s1, v5, v6
	v_cmp_le_i32_e64 s3, v5, v8
	v_lshlrev_b32_e32 v14, 3, v14
	v_lshlrev_b64_e32 v[10:11], 3, v[10:11]
	v_mad_co_i64_i32 v[12:13], null, v5, s18, 0
	s_and_b32 s14, s1, s2
	s_and_b32 s4, s3, s4
	s_lshl_b64 s[2:3], s[8:9], 3
	v_lshlrev_b32_e32 v5, 3, v17
	v_add_co_u32 v3, s1, v3, s2
	s_wait_alu 0xf1ff
	v_add_co_ci_u32_e64 v4, null, s3, v4, s1
	s_lshl_b64 s[2:3], s[28:29], 3
	v_ashrrev_i32_e32 v7, 31, v6
	s_wait_alu 0xfffe
	v_add_co_u32 v10, s1, v10, s2
	v_ashrrev_i32_e32 v9, 31, v8
	s_wait_alu 0xf1ff
	v_add_co_ci_u32_e64 v11, null, s3, v11, s1
	s_delay_alu instid0(VALU_DEP_3)
	v_add_co_u32 v10, s1, v10, v14
	v_add_co_u32 v22, s2, v3, v5
	s_wait_alu 0xf1ff
	v_add_co_ci_u32_e64 v23, null, 0, v4, s2
	v_lshlrev_b64_e32 v[2:3], 3, v[1:2]
	v_lshlrev_b64_e32 v[4:5], 3, v[12:13]
	;; [unrolled: 1-line block ×4, first 2 shown]
	v_mov_b32_e32 v0, 0
	v_add_co_ci_u32_e64 v24, null, 0, v11, s1
	v_or_b32_e32 v25, 4, v10
	s_mov_b32 s23, 0
	s_lshl_b64 s[2:3], s[24:25], 6
	s_and_b32 s18, s31, s33
	s_or_b32 s24, s34, s35
	s_xor_b32 s25, vcc_lo, -1
	s_xor_b32 s28, s0, -1
	s_lshl_b64 s[0:1], s[26:27], 3
	s_branch .LBB392_8
.LBB392_7:                              ;   in Loop: Header=BB392_8 Depth=1
	s_wait_alu 0xfffe
	s_or_b32 exec_lo, exec_lo, s8
	s_add_co_i32 s22, s22, 0x10000
	s_delay_alu instid0(SALU_CYCLE_1)
	s_cmp_lt_u32 s22, s15
	s_cbranch_scc0 .LBB392_39
.LBB392_8:                              ; =>This Loop Header: Depth=1
                                        ;     Child Loop BB392_11 Depth 2
	s_lshl_b64 s[8:9], s[22:23], 3
	v_dual_mov_b32 v33, v0 :: v_dual_mov_b32 v32, v0
	s_wait_alu 0xfffe
	s_add_nc_u64 s[26:27], s[16:17], s[8:9]
	v_dual_mov_b32 v30, v0 :: v_dual_mov_b32 v31, v0
	global_load_b64 v[10:11], v0, s[26:27]
	v_dual_mov_b32 v28, v0 :: v_dual_mov_b32 v29, v0
	v_dual_mov_b32 v27, v0 :: v_dual_mov_b32 v26, v0
	s_and_not1_b32 vcc_lo, exec_lo, s18
	s_wait_alu 0xfffe
	s_cbranch_vccnz .LBB392_19
; %bb.9:                                ;   in Loop: Header=BB392_8 Depth=1
	s_add_nc_u64 s[26:27], s[12:13], s[8:9]
	s_add_nc_u64 s[8:9], s[10:11], s[8:9]
	s_clause 0x1
	global_load_b64 v[12:13], v0, s[26:27]
	global_load_b64 v[14:15], v0, s[8:9]
	v_dual_mov_b32 v26, 0 :: v_dual_mov_b32 v27, 0
	v_dual_mov_b32 v29, 0 :: v_dual_mov_b32 v28, 0
	;; [unrolled: 1-line block ×4, first 2 shown]
	s_mov_b32 s8, 0
	s_wait_loadcnt 0x1
	v_add_co_u32 v12, vcc_lo, v12, v22
	s_wait_alu 0xfffd
	v_add_co_ci_u32_e64 v13, null, v13, v23, vcc_lo
	s_wait_loadcnt 0x0
	v_add_co_u32 v14, vcc_lo, v14, v25
	s_wait_alu 0xfffd
	v_add_co_ci_u32_e64 v15, null, v15, v24, vcc_lo
	s_branch .LBB392_11
.LBB392_10:                             ;   in Loop: Header=BB392_11 Depth=2
	s_or_b32 exec_lo, exec_lo, s9
	ds_store_b32 v19, v1 offset:4
	s_wait_dscnt 0x0
	s_barrier_signal -1
	s_barrier_wait -1
	global_inv scope:SCOPE_SE
	ds_load_b128 v[34:37], v21
	ds_load_2addr_b64 v[38:41], v20 offset1:16
	ds_load_b128 v[42:45], v21 offset:1024
	ds_load_b128 v[46:49], v21 offset:16
	;; [unrolled: 1-line block ×4, first 2 shown]
	ds_load_2addr_b64 v[58:61], v20 offset0:32 offset1:48
	ds_load_b128 v[62:65], v21 offset:1040
	v_add_co_u32 v12, vcc_lo, v12, 64
	s_wait_alu 0xfffd
	v_add_co_ci_u32_e64 v13, null, 0, v13, vcc_lo
	v_add_co_u32 v14, vcc_lo, v14, s2
	s_wait_alu 0xfffd
	v_add_co_ci_u32_e64 v15, null, s3, v15, vcc_lo
	s_add_co_i32 s8, s8, 8
	s_wait_alu 0xfffe
	s_cmp_lt_i32 s8, s5
	s_wait_dscnt 0x6
	v_dual_mul_f32 v1, v35, v39 :: v_dual_mul_f32 v68, v34, v41
	v_dual_mul_f32 v66, v34, v39 :: v_dual_mul_f32 v67, v35, v41
	s_wait_dscnt 0x5
	v_mul_f32_e32 v70, v43, v41
	s_delay_alu instid0(VALU_DEP_3) | instskip(SKIP_3) | instid1(VALU_DEP_4)
	v_fma_f32 v1, v34, v38, -v1
	v_dual_mul_f32 v41, v42, v41 :: v_dual_fmac_f32 v68, v35, v40
	v_fmac_f32_e32 v66, v35, v38
	v_fma_f32 v34, v34, v40, -v67
	v_add_f32_e32 v1, v33, v1
	v_mul_f32_e32 v69, v43, v39
	s_delay_alu instid0(VALU_DEP_4) | instskip(NEXT) | instid1(VALU_DEP_4)
	v_dual_mul_f32 v39, v42, v39 :: v_dual_add_f32 v32, v32, v66
	v_add_f32_e32 v33, v30, v34
	v_fma_f32 v30, v42, v40, -v70
	s_delay_alu instid0(VALU_DEP_4) | instskip(NEXT) | instid1(VALU_DEP_4)
	v_fma_f32 v35, v42, v38, -v69
	v_fmac_f32_e32 v39, v43, v38
	s_wait_dscnt 0x1
	v_dual_add_f32 v31, v31, v68 :: v_dual_mul_f32 v38, v37, v59
	v_dual_fmac_f32 v41, v43, v40 :: v_dual_mul_f32 v42, v37, v61
	v_add_f32_e32 v34, v28, v35
	v_add_f32_e32 v35, v29, v39
	v_dual_add_f32 v39, v27, v30 :: v_dual_mul_f32 v40, v36, v59
	ds_load_2addr_b64 v[27:30], v20 offset0:64 offset1:80
	v_fma_f32 v38, v36, v58, -v38
	v_add_f32_e32 v26, v26, v41
	v_dual_mul_f32 v41, v36, v61 :: v_dual_fmac_f32 v40, v37, v58
	v_fma_f32 v36, v36, v60, -v42
	s_delay_alu instid0(VALU_DEP_4) | instskip(SKIP_1) | instid1(VALU_DEP_4)
	v_add_f32_e32 v1, v1, v38
	v_mul_f32_e32 v38, v45, v59
	v_fmac_f32_e32 v41, v37, v60
	v_add_f32_e32 v40, v32, v40
	v_mul_f32_e32 v32, v44, v59
	v_add_f32_e32 v36, v33, v36
	v_fma_f32 v33, v44, v58, -v38
	v_mul_f32_e32 v37, v45, v61
	v_add_f32_e32 v38, v31, v41
	v_dual_mul_f32 v41, v44, v61 :: v_dual_fmac_f32 v32, v45, v58
	s_delay_alu instid0(VALU_DEP_4) | instskip(NEXT) | instid1(VALU_DEP_4)
	v_add_f32_e32 v42, v34, v33
	v_fma_f32 v31, v44, v60, -v37
	s_wait_dscnt 0x0
	v_mul_f32_e32 v33, v47, v28
	v_fmac_f32_e32 v41, v45, v60
	v_add_f32_e32 v35, v35, v32
	v_add_f32_e32 v39, v39, v31
	v_mul_f32_e32 v44, v47, v30
	v_fma_f32 v43, v46, v27, -v33
	ds_load_2addr_b64 v[31:34], v20 offset0:96 offset1:112
	v_add_f32_e32 v41, v26, v41
	v_mul_f32_e32 v26, v46, v30
	v_mul_f32_e32 v37, v46, v28
	v_add_f32_e32 v1, v1, v43
	v_fma_f32 v43, v46, v29, -v44
	s_delay_alu instid0(VALU_DEP_4) | instskip(NEXT) | instid1(VALU_DEP_4)
	v_fmac_f32_e32 v26, v47, v29
	v_fmac_f32_e32 v37, v47, v27
	s_delay_alu instid0(VALU_DEP_3) | instskip(NEXT) | instid1(VALU_DEP_2)
	v_dual_add_f32 v36, v36, v43 :: v_dual_mul_f32 v43, v63, v30
	v_dual_mul_f32 v30, v62, v30 :: v_dual_add_f32 v37, v40, v37
	v_mul_f32_e32 v40, v63, v28
	v_mul_f32_e32 v28, v62, v28
	v_add_f32_e32 v44, v38, v26
	v_fma_f32 v26, v62, v29, -v43
	s_delay_alu instid0(VALU_DEP_4) | instskip(SKIP_2) | instid1(VALU_DEP_3)
	v_fma_f32 v40, v62, v27, -v40
	s_wait_dscnt 0x0
	v_dual_fmac_f32 v28, v63, v27 :: v_dual_mul_f32 v43, v49, v34
	v_add_f32_e32 v39, v39, v26
	s_delay_alu instid0(VALU_DEP_3) | instskip(NEXT) | instid1(VALU_DEP_3)
	v_dual_mul_f32 v47, v65, v34 :: v_dual_add_f32 v40, v42, v40
	v_add_f32_e32 v42, v35, v28
	v_mul_f32_e32 v35, v49, v32
	v_fma_f32 v43, v48, v33, -v43
	s_delay_alu instid0(VALU_DEP_2)
	v_fma_f32 v35, v48, v31, -v35
	v_fmac_f32_e32 v30, v63, v29
	ds_load_2addr_b64 v[26:29], v20 offset0:128 offset1:144
	v_add_f32_e32 v43, v36, v43
	v_dual_add_f32 v1, v1, v35 :: v_dual_mul_f32 v38, v48, v32
	v_add_f32_e32 v41, v41, v30
	v_dual_mul_f32 v30, v48, v34 :: v_dual_mul_f32 v35, v65, v32
	v_mul_f32_e32 v32, v64, v32
	v_mul_f32_e32 v34, v64, v34
	s_delay_alu instid0(VALU_DEP_3) | instskip(NEXT) | instid1(VALU_DEP_4)
	v_fmac_f32_e32 v30, v49, v33
	v_fma_f32 v46, v64, v31, -v35
	s_delay_alu instid0(VALU_DEP_4) | instskip(SKIP_1) | instid1(VALU_DEP_4)
	v_fmac_f32_e32 v32, v65, v31
	v_fmac_f32_e32 v38, v49, v31
	v_add_f32_e32 v44, v44, v30
	v_fma_f32 v30, v64, v33, -v47
	s_wait_dscnt 0x0
	v_mul_f32_e32 v49, v50, v27
	v_dual_mul_f32 v31, v51, v27 :: v_dual_mul_f32 v58, v50, v29
	s_delay_alu instid0(VALU_DEP_2)
	v_fmac_f32_e32 v49, v51, v26
	v_add_f32_e32 v47, v42, v32
	v_add_f32_e32 v45, v37, v38
	ds_load_b128 v[35:38], v21 offset:1056
	v_fmac_f32_e32 v34, v65, v33
	v_add_f32_e32 v48, v39, v30
	v_fma_f32 v39, v50, v26, -v31
	v_add_f32_e32 v46, v40, v46
	ds_load_2addr_b64 v[30:33], v20 offset0:160 offset1:176
	v_mul_f32_e32 v40, v51, v29
	v_add_f32_e32 v34, v41, v34
	v_add_f32_e32 v1, v1, v39
	;; [unrolled: 1-line block ×3, first 2 shown]
	s_delay_alu instid0(VALU_DEP_4)
	v_fma_f32 v50, v50, v28, -v40
	ds_load_b128 v[39:42], v21 offset:1072
	v_add_f32_e32 v43, v43, v50
	s_wait_dscnt 0x2
	v_mul_f32_e32 v59, v36, v27
	v_mul_f32_e32 v27, v35, v27
	v_fmac_f32_e32 v58, v51, v28
	v_mul_f32_e32 v50, v36, v29
	v_mul_f32_e32 v51, v35, v29
	v_fma_f32 v49, v35, v26, -v59
	v_fmac_f32_e32 v27, v36, v26
	s_wait_dscnt 0x1
	v_dual_add_f32 v44, v44, v58 :: v_dual_mul_f32 v29, v53, v31
	v_fma_f32 v26, v35, v28, -v50
	v_fmac_f32_e32 v51, v36, v28
	v_mul_f32_e32 v36, v52, v31
	v_dual_add_f32 v46, v46, v49 :: v_dual_add_f32 v35, v47, v27
	v_mul_f32_e32 v49, v53, v33
	s_delay_alu instid0(VALU_DEP_3)
	v_fmac_f32_e32 v36, v53, v30
	v_dual_add_f32 v47, v48, v26 :: v_dual_add_f32 v50, v34, v51
	v_fma_f32 v48, v52, v30, -v29
	ds_load_2addr_b64 v[26:29], v20 offset0:192 offset1:208
	v_dual_mul_f32 v34, v52, v33 :: v_dual_add_f32 v45, v45, v36
	v_dual_mul_f32 v36, v38, v31 :: v_dual_add_f32 v1, v1, v48
	v_fma_f32 v48, v52, v32, -v49
	v_mul_f32_e32 v31, v37, v31
	s_delay_alu instid0(VALU_DEP_3) | instskip(NEXT) | instid1(VALU_DEP_3)
	v_fma_f32 v36, v37, v30, -v36
	v_dual_add_f32 v43, v43, v48 :: v_dual_mul_f32 v48, v38, v33
	s_delay_alu instid0(VALU_DEP_3) | instskip(NEXT) | instid1(VALU_DEP_1)
	v_dual_fmac_f32 v34, v53, v32 :: v_dual_fmac_f32 v31, v38, v30
	v_dual_mul_f32 v33, v37, v33 :: v_dual_add_f32 v30, v44, v34
	s_delay_alu instid0(VALU_DEP_3) | instskip(NEXT) | instid1(VALU_DEP_3)
	v_fma_f32 v34, v37, v32, -v48
	v_dual_add_f32 v44, v46, v36 :: v_dual_add_f32 v31, v35, v31
	s_wait_dscnt 0x0
	v_mul_f32_e32 v48, v54, v29
	v_dual_mul_f32 v46, v55, v27 :: v_dual_fmac_f32 v33, v38, v32
	v_add_f32_e32 v32, v47, v34
	ds_load_2addr_b64 v[34:37], v20 offset0:224 offset1:240
	v_dual_mul_f32 v38, v54, v27 :: v_dual_mul_f32 v47, v55, v29
	v_fma_f32 v46, v54, v26, -v46
	v_dual_fmac_f32 v48, v55, v28 :: v_dual_add_f32 v33, v50, v33
	s_delay_alu instid0(VALU_DEP_3) | instskip(NEXT) | instid1(VALU_DEP_4)
	v_fmac_f32_e32 v38, v55, v26
	v_fma_f32 v47, v54, v28, -v47
	s_delay_alu instid0(VALU_DEP_4) | instskip(SKIP_2) | instid1(VALU_DEP_3)
	v_dual_add_f32 v1, v1, v46 :: v_dual_mul_f32 v46, v40, v27
	v_mul_f32_e32 v27, v39, v27
	s_wait_loadcnt_dscnt 0x0
	v_add_f32_e32 v43, v43, v47
	v_dual_add_f32 v47, v30, v48 :: v_dual_add_f32 v38, v45, v38
	v_fma_f32 v45, v39, v26, -v46
	v_mul_f32_e32 v46, v40, v29
	v_fmac_f32_e32 v27, v40, v26
	v_mul_f32_e32 v29, v39, v29
	s_barrier_signal -1
	v_add_f32_e32 v26, v44, v45
	v_fma_f32 v30, v39, v28, -v46
	v_mul_f32_e32 v39, v57, v35
	v_mul_f32_e32 v44, v56, v35
	v_fmac_f32_e32 v29, v40, v28
	s_delay_alu instid0(VALU_DEP_4) | instskip(NEXT) | instid1(VALU_DEP_4)
	v_dual_add_f32 v27, v31, v27 :: v_dual_add_f32 v40, v32, v30
	v_fma_f32 v28, v56, v34, -v39
	s_delay_alu instid0(VALU_DEP_4) | instskip(NEXT) | instid1(VALU_DEP_4)
	v_fmac_f32_e32 v44, v57, v34
	v_add_f32_e32 v39, v33, v29
	v_mul_f32_e32 v31, v56, v37
	s_barrier_wait -1
	v_dual_add_f32 v33, v1, v28 :: v_dual_mul_f32 v28, v42, v35
	v_mul_f32_e32 v29, v41, v35
	v_mul_f32_e32 v30, v57, v37
	;; [unrolled: 1-line block ×3, first 2 shown]
	v_dual_mul_f32 v37, v41, v37 :: v_dual_add_f32 v32, v38, v44
	s_delay_alu instid0(VALU_DEP_4) | instskip(NEXT) | instid1(VALU_DEP_4)
	v_fmac_f32_e32 v29, v42, v34
	v_fma_f32 v1, v56, v36, -v30
	global_inv scope:SCOPE_SE
	v_fmac_f32_e32 v37, v42, v36
	v_add_f32_e32 v29, v27, v29
	v_add_f32_e32 v30, v43, v1
	v_fma_f32 v1, v41, v34, -v28
	v_fmac_f32_e32 v31, v57, v36
	v_fma_f32 v34, v41, v36, -v35
	s_delay_alu instid0(VALU_DEP_2) | instskip(NEXT) | instid1(VALU_DEP_2)
	v_dual_add_f32 v28, v26, v1 :: v_dual_add_f32 v31, v47, v31
	v_dual_add_f32 v27, v40, v34 :: v_dual_add_f32 v26, v39, v37
	s_cbranch_scc0 .LBB392_19
.LBB392_11:                             ;   Parent Loop BB392_8 Depth=1
                                        ; =>  This Inner Loop Header: Depth=2
	s_wait_alu 0xfffe
	v_add_nc_u32_e32 v1, s8, v17
	s_delay_alu instid0(VALU_DEP_1) | instskip(SKIP_3) | instid1(SALU_CYCLE_1)
	v_cmp_le_i32_e32 vcc_lo, s5, v1
	s_or_b32 s9, s25, vcc_lo
	s_wait_alu 0xfffe
	s_and_saveexec_b32 s26, s9
	s_xor_b32 s9, exec_lo, s26
; %bb.12:                               ;   in Loop: Header=BB392_11 Depth=2
	v_mov_b32_e32 v1, v0
	ds_store_b64 v18, v[0:1]
; %bb.13:                               ;   in Loop: Header=BB392_11 Depth=2
	s_wait_alu 0xfffe
	s_and_not1_saveexec_b32 s9, s9
	s_cbranch_execz .LBB392_15
; %bb.14:                               ;   in Loop: Header=BB392_11 Depth=2
	flat_load_b64 v[34:35], v[12:13]
	s_wait_loadcnt_dscnt 0x0
	ds_store_b64 v18, v[34:35]
.LBB392_15:                             ;   in Loop: Header=BB392_11 Depth=2
	s_wait_alu 0xfffe
	s_or_b32 exec_lo, exec_lo, s9
	v_add_nc_u32_e32 v1, s8, v16
	s_delay_alu instid0(VALU_DEP_1) | instskip(SKIP_3) | instid1(SALU_CYCLE_1)
	v_cmp_le_i32_e32 vcc_lo, s5, v1
	s_or_b32 s9, vcc_lo, s28
	s_wait_alu 0xfffe
	s_and_saveexec_b32 s26, s9
	s_xor_b32 s9, exec_lo, s26
; %bb.16:                               ;   in Loop: Header=BB392_11 Depth=2
	ds_store_b32 v19, v0
; %bb.17:                               ;   in Loop: Header=BB392_11 Depth=2
	s_wait_alu 0xfffe
	s_or_saveexec_b32 s9, s9
	v_mov_b32_e32 v1, 0
	s_wait_alu 0xfffe
	s_xor_b32 exec_lo, exec_lo, s9
	s_cbranch_execz .LBB392_10
; %bb.18:                               ;   in Loop: Header=BB392_11 Depth=2
	flat_load_b64 v[34:35], v[14:15] offset:-4
	s_wait_loadcnt_dscnt 0x0
	v_xor_b32_e32 v1, 0x80000000, v35
	ds_store_b32 v19, v34
	s_branch .LBB392_10
.LBB392_19:                             ;   in Loop: Header=BB392_8 Depth=1
	s_wait_loadcnt 0x0
	v_add_co_u32 v1, vcc_lo, v10, s0
	s_wait_alu 0xfffd
	v_add_co_ci_u32_e64 v12, null, s1, v11, vcc_lo
	s_delay_alu instid0(VALU_DEP_2) | instskip(SKIP_1) | instid1(VALU_DEP_2)
	v_add_co_u32 v13, vcc_lo, v1, v2
	s_wait_alu 0xfffd
	v_add_co_ci_u32_e64 v14, null, v12, v3, vcc_lo
	s_and_saveexec_b32 s8, s19
	s_cbranch_execz .LBB392_24
; %bb.20:                               ;   in Loop: Header=BB392_8 Depth=1
	v_mul_f32_e32 v11, s6, v32
	v_mul_f32_e32 v10, s7, v32
	s_and_b32 vcc_lo, exec_lo, s24
	s_mov_b32 s9, -1
	s_delay_alu instid0(VALU_DEP_2) | instskip(NEXT) | instid1(VALU_DEP_2)
	v_fmac_f32_e32 v11, s7, v33
	v_fma_f32 v10, v33, s6, -v10
	s_wait_alu 0xfffe
	s_cbranch_vccz .LBB392_22
; %bb.21:                               ;   in Loop: Header=BB392_8 Depth=1
	v_add_co_u32 v32, vcc_lo, v13, v6
	s_wait_alu 0xfffd
	v_add_co_ci_u32_e64 v33, null, v14, v7, vcc_lo
	s_mov_b32 s9, 0
	flat_load_b64 v[34:35], v[32:33]
	s_wait_loadcnt_dscnt 0x0
	v_mul_f32_e32 v15, s21, v35
	v_mul_f32_e32 v35, s20, v35
	s_delay_alu instid0(VALU_DEP_2) | instskip(NEXT) | instid1(VALU_DEP_1)
	v_fma_f32 v15, v34, s20, -v15
	v_dual_fmac_f32 v35, s21, v34 :: v_dual_add_f32 v34, v10, v15
	s_delay_alu instid0(VALU_DEP_1)
	v_add_f32_e32 v35, v11, v35
	flat_store_b64 v[32:33], v[34:35]
.LBB392_22:                             ;   in Loop: Header=BB392_8 Depth=1
	s_wait_alu 0xfffe
	s_and_not1_b32 vcc_lo, exec_lo, s9
	s_wait_alu 0xfffe
	s_cbranch_vccnz .LBB392_24
; %bb.23:                               ;   in Loop: Header=BB392_8 Depth=1
	v_add_co_u32 v32, vcc_lo, v13, v6
	s_wait_alu 0xfffd
	v_add_co_ci_u32_e64 v33, null, v14, v7, vcc_lo
	flat_store_b64 v[32:33], v[10:11]
.LBB392_24:                             ;   in Loop: Header=BB392_8 Depth=1
	s_wait_alu 0xfffe
	s_or_b32 exec_lo, exec_lo, s8
	s_and_saveexec_b32 s8, s30
	s_cbranch_execz .LBB392_29
; %bb.25:                               ;   in Loop: Header=BB392_8 Depth=1
	v_mul_f32_e32 v11, s6, v31
	v_mul_f32_e32 v10, s7, v31
	s_and_not1_b32 vcc_lo, exec_lo, s24
	s_mov_b32 s9, -1
	s_delay_alu instid0(VALU_DEP_2) | instskip(NEXT) | instid1(VALU_DEP_2)
	v_fmac_f32_e32 v11, s7, v30
	v_fma_f32 v10, v30, s6, -v10
	s_wait_alu 0xfffe
	s_cbranch_vccnz .LBB392_27
; %bb.26:                               ;   in Loop: Header=BB392_8 Depth=1
	v_add_co_u32 v30, vcc_lo, v13, v8
	s_wait_alu 0xfffd
	v_add_co_ci_u32_e64 v31, null, v14, v9, vcc_lo
	s_mov_b32 s9, 0
	flat_load_b64 v[32:33], v[30:31]
	s_wait_loadcnt_dscnt 0x0
	v_mul_f32_e32 v15, s21, v33
	s_delay_alu instid0(VALU_DEP_1) | instskip(SKIP_1) | instid1(VALU_DEP_1)
	v_fma_f32 v15, v32, s20, -v15
	v_mul_f32_e32 v33, s20, v33
	v_dual_fmac_f32 v33, s21, v32 :: v_dual_add_f32 v32, v10, v15
	s_delay_alu instid0(VALU_DEP_1)
	v_add_f32_e32 v33, v11, v33
	flat_store_b64 v[30:31], v[32:33]
.LBB392_27:                             ;   in Loop: Header=BB392_8 Depth=1
	s_wait_alu 0xfffe
	s_and_not1_b32 vcc_lo, exec_lo, s9
	s_wait_alu 0xfffe
	s_cbranch_vccnz .LBB392_29
; %bb.28:                               ;   in Loop: Header=BB392_8 Depth=1
	v_add_co_u32 v13, vcc_lo, v13, v8
	s_wait_alu 0xfffd
	v_add_co_ci_u32_e64 v14, null, v14, v9, vcc_lo
	flat_store_b64 v[13:14], v[10:11]
.LBB392_29:                             ;   in Loop: Header=BB392_8 Depth=1
	s_wait_alu 0xfffe
	s_or_b32 exec_lo, exec_lo, s8
	v_add_co_u32 v1, vcc_lo, v1, v4
	s_wait_alu 0xfffd
	v_add_co_ci_u32_e64 v12, null, v12, v5, vcc_lo
	s_and_saveexec_b32 s8, s14
	s_cbranch_execz .LBB392_34
; %bb.30:                               ;   in Loop: Header=BB392_8 Depth=1
	v_mul_f32_e32 v11, s6, v29
	v_mul_f32_e32 v10, s7, v29
	s_and_not1_b32 vcc_lo, exec_lo, s24
	s_mov_b32 s9, -1
	s_delay_alu instid0(VALU_DEP_2) | instskip(NEXT) | instid1(VALU_DEP_2)
	v_fmac_f32_e32 v11, s7, v28
	v_fma_f32 v10, v28, s6, -v10
	s_wait_alu 0xfffe
	s_cbranch_vccnz .LBB392_32
; %bb.31:                               ;   in Loop: Header=BB392_8 Depth=1
	v_add_co_u32 v13, vcc_lo, v1, v6
	s_wait_alu 0xfffd
	v_add_co_ci_u32_e64 v14, null, v12, v7, vcc_lo
	s_mov_b32 s9, 0
	flat_load_b64 v[28:29], v[13:14]
	s_wait_loadcnt_dscnt 0x0
	v_mul_f32_e32 v15, s21, v29
	s_delay_alu instid0(VALU_DEP_1) | instskip(SKIP_1) | instid1(VALU_DEP_1)
	v_fma_f32 v15, v28, s20, -v15
	v_mul_f32_e32 v29, s20, v29
	v_dual_fmac_f32 v29, s21, v28 :: v_dual_add_f32 v28, v10, v15
	s_delay_alu instid0(VALU_DEP_1)
	v_add_f32_e32 v29, v11, v29
	flat_store_b64 v[13:14], v[28:29]
.LBB392_32:                             ;   in Loop: Header=BB392_8 Depth=1
	s_wait_alu 0xfffe
	s_and_not1_b32 vcc_lo, exec_lo, s9
	s_wait_alu 0xfffe
	s_cbranch_vccnz .LBB392_34
; %bb.33:                               ;   in Loop: Header=BB392_8 Depth=1
	v_add_co_u32 v13, vcc_lo, v1, v6
	s_wait_alu 0xfffd
	v_add_co_ci_u32_e64 v14, null, v12, v7, vcc_lo
	flat_store_b64 v[13:14], v[10:11]
.LBB392_34:                             ;   in Loop: Header=BB392_8 Depth=1
	s_wait_alu 0xfffe
	s_or_b32 exec_lo, exec_lo, s8
	s_and_saveexec_b32 s8, s4
	s_cbranch_execz .LBB392_7
; %bb.35:                               ;   in Loop: Header=BB392_8 Depth=1
	v_mul_f32_e32 v11, s6, v26
	v_mul_f32_e32 v10, s7, v26
	s_and_not1_b32 vcc_lo, exec_lo, s24
	s_mov_b32 s9, -1
	s_delay_alu instid0(VALU_DEP_2) | instskip(NEXT) | instid1(VALU_DEP_2)
	v_fmac_f32_e32 v11, s7, v27
	v_fma_f32 v10, v27, s6, -v10
	s_wait_alu 0xfffe
	s_cbranch_vccnz .LBB392_37
; %bb.36:                               ;   in Loop: Header=BB392_8 Depth=1
	v_add_co_u32 v13, vcc_lo, v1, v8
	s_wait_alu 0xfffd
	v_add_co_ci_u32_e64 v14, null, v12, v9, vcc_lo
	s_mov_b32 s9, 0
	flat_load_b64 v[26:27], v[13:14]
	s_wait_loadcnt_dscnt 0x0
	v_mul_f32_e32 v15, s21, v27
	v_mul_f32_e32 v27, s20, v27
	s_delay_alu instid0(VALU_DEP_2) | instskip(NEXT) | instid1(VALU_DEP_1)
	v_fma_f32 v15, v26, s20, -v15
	v_dual_fmac_f32 v27, s21, v26 :: v_dual_add_f32 v26, v10, v15
	s_delay_alu instid0(VALU_DEP_1)
	v_add_f32_e32 v27, v11, v27
	flat_store_b64 v[13:14], v[26:27]
.LBB392_37:                             ;   in Loop: Header=BB392_8 Depth=1
	s_wait_alu 0xfffe
	s_and_not1_b32 vcc_lo, exec_lo, s9
	s_wait_alu 0xfffe
	s_cbranch_vccnz .LBB392_7
; %bb.38:                               ;   in Loop: Header=BB392_8 Depth=1
	v_add_co_u32 v13, vcc_lo, v1, v8
	s_wait_alu 0xfffd
	v_add_co_ci_u32_e64 v14, null, v12, v9, vcc_lo
	flat_store_b64 v[13:14], v[10:11]
	s_branch .LBB392_7
.LBB392_39:
	s_endpgm
	.section	.rodata,"a",@progbits
	.p2align	6, 0x0
	.amdhsa_kernel _ZL29rocblas_internal_gemmt_kernelIiLi16ELi32ELi8ELc84ELc67ELc76ELb0ELb1E19rocblas_complex_numIfES1_PKPKS1_PKPS1_EviT_T9_T10_S9_lSB_S9_lSA_T11_S9_li
		.amdhsa_group_segment_fixed_size 4096
		.amdhsa_private_segment_fixed_size 0
		.amdhsa_kernarg_size 100
		.amdhsa_user_sgpr_count 2
		.amdhsa_user_sgpr_dispatch_ptr 0
		.amdhsa_user_sgpr_queue_ptr 0
		.amdhsa_user_sgpr_kernarg_segment_ptr 1
		.amdhsa_user_sgpr_dispatch_id 0
		.amdhsa_user_sgpr_private_segment_size 0
		.amdhsa_wavefront_size32 1
		.amdhsa_uses_dynamic_stack 0
		.amdhsa_enable_private_segment 0
		.amdhsa_system_sgpr_workgroup_id_x 1
		.amdhsa_system_sgpr_workgroup_id_y 1
		.amdhsa_system_sgpr_workgroup_id_z 1
		.amdhsa_system_sgpr_workgroup_info 0
		.amdhsa_system_vgpr_workitem_id 1
		.amdhsa_next_free_vgpr 71
		.amdhsa_next_free_sgpr 36
		.amdhsa_reserve_vcc 1
		.amdhsa_float_round_mode_32 0
		.amdhsa_float_round_mode_16_64 0
		.amdhsa_float_denorm_mode_32 3
		.amdhsa_float_denorm_mode_16_64 3
		.amdhsa_fp16_overflow 0
		.amdhsa_workgroup_processor_mode 1
		.amdhsa_memory_ordered 1
		.amdhsa_forward_progress 1
		.amdhsa_inst_pref_size 25
		.amdhsa_round_robin_scheduling 0
		.amdhsa_exception_fp_ieee_invalid_op 0
		.amdhsa_exception_fp_denorm_src 0
		.amdhsa_exception_fp_ieee_div_zero 0
		.amdhsa_exception_fp_ieee_overflow 0
		.amdhsa_exception_fp_ieee_underflow 0
		.amdhsa_exception_fp_ieee_inexact 0
		.amdhsa_exception_int_div_zero 0
	.end_amdhsa_kernel
	.section	.text._ZL29rocblas_internal_gemmt_kernelIiLi16ELi32ELi8ELc84ELc67ELc76ELb0ELb1E19rocblas_complex_numIfES1_PKPKS1_PKPS1_EviT_T9_T10_S9_lSB_S9_lSA_T11_S9_li,"axG",@progbits,_ZL29rocblas_internal_gemmt_kernelIiLi16ELi32ELi8ELc84ELc67ELc76ELb0ELb1E19rocblas_complex_numIfES1_PKPKS1_PKPS1_EviT_T9_T10_S9_lSB_S9_lSA_T11_S9_li,comdat
.Lfunc_end392:
	.size	_ZL29rocblas_internal_gemmt_kernelIiLi16ELi32ELi8ELc84ELc67ELc76ELb0ELb1E19rocblas_complex_numIfES1_PKPKS1_PKPS1_EviT_T9_T10_S9_lSB_S9_lSA_T11_S9_li, .Lfunc_end392-_ZL29rocblas_internal_gemmt_kernelIiLi16ELi32ELi8ELc84ELc67ELc76ELb0ELb1E19rocblas_complex_numIfES1_PKPKS1_PKPS1_EviT_T9_T10_S9_lSB_S9_lSA_T11_S9_li
                                        ; -- End function
	.set _ZL29rocblas_internal_gemmt_kernelIiLi16ELi32ELi8ELc84ELc67ELc76ELb0ELb1E19rocblas_complex_numIfES1_PKPKS1_PKPS1_EviT_T9_T10_S9_lSB_S9_lSA_T11_S9_li.num_vgpr, 71
	.set _ZL29rocblas_internal_gemmt_kernelIiLi16ELi32ELi8ELc84ELc67ELc76ELb0ELb1E19rocblas_complex_numIfES1_PKPKS1_PKPS1_EviT_T9_T10_S9_lSB_S9_lSA_T11_S9_li.num_agpr, 0
	.set _ZL29rocblas_internal_gemmt_kernelIiLi16ELi32ELi8ELc84ELc67ELc76ELb0ELb1E19rocblas_complex_numIfES1_PKPKS1_PKPS1_EviT_T9_T10_S9_lSB_S9_lSA_T11_S9_li.numbered_sgpr, 36
	.set _ZL29rocblas_internal_gemmt_kernelIiLi16ELi32ELi8ELc84ELc67ELc76ELb0ELb1E19rocblas_complex_numIfES1_PKPKS1_PKPS1_EviT_T9_T10_S9_lSB_S9_lSA_T11_S9_li.num_named_barrier, 0
	.set _ZL29rocblas_internal_gemmt_kernelIiLi16ELi32ELi8ELc84ELc67ELc76ELb0ELb1E19rocblas_complex_numIfES1_PKPKS1_PKPS1_EviT_T9_T10_S9_lSB_S9_lSA_T11_S9_li.private_seg_size, 0
	.set _ZL29rocblas_internal_gemmt_kernelIiLi16ELi32ELi8ELc84ELc67ELc76ELb0ELb1E19rocblas_complex_numIfES1_PKPKS1_PKPS1_EviT_T9_T10_S9_lSB_S9_lSA_T11_S9_li.uses_vcc, 1
	.set _ZL29rocblas_internal_gemmt_kernelIiLi16ELi32ELi8ELc84ELc67ELc76ELb0ELb1E19rocblas_complex_numIfES1_PKPKS1_PKPS1_EviT_T9_T10_S9_lSB_S9_lSA_T11_S9_li.uses_flat_scratch, 0
	.set _ZL29rocblas_internal_gemmt_kernelIiLi16ELi32ELi8ELc84ELc67ELc76ELb0ELb1E19rocblas_complex_numIfES1_PKPKS1_PKPS1_EviT_T9_T10_S9_lSB_S9_lSA_T11_S9_li.has_dyn_sized_stack, 0
	.set _ZL29rocblas_internal_gemmt_kernelIiLi16ELi32ELi8ELc84ELc67ELc76ELb0ELb1E19rocblas_complex_numIfES1_PKPKS1_PKPS1_EviT_T9_T10_S9_lSB_S9_lSA_T11_S9_li.has_recursion, 0
	.set _ZL29rocblas_internal_gemmt_kernelIiLi16ELi32ELi8ELc84ELc67ELc76ELb0ELb1E19rocblas_complex_numIfES1_PKPKS1_PKPS1_EviT_T9_T10_S9_lSB_S9_lSA_T11_S9_li.has_indirect_call, 0
	.section	.AMDGPU.csdata,"",@progbits
; Kernel info:
; codeLenInByte = 3176
; TotalNumSgprs: 38
; NumVgprs: 71
; ScratchSize: 0
; MemoryBound: 1
; FloatMode: 240
; IeeeMode: 1
; LDSByteSize: 4096 bytes/workgroup (compile time only)
; SGPRBlocks: 0
; VGPRBlocks: 8
; NumSGPRsForWavesPerEU: 38
; NumVGPRsForWavesPerEU: 71
; Occupancy: 16
; WaveLimiterHint : 1
; COMPUTE_PGM_RSRC2:SCRATCH_EN: 0
; COMPUTE_PGM_RSRC2:USER_SGPR: 2
; COMPUTE_PGM_RSRC2:TRAP_HANDLER: 0
; COMPUTE_PGM_RSRC2:TGID_X_EN: 1
; COMPUTE_PGM_RSRC2:TGID_Y_EN: 1
; COMPUTE_PGM_RSRC2:TGID_Z_EN: 1
; COMPUTE_PGM_RSRC2:TIDIG_COMP_CNT: 1
	.section	.text._ZL29rocblas_internal_gemmt_kernelIiLi16ELi32ELi8ELc67ELc78ELc76ELb1ELb0E19rocblas_complex_numIfES1_PKPKS1_PKPS1_EviT_T9_T10_S9_lSB_S9_lSA_T11_S9_li,"axG",@progbits,_ZL29rocblas_internal_gemmt_kernelIiLi16ELi32ELi8ELc67ELc78ELc76ELb1ELb0E19rocblas_complex_numIfES1_PKPKS1_PKPS1_EviT_T9_T10_S9_lSB_S9_lSA_T11_S9_li,comdat
	.globl	_ZL29rocblas_internal_gemmt_kernelIiLi16ELi32ELi8ELc67ELc78ELc76ELb1ELb0E19rocblas_complex_numIfES1_PKPKS1_PKPS1_EviT_T9_T10_S9_lSB_S9_lSA_T11_S9_li ; -- Begin function _ZL29rocblas_internal_gemmt_kernelIiLi16ELi32ELi8ELc67ELc78ELc76ELb1ELb0E19rocblas_complex_numIfES1_PKPKS1_PKPS1_EviT_T9_T10_S9_lSB_S9_lSA_T11_S9_li
	.p2align	8
	.type	_ZL29rocblas_internal_gemmt_kernelIiLi16ELi32ELi8ELc67ELc78ELc76ELb1ELb0E19rocblas_complex_numIfES1_PKPKS1_PKPS1_EviT_T9_T10_S9_lSB_S9_lSA_T11_S9_li,@function
_ZL29rocblas_internal_gemmt_kernelIiLi16ELi32ELi8ELc67ELc78ELc76ELb1ELb0E19rocblas_complex_numIfES1_PKPKS1_PKPS1_EviT_T9_T10_S9_lSB_S9_lSA_T11_S9_li: ; @_ZL29rocblas_internal_gemmt_kernelIiLi16ELi32ELi8ELc67ELc78ELc76ELb1ELb0E19rocblas_complex_numIfES1_PKPKS1_PKPS1_EviT_T9_T10_S9_lSB_S9_lSA_T11_S9_li
; %bb.0:
	s_clause 0x1
	s_load_b64 s[20:21], s[0:1], 0x40
	s_load_b128 s[4:7], s[0:1], 0x0
	s_wait_kmcnt 0x0
	s_cmp_eq_f32 s20, 1.0
	s_cselect_b32 s3, -1, 0
	s_and_b32 s2, s21, 0x7fffffff
	s_delay_alu instid0(SALU_CYCLE_1) | instskip(SKIP_1) | instid1(SALU_CYCLE_1)
	s_cmp_eq_u32 s2, 0
	s_cselect_b32 s2, -1, 0
	s_and_b32 s8, s3, s2
	s_mov_b32 s3, 0
	s_and_not1_b32 vcc_lo, exec_lo, s8
	s_mov_b32 s8, -1
	s_cbranch_vccnz .LBB393_4
; %bb.1:
	s_cmp_lg_u32 s5, 0
	s_cbranch_scc0 .LBB393_3
; %bb.2:
	s_cmp_neq_f32 s6, 0
	s_cselect_b32 s3, -1, 0
	s_cmp_neq_f32 s7, 0
	s_cselect_b32 s8, -1, 0
	s_delay_alu instid0(SALU_CYCLE_1)
	s_or_b32 s3, s3, s8
.LBB393_3:
	s_delay_alu instid0(SALU_CYCLE_1)
	s_mov_b32 s8, s3
.LBB393_4:
	s_delay_alu instid0(SALU_CYCLE_1)
	s_and_b32 vcc_lo, exec_lo, s8
	s_cbranch_vccz .LBB393_39
; %bb.5:
	s_load_b32 s15, s[0:1], 0x60
	s_lshr_b32 s22, ttmp7, 16
	s_wait_kmcnt 0x0
	s_cmp_ge_u32 s22, s15
	s_cbranch_scc1 .LBB393_39
; %bb.6:
	v_and_b32_e32 v1, 0x3ff, v0
	v_bfe_u32 v2, v0, 10, 10
	s_clause 0x1
	s_load_b96 s[12:14], s[0:1], 0x10
	s_load_b128 s[8:11], s[0:1], 0x20
	v_and_b32_e32 v16, 7, v0
	s_lshl_b32 s3, ttmp7, 5
	s_clause 0x3
	s_load_b32 s27, s[0:1], 0x30
	s_load_b64 s[28:29], s[0:1], 0x38
	s_load_b96 s[16:18], s[0:1], 0x48
	s_load_b64 s[24:25], s[0:1], 0x58
	v_lshl_add_u32 v0, v2, 4, v1
	s_lshl_b32 s19, ttmp9, 5
	s_and_b32 s3, s3, 0x1fffe0
	s_cmp_neq_f32 s6, 0
	v_lshlrev_b32_e32 v14, 3, v16
	v_lshrrev_b32_e32 v17, 5, v0
	v_lshrrev_b32_e32 v3, 3, v0
	v_and_b32_e32 v0, 31, v0
	s_cselect_b32 s26, -1, 0
	s_cmp_neq_f32 s7, 0
	v_add_nc_u32_e32 v6, s19, v1
	v_add_nc_u32_e32 v5, s3, v3
	v_or_b32_e32 v4, s19, v0
	v_lshlrev_b32_e32 v0, 3, v0
	s_cselect_b32 s0, -1, 0
	v_lshl_or_b32 v3, v3, 6, v14
	s_or_b32 s30, s26, s0
	s_cmp_gt_i32 s5, 0
	v_lshl_or_b32 v18, v17, 8, v0
	v_add_nc_u32_e32 v0, s3, v2
	v_add_nc_u32_e32 v8, 16, v6
	s_cselect_b32 s31, -1, 0
	s_cmp_neq_f32 s20, 0
	v_cmp_gt_i32_e32 vcc_lo, s4, v4
	v_add_nc_u32_e32 v19, 0x800, v3
	s_wait_kmcnt 0x0
	v_mad_co_i64_i32 v[3:4], null, s14, v4, 0
	v_cmp_gt_i32_e64 s0, s4, v5
	v_lshlrev_b32_e32 v20, 3, v1
	v_lshl_add_u32 v21, v2, 6, 0x800
	s_cselect_b32 s33, -1, 0
	s_xor_b32 s34, s2, -1
	v_cmp_le_i32_e64 s1, v0, v6
	v_cmp_gt_i32_e64 s2, s4, v6
	v_cmp_le_i32_e64 s3, v0, v8
	v_cmp_gt_i32_e64 s4, s4, v8
	v_mad_co_i64_i32 v[1:2], null, v0, s18, 0
	v_add_nc_u32_e32 v0, 16, v0
	s_and_b32 s19, s1, s2
	s_delay_alu instid0(VALU_DEP_3)
	s_and_b32 s26, s3, s4
	v_lshlrev_b64_e32 v[3:4], 3, v[3:4]
	v_mad_co_i64_i32 v[12:13], null, s27, v5, 0
	v_cmp_le_i32_e64 s1, v0, v6
	v_cmp_le_i32_e64 s3, v0, v8
	v_lshlrev_b32_e32 v5, 3, v17
	v_mad_co_i64_i32 v[10:11], null, v0, s18, 0
	s_and_b32 s14, s1, s2
	s_and_b32 s4, s3, s4
	s_lshl_b64 s[2:3], s[8:9], 3
	v_ashrrev_i32_e32 v7, 31, v6
	s_wait_alu 0xfffe
	v_add_co_u32 v15, s1, v3, s2
	s_delay_alu instid0(VALU_DEP_1) | instskip(SKIP_1) | instid1(VALU_DEP_3)
	v_add_co_ci_u32_e64 v22, null, s3, v4, s1
	v_lshlrev_b64_e32 v[3:4], 3, v[12:13]
	v_add_co_u32 v5, s1, v15, v5
	s_lshl_b64 s[2:3], s[28:29], 3
	s_wait_alu 0xf1ff
	v_add_co_ci_u32_e64 v22, null, 0, v22, s1
	s_wait_alu 0xfffe
	v_add_co_u32 v3, s1, v3, s2
	v_ashrrev_i32_e32 v9, 31, v8
	s_wait_alu 0xf1ff
	v_add_co_ci_u32_e64 v4, null, s3, v4, s1
	s_delay_alu instid0(VALU_DEP_3) | instskip(SKIP_2) | instid1(VALU_DEP_3)
	v_add_co_u32 v24, s1, v3, v14
	v_or_b32_e32 v23, 4, v5
	s_wait_alu 0xf1ff
	v_add_co_ci_u32_e64 v25, null, 0, v4, s1
	v_lshlrev_b64_e32 v[2:3], 3, v[1:2]
	v_lshlrev_b64_e32 v[4:5], 3, v[10:11]
	v_lshlrev_b64_e32 v[6:7], 3, v[6:7]
	v_lshlrev_b64_e32 v[8:9], 3, v[8:9]
	v_mov_b32_e32 v0, 0
	s_mov_b32 s23, 0
	s_and_b32 s8, s30, s31
	s_or_b32 s9, s33, s34
	s_xor_b32 s18, vcc_lo, -1
	s_xor_b32 s27, s0, -1
	s_lshl_b64 s[0:1], s[24:25], 3
	s_branch .LBB393_8
.LBB393_7:                              ;   in Loop: Header=BB393_8 Depth=1
	s_wait_alu 0xfffe
	s_or_b32 exec_lo, exec_lo, s2
	s_add_co_i32 s22, s22, 0x10000
	s_delay_alu instid0(SALU_CYCLE_1)
	s_cmp_lt_u32 s22, s15
	s_cbranch_scc0 .LBB393_39
.LBB393_8:                              ; =>This Loop Header: Depth=1
                                        ;     Child Loop BB393_11 Depth 2
	s_lshl_b64 s[2:3], s[22:23], 3
	v_dual_mov_b32 v33, v0 :: v_dual_mov_b32 v32, v0
	s_wait_alu 0xfffe
	s_add_nc_u64 s[24:25], s[16:17], s[2:3]
	v_dual_mov_b32 v30, v0 :: v_dual_mov_b32 v31, v0
	global_load_b64 v[10:11], v0, s[24:25]
	v_dual_mov_b32 v28, v0 :: v_dual_mov_b32 v29, v0
	v_dual_mov_b32 v27, v0 :: v_dual_mov_b32 v26, v0
	s_and_not1_b32 vcc_lo, exec_lo, s8
	s_wait_alu 0xfffe
	s_cbranch_vccnz .LBB393_19
; %bb.9:                                ;   in Loop: Header=BB393_8 Depth=1
	s_add_nc_u64 s[24:25], s[12:13], s[2:3]
	s_add_nc_u64 s[2:3], s[10:11], s[2:3]
	s_clause 0x1
	global_load_b64 v[12:13], v0, s[24:25]
	global_load_b64 v[14:15], v0, s[2:3]
	v_dual_mov_b32 v26, 0 :: v_dual_mov_b32 v27, 0
	v_dual_mov_b32 v29, 0 :: v_dual_mov_b32 v28, 0
	;; [unrolled: 1-line block ×4, first 2 shown]
	s_mov_b32 s2, 0
	s_wait_loadcnt 0x1
	v_add_co_u32 v12, vcc_lo, v12, v23
	s_wait_alu 0xfffd
	v_add_co_ci_u32_e64 v13, null, v13, v22, vcc_lo
	s_wait_loadcnt 0x0
	v_add_co_u32 v14, vcc_lo, v14, v24
	s_wait_alu 0xfffd
	v_add_co_ci_u32_e64 v15, null, v15, v25, vcc_lo
	s_branch .LBB393_11
.LBB393_10:                             ;   in Loop: Header=BB393_11 Depth=2
	s_wait_alu 0xfffe
	s_or_b32 exec_lo, exec_lo, s3
	s_wait_dscnt 0x0
	s_barrier_signal -1
	s_barrier_wait -1
	global_inv scope:SCOPE_SE
	ds_load_b128 v[34:37], v21
	ds_load_2addr_b64 v[38:41], v20 offset1:16
	ds_load_b128 v[42:45], v21 offset:1024
	ds_load_b128 v[46:49], v21 offset:16
	;; [unrolled: 1-line block ×4, first 2 shown]
	ds_load_2addr_b64 v[58:61], v20 offset0:32 offset1:48
	ds_load_b128 v[62:65], v21 offset:1040
	v_add_co_u32 v12, vcc_lo, v12, 64
	s_wait_alu 0xfffd
	v_add_co_ci_u32_e64 v13, null, 0, v13, vcc_lo
	v_add_co_u32 v14, vcc_lo, v14, 64
	s_wait_alu 0xfffd
	v_add_co_ci_u32_e64 v15, null, 0, v15, vcc_lo
	s_add_co_i32 s2, s2, 8
	s_wait_alu 0xfffe
	s_cmp_lt_i32 s2, s5
	s_wait_dscnt 0x6
	v_dual_mul_f32 v1, v35, v39 :: v_dual_mul_f32 v68, v34, v41
	v_dual_mul_f32 v66, v34, v39 :: v_dual_mul_f32 v67, v35, v41
	s_wait_dscnt 0x5
	v_mul_f32_e32 v70, v43, v41
	s_delay_alu instid0(VALU_DEP_3) | instskip(SKIP_3) | instid1(VALU_DEP_4)
	v_fma_f32 v1, v34, v38, -v1
	v_dual_mul_f32 v41, v42, v41 :: v_dual_fmac_f32 v68, v35, v40
	v_fmac_f32_e32 v66, v35, v38
	v_fma_f32 v34, v34, v40, -v67
	v_add_f32_e32 v1, v33, v1
	v_mul_f32_e32 v69, v43, v39
	s_delay_alu instid0(VALU_DEP_4) | instskip(NEXT) | instid1(VALU_DEP_4)
	v_dual_mul_f32 v39, v42, v39 :: v_dual_add_f32 v32, v32, v66
	v_add_f32_e32 v33, v30, v34
	v_fmac_f32_e32 v41, v43, v40
	s_delay_alu instid0(VALU_DEP_4) | instskip(NEXT) | instid1(VALU_DEP_4)
	v_fma_f32 v35, v42, v38, -v69
	v_fmac_f32_e32 v39, v43, v38
	v_fma_f32 v38, v42, v40, -v70
	s_wait_dscnt 0x1
	v_dual_mul_f32 v40, v36, v59 :: v_dual_add_f32 v31, v31, v68
	v_mul_f32_e32 v42, v37, v61
	v_add_f32_e32 v34, v28, v35
	v_dual_add_f32 v35, v29, v39 :: v_dual_add_f32 v38, v27, v38
	ds_load_2addr_b64 v[27:30], v20 offset0:64 offset1:80
	v_fmac_f32_e32 v40, v37, v58
	v_dual_mul_f32 v39, v37, v59 :: v_dual_add_f32 v26, v26, v41
	v_mul_f32_e32 v41, v36, v61
	s_delay_alu instid0(VALU_DEP_3) | instskip(NEXT) | instid1(VALU_DEP_3)
	v_add_f32_e32 v40, v32, v40
	v_fma_f32 v39, v36, v58, -v39
	v_fma_f32 v36, v36, v60, -v42
	v_mul_f32_e32 v32, v44, v59
	s_delay_alu instid0(VALU_DEP_3) | instskip(SKIP_1) | instid1(VALU_DEP_4)
	v_add_f32_e32 v1, v1, v39
	v_mul_f32_e32 v39, v45, v59
	v_add_f32_e32 v36, v33, v36
	v_fmac_f32_e32 v41, v37, v60
	v_mul_f32_e32 v37, v45, v61
	v_fmac_f32_e32 v32, v45, v58
	v_fma_f32 v33, v44, v58, -v39
	s_delay_alu instid0(VALU_DEP_4) | instskip(SKIP_4) | instid1(VALU_DEP_3)
	v_add_f32_e32 v39, v31, v41
	v_mul_f32_e32 v41, v44, v61
	v_fma_f32 v31, v44, v60, -v37
	s_wait_dscnt 0x0
	v_dual_add_f32 v42, v34, v33 :: v_dual_mul_f32 v33, v47, v28
	v_dual_mul_f32 v44, v47, v30 :: v_dual_fmac_f32 v41, v45, v60
	v_mul_f32_e32 v37, v46, v28
	v_add_f32_e32 v38, v38, v31
	s_delay_alu instid0(VALU_DEP_3) | instskip(SKIP_3) | instid1(VALU_DEP_2)
	v_add_f32_e32 v41, v26, v41
	v_mul_f32_e32 v26, v46, v30
	v_fma_f32 v43, v46, v27, -v33
	v_fmac_f32_e32 v37, v47, v27
	v_dual_fmac_f32 v26, v47, v29 :: v_dual_add_f32 v1, v1, v43
	v_fma_f32 v43, v46, v29, -v44
	v_add_f32_e32 v35, v35, v32
	ds_load_2addr_b64 v[31:34], v20 offset0:96 offset1:112
	v_dual_add_f32 v37, v40, v37 :: v_dual_mul_f32 v40, v63, v28
	v_mul_f32_e32 v28, v62, v28
	v_dual_add_f32 v36, v36, v43 :: v_dual_mul_f32 v43, v63, v30
	v_mul_f32_e32 v30, v62, v30
	s_delay_alu instid0(VALU_DEP_4) | instskip(NEXT) | instid1(VALU_DEP_4)
	v_fma_f32 v40, v62, v27, -v40
	v_fmac_f32_e32 v28, v63, v27
	v_add_f32_e32 v39, v39, v26
	v_fma_f32 v26, v62, v29, -v43
	v_fmac_f32_e32 v30, v63, v29
	v_add_f32_e32 v40, v42, v40
	s_delay_alu instid0(VALU_DEP_3)
	v_dual_add_f32 v42, v35, v28 :: v_dual_add_f32 v43, v38, v26
	ds_load_2addr_b64 v[26:29], v20 offset0:128 offset1:144
	s_wait_dscnt 0x1
	v_mul_f32_e32 v35, v49, v32
	v_mul_f32_e32 v38, v48, v32
	;; [unrolled: 1-line block ×4, first 2 shown]
	s_delay_alu instid0(VALU_DEP_4) | instskip(NEXT) | instid1(VALU_DEP_4)
	v_fma_f32 v35, v48, v31, -v35
	v_fmac_f32_e32 v38, v49, v31
	s_delay_alu instid0(VALU_DEP_2) | instskip(SKIP_1) | instid1(VALU_DEP_3)
	v_add_f32_e32 v1, v1, v35
	v_mul_f32_e32 v35, v65, v32
	v_dual_mul_f32 v32, v64, v32 :: v_dual_add_f32 v45, v37, v38
	s_delay_alu instid0(VALU_DEP_2) | instskip(NEXT) | instid1(VALU_DEP_2)
	v_fma_f32 v46, v64, v31, -v35
	v_fmac_f32_e32 v32, v65, v31
	s_wait_dscnt 0x0
	v_mul_f32_e32 v31, v51, v27
	v_fma_f32 v44, v48, v33, -v44
	v_add_f32_e32 v41, v41, v30
	v_mul_f32_e32 v30, v48, v34
	v_mul_f32_e32 v58, v50, v29
	s_delay_alu instid0(VALU_DEP_4) | instskip(SKIP_2) | instid1(VALU_DEP_1)
	v_add_f32_e32 v44, v36, v44
	ds_load_b128 v[35:38], v21 offset:1056
	v_dual_fmac_f32 v30, v49, v33 :: v_dual_mul_f32 v49, v50, v27
	v_add_f32_e32 v48, v39, v30
	v_fma_f32 v30, v64, v33, -v47
	v_fma_f32 v39, v50, v26, -v31
	v_mul_f32_e32 v34, v64, v34
	v_fmac_f32_e32 v49, v51, v26
	v_add_f32_e32 v46, v40, v46
	v_add_f32_e32 v43, v43, v30
	;; [unrolled: 1-line block ×4, first 2 shown]
	v_fmac_f32_e32 v34, v65, v33
	ds_load_2addr_b64 v[30:33], v20 offset0:160 offset1:176
	v_mul_f32_e32 v40, v51, v29
	v_add_f32_e32 v45, v45, v49
	v_add_f32_e32 v34, v41, v34
	s_delay_alu instid0(VALU_DEP_3)
	v_fma_f32 v50, v50, v28, -v40
	ds_load_b128 v[39:42], v21 offset:1072
	s_wait_dscnt 0x2
	v_mul_f32_e32 v59, v36, v27
	v_dual_mul_f32 v27, v35, v27 :: v_dual_add_f32 v44, v44, v50
	v_fmac_f32_e32 v58, v51, v28
	v_mul_f32_e32 v50, v36, v29
	s_delay_alu instid0(VALU_DEP_4) | instskip(NEXT) | instid1(VALU_DEP_4)
	v_fma_f32 v49, v35, v26, -v59
	v_fmac_f32_e32 v27, v36, v26
	s_delay_alu instid0(VALU_DEP_4) | instskip(SKIP_1) | instid1(VALU_DEP_3)
	v_dual_mul_f32 v51, v35, v29 :: v_dual_add_f32 v48, v48, v58
	s_wait_dscnt 0x1
	v_dual_add_f32 v46, v46, v49 :: v_dual_mul_f32 v29, v53, v31
	v_fma_f32 v26, v35, v28, -v50
	v_add_f32_e32 v35, v47, v27
	v_fmac_f32_e32 v51, v36, v28
	v_mul_f32_e32 v36, v52, v31
	v_fma_f32 v47, v52, v30, -v29
	v_add_f32_e32 v43, v43, v26
	ds_load_2addr_b64 v[26:29], v20 offset0:192 offset1:208
	v_fmac_f32_e32 v36, v53, v30
	v_dual_mul_f32 v49, v53, v33 :: v_dual_add_f32 v50, v34, v51
	v_dual_add_f32 v1, v1, v47 :: v_dual_mul_f32 v34, v52, v33
	s_delay_alu instid0(VALU_DEP_3) | instskip(NEXT) | instid1(VALU_DEP_3)
	v_dual_add_f32 v45, v45, v36 :: v_dual_mul_f32 v36, v38, v31
	v_fma_f32 v47, v52, v32, -v49
	s_delay_alu instid0(VALU_DEP_3) | instskip(NEXT) | instid1(VALU_DEP_3)
	v_fmac_f32_e32 v34, v53, v32
	v_fma_f32 v36, v37, v30, -v36
	s_delay_alu instid0(VALU_DEP_3) | instskip(SKIP_1) | instid1(VALU_DEP_3)
	v_dual_add_f32 v44, v44, v47 :: v_dual_mul_f32 v47, v38, v33
	v_mul_f32_e32 v31, v37, v31
	v_dual_mul_f32 v33, v37, v33 :: v_dual_add_f32 v46, v46, v36
	s_delay_alu instid0(VALU_DEP_2) | instskip(SKIP_2) | instid1(VALU_DEP_4)
	v_fmac_f32_e32 v31, v38, v30
	v_add_f32_e32 v30, v48, v34
	v_fma_f32 v34, v37, v32, -v47
	v_fmac_f32_e32 v33, v38, v32
	s_wait_dscnt 0x0
	v_mul_f32_e32 v38, v54, v27
	v_dual_add_f32 v31, v35, v31 :: v_dual_mul_f32 v48, v54, v29
	v_add_f32_e32 v32, v43, v34
	ds_load_2addr_b64 v[34:37], v20 offset0:224 offset1:240
	v_dual_add_f32 v33, v50, v33 :: v_dual_fmac_f32 v38, v55, v26
	v_mul_f32_e32 v47, v55, v27
	v_fmac_f32_e32 v48, v55, v28
	s_wait_loadcnt_dscnt 0x0
	s_barrier_signal -1
	v_add_f32_e32 v38, v45, v38
	v_fma_f32 v43, v54, v26, -v47
	v_mul_f32_e32 v47, v55, v29
	v_mul_f32_e32 v45, v40, v29
	;; [unrolled: 1-line block ×3, first 2 shown]
	s_barrier_wait -1
	v_add_f32_e32 v1, v1, v43
	v_fma_f32 v47, v54, v28, -v47
	v_mul_f32_e32 v43, v40, v27
	v_fmac_f32_e32 v29, v40, v28
	global_inv scope:SCOPE_SE
	v_dual_add_f32 v44, v44, v47 :: v_dual_add_f32 v47, v30, v48
	v_fma_f32 v30, v39, v28, -v45
	v_mul_f32_e32 v27, v39, v27
	s_delay_alu instid0(VALU_DEP_1) | instskip(NEXT) | instid1(VALU_DEP_3)
	v_fmac_f32_e32 v27, v40, v26
	v_add_f32_e32 v40, v32, v30
	v_mul_f32_e32 v30, v57, v37
	v_fma_f32 v43, v39, v26, -v43
	v_mul_f32_e32 v39, v57, v35
	s_delay_alu instid0(VALU_DEP_2) | instskip(NEXT) | instid1(VALU_DEP_2)
	v_add_f32_e32 v26, v46, v43
	v_fma_f32 v28, v56, v34, -v39
	v_add_f32_e32 v39, v33, v29
	v_mul_f32_e32 v29, v41, v35
	s_delay_alu instid0(VALU_DEP_3) | instskip(SKIP_2) | instid1(VALU_DEP_2)
	v_add_f32_e32 v33, v1, v28
	v_fma_f32 v1, v56, v36, -v30
	v_mul_f32_e32 v28, v42, v35
	v_dual_fmac_f32 v29, v42, v34 :: v_dual_add_f32 v30, v44, v1
	s_delay_alu instid0(VALU_DEP_2) | instskip(SKIP_2) | instid1(VALU_DEP_2)
	v_fma_f32 v1, v41, v34, -v28
	v_mul_f32_e32 v43, v56, v35
	v_mul_f32_e32 v35, v42, v37
	v_dual_add_f32 v28, v26, v1 :: v_dual_fmac_f32 v43, v57, v34
	s_delay_alu instid0(VALU_DEP_2) | instskip(NEXT) | instid1(VALU_DEP_2)
	v_fma_f32 v34, v41, v36, -v35
	v_add_f32_e32 v32, v38, v43
	v_add_f32_e32 v27, v31, v27
	v_mul_f32_e32 v31, v56, v37
	v_mul_f32_e32 v37, v41, v37
	s_delay_alu instid0(VALU_DEP_3) | instskip(NEXT) | instid1(VALU_DEP_3)
	v_add_f32_e32 v29, v27, v29
	v_fmac_f32_e32 v31, v57, v36
	s_delay_alu instid0(VALU_DEP_3) | instskip(SKIP_1) | instid1(VALU_DEP_3)
	v_fmac_f32_e32 v37, v42, v36
	v_add_f32_e32 v27, v40, v34
	v_add_f32_e32 v31, v47, v31
	s_delay_alu instid0(VALU_DEP_3)
	v_add_f32_e32 v26, v39, v37
	s_cbranch_scc0 .LBB393_19
.LBB393_11:                             ;   Parent Loop BB393_8 Depth=1
                                        ; =>  This Inner Loop Header: Depth=2
	s_wait_alu 0xfffe
	v_add_nc_u32_e32 v1, s2, v17
	s_delay_alu instid0(VALU_DEP_1) | instskip(SKIP_3) | instid1(SALU_CYCLE_1)
	v_cmp_le_i32_e32 vcc_lo, s5, v1
	s_or_b32 s3, s18, vcc_lo
	s_wait_alu 0xfffe
	s_and_saveexec_b32 s24, s3
	s_xor_b32 s3, exec_lo, s24
; %bb.12:                               ;   in Loop: Header=BB393_11 Depth=2
	ds_store_b32 v18, v0
; %bb.13:                               ;   in Loop: Header=BB393_11 Depth=2
	s_wait_alu 0xfffe
	s_or_saveexec_b32 s3, s3
	v_mov_b32_e32 v1, 0
	s_wait_alu 0xfffe
	s_xor_b32 exec_lo, exec_lo, s3
	s_cbranch_execz .LBB393_15
; %bb.14:                               ;   in Loop: Header=BB393_11 Depth=2
	flat_load_b64 v[34:35], v[12:13] offset:-4
	s_wait_loadcnt_dscnt 0x0
	v_xor_b32_e32 v1, 0x80000000, v35
	ds_store_b32 v18, v34
.LBB393_15:                             ;   in Loop: Header=BB393_11 Depth=2
	s_or_b32 exec_lo, exec_lo, s3
	v_add_nc_u32_e32 v34, s2, v16
	ds_store_b32 v18, v1 offset:4
	v_cmp_le_i32_e32 vcc_lo, s5, v34
	s_or_b32 s3, vcc_lo, s27
	s_wait_alu 0xfffe
	s_and_saveexec_b32 s24, s3
	s_delay_alu instid0(SALU_CYCLE_1)
	s_xor_b32 s3, exec_lo, s24
; %bb.16:                               ;   in Loop: Header=BB393_11 Depth=2
	v_mov_b32_e32 v1, v0
	ds_store_b64 v19, v[0:1]
; %bb.17:                               ;   in Loop: Header=BB393_11 Depth=2
	s_wait_alu 0xfffe
	s_and_not1_saveexec_b32 s3, s3
	s_cbranch_execz .LBB393_10
; %bb.18:                               ;   in Loop: Header=BB393_11 Depth=2
	flat_load_b64 v[34:35], v[14:15]
	s_wait_loadcnt_dscnt 0x0
	ds_store_b64 v19, v[34:35]
	s_branch .LBB393_10
.LBB393_19:                             ;   in Loop: Header=BB393_8 Depth=1
	s_wait_loadcnt 0x0
	v_add_co_u32 v1, vcc_lo, v10, s0
	s_wait_alu 0xfffd
	v_add_co_ci_u32_e64 v12, null, s1, v11, vcc_lo
	s_delay_alu instid0(VALU_DEP_2) | instskip(SKIP_1) | instid1(VALU_DEP_2)
	v_add_co_u32 v13, vcc_lo, v1, v2
	s_wait_alu 0xfffd
	v_add_co_ci_u32_e64 v14, null, v12, v3, vcc_lo
	s_and_saveexec_b32 s2, s19
	s_cbranch_execz .LBB393_24
; %bb.20:                               ;   in Loop: Header=BB393_8 Depth=1
	v_mul_f32_e32 v11, s6, v32
	v_mul_f32_e32 v10, s7, v32
	s_and_b32 vcc_lo, exec_lo, s9
	s_mov_b32 s3, -1
	s_delay_alu instid0(VALU_DEP_2) | instskip(NEXT) | instid1(VALU_DEP_2)
	v_fmac_f32_e32 v11, s7, v33
	v_fma_f32 v10, v33, s6, -v10
	s_wait_alu 0xfffe
	s_cbranch_vccz .LBB393_22
; %bb.21:                               ;   in Loop: Header=BB393_8 Depth=1
	v_add_co_u32 v32, vcc_lo, v13, v6
	s_wait_alu 0xfffd
	v_add_co_ci_u32_e64 v33, null, v14, v7, vcc_lo
	s_mov_b32 s3, 0
	flat_load_b64 v[34:35], v[32:33]
	s_wait_loadcnt_dscnt 0x0
	v_mul_f32_e32 v15, s21, v35
	v_mul_f32_e32 v35, s20, v35
	s_delay_alu instid0(VALU_DEP_2) | instskip(NEXT) | instid1(VALU_DEP_1)
	v_fma_f32 v15, v34, s20, -v15
	v_dual_fmac_f32 v35, s21, v34 :: v_dual_add_f32 v34, v10, v15
	s_delay_alu instid0(VALU_DEP_1)
	v_add_f32_e32 v35, v11, v35
	flat_store_b64 v[32:33], v[34:35]
.LBB393_22:                             ;   in Loop: Header=BB393_8 Depth=1
	s_wait_alu 0xfffe
	s_and_not1_b32 vcc_lo, exec_lo, s3
	s_wait_alu 0xfffe
	s_cbranch_vccnz .LBB393_24
; %bb.23:                               ;   in Loop: Header=BB393_8 Depth=1
	v_add_co_u32 v32, vcc_lo, v13, v6
	s_wait_alu 0xfffd
	v_add_co_ci_u32_e64 v33, null, v14, v7, vcc_lo
	flat_store_b64 v[32:33], v[10:11]
.LBB393_24:                             ;   in Loop: Header=BB393_8 Depth=1
	s_wait_alu 0xfffe
	s_or_b32 exec_lo, exec_lo, s2
	s_and_saveexec_b32 s2, s26
	s_cbranch_execz .LBB393_29
; %bb.25:                               ;   in Loop: Header=BB393_8 Depth=1
	v_mul_f32_e32 v11, s6, v31
	v_mul_f32_e32 v10, s7, v31
	s_and_not1_b32 vcc_lo, exec_lo, s9
	s_mov_b32 s3, -1
	s_delay_alu instid0(VALU_DEP_2) | instskip(NEXT) | instid1(VALU_DEP_2)
	v_fmac_f32_e32 v11, s7, v30
	v_fma_f32 v10, v30, s6, -v10
	s_wait_alu 0xfffe
	s_cbranch_vccnz .LBB393_27
; %bb.26:                               ;   in Loop: Header=BB393_8 Depth=1
	v_add_co_u32 v30, vcc_lo, v13, v8
	s_wait_alu 0xfffd
	v_add_co_ci_u32_e64 v31, null, v14, v9, vcc_lo
	s_mov_b32 s3, 0
	flat_load_b64 v[32:33], v[30:31]
	s_wait_loadcnt_dscnt 0x0
	v_mul_f32_e32 v15, s21, v33
	s_delay_alu instid0(VALU_DEP_1) | instskip(SKIP_1) | instid1(VALU_DEP_1)
	v_fma_f32 v15, v32, s20, -v15
	v_mul_f32_e32 v33, s20, v33
	v_dual_fmac_f32 v33, s21, v32 :: v_dual_add_f32 v32, v10, v15
	s_delay_alu instid0(VALU_DEP_1)
	v_add_f32_e32 v33, v11, v33
	flat_store_b64 v[30:31], v[32:33]
.LBB393_27:                             ;   in Loop: Header=BB393_8 Depth=1
	s_wait_alu 0xfffe
	s_and_not1_b32 vcc_lo, exec_lo, s3
	s_wait_alu 0xfffe
	s_cbranch_vccnz .LBB393_29
; %bb.28:                               ;   in Loop: Header=BB393_8 Depth=1
	v_add_co_u32 v13, vcc_lo, v13, v8
	s_wait_alu 0xfffd
	v_add_co_ci_u32_e64 v14, null, v14, v9, vcc_lo
	flat_store_b64 v[13:14], v[10:11]
.LBB393_29:                             ;   in Loop: Header=BB393_8 Depth=1
	s_wait_alu 0xfffe
	s_or_b32 exec_lo, exec_lo, s2
	v_add_co_u32 v1, vcc_lo, v1, v4
	s_wait_alu 0xfffd
	v_add_co_ci_u32_e64 v12, null, v12, v5, vcc_lo
	s_and_saveexec_b32 s2, s14
	s_cbranch_execz .LBB393_34
; %bb.30:                               ;   in Loop: Header=BB393_8 Depth=1
	v_mul_f32_e32 v11, s6, v29
	v_mul_f32_e32 v10, s7, v29
	s_and_not1_b32 vcc_lo, exec_lo, s9
	s_mov_b32 s3, -1
	s_delay_alu instid0(VALU_DEP_2) | instskip(NEXT) | instid1(VALU_DEP_2)
	v_fmac_f32_e32 v11, s7, v28
	v_fma_f32 v10, v28, s6, -v10
	s_wait_alu 0xfffe
	s_cbranch_vccnz .LBB393_32
; %bb.31:                               ;   in Loop: Header=BB393_8 Depth=1
	v_add_co_u32 v13, vcc_lo, v1, v6
	s_wait_alu 0xfffd
	v_add_co_ci_u32_e64 v14, null, v12, v7, vcc_lo
	s_mov_b32 s3, 0
	flat_load_b64 v[28:29], v[13:14]
	s_wait_loadcnt_dscnt 0x0
	v_mul_f32_e32 v15, s21, v29
	s_delay_alu instid0(VALU_DEP_1) | instskip(SKIP_1) | instid1(VALU_DEP_1)
	v_fma_f32 v15, v28, s20, -v15
	v_mul_f32_e32 v29, s20, v29
	v_dual_fmac_f32 v29, s21, v28 :: v_dual_add_f32 v28, v10, v15
	s_delay_alu instid0(VALU_DEP_1)
	v_add_f32_e32 v29, v11, v29
	flat_store_b64 v[13:14], v[28:29]
.LBB393_32:                             ;   in Loop: Header=BB393_8 Depth=1
	s_wait_alu 0xfffe
	s_and_not1_b32 vcc_lo, exec_lo, s3
	s_wait_alu 0xfffe
	s_cbranch_vccnz .LBB393_34
; %bb.33:                               ;   in Loop: Header=BB393_8 Depth=1
	v_add_co_u32 v13, vcc_lo, v1, v6
	s_wait_alu 0xfffd
	v_add_co_ci_u32_e64 v14, null, v12, v7, vcc_lo
	flat_store_b64 v[13:14], v[10:11]
.LBB393_34:                             ;   in Loop: Header=BB393_8 Depth=1
	s_wait_alu 0xfffe
	s_or_b32 exec_lo, exec_lo, s2
	s_and_saveexec_b32 s2, s4
	s_cbranch_execz .LBB393_7
; %bb.35:                               ;   in Loop: Header=BB393_8 Depth=1
	v_mul_f32_e32 v11, s6, v26
	v_mul_f32_e32 v10, s7, v26
	s_and_not1_b32 vcc_lo, exec_lo, s9
	s_mov_b32 s3, -1
	s_delay_alu instid0(VALU_DEP_2) | instskip(NEXT) | instid1(VALU_DEP_2)
	v_fmac_f32_e32 v11, s7, v27
	v_fma_f32 v10, v27, s6, -v10
	s_wait_alu 0xfffe
	s_cbranch_vccnz .LBB393_37
; %bb.36:                               ;   in Loop: Header=BB393_8 Depth=1
	v_add_co_u32 v13, vcc_lo, v1, v8
	s_wait_alu 0xfffd
	v_add_co_ci_u32_e64 v14, null, v12, v9, vcc_lo
	s_mov_b32 s3, 0
	flat_load_b64 v[26:27], v[13:14]
	s_wait_loadcnt_dscnt 0x0
	v_mul_f32_e32 v15, s21, v27
	v_mul_f32_e32 v27, s20, v27
	s_delay_alu instid0(VALU_DEP_2) | instskip(NEXT) | instid1(VALU_DEP_1)
	v_fma_f32 v15, v26, s20, -v15
	v_dual_fmac_f32 v27, s21, v26 :: v_dual_add_f32 v26, v10, v15
	s_delay_alu instid0(VALU_DEP_1)
	v_add_f32_e32 v27, v11, v27
	flat_store_b64 v[13:14], v[26:27]
.LBB393_37:                             ;   in Loop: Header=BB393_8 Depth=1
	s_wait_alu 0xfffe
	s_and_not1_b32 vcc_lo, exec_lo, s3
	s_wait_alu 0xfffe
	s_cbranch_vccnz .LBB393_7
; %bb.38:                               ;   in Loop: Header=BB393_8 Depth=1
	v_add_co_u32 v13, vcc_lo, v1, v8
	s_wait_alu 0xfffd
	v_add_co_ci_u32_e64 v14, null, v12, v9, vcc_lo
	flat_store_b64 v[13:14], v[10:11]
	s_branch .LBB393_7
.LBB393_39:
	s_endpgm
	.section	.rodata,"a",@progbits
	.p2align	6, 0x0
	.amdhsa_kernel _ZL29rocblas_internal_gemmt_kernelIiLi16ELi32ELi8ELc67ELc78ELc76ELb1ELb0E19rocblas_complex_numIfES1_PKPKS1_PKPS1_EviT_T9_T10_S9_lSB_S9_lSA_T11_S9_li
		.amdhsa_group_segment_fixed_size 4096
		.amdhsa_private_segment_fixed_size 0
		.amdhsa_kernarg_size 100
		.amdhsa_user_sgpr_count 2
		.amdhsa_user_sgpr_dispatch_ptr 0
		.amdhsa_user_sgpr_queue_ptr 0
		.amdhsa_user_sgpr_kernarg_segment_ptr 1
		.amdhsa_user_sgpr_dispatch_id 0
		.amdhsa_user_sgpr_private_segment_size 0
		.amdhsa_wavefront_size32 1
		.amdhsa_uses_dynamic_stack 0
		.amdhsa_enable_private_segment 0
		.amdhsa_system_sgpr_workgroup_id_x 1
		.amdhsa_system_sgpr_workgroup_id_y 1
		.amdhsa_system_sgpr_workgroup_id_z 1
		.amdhsa_system_sgpr_workgroup_info 0
		.amdhsa_system_vgpr_workitem_id 1
		.amdhsa_next_free_vgpr 71
		.amdhsa_next_free_sgpr 35
		.amdhsa_reserve_vcc 1
		.amdhsa_float_round_mode_32 0
		.amdhsa_float_round_mode_16_64 0
		.amdhsa_float_denorm_mode_32 3
		.amdhsa_float_denorm_mode_16_64 3
		.amdhsa_fp16_overflow 0
		.amdhsa_workgroup_processor_mode 1
		.amdhsa_memory_ordered 1
		.amdhsa_forward_progress 1
		.amdhsa_inst_pref_size 25
		.amdhsa_round_robin_scheduling 0
		.amdhsa_exception_fp_ieee_invalid_op 0
		.amdhsa_exception_fp_denorm_src 0
		.amdhsa_exception_fp_ieee_div_zero 0
		.amdhsa_exception_fp_ieee_overflow 0
		.amdhsa_exception_fp_ieee_underflow 0
		.amdhsa_exception_fp_ieee_inexact 0
		.amdhsa_exception_int_div_zero 0
	.end_amdhsa_kernel
	.section	.text._ZL29rocblas_internal_gemmt_kernelIiLi16ELi32ELi8ELc67ELc78ELc76ELb1ELb0E19rocblas_complex_numIfES1_PKPKS1_PKPS1_EviT_T9_T10_S9_lSB_S9_lSA_T11_S9_li,"axG",@progbits,_ZL29rocblas_internal_gemmt_kernelIiLi16ELi32ELi8ELc67ELc78ELc76ELb1ELb0E19rocblas_complex_numIfES1_PKPKS1_PKPS1_EviT_T9_T10_S9_lSB_S9_lSA_T11_S9_li,comdat
.Lfunc_end393:
	.size	_ZL29rocblas_internal_gemmt_kernelIiLi16ELi32ELi8ELc67ELc78ELc76ELb1ELb0E19rocblas_complex_numIfES1_PKPKS1_PKPS1_EviT_T9_T10_S9_lSB_S9_lSA_T11_S9_li, .Lfunc_end393-_ZL29rocblas_internal_gemmt_kernelIiLi16ELi32ELi8ELc67ELc78ELc76ELb1ELb0E19rocblas_complex_numIfES1_PKPKS1_PKPS1_EviT_T9_T10_S9_lSB_S9_lSA_T11_S9_li
                                        ; -- End function
	.set _ZL29rocblas_internal_gemmt_kernelIiLi16ELi32ELi8ELc67ELc78ELc76ELb1ELb0E19rocblas_complex_numIfES1_PKPKS1_PKPS1_EviT_T9_T10_S9_lSB_S9_lSA_T11_S9_li.num_vgpr, 71
	.set _ZL29rocblas_internal_gemmt_kernelIiLi16ELi32ELi8ELc67ELc78ELc76ELb1ELb0E19rocblas_complex_numIfES1_PKPKS1_PKPS1_EviT_T9_T10_S9_lSB_S9_lSA_T11_S9_li.num_agpr, 0
	.set _ZL29rocblas_internal_gemmt_kernelIiLi16ELi32ELi8ELc67ELc78ELc76ELb1ELb0E19rocblas_complex_numIfES1_PKPKS1_PKPS1_EviT_T9_T10_S9_lSB_S9_lSA_T11_S9_li.numbered_sgpr, 35
	.set _ZL29rocblas_internal_gemmt_kernelIiLi16ELi32ELi8ELc67ELc78ELc76ELb1ELb0E19rocblas_complex_numIfES1_PKPKS1_PKPS1_EviT_T9_T10_S9_lSB_S9_lSA_T11_S9_li.num_named_barrier, 0
	.set _ZL29rocblas_internal_gemmt_kernelIiLi16ELi32ELi8ELc67ELc78ELc76ELb1ELb0E19rocblas_complex_numIfES1_PKPKS1_PKPS1_EviT_T9_T10_S9_lSB_S9_lSA_T11_S9_li.private_seg_size, 0
	.set _ZL29rocblas_internal_gemmt_kernelIiLi16ELi32ELi8ELc67ELc78ELc76ELb1ELb0E19rocblas_complex_numIfES1_PKPKS1_PKPS1_EviT_T9_T10_S9_lSB_S9_lSA_T11_S9_li.uses_vcc, 1
	.set _ZL29rocblas_internal_gemmt_kernelIiLi16ELi32ELi8ELc67ELc78ELc76ELb1ELb0E19rocblas_complex_numIfES1_PKPKS1_PKPS1_EviT_T9_T10_S9_lSB_S9_lSA_T11_S9_li.uses_flat_scratch, 0
	.set _ZL29rocblas_internal_gemmt_kernelIiLi16ELi32ELi8ELc67ELc78ELc76ELb1ELb0E19rocblas_complex_numIfES1_PKPKS1_PKPS1_EviT_T9_T10_S9_lSB_S9_lSA_T11_S9_li.has_dyn_sized_stack, 0
	.set _ZL29rocblas_internal_gemmt_kernelIiLi16ELi32ELi8ELc67ELc78ELc76ELb1ELb0E19rocblas_complex_numIfES1_PKPKS1_PKPS1_EviT_T9_T10_S9_lSB_S9_lSA_T11_S9_li.has_recursion, 0
	.set _ZL29rocblas_internal_gemmt_kernelIiLi16ELi32ELi8ELc67ELc78ELc76ELb1ELb0E19rocblas_complex_numIfES1_PKPKS1_PKPS1_EviT_T9_T10_S9_lSB_S9_lSA_T11_S9_li.has_indirect_call, 0
	.section	.AMDGPU.csdata,"",@progbits
; Kernel info:
; codeLenInByte = 3188
; TotalNumSgprs: 37
; NumVgprs: 71
; ScratchSize: 0
; MemoryBound: 1
; FloatMode: 240
; IeeeMode: 1
; LDSByteSize: 4096 bytes/workgroup (compile time only)
; SGPRBlocks: 0
; VGPRBlocks: 8
; NumSGPRsForWavesPerEU: 37
; NumVGPRsForWavesPerEU: 71
; Occupancy: 16
; WaveLimiterHint : 1
; COMPUTE_PGM_RSRC2:SCRATCH_EN: 0
; COMPUTE_PGM_RSRC2:USER_SGPR: 2
; COMPUTE_PGM_RSRC2:TRAP_HANDLER: 0
; COMPUTE_PGM_RSRC2:TGID_X_EN: 1
; COMPUTE_PGM_RSRC2:TGID_Y_EN: 1
; COMPUTE_PGM_RSRC2:TGID_Z_EN: 1
; COMPUTE_PGM_RSRC2:TIDIG_COMP_CNT: 1
	.section	.text._ZL29rocblas_internal_gemmt_kernelIiLi16ELi32ELi8ELc67ELc84ELc76ELb1ELb0E19rocblas_complex_numIfES1_PKPKS1_PKPS1_EviT_T9_T10_S9_lSB_S9_lSA_T11_S9_li,"axG",@progbits,_ZL29rocblas_internal_gemmt_kernelIiLi16ELi32ELi8ELc67ELc84ELc76ELb1ELb0E19rocblas_complex_numIfES1_PKPKS1_PKPS1_EviT_T9_T10_S9_lSB_S9_lSA_T11_S9_li,comdat
	.globl	_ZL29rocblas_internal_gemmt_kernelIiLi16ELi32ELi8ELc67ELc84ELc76ELb1ELb0E19rocblas_complex_numIfES1_PKPKS1_PKPS1_EviT_T9_T10_S9_lSB_S9_lSA_T11_S9_li ; -- Begin function _ZL29rocblas_internal_gemmt_kernelIiLi16ELi32ELi8ELc67ELc84ELc76ELb1ELb0E19rocblas_complex_numIfES1_PKPKS1_PKPS1_EviT_T9_T10_S9_lSB_S9_lSA_T11_S9_li
	.p2align	8
	.type	_ZL29rocblas_internal_gemmt_kernelIiLi16ELi32ELi8ELc67ELc84ELc76ELb1ELb0E19rocblas_complex_numIfES1_PKPKS1_PKPS1_EviT_T9_T10_S9_lSB_S9_lSA_T11_S9_li,@function
_ZL29rocblas_internal_gemmt_kernelIiLi16ELi32ELi8ELc67ELc84ELc76ELb1ELb0E19rocblas_complex_numIfES1_PKPKS1_PKPS1_EviT_T9_T10_S9_lSB_S9_lSA_T11_S9_li: ; @_ZL29rocblas_internal_gemmt_kernelIiLi16ELi32ELi8ELc67ELc84ELc76ELb1ELb0E19rocblas_complex_numIfES1_PKPKS1_PKPS1_EviT_T9_T10_S9_lSB_S9_lSA_T11_S9_li
; %bb.0:
	s_clause 0x1
	s_load_b64 s[20:21], s[0:1], 0x40
	s_load_b128 s[4:7], s[0:1], 0x0
	s_wait_kmcnt 0x0
	s_cmp_eq_f32 s20, 1.0
	s_cselect_b32 s3, -1, 0
	s_and_b32 s2, s21, 0x7fffffff
	s_delay_alu instid0(SALU_CYCLE_1) | instskip(SKIP_1) | instid1(SALU_CYCLE_1)
	s_cmp_eq_u32 s2, 0
	s_cselect_b32 s2, -1, 0
	s_and_b32 s8, s3, s2
	s_mov_b32 s3, 0
	s_and_not1_b32 vcc_lo, exec_lo, s8
	s_mov_b32 s8, -1
	s_cbranch_vccnz .LBB394_4
; %bb.1:
	s_cmp_lg_u32 s5, 0
	s_cbranch_scc0 .LBB394_3
; %bb.2:
	s_cmp_neq_f32 s6, 0
	s_cselect_b32 s3, -1, 0
	s_cmp_neq_f32 s7, 0
	s_cselect_b32 s8, -1, 0
	s_delay_alu instid0(SALU_CYCLE_1)
	s_or_b32 s3, s3, s8
.LBB394_3:
	s_delay_alu instid0(SALU_CYCLE_1)
	s_mov_b32 s8, s3
.LBB394_4:
	s_delay_alu instid0(SALU_CYCLE_1)
	s_and_b32 vcc_lo, exec_lo, s8
	s_cbranch_vccz .LBB394_39
; %bb.5:
	s_load_b32 s15, s[0:1], 0x60
	s_lshr_b32 s22, ttmp7, 16
	s_wait_kmcnt 0x0
	s_cmp_ge_u32 s22, s15
	s_cbranch_scc1 .LBB394_39
; %bb.6:
	s_load_b32 s24, s[0:1], 0x30
	v_and_b32_e32 v1, 0x3ff, v0
	v_bfe_u32 v2, v0, 10, 10
	v_and_b32_e32 v16, 7, v0
	s_clause 0x4
	s_load_b96 s[12:14], s[0:1], 0x10
	s_load_b128 s[8:11], s[0:1], 0x20
	s_load_b64 s[28:29], s[0:1], 0x38
	s_load_b96 s[16:18], s[0:1], 0x48
	s_load_b64 s[26:27], s[0:1], 0x58
	s_lshl_b32 s1, ttmp7, 5
	s_lshl_b32 s0, ttmp9, 5
	v_lshl_add_u32 v0, v2, 4, v1
	s_and_b32 s1, s1, 0x1fffe0
	v_lshlrev_b32_e32 v3, 3, v16
	v_add_nc_u32_e32 v6, s0, v1
	v_lshlrev_b32_e32 v20, 3, v1
	v_lshrrev_b32_e32 v5, 3, v0
	v_and_b32_e32 v4, 31, v0
	v_lshrrev_b32_e32 v17, 5, v0
	v_add_nc_u32_e32 v8, 16, v6
	v_lshl_add_u32 v21, v2, 6, 0x800
	v_lshl_or_b32 v3, v5, 6, v3
	v_or_b32_e32 v0, s0, v4
	v_lshlrev_b32_e32 v4, 3, v4
	s_wait_kmcnt 0x0
	s_ashr_i32 s25, s24, 31
	s_cmp_neq_f32 s6, 0
	v_add_nc_u32_e32 v19, 0x800, v3
	v_add_nc_u32_e32 v3, s1, v2
	;; [unrolled: 1-line block ×3, first 2 shown]
	s_cselect_b32 s3, -1, 0
	s_cmp_neq_f32 s7, 0
	v_lshl_or_b32 v18, v17, 8, v4
	v_cmp_le_i32_e64 s1, v3, v6
	v_mad_co_i64_i32 v[1:2], null, v3, s18, 0
	s_cselect_b32 s19, -1, 0
	v_add_nc_u32_e32 v5, 16, v3
	s_wait_alu 0xfffe
	s_or_b32 s31, s3, s19
	s_cmp_gt_i32 s5, 0
	v_cmp_le_i32_e64 s3, v3, v8
	s_cselect_b32 s33, -1, 0
	s_cmp_neq_f32 s20, 0
	v_mad_co_i64_i32 v[3:4], null, s14, v0, 0
	v_cmp_gt_i32_e32 vcc_lo, s4, v0
	v_cmp_gt_i32_e64 s0, s4, v14
	s_cselect_b32 s34, -1, 0
	s_xor_b32 s35, s2, -1
	v_cmp_gt_i32_e64 s2, s4, v6
	v_cmp_gt_i32_e64 s4, s4, v8
	v_lshlrev_b64_e32 v[3:4], 3, v[3:4]
	v_mad_co_i64_i32 v[12:13], null, s24, v16, 0
	s_and_b32 s19, s1, s2
	s_and_b32 s30, s3, s4
	v_cmp_le_i32_e64 s1, v5, v6
	v_cmp_le_i32_e64 s3, v5, v8
	v_mad_co_i64_i32 v[10:11], null, v5, s18, 0
	v_lshlrev_b32_e32 v5, 3, v17
	s_delay_alu instid0(VALU_DEP_4) | instskip(NEXT) | instid1(VALU_DEP_3)
	s_and_b32 s14, s1, s2
	s_and_b32 s4, s3, s4
	s_lshl_b64 s[2:3], s[8:9], 3
	v_ashrrev_i32_e32 v7, 31, v6
	v_add_co_u32 v15, s1, v3, s2
	s_wait_alu 0xf1ff
	v_add_co_ci_u32_e64 v22, null, s3, v4, s1
	v_lshlrev_b64_e32 v[3:4], 3, v[12:13]
	s_delay_alu instid0(VALU_DEP_3)
	v_add_co_u32 v5, s1, v15, v5
	s_lshl_b64 s[2:3], s[28:29], 3
	s_wait_alu 0xf1ff
	v_add_co_ci_u32_e64 v22, null, 0, v22, s1
	v_lshlrev_b32_e32 v12, 3, v14
	s_wait_alu 0xfffe
	v_add_co_u32 v3, s1, v3, s2
	v_ashrrev_i32_e32 v9, 31, v8
	s_wait_alu 0xf1ff
	v_add_co_ci_u32_e64 v4, null, s3, v4, s1
	s_delay_alu instid0(VALU_DEP_3) | instskip(SKIP_2) | instid1(VALU_DEP_3)
	v_add_co_u32 v24, s1, v3, v12
	v_or_b32_e32 v23, 4, v5
	s_wait_alu 0xf1ff
	v_add_co_ci_u32_e64 v25, null, 0, v4, s1
	v_lshlrev_b64_e32 v[2:3], 3, v[1:2]
	v_lshlrev_b64_e32 v[4:5], 3, v[10:11]
	;; [unrolled: 1-line block ×4, first 2 shown]
	v_mov_b32_e32 v0, 0
	s_mov_b32 s23, 0
	s_lshl_b64 s[2:3], s[24:25], 6
	s_and_b32 s18, s31, s33
	s_or_b32 s24, s34, s35
	s_xor_b32 s25, vcc_lo, -1
	s_xor_b32 s28, s0, -1
	s_lshl_b64 s[0:1], s[26:27], 3
	s_branch .LBB394_8
.LBB394_7:                              ;   in Loop: Header=BB394_8 Depth=1
	s_wait_alu 0xfffe
	s_or_b32 exec_lo, exec_lo, s8
	s_add_co_i32 s22, s22, 0x10000
	s_delay_alu instid0(SALU_CYCLE_1)
	s_cmp_lt_u32 s22, s15
	s_cbranch_scc0 .LBB394_39
.LBB394_8:                              ; =>This Loop Header: Depth=1
                                        ;     Child Loop BB394_11 Depth 2
	s_lshl_b64 s[8:9], s[22:23], 3
	v_dual_mov_b32 v33, v0 :: v_dual_mov_b32 v32, v0
	s_wait_alu 0xfffe
	s_add_nc_u64 s[26:27], s[16:17], s[8:9]
	v_dual_mov_b32 v30, v0 :: v_dual_mov_b32 v31, v0
	global_load_b64 v[10:11], v0, s[26:27]
	v_dual_mov_b32 v28, v0 :: v_dual_mov_b32 v29, v0
	v_dual_mov_b32 v27, v0 :: v_dual_mov_b32 v26, v0
	s_and_not1_b32 vcc_lo, exec_lo, s18
	s_wait_alu 0xfffe
	s_cbranch_vccnz .LBB394_19
; %bb.9:                                ;   in Loop: Header=BB394_8 Depth=1
	s_add_nc_u64 s[26:27], s[12:13], s[8:9]
	s_add_nc_u64 s[8:9], s[10:11], s[8:9]
	s_clause 0x1
	global_load_b64 v[12:13], v0, s[26:27]
	global_load_b64 v[14:15], v0, s[8:9]
	v_dual_mov_b32 v26, 0 :: v_dual_mov_b32 v27, 0
	v_dual_mov_b32 v29, 0 :: v_dual_mov_b32 v28, 0
	;; [unrolled: 1-line block ×4, first 2 shown]
	s_mov_b32 s8, 0
	s_wait_loadcnt 0x1
	v_add_co_u32 v12, vcc_lo, v12, v23
	s_wait_alu 0xfffd
	v_add_co_ci_u32_e64 v13, null, v13, v22, vcc_lo
	s_wait_loadcnt 0x0
	v_add_co_u32 v14, vcc_lo, v14, v24
	s_wait_alu 0xfffd
	v_add_co_ci_u32_e64 v15, null, v15, v25, vcc_lo
	s_branch .LBB394_11
.LBB394_10:                             ;   in Loop: Header=BB394_11 Depth=2
	s_wait_alu 0xfffe
	s_or_b32 exec_lo, exec_lo, s9
	s_wait_dscnt 0x0
	s_barrier_signal -1
	s_barrier_wait -1
	global_inv scope:SCOPE_SE
	ds_load_b128 v[34:37], v21
	ds_load_2addr_b64 v[38:41], v20 offset1:16
	ds_load_b128 v[42:45], v21 offset:1024
	ds_load_b128 v[46:49], v21 offset:16
	;; [unrolled: 1-line block ×4, first 2 shown]
	ds_load_2addr_b64 v[58:61], v20 offset0:32 offset1:48
	ds_load_b128 v[62:65], v21 offset:1040
	v_add_co_u32 v12, vcc_lo, v12, 64
	s_wait_alu 0xfffd
	v_add_co_ci_u32_e64 v13, null, 0, v13, vcc_lo
	v_add_co_u32 v14, vcc_lo, v14, s2
	s_wait_alu 0xfffd
	v_add_co_ci_u32_e64 v15, null, s3, v15, vcc_lo
	s_add_co_i32 s8, s8, 8
	s_wait_alu 0xfffe
	s_cmp_lt_i32 s8, s5
	s_wait_dscnt 0x6
	v_dual_mul_f32 v1, v35, v39 :: v_dual_mul_f32 v68, v34, v41
	v_dual_mul_f32 v66, v34, v39 :: v_dual_mul_f32 v67, v35, v41
	s_wait_dscnt 0x5
	v_mul_f32_e32 v70, v43, v41
	s_delay_alu instid0(VALU_DEP_3) | instskip(SKIP_3) | instid1(VALU_DEP_4)
	v_fma_f32 v1, v34, v38, -v1
	v_dual_mul_f32 v41, v42, v41 :: v_dual_fmac_f32 v68, v35, v40
	v_fmac_f32_e32 v66, v35, v38
	v_fma_f32 v34, v34, v40, -v67
	v_add_f32_e32 v1, v33, v1
	v_mul_f32_e32 v69, v43, v39
	s_delay_alu instid0(VALU_DEP_4) | instskip(NEXT) | instid1(VALU_DEP_4)
	v_dual_mul_f32 v39, v42, v39 :: v_dual_add_f32 v32, v32, v66
	v_add_f32_e32 v33, v30, v34
	v_fmac_f32_e32 v41, v43, v40
	s_delay_alu instid0(VALU_DEP_4) | instskip(NEXT) | instid1(VALU_DEP_4)
	v_fma_f32 v35, v42, v38, -v69
	v_fmac_f32_e32 v39, v43, v38
	v_fma_f32 v38, v42, v40, -v70
	s_wait_dscnt 0x1
	v_dual_mul_f32 v40, v36, v59 :: v_dual_add_f32 v31, v31, v68
	v_mul_f32_e32 v42, v37, v61
	v_add_f32_e32 v34, v28, v35
	v_dual_add_f32 v35, v29, v39 :: v_dual_add_f32 v38, v27, v38
	ds_load_2addr_b64 v[27:30], v20 offset0:64 offset1:80
	v_fmac_f32_e32 v40, v37, v58
	v_dual_mul_f32 v39, v37, v59 :: v_dual_add_f32 v26, v26, v41
	v_mul_f32_e32 v41, v36, v61
	s_delay_alu instid0(VALU_DEP_3) | instskip(NEXT) | instid1(VALU_DEP_3)
	v_add_f32_e32 v40, v32, v40
	v_fma_f32 v39, v36, v58, -v39
	v_fma_f32 v36, v36, v60, -v42
	v_mul_f32_e32 v32, v44, v59
	s_delay_alu instid0(VALU_DEP_3) | instskip(SKIP_1) | instid1(VALU_DEP_4)
	v_add_f32_e32 v1, v1, v39
	v_mul_f32_e32 v39, v45, v59
	v_add_f32_e32 v36, v33, v36
	v_fmac_f32_e32 v41, v37, v60
	v_mul_f32_e32 v37, v45, v61
	v_fmac_f32_e32 v32, v45, v58
	v_fma_f32 v33, v44, v58, -v39
	s_delay_alu instid0(VALU_DEP_4) | instskip(SKIP_4) | instid1(VALU_DEP_3)
	v_add_f32_e32 v39, v31, v41
	v_mul_f32_e32 v41, v44, v61
	v_fma_f32 v31, v44, v60, -v37
	s_wait_dscnt 0x0
	v_dual_add_f32 v42, v34, v33 :: v_dual_mul_f32 v33, v47, v28
	v_dual_mul_f32 v44, v47, v30 :: v_dual_fmac_f32 v41, v45, v60
	v_mul_f32_e32 v37, v46, v28
	v_add_f32_e32 v38, v38, v31
	s_delay_alu instid0(VALU_DEP_3) | instskip(SKIP_3) | instid1(VALU_DEP_2)
	v_add_f32_e32 v41, v26, v41
	v_mul_f32_e32 v26, v46, v30
	v_fma_f32 v43, v46, v27, -v33
	v_fmac_f32_e32 v37, v47, v27
	v_dual_fmac_f32 v26, v47, v29 :: v_dual_add_f32 v1, v1, v43
	v_fma_f32 v43, v46, v29, -v44
	v_add_f32_e32 v35, v35, v32
	ds_load_2addr_b64 v[31:34], v20 offset0:96 offset1:112
	v_dual_add_f32 v37, v40, v37 :: v_dual_mul_f32 v40, v63, v28
	v_mul_f32_e32 v28, v62, v28
	v_dual_add_f32 v36, v36, v43 :: v_dual_mul_f32 v43, v63, v30
	v_mul_f32_e32 v30, v62, v30
	s_delay_alu instid0(VALU_DEP_4) | instskip(NEXT) | instid1(VALU_DEP_4)
	v_fma_f32 v40, v62, v27, -v40
	v_fmac_f32_e32 v28, v63, v27
	v_add_f32_e32 v39, v39, v26
	v_fma_f32 v26, v62, v29, -v43
	v_fmac_f32_e32 v30, v63, v29
	v_add_f32_e32 v40, v42, v40
	s_delay_alu instid0(VALU_DEP_3)
	v_dual_add_f32 v42, v35, v28 :: v_dual_add_f32 v43, v38, v26
	ds_load_2addr_b64 v[26:29], v20 offset0:128 offset1:144
	s_wait_dscnt 0x1
	v_mul_f32_e32 v35, v49, v32
	v_mul_f32_e32 v38, v48, v32
	v_mul_f32_e32 v44, v49, v34
	v_mul_f32_e32 v47, v65, v34
	s_delay_alu instid0(VALU_DEP_4) | instskip(NEXT) | instid1(VALU_DEP_4)
	v_fma_f32 v35, v48, v31, -v35
	v_fmac_f32_e32 v38, v49, v31
	s_delay_alu instid0(VALU_DEP_2) | instskip(SKIP_1) | instid1(VALU_DEP_3)
	v_add_f32_e32 v1, v1, v35
	v_mul_f32_e32 v35, v65, v32
	v_dual_mul_f32 v32, v64, v32 :: v_dual_add_f32 v45, v37, v38
	s_delay_alu instid0(VALU_DEP_2) | instskip(NEXT) | instid1(VALU_DEP_2)
	v_fma_f32 v46, v64, v31, -v35
	v_fmac_f32_e32 v32, v65, v31
	s_wait_dscnt 0x0
	v_mul_f32_e32 v31, v51, v27
	v_fma_f32 v44, v48, v33, -v44
	v_add_f32_e32 v41, v41, v30
	v_mul_f32_e32 v30, v48, v34
	v_mul_f32_e32 v58, v50, v29
	s_delay_alu instid0(VALU_DEP_4) | instskip(SKIP_2) | instid1(VALU_DEP_1)
	v_add_f32_e32 v44, v36, v44
	ds_load_b128 v[35:38], v21 offset:1056
	v_dual_fmac_f32 v30, v49, v33 :: v_dual_mul_f32 v49, v50, v27
	v_add_f32_e32 v48, v39, v30
	v_fma_f32 v30, v64, v33, -v47
	v_fma_f32 v39, v50, v26, -v31
	v_mul_f32_e32 v34, v64, v34
	v_fmac_f32_e32 v49, v51, v26
	v_add_f32_e32 v46, v40, v46
	v_add_f32_e32 v43, v43, v30
	;; [unrolled: 1-line block ×4, first 2 shown]
	v_fmac_f32_e32 v34, v65, v33
	ds_load_2addr_b64 v[30:33], v20 offset0:160 offset1:176
	v_mul_f32_e32 v40, v51, v29
	v_add_f32_e32 v45, v45, v49
	v_add_f32_e32 v34, v41, v34
	s_delay_alu instid0(VALU_DEP_3)
	v_fma_f32 v50, v50, v28, -v40
	ds_load_b128 v[39:42], v21 offset:1072
	s_wait_dscnt 0x2
	v_mul_f32_e32 v59, v36, v27
	v_dual_mul_f32 v27, v35, v27 :: v_dual_add_f32 v44, v44, v50
	v_fmac_f32_e32 v58, v51, v28
	v_mul_f32_e32 v50, v36, v29
	s_delay_alu instid0(VALU_DEP_4) | instskip(NEXT) | instid1(VALU_DEP_4)
	v_fma_f32 v49, v35, v26, -v59
	v_fmac_f32_e32 v27, v36, v26
	s_delay_alu instid0(VALU_DEP_4) | instskip(SKIP_1) | instid1(VALU_DEP_3)
	v_dual_mul_f32 v51, v35, v29 :: v_dual_add_f32 v48, v48, v58
	s_wait_dscnt 0x1
	v_dual_add_f32 v46, v46, v49 :: v_dual_mul_f32 v29, v53, v31
	v_fma_f32 v26, v35, v28, -v50
	v_add_f32_e32 v35, v47, v27
	v_fmac_f32_e32 v51, v36, v28
	v_mul_f32_e32 v36, v52, v31
	v_fma_f32 v47, v52, v30, -v29
	v_add_f32_e32 v43, v43, v26
	ds_load_2addr_b64 v[26:29], v20 offset0:192 offset1:208
	v_fmac_f32_e32 v36, v53, v30
	v_dual_mul_f32 v49, v53, v33 :: v_dual_add_f32 v50, v34, v51
	v_dual_add_f32 v1, v1, v47 :: v_dual_mul_f32 v34, v52, v33
	s_delay_alu instid0(VALU_DEP_3) | instskip(NEXT) | instid1(VALU_DEP_3)
	v_dual_add_f32 v45, v45, v36 :: v_dual_mul_f32 v36, v38, v31
	v_fma_f32 v47, v52, v32, -v49
	s_delay_alu instid0(VALU_DEP_3) | instskip(NEXT) | instid1(VALU_DEP_3)
	v_fmac_f32_e32 v34, v53, v32
	v_fma_f32 v36, v37, v30, -v36
	s_delay_alu instid0(VALU_DEP_3) | instskip(SKIP_1) | instid1(VALU_DEP_3)
	v_dual_add_f32 v44, v44, v47 :: v_dual_mul_f32 v47, v38, v33
	v_mul_f32_e32 v31, v37, v31
	v_dual_mul_f32 v33, v37, v33 :: v_dual_add_f32 v46, v46, v36
	s_delay_alu instid0(VALU_DEP_2) | instskip(SKIP_2) | instid1(VALU_DEP_4)
	v_fmac_f32_e32 v31, v38, v30
	v_add_f32_e32 v30, v48, v34
	v_fma_f32 v34, v37, v32, -v47
	v_fmac_f32_e32 v33, v38, v32
	s_wait_dscnt 0x0
	v_mul_f32_e32 v38, v54, v27
	v_dual_add_f32 v31, v35, v31 :: v_dual_mul_f32 v48, v54, v29
	v_add_f32_e32 v32, v43, v34
	ds_load_2addr_b64 v[34:37], v20 offset0:224 offset1:240
	v_dual_add_f32 v33, v50, v33 :: v_dual_fmac_f32 v38, v55, v26
	v_mul_f32_e32 v47, v55, v27
	v_fmac_f32_e32 v48, v55, v28
	s_wait_loadcnt_dscnt 0x0
	s_barrier_signal -1
	v_add_f32_e32 v38, v45, v38
	v_fma_f32 v43, v54, v26, -v47
	v_mul_f32_e32 v47, v55, v29
	v_mul_f32_e32 v45, v40, v29
	;; [unrolled: 1-line block ×3, first 2 shown]
	s_barrier_wait -1
	v_add_f32_e32 v1, v1, v43
	v_fma_f32 v47, v54, v28, -v47
	v_mul_f32_e32 v43, v40, v27
	v_fmac_f32_e32 v29, v40, v28
	global_inv scope:SCOPE_SE
	v_dual_add_f32 v44, v44, v47 :: v_dual_add_f32 v47, v30, v48
	v_fma_f32 v30, v39, v28, -v45
	v_mul_f32_e32 v27, v39, v27
	s_delay_alu instid0(VALU_DEP_1) | instskip(NEXT) | instid1(VALU_DEP_3)
	v_fmac_f32_e32 v27, v40, v26
	v_add_f32_e32 v40, v32, v30
	v_mul_f32_e32 v30, v57, v37
	v_fma_f32 v43, v39, v26, -v43
	v_mul_f32_e32 v39, v57, v35
	s_delay_alu instid0(VALU_DEP_2) | instskip(NEXT) | instid1(VALU_DEP_2)
	v_add_f32_e32 v26, v46, v43
	v_fma_f32 v28, v56, v34, -v39
	v_add_f32_e32 v39, v33, v29
	v_mul_f32_e32 v29, v41, v35
	s_delay_alu instid0(VALU_DEP_3) | instskip(SKIP_2) | instid1(VALU_DEP_2)
	v_add_f32_e32 v33, v1, v28
	v_fma_f32 v1, v56, v36, -v30
	v_mul_f32_e32 v28, v42, v35
	v_dual_fmac_f32 v29, v42, v34 :: v_dual_add_f32 v30, v44, v1
	s_delay_alu instid0(VALU_DEP_2) | instskip(SKIP_2) | instid1(VALU_DEP_2)
	v_fma_f32 v1, v41, v34, -v28
	v_mul_f32_e32 v43, v56, v35
	v_mul_f32_e32 v35, v42, v37
	v_dual_add_f32 v28, v26, v1 :: v_dual_fmac_f32 v43, v57, v34
	s_delay_alu instid0(VALU_DEP_2) | instskip(NEXT) | instid1(VALU_DEP_2)
	v_fma_f32 v34, v41, v36, -v35
	v_add_f32_e32 v32, v38, v43
	v_add_f32_e32 v27, v31, v27
	v_mul_f32_e32 v31, v56, v37
	v_mul_f32_e32 v37, v41, v37
	s_delay_alu instid0(VALU_DEP_3) | instskip(NEXT) | instid1(VALU_DEP_3)
	v_add_f32_e32 v29, v27, v29
	v_fmac_f32_e32 v31, v57, v36
	s_delay_alu instid0(VALU_DEP_3) | instskip(SKIP_1) | instid1(VALU_DEP_3)
	v_fmac_f32_e32 v37, v42, v36
	v_add_f32_e32 v27, v40, v34
	v_add_f32_e32 v31, v47, v31
	s_delay_alu instid0(VALU_DEP_3)
	v_add_f32_e32 v26, v39, v37
	s_cbranch_scc0 .LBB394_19
.LBB394_11:                             ;   Parent Loop BB394_8 Depth=1
                                        ; =>  This Inner Loop Header: Depth=2
	s_wait_alu 0xfffe
	v_add_nc_u32_e32 v1, s8, v17
	s_delay_alu instid0(VALU_DEP_1) | instskip(SKIP_3) | instid1(SALU_CYCLE_1)
	v_cmp_le_i32_e32 vcc_lo, s5, v1
	s_or_b32 s9, s25, vcc_lo
	s_wait_alu 0xfffe
	s_and_saveexec_b32 s26, s9
	s_xor_b32 s9, exec_lo, s26
; %bb.12:                               ;   in Loop: Header=BB394_11 Depth=2
	ds_store_b32 v18, v0
; %bb.13:                               ;   in Loop: Header=BB394_11 Depth=2
	s_wait_alu 0xfffe
	s_or_saveexec_b32 s9, s9
	v_mov_b32_e32 v1, 0
	s_wait_alu 0xfffe
	s_xor_b32 exec_lo, exec_lo, s9
	s_cbranch_execz .LBB394_15
; %bb.14:                               ;   in Loop: Header=BB394_11 Depth=2
	flat_load_b64 v[34:35], v[12:13] offset:-4
	s_wait_loadcnt_dscnt 0x0
	v_xor_b32_e32 v1, 0x80000000, v35
	ds_store_b32 v18, v34
.LBB394_15:                             ;   in Loop: Header=BB394_11 Depth=2
	s_or_b32 exec_lo, exec_lo, s9
	v_add_nc_u32_e32 v34, s8, v16
	ds_store_b32 v18, v1 offset:4
	v_cmp_le_i32_e32 vcc_lo, s5, v34
	s_or_b32 s9, vcc_lo, s28
	s_wait_alu 0xfffe
	s_and_saveexec_b32 s26, s9
	s_delay_alu instid0(SALU_CYCLE_1)
	s_xor_b32 s9, exec_lo, s26
; %bb.16:                               ;   in Loop: Header=BB394_11 Depth=2
	v_mov_b32_e32 v1, v0
	ds_store_b64 v19, v[0:1]
; %bb.17:                               ;   in Loop: Header=BB394_11 Depth=2
	s_wait_alu 0xfffe
	s_and_not1_saveexec_b32 s9, s9
	s_cbranch_execz .LBB394_10
; %bb.18:                               ;   in Loop: Header=BB394_11 Depth=2
	flat_load_b64 v[34:35], v[14:15]
	s_wait_loadcnt_dscnt 0x0
	ds_store_b64 v19, v[34:35]
	s_branch .LBB394_10
.LBB394_19:                             ;   in Loop: Header=BB394_8 Depth=1
	s_wait_loadcnt 0x0
	v_add_co_u32 v1, vcc_lo, v10, s0
	s_wait_alu 0xfffd
	v_add_co_ci_u32_e64 v12, null, s1, v11, vcc_lo
	s_delay_alu instid0(VALU_DEP_2) | instskip(SKIP_1) | instid1(VALU_DEP_2)
	v_add_co_u32 v13, vcc_lo, v1, v2
	s_wait_alu 0xfffd
	v_add_co_ci_u32_e64 v14, null, v12, v3, vcc_lo
	s_and_saveexec_b32 s8, s19
	s_cbranch_execz .LBB394_24
; %bb.20:                               ;   in Loop: Header=BB394_8 Depth=1
	v_mul_f32_e32 v11, s6, v32
	v_mul_f32_e32 v10, s7, v32
	s_and_b32 vcc_lo, exec_lo, s24
	s_mov_b32 s9, -1
	s_delay_alu instid0(VALU_DEP_2) | instskip(NEXT) | instid1(VALU_DEP_2)
	v_fmac_f32_e32 v11, s7, v33
	v_fma_f32 v10, v33, s6, -v10
	s_wait_alu 0xfffe
	s_cbranch_vccz .LBB394_22
; %bb.21:                               ;   in Loop: Header=BB394_8 Depth=1
	v_add_co_u32 v32, vcc_lo, v13, v6
	s_wait_alu 0xfffd
	v_add_co_ci_u32_e64 v33, null, v14, v7, vcc_lo
	s_mov_b32 s9, 0
	flat_load_b64 v[34:35], v[32:33]
	s_wait_loadcnt_dscnt 0x0
	v_mul_f32_e32 v15, s21, v35
	v_mul_f32_e32 v35, s20, v35
	s_delay_alu instid0(VALU_DEP_2) | instskip(NEXT) | instid1(VALU_DEP_1)
	v_fma_f32 v15, v34, s20, -v15
	v_dual_fmac_f32 v35, s21, v34 :: v_dual_add_f32 v34, v10, v15
	s_delay_alu instid0(VALU_DEP_1)
	v_add_f32_e32 v35, v11, v35
	flat_store_b64 v[32:33], v[34:35]
.LBB394_22:                             ;   in Loop: Header=BB394_8 Depth=1
	s_wait_alu 0xfffe
	s_and_not1_b32 vcc_lo, exec_lo, s9
	s_wait_alu 0xfffe
	s_cbranch_vccnz .LBB394_24
; %bb.23:                               ;   in Loop: Header=BB394_8 Depth=1
	v_add_co_u32 v32, vcc_lo, v13, v6
	s_wait_alu 0xfffd
	v_add_co_ci_u32_e64 v33, null, v14, v7, vcc_lo
	flat_store_b64 v[32:33], v[10:11]
.LBB394_24:                             ;   in Loop: Header=BB394_8 Depth=1
	s_wait_alu 0xfffe
	s_or_b32 exec_lo, exec_lo, s8
	s_and_saveexec_b32 s8, s30
	s_cbranch_execz .LBB394_29
; %bb.25:                               ;   in Loop: Header=BB394_8 Depth=1
	v_mul_f32_e32 v11, s6, v31
	v_mul_f32_e32 v10, s7, v31
	s_and_not1_b32 vcc_lo, exec_lo, s24
	s_mov_b32 s9, -1
	s_delay_alu instid0(VALU_DEP_2) | instskip(NEXT) | instid1(VALU_DEP_2)
	v_fmac_f32_e32 v11, s7, v30
	v_fma_f32 v10, v30, s6, -v10
	s_wait_alu 0xfffe
	s_cbranch_vccnz .LBB394_27
; %bb.26:                               ;   in Loop: Header=BB394_8 Depth=1
	v_add_co_u32 v30, vcc_lo, v13, v8
	s_wait_alu 0xfffd
	v_add_co_ci_u32_e64 v31, null, v14, v9, vcc_lo
	s_mov_b32 s9, 0
	flat_load_b64 v[32:33], v[30:31]
	s_wait_loadcnt_dscnt 0x0
	v_mul_f32_e32 v15, s21, v33
	s_delay_alu instid0(VALU_DEP_1) | instskip(SKIP_1) | instid1(VALU_DEP_1)
	v_fma_f32 v15, v32, s20, -v15
	v_mul_f32_e32 v33, s20, v33
	v_dual_fmac_f32 v33, s21, v32 :: v_dual_add_f32 v32, v10, v15
	s_delay_alu instid0(VALU_DEP_1)
	v_add_f32_e32 v33, v11, v33
	flat_store_b64 v[30:31], v[32:33]
.LBB394_27:                             ;   in Loop: Header=BB394_8 Depth=1
	s_wait_alu 0xfffe
	s_and_not1_b32 vcc_lo, exec_lo, s9
	s_wait_alu 0xfffe
	s_cbranch_vccnz .LBB394_29
; %bb.28:                               ;   in Loop: Header=BB394_8 Depth=1
	v_add_co_u32 v13, vcc_lo, v13, v8
	s_wait_alu 0xfffd
	v_add_co_ci_u32_e64 v14, null, v14, v9, vcc_lo
	flat_store_b64 v[13:14], v[10:11]
.LBB394_29:                             ;   in Loop: Header=BB394_8 Depth=1
	s_wait_alu 0xfffe
	s_or_b32 exec_lo, exec_lo, s8
	v_add_co_u32 v1, vcc_lo, v1, v4
	s_wait_alu 0xfffd
	v_add_co_ci_u32_e64 v12, null, v12, v5, vcc_lo
	s_and_saveexec_b32 s8, s14
	s_cbranch_execz .LBB394_34
; %bb.30:                               ;   in Loop: Header=BB394_8 Depth=1
	v_mul_f32_e32 v11, s6, v29
	v_mul_f32_e32 v10, s7, v29
	s_and_not1_b32 vcc_lo, exec_lo, s24
	s_mov_b32 s9, -1
	s_delay_alu instid0(VALU_DEP_2) | instskip(NEXT) | instid1(VALU_DEP_2)
	v_fmac_f32_e32 v11, s7, v28
	v_fma_f32 v10, v28, s6, -v10
	s_wait_alu 0xfffe
	s_cbranch_vccnz .LBB394_32
; %bb.31:                               ;   in Loop: Header=BB394_8 Depth=1
	v_add_co_u32 v13, vcc_lo, v1, v6
	s_wait_alu 0xfffd
	v_add_co_ci_u32_e64 v14, null, v12, v7, vcc_lo
	s_mov_b32 s9, 0
	flat_load_b64 v[28:29], v[13:14]
	s_wait_loadcnt_dscnt 0x0
	v_mul_f32_e32 v15, s21, v29
	s_delay_alu instid0(VALU_DEP_1) | instskip(SKIP_1) | instid1(VALU_DEP_1)
	v_fma_f32 v15, v28, s20, -v15
	v_mul_f32_e32 v29, s20, v29
	v_dual_fmac_f32 v29, s21, v28 :: v_dual_add_f32 v28, v10, v15
	s_delay_alu instid0(VALU_DEP_1)
	v_add_f32_e32 v29, v11, v29
	flat_store_b64 v[13:14], v[28:29]
.LBB394_32:                             ;   in Loop: Header=BB394_8 Depth=1
	s_wait_alu 0xfffe
	s_and_not1_b32 vcc_lo, exec_lo, s9
	s_wait_alu 0xfffe
	s_cbranch_vccnz .LBB394_34
; %bb.33:                               ;   in Loop: Header=BB394_8 Depth=1
	v_add_co_u32 v13, vcc_lo, v1, v6
	s_wait_alu 0xfffd
	v_add_co_ci_u32_e64 v14, null, v12, v7, vcc_lo
	flat_store_b64 v[13:14], v[10:11]
.LBB394_34:                             ;   in Loop: Header=BB394_8 Depth=1
	s_wait_alu 0xfffe
	s_or_b32 exec_lo, exec_lo, s8
	s_and_saveexec_b32 s8, s4
	s_cbranch_execz .LBB394_7
; %bb.35:                               ;   in Loop: Header=BB394_8 Depth=1
	v_mul_f32_e32 v11, s6, v26
	v_mul_f32_e32 v10, s7, v26
	s_and_not1_b32 vcc_lo, exec_lo, s24
	s_mov_b32 s9, -1
	s_delay_alu instid0(VALU_DEP_2) | instskip(NEXT) | instid1(VALU_DEP_2)
	v_fmac_f32_e32 v11, s7, v27
	v_fma_f32 v10, v27, s6, -v10
	s_wait_alu 0xfffe
	s_cbranch_vccnz .LBB394_37
; %bb.36:                               ;   in Loop: Header=BB394_8 Depth=1
	v_add_co_u32 v13, vcc_lo, v1, v8
	s_wait_alu 0xfffd
	v_add_co_ci_u32_e64 v14, null, v12, v9, vcc_lo
	s_mov_b32 s9, 0
	flat_load_b64 v[26:27], v[13:14]
	s_wait_loadcnt_dscnt 0x0
	v_mul_f32_e32 v15, s21, v27
	v_mul_f32_e32 v27, s20, v27
	s_delay_alu instid0(VALU_DEP_2) | instskip(NEXT) | instid1(VALU_DEP_1)
	v_fma_f32 v15, v26, s20, -v15
	v_dual_fmac_f32 v27, s21, v26 :: v_dual_add_f32 v26, v10, v15
	s_delay_alu instid0(VALU_DEP_1)
	v_add_f32_e32 v27, v11, v27
	flat_store_b64 v[13:14], v[26:27]
.LBB394_37:                             ;   in Loop: Header=BB394_8 Depth=1
	s_wait_alu 0xfffe
	s_and_not1_b32 vcc_lo, exec_lo, s9
	s_wait_alu 0xfffe
	s_cbranch_vccnz .LBB394_7
; %bb.38:                               ;   in Loop: Header=BB394_8 Depth=1
	v_add_co_u32 v13, vcc_lo, v1, v8
	s_wait_alu 0xfffd
	v_add_co_ci_u32_e64 v14, null, v12, v9, vcc_lo
	flat_store_b64 v[13:14], v[10:11]
	s_branch .LBB394_7
.LBB394_39:
	s_endpgm
	.section	.rodata,"a",@progbits
	.p2align	6, 0x0
	.amdhsa_kernel _ZL29rocblas_internal_gemmt_kernelIiLi16ELi32ELi8ELc67ELc84ELc76ELb1ELb0E19rocblas_complex_numIfES1_PKPKS1_PKPS1_EviT_T9_T10_S9_lSB_S9_lSA_T11_S9_li
		.amdhsa_group_segment_fixed_size 4096
		.amdhsa_private_segment_fixed_size 0
		.amdhsa_kernarg_size 100
		.amdhsa_user_sgpr_count 2
		.amdhsa_user_sgpr_dispatch_ptr 0
		.amdhsa_user_sgpr_queue_ptr 0
		.amdhsa_user_sgpr_kernarg_segment_ptr 1
		.amdhsa_user_sgpr_dispatch_id 0
		.amdhsa_user_sgpr_private_segment_size 0
		.amdhsa_wavefront_size32 1
		.amdhsa_uses_dynamic_stack 0
		.amdhsa_enable_private_segment 0
		.amdhsa_system_sgpr_workgroup_id_x 1
		.amdhsa_system_sgpr_workgroup_id_y 1
		.amdhsa_system_sgpr_workgroup_id_z 1
		.amdhsa_system_sgpr_workgroup_info 0
		.amdhsa_system_vgpr_workitem_id 1
		.amdhsa_next_free_vgpr 71
		.amdhsa_next_free_sgpr 36
		.amdhsa_reserve_vcc 1
		.amdhsa_float_round_mode_32 0
		.amdhsa_float_round_mode_16_64 0
		.amdhsa_float_denorm_mode_32 3
		.amdhsa_float_denorm_mode_16_64 3
		.amdhsa_fp16_overflow 0
		.amdhsa_workgroup_processor_mode 1
		.amdhsa_memory_ordered 1
		.amdhsa_forward_progress 1
		.amdhsa_inst_pref_size 25
		.amdhsa_round_robin_scheduling 0
		.amdhsa_exception_fp_ieee_invalid_op 0
		.amdhsa_exception_fp_denorm_src 0
		.amdhsa_exception_fp_ieee_div_zero 0
		.amdhsa_exception_fp_ieee_overflow 0
		.amdhsa_exception_fp_ieee_underflow 0
		.amdhsa_exception_fp_ieee_inexact 0
		.amdhsa_exception_int_div_zero 0
	.end_amdhsa_kernel
	.section	.text._ZL29rocblas_internal_gemmt_kernelIiLi16ELi32ELi8ELc67ELc84ELc76ELb1ELb0E19rocblas_complex_numIfES1_PKPKS1_PKPS1_EviT_T9_T10_S9_lSB_S9_lSA_T11_S9_li,"axG",@progbits,_ZL29rocblas_internal_gemmt_kernelIiLi16ELi32ELi8ELc67ELc84ELc76ELb1ELb0E19rocblas_complex_numIfES1_PKPKS1_PKPS1_EviT_T9_T10_S9_lSB_S9_lSA_T11_S9_li,comdat
.Lfunc_end394:
	.size	_ZL29rocblas_internal_gemmt_kernelIiLi16ELi32ELi8ELc67ELc84ELc76ELb1ELb0E19rocblas_complex_numIfES1_PKPKS1_PKPS1_EviT_T9_T10_S9_lSB_S9_lSA_T11_S9_li, .Lfunc_end394-_ZL29rocblas_internal_gemmt_kernelIiLi16ELi32ELi8ELc67ELc84ELc76ELb1ELb0E19rocblas_complex_numIfES1_PKPKS1_PKPS1_EviT_T9_T10_S9_lSB_S9_lSA_T11_S9_li
                                        ; -- End function
	.set _ZL29rocblas_internal_gemmt_kernelIiLi16ELi32ELi8ELc67ELc84ELc76ELb1ELb0E19rocblas_complex_numIfES1_PKPKS1_PKPS1_EviT_T9_T10_S9_lSB_S9_lSA_T11_S9_li.num_vgpr, 71
	.set _ZL29rocblas_internal_gemmt_kernelIiLi16ELi32ELi8ELc67ELc84ELc76ELb1ELb0E19rocblas_complex_numIfES1_PKPKS1_PKPS1_EviT_T9_T10_S9_lSB_S9_lSA_T11_S9_li.num_agpr, 0
	.set _ZL29rocblas_internal_gemmt_kernelIiLi16ELi32ELi8ELc67ELc84ELc76ELb1ELb0E19rocblas_complex_numIfES1_PKPKS1_PKPS1_EviT_T9_T10_S9_lSB_S9_lSA_T11_S9_li.numbered_sgpr, 36
	.set _ZL29rocblas_internal_gemmt_kernelIiLi16ELi32ELi8ELc67ELc84ELc76ELb1ELb0E19rocblas_complex_numIfES1_PKPKS1_PKPS1_EviT_T9_T10_S9_lSB_S9_lSA_T11_S9_li.num_named_barrier, 0
	.set _ZL29rocblas_internal_gemmt_kernelIiLi16ELi32ELi8ELc67ELc84ELc76ELb1ELb0E19rocblas_complex_numIfES1_PKPKS1_PKPS1_EviT_T9_T10_S9_lSB_S9_lSA_T11_S9_li.private_seg_size, 0
	.set _ZL29rocblas_internal_gemmt_kernelIiLi16ELi32ELi8ELc67ELc84ELc76ELb1ELb0E19rocblas_complex_numIfES1_PKPKS1_PKPS1_EviT_T9_T10_S9_lSB_S9_lSA_T11_S9_li.uses_vcc, 1
	.set _ZL29rocblas_internal_gemmt_kernelIiLi16ELi32ELi8ELc67ELc84ELc76ELb1ELb0E19rocblas_complex_numIfES1_PKPKS1_PKPS1_EviT_T9_T10_S9_lSB_S9_lSA_T11_S9_li.uses_flat_scratch, 0
	.set _ZL29rocblas_internal_gemmt_kernelIiLi16ELi32ELi8ELc67ELc84ELc76ELb1ELb0E19rocblas_complex_numIfES1_PKPKS1_PKPS1_EviT_T9_T10_S9_lSB_S9_lSA_T11_S9_li.has_dyn_sized_stack, 0
	.set _ZL29rocblas_internal_gemmt_kernelIiLi16ELi32ELi8ELc67ELc84ELc76ELb1ELb0E19rocblas_complex_numIfES1_PKPKS1_PKPS1_EviT_T9_T10_S9_lSB_S9_lSA_T11_S9_li.has_recursion, 0
	.set _ZL29rocblas_internal_gemmt_kernelIiLi16ELi32ELi8ELc67ELc84ELc76ELb1ELb0E19rocblas_complex_numIfES1_PKPKS1_PKPS1_EviT_T9_T10_S9_lSB_S9_lSA_T11_S9_li.has_indirect_call, 0
	.section	.AMDGPU.csdata,"",@progbits
; Kernel info:
; codeLenInByte = 3200
; TotalNumSgprs: 38
; NumVgprs: 71
; ScratchSize: 0
; MemoryBound: 1
; FloatMode: 240
; IeeeMode: 1
; LDSByteSize: 4096 bytes/workgroup (compile time only)
; SGPRBlocks: 0
; VGPRBlocks: 8
; NumSGPRsForWavesPerEU: 38
; NumVGPRsForWavesPerEU: 71
; Occupancy: 16
; WaveLimiterHint : 1
; COMPUTE_PGM_RSRC2:SCRATCH_EN: 0
; COMPUTE_PGM_RSRC2:USER_SGPR: 2
; COMPUTE_PGM_RSRC2:TRAP_HANDLER: 0
; COMPUTE_PGM_RSRC2:TGID_X_EN: 1
; COMPUTE_PGM_RSRC2:TGID_Y_EN: 1
; COMPUTE_PGM_RSRC2:TGID_Z_EN: 1
; COMPUTE_PGM_RSRC2:TIDIG_COMP_CNT: 1
	.section	.text._ZL29rocblas_internal_gemmt_kernelIiLi16ELi32ELi8ELc67ELc67ELc76ELb1ELb1E19rocblas_complex_numIfES1_PKPKS1_PKPS1_EviT_T9_T10_S9_lSB_S9_lSA_T11_S9_li,"axG",@progbits,_ZL29rocblas_internal_gemmt_kernelIiLi16ELi32ELi8ELc67ELc67ELc76ELb1ELb1E19rocblas_complex_numIfES1_PKPKS1_PKPS1_EviT_T9_T10_S9_lSB_S9_lSA_T11_S9_li,comdat
	.globl	_ZL29rocblas_internal_gemmt_kernelIiLi16ELi32ELi8ELc67ELc67ELc76ELb1ELb1E19rocblas_complex_numIfES1_PKPKS1_PKPS1_EviT_T9_T10_S9_lSB_S9_lSA_T11_S9_li ; -- Begin function _ZL29rocblas_internal_gemmt_kernelIiLi16ELi32ELi8ELc67ELc67ELc76ELb1ELb1E19rocblas_complex_numIfES1_PKPKS1_PKPS1_EviT_T9_T10_S9_lSB_S9_lSA_T11_S9_li
	.p2align	8
	.type	_ZL29rocblas_internal_gemmt_kernelIiLi16ELi32ELi8ELc67ELc67ELc76ELb1ELb1E19rocblas_complex_numIfES1_PKPKS1_PKPS1_EviT_T9_T10_S9_lSB_S9_lSA_T11_S9_li,@function
_ZL29rocblas_internal_gemmt_kernelIiLi16ELi32ELi8ELc67ELc67ELc76ELb1ELb1E19rocblas_complex_numIfES1_PKPKS1_PKPS1_EviT_T9_T10_S9_lSB_S9_lSA_T11_S9_li: ; @_ZL29rocblas_internal_gemmt_kernelIiLi16ELi32ELi8ELc67ELc67ELc76ELb1ELb1E19rocblas_complex_numIfES1_PKPKS1_PKPS1_EviT_T9_T10_S9_lSB_S9_lSA_T11_S9_li
; %bb.0:
	s_clause 0x1
	s_load_b64 s[20:21], s[0:1], 0x40
	s_load_b128 s[4:7], s[0:1], 0x0
	s_wait_kmcnt 0x0
	s_cmp_eq_f32 s20, 1.0
	s_cselect_b32 s3, -1, 0
	s_and_b32 s2, s21, 0x7fffffff
	s_delay_alu instid0(SALU_CYCLE_1) | instskip(SKIP_1) | instid1(SALU_CYCLE_1)
	s_cmp_eq_u32 s2, 0
	s_cselect_b32 s2, -1, 0
	s_and_b32 s8, s3, s2
	s_mov_b32 s3, 0
	s_and_not1_b32 vcc_lo, exec_lo, s8
	s_mov_b32 s8, -1
	s_cbranch_vccnz .LBB395_4
; %bb.1:
	s_cmp_lg_u32 s5, 0
	s_cbranch_scc0 .LBB395_3
; %bb.2:
	s_cmp_neq_f32 s6, 0
	s_cselect_b32 s3, -1, 0
	s_cmp_neq_f32 s7, 0
	s_cselect_b32 s8, -1, 0
	s_delay_alu instid0(SALU_CYCLE_1)
	s_or_b32 s3, s3, s8
.LBB395_3:
	s_delay_alu instid0(SALU_CYCLE_1)
	s_mov_b32 s8, s3
.LBB395_4:
	s_delay_alu instid0(SALU_CYCLE_1)
	s_and_b32 vcc_lo, exec_lo, s8
	s_cbranch_vccz .LBB395_39
; %bb.5:
	s_load_b32 s15, s[0:1], 0x60
	s_lshr_b32 s22, ttmp7, 16
	s_wait_kmcnt 0x0
	s_cmp_ge_u32 s22, s15
	s_cbranch_scc1 .LBB395_39
; %bb.6:
	s_load_b32 s24, s[0:1], 0x30
	v_dual_mov_b32 v20, 0 :: v_dual_and_b32 v1, 0x3ff, v0
	v_bfe_u32 v2, v0, 10, 10
	v_and_b32_e32 v14, 7, v0
	s_clause 0x4
	s_load_b96 s[12:14], s[0:1], 0x10
	s_load_b128 s[8:11], s[0:1], 0x20
	s_load_b64 s[28:29], s[0:1], 0x38
	s_load_b96 s[16:18], s[0:1], 0x48
	s_load_b64 s[26:27], s[0:1], 0x58
	s_lshl_b32 s1, ttmp7, 5
	s_lshl_b32 s0, ttmp9, 5
	v_lshl_add_u32 v0, v2, 4, v1
	s_and_b32 s1, s1, 0x1fffe0
	v_lshlrev_b32_e32 v3, 3, v14
	v_add_nc_u32_e32 v4, s0, v1
	v_lshlrev_b32_e32 v18, 3, v1
	v_lshrrev_b32_e32 v6, 3, v0
	v_and_b32_e32 v5, 31, v0
	v_lshrrev_b32_e32 v15, 5, v0
	v_lshl_add_u32 v19, v2, 6, 0x800
	s_mov_b32 s23, 0
	v_lshl_or_b32 v3, v6, 6, v3
	v_or_b32_e32 v7, s0, v5
	s_wait_kmcnt 0x0
	s_ashr_i32 s25, s24, 31
	s_cmp_neq_f32 s6, 0
	v_add_nc_u32_e32 v12, s1, v6
	v_lshlrev_b32_e32 v0, 3, v5
	v_add_nc_u32_e32 v17, 0x800, v3
	s_cselect_b32 s3, -1, 0
	s_cmp_neq_f32 s7, 0
	v_add_nc_u32_e32 v3, s1, v2
	v_add_nc_u32_e32 v6, 16, v4
	v_lshl_or_b32 v16, v15, 8, v0
	s_cselect_b32 s19, -1, 0
	v_cmp_gt_i32_e32 vcc_lo, s4, v7
	s_or_b32 s31, s3, s19
	s_cmp_gt_i32 s5, 0
	v_cmp_le_i32_e64 s1, v3, v4
	s_cselect_b32 s33, -1, 0
	s_cmp_neq_f32 s20, 0
	v_cmp_le_i32_e64 s3, v3, v6
	v_mad_co_i64_i32 v[0:1], null, v3, s18, 0
	v_add_nc_u32_e32 v10, 16, v3
	v_mad_co_i64_i32 v[2:3], null, s14, v7, 0
	v_cmp_gt_i32_e64 s0, s4, v12
	s_cselect_b32 s34, -1, 0
	s_xor_b32 s35, s2, -1
	v_cmp_gt_i32_e64 s2, s4, v4
	v_cmp_gt_i32_e64 s4, s4, v6
	v_mad_co_i64_i32 v[8:9], null, s24, v14, 0
	v_lshlrev_b64_e32 v[2:3], 3, v[2:3]
	s_delay_alu instid0(VALU_DEP_4) | instskip(NEXT) | instid1(VALU_DEP_3)
	s_and_b32 s19, s1, s2
	s_and_b32 s30, s3, s4
	v_cmp_le_i32_e64 s1, v10, v4
	v_cmp_le_i32_e64 s3, v10, v6
	v_lshlrev_b32_e32 v12, 3, v12
	v_lshlrev_b64_e32 v[8:9], 3, v[8:9]
	v_mad_co_i64_i32 v[10:11], null, v10, s18, 0
	s_and_b32 s14, s1, s2
	s_and_b32 s4, s3, s4
	s_lshl_b64 s[2:3], s[8:9], 3
	v_lshlrev_b32_e32 v13, 3, v15
	v_add_co_u32 v2, s1, v2, s2
	s_wait_alu 0xf1ff
	v_add_co_ci_u32_e64 v3, null, s3, v3, s1
	s_lshl_b64 s[2:3], s[28:29], 3
	v_ashrrev_i32_e32 v5, 31, v4
	s_wait_alu 0xfffe
	v_add_co_u32 v8, s1, v8, s2
	v_ashrrev_i32_e32 v7, 31, v6
	s_wait_alu 0xf1ff
	v_add_co_ci_u32_e64 v9, null, s3, v9, s1
	s_delay_alu instid0(VALU_DEP_3)
	v_add_co_u32 v8, s1, v8, v12
	v_add_co_u32 v21, s2, v2, v13
	s_wait_alu 0xf1ff
	v_add_co_ci_u32_e64 v22, null, 0, v3, s2
	v_lshlrev_b64_e32 v[0:1], 3, v[0:1]
	v_lshlrev_b64_e32 v[2:3], 3, v[10:11]
	;; [unrolled: 1-line block ×4, first 2 shown]
	v_add_co_ci_u32_e64 v23, null, 0, v9, s1
	v_or_b32_e32 v24, 4, v8
	s_lshl_b64 s[2:3], s[24:25], 6
	s_and_b32 s18, s31, s33
	s_or_b32 s24, s34, s35
	s_xor_b32 s25, vcc_lo, -1
	s_xor_b32 s28, s0, -1
	s_lshl_b64 s[0:1], s[26:27], 3
	s_branch .LBB395_8
.LBB395_7:                              ;   in Loop: Header=BB395_8 Depth=1
	s_wait_alu 0xfffe
	s_or_b32 exec_lo, exec_lo, s8
	s_add_co_i32 s22, s22, 0x10000
	s_delay_alu instid0(SALU_CYCLE_1)
	s_cmp_lt_u32 s22, s15
	s_cbranch_scc0 .LBB395_39
.LBB395_8:                              ; =>This Loop Header: Depth=1
                                        ;     Child Loop BB395_11 Depth 2
	s_lshl_b64 s[8:9], s[22:23], 3
	v_dual_mov_b32 v32, 0 :: v_dual_mov_b32 v31, 0
	s_wait_alu 0xfffe
	s_add_nc_u64 s[26:27], s[16:17], s[8:9]
	v_dual_mov_b32 v29, 0 :: v_dual_mov_b32 v30, 0
	global_load_b64 v[8:9], v20, s[26:27]
	v_dual_mov_b32 v27, 0 :: v_dual_mov_b32 v28, 0
	v_dual_mov_b32 v26, 0 :: v_dual_mov_b32 v25, 0
	s_and_not1_b32 vcc_lo, exec_lo, s18
	s_wait_alu 0xfffe
	s_cbranch_vccnz .LBB395_19
; %bb.9:                                ;   in Loop: Header=BB395_8 Depth=1
	s_add_nc_u64 s[26:27], s[12:13], s[8:9]
	s_add_nc_u64 s[8:9], s[10:11], s[8:9]
	s_clause 0x1
	global_load_b64 v[10:11], v20, s[26:27]
	global_load_b64 v[12:13], v20, s[8:9]
	v_dual_mov_b32 v25, 0 :: v_dual_mov_b32 v26, 0
	v_dual_mov_b32 v28, 0 :: v_dual_mov_b32 v27, 0
	;; [unrolled: 1-line block ×4, first 2 shown]
	s_mov_b32 s8, 0
	s_wait_loadcnt 0x1
	v_add_co_u32 v10, vcc_lo, v10, v21
	s_wait_alu 0xfffd
	v_add_co_ci_u32_e64 v11, null, v11, v22, vcc_lo
	s_wait_loadcnt 0x0
	v_add_co_u32 v12, vcc_lo, v12, v24
	s_wait_alu 0xfffd
	v_add_co_ci_u32_e64 v13, null, v13, v23, vcc_lo
	s_branch .LBB395_11
.LBB395_10:                             ;   in Loop: Header=BB395_11 Depth=2
	s_or_b32 exec_lo, exec_lo, s9
	ds_store_b32 v17, v33 offset:4
	s_wait_dscnt 0x0
	s_barrier_signal -1
	s_barrier_wait -1
	global_inv scope:SCOPE_SE
	ds_load_b128 v[33:36], v19
	ds_load_2addr_b64 v[37:40], v18 offset1:16
	ds_load_b128 v[41:44], v19 offset:1024
	ds_load_b128 v[45:48], v19 offset:16
	;; [unrolled: 1-line block ×4, first 2 shown]
	ds_load_2addr_b64 v[57:60], v18 offset0:32 offset1:48
	ds_load_b128 v[61:64], v19 offset:1040
	v_add_co_u32 v10, vcc_lo, v10, 64
	s_wait_alu 0xfffd
	v_add_co_ci_u32_e64 v11, null, 0, v11, vcc_lo
	v_add_co_u32 v12, vcc_lo, v12, s2
	s_wait_alu 0xfffd
	v_add_co_ci_u32_e64 v13, null, s3, v13, vcc_lo
	s_add_co_i32 s8, s8, 8
	s_wait_alu 0xfffe
	s_cmp_lt_i32 s8, s5
	s_wait_dscnt 0x6
	v_dual_mul_f32 v65, v34, v38 :: v_dual_mul_f32 v68, v33, v40
	v_dual_mul_f32 v66, v33, v38 :: v_dual_mul_f32 v67, v34, v40
	s_wait_dscnt 0x5
	v_mul_f32_e32 v69, v42, v38
	s_delay_alu instid0(VALU_DEP_3) | instskip(NEXT) | instid1(VALU_DEP_3)
	v_fma_f32 v65, v33, v37, -v65
	v_fmac_f32_e32 v66, v34, v37
	v_mul_f32_e32 v70, v42, v40
	v_fma_f32 v33, v33, v39, -v67
	v_mul_f32_e32 v40, v41, v40
	s_delay_alu instid0(VALU_DEP_4) | instskip(SKIP_1) | instid1(VALU_DEP_4)
	v_dual_fmac_f32 v68, v34, v39 :: v_dual_add_f32 v31, v31, v66
	v_fma_f32 v34, v41, v37, -v69
	v_add_f32_e32 v33, v29, v33
	v_fma_f32 v29, v41, v39, -v70
	v_mul_f32_e32 v38, v41, v38
	v_fmac_f32_e32 v40, v42, v39
	v_add_f32_e32 v34, v27, v34
	s_wait_dscnt 0x1
	v_mul_f32_e32 v41, v35, v58
	v_add_f32_e32 v39, v26, v29
	v_fmac_f32_e32 v38, v42, v37
	v_add_f32_e32 v30, v30, v68
	v_dual_add_f32 v32, v32, v65 :: v_dual_add_f32 v25, v25, v40
	v_fmac_f32_e32 v41, v36, v57
	s_delay_alu instid0(VALU_DEP_4)
	v_add_f32_e32 v37, v28, v38
	ds_load_2addr_b64 v[26:29], v18 offset0:64 offset1:80
	v_mul_f32_e32 v38, v36, v58
	v_dual_mul_f32 v42, v36, v60 :: v_dual_add_f32 v41, v31, v41
	v_mul_f32_e32 v31, v43, v58
	v_mul_f32_e32 v40, v35, v60
	s_delay_alu instid0(VALU_DEP_4) | instskip(NEXT) | instid1(VALU_DEP_3)
	v_fma_f32 v38, v35, v57, -v38
	v_fmac_f32_e32 v31, v44, v57
	s_delay_alu instid0(VALU_DEP_3) | instskip(NEXT) | instid1(VALU_DEP_3)
	v_fmac_f32_e32 v40, v36, v59
	v_add_f32_e32 v38, v32, v38
	v_fma_f32 v32, v35, v59, -v42
	v_mul_f32_e32 v35, v44, v58
	v_add_f32_e32 v37, v37, v31
	s_delay_alu instid0(VALU_DEP_3) | instskip(NEXT) | instid1(VALU_DEP_3)
	v_add_f32_e32 v36, v33, v32
	v_fma_f32 v32, v43, v57, -v35
	s_wait_dscnt 0x0
	v_dual_mul_f32 v33, v44, v60 :: v_dual_mul_f32 v42, v45, v27
	v_add_f32_e32 v35, v30, v40
	v_mul_f32_e32 v40, v43, v60
	v_add_f32_e32 v34, v34, v32
	s_delay_alu instid0(VALU_DEP_4) | instskip(SKIP_3) | instid1(VALU_DEP_4)
	v_fma_f32 v30, v43, v59, -v33
	v_fmac_f32_e32 v42, v46, v26
	v_mul_f32_e32 v32, v46, v27
	v_fmac_f32_e32 v40, v44, v59
	v_dual_mul_f32 v44, v46, v29 :: v_dual_add_f32 v39, v39, v30
	s_delay_alu instid0(VALU_DEP_4) | instskip(NEXT) | instid1(VALU_DEP_4)
	v_add_f32_e32 v41, v41, v42
	v_fma_f32 v43, v45, v26, -v32
	ds_load_2addr_b64 v[30:33], v18 offset0:96 offset1:112
	v_add_f32_e32 v40, v25, v40
	v_dual_mul_f32 v25, v45, v29 :: v_dual_mul_f32 v42, v62, v27
	v_add_f32_e32 v38, v38, v43
	v_mul_f32_e32 v27, v61, v27
	v_fma_f32 v43, v45, v28, -v44
	s_delay_alu instid0(VALU_DEP_4) | instskip(NEXT) | instid1(VALU_DEP_2)
	v_fmac_f32_e32 v25, v46, v28
	v_dual_fmac_f32 v27, v62, v26 :: v_dual_add_f32 v36, v36, v43
	v_mul_f32_e32 v43, v62, v29
	v_mul_f32_e32 v29, v61, v29
	s_delay_alu instid0(VALU_DEP_4) | instskip(NEXT) | instid1(VALU_DEP_3)
	v_add_f32_e32 v44, v35, v25
	v_fma_f32 v25, v61, v28, -v43
	s_delay_alu instid0(VALU_DEP_3)
	v_fmac_f32_e32 v29, v62, v28
	v_add_f32_e32 v43, v37, v27
	s_wait_dscnt 0x0
	v_mul_f32_e32 v37, v48, v33
	v_add_f32_e32 v39, v39, v25
	v_dual_mul_f32 v35, v47, v31 :: v_dual_add_f32 v40, v40, v29
	v_mul_f32_e32 v29, v47, v33
	s_delay_alu instid0(VALU_DEP_4) | instskip(NEXT) | instid1(VALU_DEP_3)
	v_fma_f32 v37, v47, v32, -v37
	v_fmac_f32_e32 v35, v48, v30
	v_fma_f32 v42, v61, v26, -v42
	ds_load_2addr_b64 v[25:28], v18 offset0:128 offset1:144
	v_dual_add_f32 v46, v36, v37 :: v_dual_add_f32 v45, v41, v35
	v_add_f32_e32 v42, v34, v42
	v_mul_f32_e32 v34, v48, v31
	v_fmac_f32_e32 v29, v48, v32
	s_delay_alu instid0(VALU_DEP_2) | instskip(SKIP_1) | instid1(VALU_DEP_3)
	v_fma_f32 v34, v47, v30, -v34
	v_mul_f32_e32 v47, v64, v33
	v_add_f32_e32 v44, v44, v29
	s_delay_alu instid0(VALU_DEP_3) | instskip(NEXT) | instid1(VALU_DEP_3)
	v_dual_mul_f32 v33, v63, v33 :: v_dual_add_f32 v38, v38, v34
	v_fma_f32 v29, v63, v32, -v47
	v_mul_f32_e32 v34, v64, v31
	v_mul_f32_e32 v31, v63, v31
	s_wait_dscnt 0x0
	v_dual_fmac_f32 v33, v64, v32 :: v_dual_mul_f32 v48, v49, v26
	v_add_f32_e32 v47, v39, v29
	v_fma_f32 v41, v63, v30, -v34
	ds_load_b128 v[34:37], v19 offset:1056
	v_dual_fmac_f32 v31, v64, v30 :: v_dual_fmac_f32 v48, v50, v25
	v_dual_mul_f32 v30, v50, v26 :: v_dual_add_f32 v33, v40, v33
	s_delay_alu instid0(VALU_DEP_2) | instskip(SKIP_1) | instid1(VALU_DEP_3)
	v_dual_mul_f32 v58, v49, v28 :: v_dual_add_f32 v43, v43, v31
	v_add_f32_e32 v42, v42, v41
	v_fma_f32 v39, v49, v25, -v30
	ds_load_2addr_b64 v[29:32], v18 offset0:160 offset1:176
	v_dual_add_f32 v45, v45, v48 :: v_dual_fmac_f32 v58, v50, v27
	v_mul_f32_e32 v41, v50, v28
	s_delay_alu instid0(VALU_DEP_2) | instskip(NEXT) | instid1(VALU_DEP_2)
	v_dual_add_f32 v57, v38, v39 :: v_dual_add_f32 v44, v44, v58
	v_fma_f32 v49, v49, v27, -v41
	ds_load_b128 v[38:41], v19 offset:1072
	s_wait_dscnt 0x2
	v_mul_f32_e32 v59, v35, v26
	v_mul_f32_e32 v26, v34, v26
	v_dual_add_f32 v46, v46, v49 :: v_dual_mul_f32 v49, v35, v28
	v_mul_f32_e32 v50, v34, v28
	s_delay_alu instid0(VALU_DEP_4) | instskip(NEXT) | instid1(VALU_DEP_4)
	v_fma_f32 v48, v34, v25, -v59
	v_fmac_f32_e32 v26, v35, v25
	s_delay_alu instid0(VALU_DEP_4)
	v_fma_f32 v25, v34, v27, -v49
	s_wait_dscnt 0x1
	v_mul_f32_e32 v28, v52, v30
	v_fmac_f32_e32 v50, v35, v27
	v_dual_mul_f32 v35, v51, v30 :: v_dual_add_f32 v42, v42, v48
	v_add_f32_e32 v34, v43, v26
	v_add_f32_e32 v43, v47, v25
	v_fma_f32 v47, v51, v29, -v28
	ds_load_2addr_b64 v[25:28], v18 offset0:192 offset1:208
	v_fmac_f32_e32 v35, v52, v29
	v_add_f32_e32 v47, v57, v47
	s_delay_alu instid0(VALU_DEP_2) | instskip(SKIP_3) | instid1(VALU_DEP_3)
	v_add_f32_e32 v45, v45, v35
	v_dual_mul_f32 v35, v37, v30 :: v_dual_mul_f32 v48, v52, v32
	v_add_f32_e32 v49, v33, v50
	v_dual_mul_f32 v33, v51, v32 :: v_dual_mul_f32 v30, v36, v30
	v_fma_f32 v35, v36, v29, -v35
	s_delay_alu instid0(VALU_DEP_4) | instskip(NEXT) | instid1(VALU_DEP_3)
	v_fma_f32 v48, v51, v31, -v48
	v_dual_fmac_f32 v33, v52, v31 :: v_dual_fmac_f32 v30, v37, v29
	s_delay_alu instid0(VALU_DEP_3) | instskip(NEXT) | instid1(VALU_DEP_3)
	v_add_f32_e32 v42, v42, v35
	v_add_f32_e32 v46, v46, v48
	s_delay_alu instid0(VALU_DEP_3) | instskip(NEXT) | instid1(VALU_DEP_1)
	v_dual_mul_f32 v48, v37, v32 :: v_dual_add_f32 v29, v44, v33
	v_fma_f32 v33, v36, v31, -v48
	v_mul_f32_e32 v32, v36, v32
	s_wait_dscnt 0x0
	v_mul_f32_e32 v48, v53, v28
	s_delay_alu instid0(VALU_DEP_2) | instskip(NEXT) | instid1(VALU_DEP_2)
	v_dual_fmac_f32 v32, v37, v31 :: v_dual_add_f32 v31, v43, v33
	v_fmac_f32_e32 v48, v54, v27
	v_mul_f32_e32 v44, v54, v26
	v_mul_f32_e32 v37, v53, v26
	s_delay_alu instid0(VALU_DEP_2) | instskip(SKIP_1) | instid1(VALU_DEP_3)
	v_fma_f32 v43, v53, v25, -v44
	v_mul_f32_e32 v44, v54, v28
	v_dual_fmac_f32 v37, v54, v25 :: v_dual_add_f32 v32, v49, v32
	s_delay_alu instid0(VALU_DEP_3) | instskip(NEXT) | instid1(VALU_DEP_2)
	v_dual_add_f32 v43, v47, v43 :: v_dual_add_f32 v30, v34, v30
	v_add_f32_e32 v37, v45, v37
	ds_load_2addr_b64 v[33:36], v18 offset0:224 offset1:240
	v_mul_f32_e32 v47, v39, v26
	v_mul_f32_e32 v26, v38, v26
	v_fma_f32 v44, v53, v27, -v44
	s_wait_loadcnt_dscnt 0x0
	s_barrier_signal -1
	v_fma_f32 v45, v38, v25, -v47
	v_dual_fmac_f32 v26, v39, v25 :: v_dual_add_f32 v47, v29, v48
	s_barrier_wait -1
	global_inv scope:SCOPE_SE
	v_dual_add_f32 v25, v42, v45 :: v_dual_mul_f32 v42, v55, v34
	s_delay_alu instid0(VALU_DEP_1) | instskip(SKIP_3) | instid1(VALU_DEP_2)
	v_fmac_f32_e32 v42, v56, v33
	v_add_f32_e32 v44, v46, v44
	v_mul_f32_e32 v46, v39, v28
	v_mul_f32_e32 v28, v38, v28
	v_fma_f32 v29, v38, v27, -v46
	v_mul_f32_e32 v38, v56, v34
	s_delay_alu instid0(VALU_DEP_3) | instskip(NEXT) | instid1(VALU_DEP_3)
	v_fmac_f32_e32 v28, v39, v27
	v_add_f32_e32 v39, v31, v29
	s_delay_alu instid0(VALU_DEP_3) | instskip(SKIP_1) | instid1(VALU_DEP_4)
	v_fma_f32 v27, v55, v33, -v38
	v_mul_f32_e32 v29, v56, v36
	v_dual_add_f32 v38, v32, v28 :: v_dual_add_f32 v31, v37, v42
	v_mul_f32_e32 v28, v41, v34
	s_delay_alu instid0(VALU_DEP_4) | instskip(NEXT) | instid1(VALU_DEP_4)
	v_add_f32_e32 v32, v43, v27
	v_fma_f32 v27, v55, v35, -v29
	v_dual_mul_f32 v34, v40, v34 :: v_dual_mul_f32 v37, v41, v36
	v_add_f32_e32 v26, v30, v26
	v_mul_f32_e32 v30, v55, v36
	v_mul_f32_e32 v36, v40, v36
	v_add_f32_e32 v29, v44, v27
	v_fma_f32 v27, v40, v33, -v28
	v_fmac_f32_e32 v34, v41, v33
	v_fmac_f32_e32 v30, v56, v35
	v_fma_f32 v33, v40, v35, -v37
	v_fmac_f32_e32 v36, v41, v35
	s_delay_alu instid0(VALU_DEP_4) | instskip(NEXT) | instid1(VALU_DEP_4)
	v_dual_add_f32 v27, v25, v27 :: v_dual_add_f32 v28, v26, v34
	v_add_f32_e32 v30, v47, v30
	s_delay_alu instid0(VALU_DEP_3)
	v_dual_add_f32 v26, v39, v33 :: v_dual_add_f32 v25, v38, v36
	s_cbranch_scc0 .LBB395_19
.LBB395_11:                             ;   Parent Loop BB395_8 Depth=1
                                        ; =>  This Inner Loop Header: Depth=2
	s_wait_alu 0xfffe
	v_add_nc_u32_e32 v33, s8, v15
	s_delay_alu instid0(VALU_DEP_1) | instskip(SKIP_3) | instid1(SALU_CYCLE_1)
	v_cmp_le_i32_e32 vcc_lo, s5, v33
	s_or_b32 s9, s25, vcc_lo
	s_wait_alu 0xfffe
	s_and_saveexec_b32 s26, s9
	s_xor_b32 s9, exec_lo, s26
; %bb.12:                               ;   in Loop: Header=BB395_11 Depth=2
	ds_store_b32 v16, v20
; %bb.13:                               ;   in Loop: Header=BB395_11 Depth=2
	s_wait_alu 0xfffe
	s_or_saveexec_b32 s9, s9
	v_mov_b32_e32 v33, 0
	s_wait_alu 0xfffe
	s_xor_b32 exec_lo, exec_lo, s9
	s_cbranch_execz .LBB395_15
; %bb.14:                               ;   in Loop: Header=BB395_11 Depth=2
	flat_load_b64 v[34:35], v[10:11]
	s_wait_loadcnt_dscnt 0x0
	v_xor_b32_e32 v33, 0x80000000, v35
	ds_store_b32 v16, v34
.LBB395_15:                             ;   in Loop: Header=BB395_11 Depth=2
	s_or_b32 exec_lo, exec_lo, s9
	v_add_nc_u32_e32 v34, s8, v14
	ds_store_b32 v16, v33 offset:4
	v_cmp_le_i32_e32 vcc_lo, s5, v34
	s_or_b32 s9, vcc_lo, s28
	s_wait_alu 0xfffe
	s_and_saveexec_b32 s26, s9
	s_delay_alu instid0(SALU_CYCLE_1)
	s_xor_b32 s9, exec_lo, s26
; %bb.16:                               ;   in Loop: Header=BB395_11 Depth=2
	ds_store_b32 v17, v20
; %bb.17:                               ;   in Loop: Header=BB395_11 Depth=2
	s_wait_alu 0xfffe
	s_or_saveexec_b32 s9, s9
	v_mov_b32_e32 v33, 0
	s_wait_alu 0xfffe
	s_xor_b32 exec_lo, exec_lo, s9
	s_cbranch_execz .LBB395_10
; %bb.18:                               ;   in Loop: Header=BB395_11 Depth=2
	flat_load_b64 v[34:35], v[12:13] offset:-4
	s_wait_loadcnt_dscnt 0x0
	v_xor_b32_e32 v33, 0x80000000, v35
	ds_store_b32 v17, v34
	s_branch .LBB395_10
.LBB395_19:                             ;   in Loop: Header=BB395_8 Depth=1
	s_wait_loadcnt 0x0
	v_add_co_u32 v10, vcc_lo, v8, s0
	s_wait_alu 0xfffd
	v_add_co_ci_u32_e64 v11, null, s1, v9, vcc_lo
	s_delay_alu instid0(VALU_DEP_2) | instskip(SKIP_1) | instid1(VALU_DEP_2)
	v_add_co_u32 v12, vcc_lo, v10, v0
	s_wait_alu 0xfffd
	v_add_co_ci_u32_e64 v13, null, v11, v1, vcc_lo
	s_and_saveexec_b32 s8, s19
	s_cbranch_execz .LBB395_24
; %bb.20:                               ;   in Loop: Header=BB395_8 Depth=1
	v_mul_f32_e32 v9, s6, v31
	v_mul_f32_e32 v8, s7, v31
	s_and_b32 vcc_lo, exec_lo, s24
	s_mov_b32 s9, -1
	s_delay_alu instid0(VALU_DEP_2) | instskip(NEXT) | instid1(VALU_DEP_2)
	v_fmac_f32_e32 v9, s7, v32
	v_fma_f32 v8, v32, s6, -v8
	s_wait_alu 0xfffe
	s_cbranch_vccz .LBB395_22
; %bb.21:                               ;   in Loop: Header=BB395_8 Depth=1
	v_add_co_u32 v31, vcc_lo, v12, v4
	s_wait_alu 0xfffd
	v_add_co_ci_u32_e64 v32, null, v13, v5, vcc_lo
	s_mov_b32 s9, 0
	flat_load_b64 v[33:34], v[31:32]
	s_wait_loadcnt_dscnt 0x0
	v_mul_f32_e32 v35, s21, v34
	v_mul_f32_e32 v34, s20, v34
	s_delay_alu instid0(VALU_DEP_1) | instskip(NEXT) | instid1(VALU_DEP_3)
	v_fmac_f32_e32 v34, s21, v33
	v_fma_f32 v35, v33, s20, -v35
	s_delay_alu instid0(VALU_DEP_1)
	v_dual_add_f32 v34, v9, v34 :: v_dual_add_f32 v33, v8, v35
	flat_store_b64 v[31:32], v[33:34]
.LBB395_22:                             ;   in Loop: Header=BB395_8 Depth=1
	s_wait_alu 0xfffe
	s_and_not1_b32 vcc_lo, exec_lo, s9
	s_wait_alu 0xfffe
	s_cbranch_vccnz .LBB395_24
; %bb.23:                               ;   in Loop: Header=BB395_8 Depth=1
	v_add_co_u32 v31, vcc_lo, v12, v4
	s_wait_alu 0xfffd
	v_add_co_ci_u32_e64 v32, null, v13, v5, vcc_lo
	flat_store_b64 v[31:32], v[8:9]
.LBB395_24:                             ;   in Loop: Header=BB395_8 Depth=1
	s_wait_alu 0xfffe
	s_or_b32 exec_lo, exec_lo, s8
	s_and_saveexec_b32 s8, s30
	s_cbranch_execz .LBB395_29
; %bb.25:                               ;   in Loop: Header=BB395_8 Depth=1
	v_mul_f32_e32 v9, s6, v30
	v_mul_f32_e32 v8, s7, v30
	s_and_not1_b32 vcc_lo, exec_lo, s24
	s_mov_b32 s9, -1
	s_delay_alu instid0(VALU_DEP_2) | instskip(NEXT) | instid1(VALU_DEP_2)
	v_fmac_f32_e32 v9, s7, v29
	v_fma_f32 v8, v29, s6, -v8
	s_wait_alu 0xfffe
	s_cbranch_vccnz .LBB395_27
; %bb.26:                               ;   in Loop: Header=BB395_8 Depth=1
	v_add_co_u32 v29, vcc_lo, v12, v6
	s_wait_alu 0xfffd
	v_add_co_ci_u32_e64 v30, null, v13, v7, vcc_lo
	s_mov_b32 s9, 0
	flat_load_b64 v[31:32], v[29:30]
	s_wait_loadcnt_dscnt 0x0
	v_mul_f32_e32 v33, s21, v32
	v_mul_f32_e32 v32, s20, v32
	s_delay_alu instid0(VALU_DEP_1) | instskip(NEXT) | instid1(VALU_DEP_3)
	v_fmac_f32_e32 v32, s21, v31
	v_fma_f32 v33, v31, s20, -v33
	s_delay_alu instid0(VALU_DEP_1)
	v_dual_add_f32 v32, v9, v32 :: v_dual_add_f32 v31, v8, v33
	flat_store_b64 v[29:30], v[31:32]
.LBB395_27:                             ;   in Loop: Header=BB395_8 Depth=1
	s_wait_alu 0xfffe
	s_and_not1_b32 vcc_lo, exec_lo, s9
	s_wait_alu 0xfffe
	s_cbranch_vccnz .LBB395_29
; %bb.28:                               ;   in Loop: Header=BB395_8 Depth=1
	v_add_co_u32 v12, vcc_lo, v12, v6
	s_wait_alu 0xfffd
	v_add_co_ci_u32_e64 v13, null, v13, v7, vcc_lo
	flat_store_b64 v[12:13], v[8:9]
.LBB395_29:                             ;   in Loop: Header=BB395_8 Depth=1
	s_wait_alu 0xfffe
	s_or_b32 exec_lo, exec_lo, s8
	v_add_co_u32 v10, vcc_lo, v10, v2
	s_wait_alu 0xfffd
	v_add_co_ci_u32_e64 v11, null, v11, v3, vcc_lo
	s_and_saveexec_b32 s8, s14
	s_cbranch_execz .LBB395_34
; %bb.30:                               ;   in Loop: Header=BB395_8 Depth=1
	v_mul_f32_e32 v9, s6, v28
	v_mul_f32_e32 v8, s7, v28
	s_and_not1_b32 vcc_lo, exec_lo, s24
	s_mov_b32 s9, -1
	s_delay_alu instid0(VALU_DEP_2) | instskip(NEXT) | instid1(VALU_DEP_2)
	v_fmac_f32_e32 v9, s7, v27
	v_fma_f32 v8, v27, s6, -v8
	s_wait_alu 0xfffe
	s_cbranch_vccnz .LBB395_32
; %bb.31:                               ;   in Loop: Header=BB395_8 Depth=1
	v_add_co_u32 v12, vcc_lo, v10, v4
	s_wait_alu 0xfffd
	v_add_co_ci_u32_e64 v13, null, v11, v5, vcc_lo
	s_mov_b32 s9, 0
	flat_load_b64 v[27:28], v[12:13]
	s_wait_loadcnt_dscnt 0x0
	v_mul_f32_e32 v29, s21, v28
	v_mul_f32_e32 v28, s20, v28
	s_delay_alu instid0(VALU_DEP_1) | instskip(NEXT) | instid1(VALU_DEP_3)
	v_fmac_f32_e32 v28, s21, v27
	v_fma_f32 v29, v27, s20, -v29
	s_delay_alu instid0(VALU_DEP_1)
	v_dual_add_f32 v28, v9, v28 :: v_dual_add_f32 v27, v8, v29
	flat_store_b64 v[12:13], v[27:28]
.LBB395_32:                             ;   in Loop: Header=BB395_8 Depth=1
	s_wait_alu 0xfffe
	s_and_not1_b32 vcc_lo, exec_lo, s9
	s_wait_alu 0xfffe
	s_cbranch_vccnz .LBB395_34
; %bb.33:                               ;   in Loop: Header=BB395_8 Depth=1
	v_add_co_u32 v12, vcc_lo, v10, v4
	s_wait_alu 0xfffd
	v_add_co_ci_u32_e64 v13, null, v11, v5, vcc_lo
	flat_store_b64 v[12:13], v[8:9]
.LBB395_34:                             ;   in Loop: Header=BB395_8 Depth=1
	s_wait_alu 0xfffe
	s_or_b32 exec_lo, exec_lo, s8
	s_and_saveexec_b32 s8, s4
	s_cbranch_execz .LBB395_7
; %bb.35:                               ;   in Loop: Header=BB395_8 Depth=1
	v_mul_f32_e32 v9, s6, v25
	v_mul_f32_e32 v8, s7, v25
	s_and_not1_b32 vcc_lo, exec_lo, s24
	s_mov_b32 s9, -1
	s_delay_alu instid0(VALU_DEP_2) | instskip(NEXT) | instid1(VALU_DEP_2)
	v_fmac_f32_e32 v9, s7, v26
	v_fma_f32 v8, v26, s6, -v8
	s_wait_alu 0xfffe
	s_cbranch_vccnz .LBB395_37
; %bb.36:                               ;   in Loop: Header=BB395_8 Depth=1
	v_add_co_u32 v12, vcc_lo, v10, v6
	s_wait_alu 0xfffd
	v_add_co_ci_u32_e64 v13, null, v11, v7, vcc_lo
	s_mov_b32 s9, 0
	flat_load_b64 v[25:26], v[12:13]
	s_wait_loadcnt_dscnt 0x0
	v_mul_f32_e32 v27, s21, v26
	v_mul_f32_e32 v26, s20, v26
	s_delay_alu instid0(VALU_DEP_1) | instskip(NEXT) | instid1(VALU_DEP_3)
	v_fmac_f32_e32 v26, s21, v25
	v_fma_f32 v27, v25, s20, -v27
	s_delay_alu instid0(VALU_DEP_1)
	v_dual_add_f32 v26, v9, v26 :: v_dual_add_f32 v25, v8, v27
	flat_store_b64 v[12:13], v[25:26]
.LBB395_37:                             ;   in Loop: Header=BB395_8 Depth=1
	s_wait_alu 0xfffe
	s_and_not1_b32 vcc_lo, exec_lo, s9
	s_wait_alu 0xfffe
	s_cbranch_vccnz .LBB395_7
; %bb.38:                               ;   in Loop: Header=BB395_8 Depth=1
	v_add_co_u32 v10, vcc_lo, v10, v6
	s_wait_alu 0xfffd
	v_add_co_ci_u32_e64 v11, null, v11, v7, vcc_lo
	flat_store_b64 v[10:11], v[8:9]
	s_branch .LBB395_7
.LBB395_39:
	s_endpgm
	.section	.rodata,"a",@progbits
	.p2align	6, 0x0
	.amdhsa_kernel _ZL29rocblas_internal_gemmt_kernelIiLi16ELi32ELi8ELc67ELc67ELc76ELb1ELb1E19rocblas_complex_numIfES1_PKPKS1_PKPS1_EviT_T9_T10_S9_lSB_S9_lSA_T11_S9_li
		.amdhsa_group_segment_fixed_size 4096
		.amdhsa_private_segment_fixed_size 0
		.amdhsa_kernarg_size 100
		.amdhsa_user_sgpr_count 2
		.amdhsa_user_sgpr_dispatch_ptr 0
		.amdhsa_user_sgpr_queue_ptr 0
		.amdhsa_user_sgpr_kernarg_segment_ptr 1
		.amdhsa_user_sgpr_dispatch_id 0
		.amdhsa_user_sgpr_private_segment_size 0
		.amdhsa_wavefront_size32 1
		.amdhsa_uses_dynamic_stack 0
		.amdhsa_enable_private_segment 0
		.amdhsa_system_sgpr_workgroup_id_x 1
		.amdhsa_system_sgpr_workgroup_id_y 1
		.amdhsa_system_sgpr_workgroup_id_z 1
		.amdhsa_system_sgpr_workgroup_info 0
		.amdhsa_system_vgpr_workitem_id 1
		.amdhsa_next_free_vgpr 71
		.amdhsa_next_free_sgpr 36
		.amdhsa_reserve_vcc 1
		.amdhsa_float_round_mode_32 0
		.amdhsa_float_round_mode_16_64 0
		.amdhsa_float_denorm_mode_32 3
		.amdhsa_float_denorm_mode_16_64 3
		.amdhsa_fp16_overflow 0
		.amdhsa_workgroup_processor_mode 1
		.amdhsa_memory_ordered 1
		.amdhsa_forward_progress 1
		.amdhsa_inst_pref_size 26
		.amdhsa_round_robin_scheduling 0
		.amdhsa_exception_fp_ieee_invalid_op 0
		.amdhsa_exception_fp_denorm_src 0
		.amdhsa_exception_fp_ieee_div_zero 0
		.amdhsa_exception_fp_ieee_overflow 0
		.amdhsa_exception_fp_ieee_underflow 0
		.amdhsa_exception_fp_ieee_inexact 0
		.amdhsa_exception_int_div_zero 0
	.end_amdhsa_kernel
	.section	.text._ZL29rocblas_internal_gemmt_kernelIiLi16ELi32ELi8ELc67ELc67ELc76ELb1ELb1E19rocblas_complex_numIfES1_PKPKS1_PKPS1_EviT_T9_T10_S9_lSB_S9_lSA_T11_S9_li,"axG",@progbits,_ZL29rocblas_internal_gemmt_kernelIiLi16ELi32ELi8ELc67ELc67ELc76ELb1ELb1E19rocblas_complex_numIfES1_PKPKS1_PKPS1_EviT_T9_T10_S9_lSB_S9_lSA_T11_S9_li,comdat
.Lfunc_end395:
	.size	_ZL29rocblas_internal_gemmt_kernelIiLi16ELi32ELi8ELc67ELc67ELc76ELb1ELb1E19rocblas_complex_numIfES1_PKPKS1_PKPS1_EviT_T9_T10_S9_lSB_S9_lSA_T11_S9_li, .Lfunc_end395-_ZL29rocblas_internal_gemmt_kernelIiLi16ELi32ELi8ELc67ELc67ELc76ELb1ELb1E19rocblas_complex_numIfES1_PKPKS1_PKPS1_EviT_T9_T10_S9_lSB_S9_lSA_T11_S9_li
                                        ; -- End function
	.set _ZL29rocblas_internal_gemmt_kernelIiLi16ELi32ELi8ELc67ELc67ELc76ELb1ELb1E19rocblas_complex_numIfES1_PKPKS1_PKPS1_EviT_T9_T10_S9_lSB_S9_lSA_T11_S9_li.num_vgpr, 71
	.set _ZL29rocblas_internal_gemmt_kernelIiLi16ELi32ELi8ELc67ELc67ELc76ELb1ELb1E19rocblas_complex_numIfES1_PKPKS1_PKPS1_EviT_T9_T10_S9_lSB_S9_lSA_T11_S9_li.num_agpr, 0
	.set _ZL29rocblas_internal_gemmt_kernelIiLi16ELi32ELi8ELc67ELc67ELc76ELb1ELb1E19rocblas_complex_numIfES1_PKPKS1_PKPS1_EviT_T9_T10_S9_lSB_S9_lSA_T11_S9_li.numbered_sgpr, 36
	.set _ZL29rocblas_internal_gemmt_kernelIiLi16ELi32ELi8ELc67ELc67ELc76ELb1ELb1E19rocblas_complex_numIfES1_PKPKS1_PKPS1_EviT_T9_T10_S9_lSB_S9_lSA_T11_S9_li.num_named_barrier, 0
	.set _ZL29rocblas_internal_gemmt_kernelIiLi16ELi32ELi8ELc67ELc67ELc76ELb1ELb1E19rocblas_complex_numIfES1_PKPKS1_PKPS1_EviT_T9_T10_S9_lSB_S9_lSA_T11_S9_li.private_seg_size, 0
	.set _ZL29rocblas_internal_gemmt_kernelIiLi16ELi32ELi8ELc67ELc67ELc76ELb1ELb1E19rocblas_complex_numIfES1_PKPKS1_PKPS1_EviT_T9_T10_S9_lSB_S9_lSA_T11_S9_li.uses_vcc, 1
	.set _ZL29rocblas_internal_gemmt_kernelIiLi16ELi32ELi8ELc67ELc67ELc76ELb1ELb1E19rocblas_complex_numIfES1_PKPKS1_PKPS1_EviT_T9_T10_S9_lSB_S9_lSA_T11_S9_li.uses_flat_scratch, 0
	.set _ZL29rocblas_internal_gemmt_kernelIiLi16ELi32ELi8ELc67ELc67ELc76ELb1ELb1E19rocblas_complex_numIfES1_PKPKS1_PKPS1_EviT_T9_T10_S9_lSB_S9_lSA_T11_S9_li.has_dyn_sized_stack, 0
	.set _ZL29rocblas_internal_gemmt_kernelIiLi16ELi32ELi8ELc67ELc67ELc76ELb1ELb1E19rocblas_complex_numIfES1_PKPKS1_PKPS1_EviT_T9_T10_S9_lSB_S9_lSA_T11_S9_li.has_recursion, 0
	.set _ZL29rocblas_internal_gemmt_kernelIiLi16ELi32ELi8ELc67ELc67ELc76ELb1ELb1E19rocblas_complex_numIfES1_PKPKS1_PKPS1_EviT_T9_T10_S9_lSB_S9_lSA_T11_S9_li.has_indirect_call, 0
	.section	.AMDGPU.csdata,"",@progbits
; Kernel info:
; codeLenInByte = 3220
; TotalNumSgprs: 38
; NumVgprs: 71
; ScratchSize: 0
; MemoryBound: 0
; FloatMode: 240
; IeeeMode: 1
; LDSByteSize: 4096 bytes/workgroup (compile time only)
; SGPRBlocks: 0
; VGPRBlocks: 8
; NumSGPRsForWavesPerEU: 38
; NumVGPRsForWavesPerEU: 71
; Occupancy: 16
; WaveLimiterHint : 1
; COMPUTE_PGM_RSRC2:SCRATCH_EN: 0
; COMPUTE_PGM_RSRC2:USER_SGPR: 2
; COMPUTE_PGM_RSRC2:TRAP_HANDLER: 0
; COMPUTE_PGM_RSRC2:TGID_X_EN: 1
; COMPUTE_PGM_RSRC2:TGID_Y_EN: 1
; COMPUTE_PGM_RSRC2:TGID_Z_EN: 1
; COMPUTE_PGM_RSRC2:TIDIG_COMP_CNT: 1
	.section	.text._ZL29rocblas_internal_gemmt_kernelIiLi16ELi32ELi8ELc78ELc78ELc85ELb0ELb0E19rocblas_complex_numIdEPKS1_PKS3_PKPS1_EviT_T9_T10_S9_lSB_S9_lSA_T11_S9_li,"axG",@progbits,_ZL29rocblas_internal_gemmt_kernelIiLi16ELi32ELi8ELc78ELc78ELc85ELb0ELb0E19rocblas_complex_numIdEPKS1_PKS3_PKPS1_EviT_T9_T10_S9_lSB_S9_lSA_T11_S9_li,comdat
	.globl	_ZL29rocblas_internal_gemmt_kernelIiLi16ELi32ELi8ELc78ELc78ELc85ELb0ELb0E19rocblas_complex_numIdEPKS1_PKS3_PKPS1_EviT_T9_T10_S9_lSB_S9_lSA_T11_S9_li ; -- Begin function _ZL29rocblas_internal_gemmt_kernelIiLi16ELi32ELi8ELc78ELc78ELc85ELb0ELb0E19rocblas_complex_numIdEPKS1_PKS3_PKPS1_EviT_T9_T10_S9_lSB_S9_lSA_T11_S9_li
	.p2align	8
	.type	_ZL29rocblas_internal_gemmt_kernelIiLi16ELi32ELi8ELc78ELc78ELc85ELb0ELb0E19rocblas_complex_numIdEPKS1_PKS3_PKPS1_EviT_T9_T10_S9_lSB_S9_lSA_T11_S9_li,@function
_ZL29rocblas_internal_gemmt_kernelIiLi16ELi32ELi8ELc78ELc78ELc85ELb0ELb0E19rocblas_complex_numIdEPKS1_PKS3_PKPS1_EviT_T9_T10_S9_lSB_S9_lSA_T11_S9_li: ; @_ZL29rocblas_internal_gemmt_kernelIiLi16ELi32ELi8ELc78ELc78ELc85ELb0ELb0E19rocblas_complex_numIdEPKS1_PKS3_PKPS1_EviT_T9_T10_S9_lSB_S9_lSA_T11_S9_li
; %bb.0:
	s_load_b128 s[20:23], s[0:1], 0x38
	s_wait_kmcnt 0x0
	s_load_b128 s[8:11], s[22:23], 0x0
	s_clause 0x1
	s_load_b128 s[4:7], s[0:1], 0x8
	s_load_b64 s[22:23], s[0:1], 0x0
	s_wait_kmcnt 0x0
	s_load_b128 s[12:15], s[4:5], 0x0
	v_cmp_eq_f64_e64 s2, s[8:9], 1.0
	v_cmp_eq_f64_e64 s3, s[10:11], 0
	s_and_b32 s2, s2, s3
	s_delay_alu instid0(SALU_CYCLE_1)
	s_and_not1_b32 vcc_lo, exec_lo, s2
	s_mov_b32 s2, -1
	s_cbranch_vccnz .LBB396_3
; %bb.1:
	s_cmp_lg_u32 s23, 0
	s_cbranch_scc0 .LBB396_38
; %bb.2:
	s_wait_kmcnt 0x0
	v_cmp_neq_f64_e64 s2, s[12:13], 0
	v_cmp_neq_f64_e64 s4, s[14:15], 0
	s_or_b32 s2, s2, s4
.LBB396_3:
	s_delay_alu instid0(SALU_CYCLE_1)
	s_and_b32 vcc_lo, exec_lo, s2
	s_cbranch_vccz .LBB396_39
; %bb.4:
	s_load_b32 s27, s[0:1], 0x60
	s_lshr_b32 s28, ttmp7, 16
	s_wait_kmcnt 0x0
	s_cmp_ge_u32 s28, s27
	s_cbranch_scc1 .LBB396_39
; %bb.5:
	v_cmp_neq_f64_e64 s4, s[12:13], 0
	v_cmp_neq_f64_e64 s5, s[14:15], 0
	v_cmp_neq_f64_e64 s33, s[8:9], 0
	s_clause 0x4
	s_load_b32 s36, s[0:1], 0x18
	s_load_b128 s[16:19], s[0:1], 0x20
	s_load_b32 s35, s[0:1], 0x30
	s_load_b96 s[24:26], s[0:1], 0x48
	s_load_b64 s[30:31], s[0:1], 0x58
	v_and_b32_e32 v1, 0x3ff, v0
	v_bfe_u32 v2, v0, 10, 10
	s_lshl_b32 s0, ttmp7, 5
	v_and_b32_e32 v35, 7, v0
	s_lshl_b32 s1, ttmp9, 5
	s_and_b32 s2, s0, 0x1fffe0
	v_lshl_add_u32 v0, v2, 4, v1
	v_add_nc_u32_e32 v8, s2, v2
	v_add_nc_u32_e32 v5, s1, v1
	v_lshlrev_b32_e32 v36, 4, v1
	v_lshl_add_u32 v37, v2, 7, 0x1000
	v_lshrrev_b32_e32 v38, 5, v0
	v_lshrrev_b32_e32 v1, 3, v0
	v_and_b32_e32 v2, 31, v0
	v_cmp_gt_i32_e32 vcc_lo, s22, v8
	v_cmp_le_i32_e64 s0, v5, v8
	v_add_nc_u32_e32 v7, 16, v5
	v_lshlrev_b32_e32 v4, 4, v35
	s_wait_kmcnt 0x0
	s_ashr_i32 s37, s36, 31
	v_mad_co_i64_i32 v[9:10], null, v38, s36, 0
	v_add_nc_u32_e32 v13, 16, v8
	v_or_b32_e32 v0, s1, v2
	v_add_nc_u32_e32 v14, s2, v1
	v_lshl_or_b32 v1, v1, 7, v4
	v_lshlrev_b32_e32 v2, 4, v2
	v_mad_co_i64_i32 v[11:12], null, v13, s26, 0
	v_cmp_gt_i32_e64 s1, s22, v0
	v_cmp_gt_i32_e64 s2, s22, v14
	v_lshlrev_b64_e32 v[9:10], 4, v[9:10]
	v_add_nc_u32_e32 v40, 0x1000, v1
	v_ashrrev_i32_e32 v1, 31, v0
	v_lshl_or_b32 v39, v38, 9, v2
	v_mad_co_i64_i32 v[2:3], null, v8, s26, 0
	s_or_b32 s38, s4, s5
	s_cmp_gt_i32 s23, 0
	v_cmp_le_i32_e64 s4, v5, v13
	s_cselect_b32 s39, -1, 0
	s_and_b32 s34, vcc_lo, s0
	v_cmp_le_i32_e64 s0, v7, v8
	s_xor_b32 s3, s3, -1
	v_lshlrev_b64_e32 v[0:1], 4, v[0:1]
	s_wait_alu 0xfffe
	s_or_b32 s33, s33, s3
	v_cmp_gt_i32_e64 s3, s22, v13
	s_and_b32 s22, vcc_lo, s0
	v_cmp_le_i32_e32 vcc_lo, v7, v13
	v_mad_co_i64_i32 v[13:14], null, s35, v14, 0
	s_and_b32 s26, s3, s4
	s_lshl_b64 s[4:5], s[16:17], 4
	s_and_b32 s35, s3, vcc_lo
	v_add_co_u32 v15, vcc_lo, v9, s4
	s_delay_alu instid0(VALU_DEP_1) | instskip(SKIP_1) | instid1(VALU_DEP_3)
	v_add_co_ci_u32_e64 v16, null, s5, v10, vcc_lo
	v_lshlrev_b64_e32 v[9:10], 4, v[13:14]
	v_add_co_u32 v41, vcc_lo, v15, v0
	s_lshl_b64 s[16:17], s[20:21], 4
	s_wait_alu 0xfffd
	v_add_co_ci_u32_e64 v42, null, v16, v1, vcc_lo
	v_add_co_u32 v1, vcc_lo, v9, s16
	s_wait_alu 0xfffd
	v_add_co_ci_u32_e64 v9, null, s17, v10, vcc_lo
	v_lshlrev_b64_e32 v[11:12], 4, v[11:12]
	s_delay_alu instid0(VALU_DEP_3) | instskip(SKIP_1) | instid1(VALU_DEP_3)
	v_add_co_u32 v43, vcc_lo, v1, v4
	s_wait_alu 0xfffd
	v_add_co_ci_u32_e64 v44, null, 0, v9, vcc_lo
	v_lshlrev_b64_e32 v[9:10], 4, v[2:3]
	v_ashrrev_i32_e32 v6, 31, v5
	v_ashrrev_i32_e32 v8, 31, v7
	v_mov_b32_e32 v0, 0
	s_mov_b32 s29, 0
	s_lshl_b64 s[4:5], s[36:37], 7
	s_and_b32 s16, s38, s39
	s_xor_b32 s17, s1, -1
	s_xor_b32 s20, s2, -1
	s_lshl_b64 s[0:1], s[30:31], 4
	s_branch .LBB396_7
.LBB396_6:                              ;   in Loop: Header=BB396_7 Depth=1
	s_wait_alu 0xfffe
	s_or_b32 exec_lo, exec_lo, s2
	s_add_co_i32 s28, s28, 0x10000
	s_delay_alu instid0(SALU_CYCLE_1)
	s_cmp_lt_u32 s28, s27
	s_cbranch_scc0 .LBB396_39
.LBB396_7:                              ; =>This Loop Header: Depth=1
                                        ;     Child Loop BB396_10 Depth 2
	s_lshl_b64 s[2:3], s[28:29], 3
	v_mov_b32_e32 v31, 0
	s_wait_alu 0xfffe
	s_add_nc_u64 s[30:31], s[24:25], s[2:3]
	v_mov_b32_e32 v27, 0
	global_load_b64 v[13:14], v0, s[30:31]
	v_mov_b32_e32 v23, 0
	v_dual_mov_b32 v21, 0 :: v_dual_mov_b32 v32, 0
	v_dual_mov_b32 v33, 0 :: v_dual_mov_b32 v28, 0
	;; [unrolled: 1-line block ×5, first 2 shown]
	v_mov_b32_e32 v30, 0
	v_mov_b32_e32 v26, 0
	;; [unrolled: 1-line block ×3, first 2 shown]
	s_and_not1_b32 vcc_lo, exec_lo, s16
	s_wait_alu 0xfffe
	s_cbranch_vccnz .LBB396_18
; %bb.8:                                ;   in Loop: Header=BB396_7 Depth=1
	s_add_nc_u64 s[30:31], s[6:7], s[2:3]
	s_add_nc_u64 s[2:3], s[18:19], s[2:3]
	s_clause 0x1
	global_load_b64 v[1:2], v0, s[30:31]
	global_load_b64 v[3:4], v0, s[2:3]
	v_mov_b32_e32 v19, 0
	v_mov_b32_e32 v25, 0
	v_mov_b32_e32 v29, 0
	v_dual_mov_b32 v33, 0 :: v_dual_mov_b32 v20, 0
	v_dual_mov_b32 v21, 0 :: v_dual_mov_b32 v26, 0
	;; [unrolled: 1-line block ×5, first 2 shown]
	v_mov_b32_e32 v24, 0
	v_mov_b32_e32 v28, 0
	;; [unrolled: 1-line block ×3, first 2 shown]
	s_mov_b32 s2, 0
	s_wait_loadcnt 0x1
	v_add_co_u32 v15, vcc_lo, v1, v41
	s_wait_alu 0xfffd
	v_add_co_ci_u32_e64 v16, null, v2, v42, vcc_lo
	s_wait_loadcnt 0x0
	v_add_co_u32 v17, vcc_lo, v3, v43
	s_wait_alu 0xfffd
	v_add_co_ci_u32_e64 v18, null, v4, v44, vcc_lo
	s_branch .LBB396_10
.LBB396_9:                              ;   in Loop: Header=BB396_10 Depth=2
	s_wait_alu 0xfffe
	s_or_b32 exec_lo, exec_lo, s3
	s_wait_dscnt 0x0
	s_barrier_signal -1
	s_barrier_wait -1
	global_inv scope:SCOPE_SE
	ds_load_b128 v[1:4], v37
	ds_load_b128 v[45:48], v36
	ds_load_b128 v[49:52], v36 offset:256
	ds_load_b128 v[53:56], v37 offset:2048
	;; [unrolled: 1-line block ×10, first 2 shown]
	v_add_co_u32 v15, vcc_lo, v15, s4
	s_wait_alu 0xfffd
	v_add_co_ci_u32_e64 v16, null, s5, v16, vcc_lo
	v_add_co_u32 v17, vcc_lo, 0x80, v17
	s_wait_alu 0xfffd
	v_add_co_ci_u32_e64 v18, null, 0, v18, vcc_lo
	s_add_co_i32 s2, s2, 8
	s_wait_alu 0xfffe
	s_cmp_lt_i32 s2, s23
	s_wait_dscnt 0xa
	v_mul_f64_e32 v[89:90], v[3:4], v[47:48]
	v_mul_f64_e32 v[91:92], v[1:2], v[47:48]
	s_wait_dscnt 0x9
	v_mul_f64_e32 v[93:94], v[3:4], v[51:52]
	v_mul_f64_e32 v[95:96], v[1:2], v[51:52]
	;; [unrolled: 3-line block ×3, first 2 shown]
	v_mul_f64_e32 v[99:100], v[55:56], v[51:52]
	v_mul_f64_e32 v[51:52], v[53:54], v[51:52]
	s_wait_dscnt 0x5
	v_mul_f64_e32 v[101:102], v[59:60], v[67:68]
	v_mul_f64_e32 v[103:104], v[57:58], v[67:68]
	s_wait_dscnt 0x4
	v_mul_f64_e32 v[105:106], v[59:60], v[71:72]
	v_mul_f64_e32 v[107:108], v[57:58], v[71:72]
	v_mul_f64_e32 v[109:110], v[63:64], v[67:68]
	v_mul_f64_e32 v[67:68], v[61:62], v[67:68]
	v_mul_f64_e32 v[111:112], v[63:64], v[71:72]
	v_mul_f64_e32 v[71:72], v[61:62], v[71:72]
	s_wait_dscnt 0x2
	v_mul_f64_e32 v[117:118], v[75:76], v[79:80]
	v_mul_f64_e32 v[119:120], v[73:74], v[79:80]
	s_wait_dscnt 0x1
	v_mul_f64_e32 v[121:122], v[75:76], v[83:84]
	v_mul_f64_e32 v[123:124], v[73:74], v[83:84]
	;; [unrolled: 3-line block ×3, first 2 shown]
	v_mul_f64_e32 v[127:128], v[87:88], v[83:84]
	v_mul_f64_e32 v[83:84], v[85:86], v[83:84]
	v_fma_f64 v[89:90], v[1:2], v[45:46], -v[89:90]
	v_fma_f64 v[91:92], v[3:4], v[45:46], v[91:92]
	v_fma_f64 v[93:94], v[1:2], v[49:50], -v[93:94]
	v_fma_f64 v[95:96], v[3:4], v[49:50], v[95:96]
	;; [unrolled: 2-line block ×8, first 2 shown]
	ds_load_b128 v[1:4], v37 offset:48
	ds_load_b128 v[45:48], v37 offset:2096
	;; [unrolled: 1-line block ×4, first 2 shown]
	v_fma_f64 v[117:118], v[73:74], v[77:78], -v[117:118]
	v_fma_f64 v[119:120], v[75:76], v[77:78], v[119:120]
	v_fma_f64 v[73:74], v[73:74], v[81:82], -v[121:122]
	v_fma_f64 v[75:76], v[75:76], v[81:82], v[123:124]
	;; [unrolled: 2-line block ×4, first 2 shown]
	s_wait_dscnt 0x1
	v_mul_f64_e32 v[107:108], v[1:2], v[51:52]
	s_wait_dscnt 0x0
	v_mul_f64_e32 v[109:110], v[3:4], v[55:56]
	v_mul_f64_e32 v[111:112], v[1:2], v[55:56]
	v_add_f64_e32 v[67:68], v[31:32], v[89:90]
	v_add_f64_e32 v[69:70], v[91:92], v[33:34]
	;; [unrolled: 1-line block ×8, first 2 shown]
	v_mul_f64_e32 v[99:100], v[3:4], v[51:52]
	v_mul_f64_e32 v[113:114], v[47:48], v[51:52]
	;; [unrolled: 1-line block ×5, first 2 shown]
	ds_load_b128 v[19:22], v37 offset:64
	ds_load_b128 v[23:26], v36 offset:2048
	;; [unrolled: 1-line block ×4, first 2 shown]
	s_wait_dscnt 0x0
	v_mul_f64_e32 v[123:124], v[33:34], v[25:26]
	v_mul_f64_e32 v[125:126], v[33:34], v[29:30]
	v_fma_f64 v[107:108], v[3:4], v[49:50], v[107:108]
	v_fma_f64 v[109:110], v[1:2], v[53:54], -v[109:110]
	v_fma_f64 v[111:112], v[3:4], v[53:54], v[111:112]
	v_add_f64_e32 v[83:84], v[67:68], v[101:102]
	v_add_f64_e32 v[85:86], v[103:104], v[69:70]
	;; [unrolled: 1-line block ×8, first 2 shown]
	v_mul_f64_e32 v[97:98], v[21:22], v[25:26]
	v_mul_f64_e32 v[101:102], v[19:20], v[25:26]
	;; [unrolled: 1-line block ×6, first 2 shown]
	v_fma_f64 v[99:100], v[1:2], v[49:50], -v[99:100]
	v_fma_f64 v[113:114], v[45:46], v[49:50], -v[113:114]
	v_fma_f64 v[127:128], v[47:48], v[49:50], v[51:52]
	v_fma_f64 v[115:116], v[45:46], v[53:54], -v[115:116]
	v_fma_f64 v[53:54], v[47:48], v[53:54], v[129:130]
	ds_load_b128 v[55:58], v37 offset:80
	ds_load_b128 v[59:62], v37 offset:2128
	;; [unrolled: 1-line block ×4, first 2 shown]
	v_fma_f64 v[123:124], v[31:32], v[23:24], -v[123:124]
	v_fma_f64 v[125:126], v[31:32], v[27:28], -v[125:126]
	v_add_f64_e32 v[83:84], v[83:84], v[117:118]
	v_add_f64_e32 v[85:86], v[119:120], v[85:86]
	;; [unrolled: 1-line block ×8, first 2 shown]
	s_wait_dscnt 0x1
	v_mul_f64_e32 v[89:90], v[57:58], v[65:66]
	v_mul_f64_e32 v[91:92], v[55:56], v[65:66]
	s_wait_dscnt 0x0
	v_mul_f64_e32 v[93:94], v[57:58], v[69:70]
	v_mul_f64_e32 v[95:96], v[55:56], v[69:70]
	;; [unrolled: 1-line block ×6, first 2 shown]
	v_fma_f64 v[97:98], v[19:20], v[23:24], -v[97:98]
	v_fma_f64 v[101:102], v[21:22], v[23:24], v[101:102]
	v_fma_f64 v[103:104], v[19:20], v[27:28], -v[103:104]
	v_fma_f64 v[105:106], v[21:22], v[27:28], v[105:106]
	v_fma_f64 v[129:130], v[33:34], v[23:24], v[25:26]
	;; [unrolled: 1-line block ×3, first 2 shown]
	ds_load_b128 v[1:4], v37 offset:96
	ds_load_b128 v[45:48], v36 offset:3072
	;; [unrolled: 1-line block ×8, first 2 shown]
	s_wait_loadcnt_dscnt 0x0
	s_barrier_signal -1
	s_barrier_wait -1
	global_inv scope:SCOPE_SE
	v_add_f64_e32 v[83:84], v[83:84], v[99:100]
	v_add_f64_e32 v[85:86], v[107:108], v[85:86]
	;; [unrolled: 1-line block ×8, first 2 shown]
	v_mul_f64_e32 v[81:82], v[3:4], v[47:48]
	v_mul_f64_e32 v[107:108], v[1:2], v[47:48]
	;; [unrolled: 1-line block ×8, first 2 shown]
	v_fma_f64 v[89:90], v[55:56], v[63:64], -v[89:90]
	v_fma_f64 v[91:92], v[57:58], v[63:64], v[91:92]
	v_fma_f64 v[55:56], v[55:56], v[67:68], -v[93:94]
	v_fma_f64 v[57:58], v[57:58], v[67:68], v[95:96]
	;; [unrolled: 2-line block ×4, first 2 shown]
	v_mul_f64_e32 v[95:96], v[21:22], v[33:34]
	v_add_f64_e32 v[65:66], v[83:84], v[97:98]
	v_add_f64_e32 v[67:68], v[101:102], v[85:86]
	;; [unrolled: 1-line block ×8, first 2 shown]
	v_mul_f64_e32 v[85:86], v[21:22], v[29:30]
	v_mul_f64_e32 v[87:88], v[19:20], v[29:30]
	;; [unrolled: 1-line block ×7, first 2 shown]
	v_fma_f64 v[81:82], v[1:2], v[45:46], -v[81:82]
	v_fma_f64 v[103:104], v[3:4], v[45:46], v[107:108]
	v_fma_f64 v[1:2], v[1:2], v[49:50], -v[109:110]
	v_fma_f64 v[3:4], v[3:4], v[49:50], v[111:112]
	;; [unrolled: 2-line block ×4, first 2 shown]
	v_add_f64_e32 v[51:52], v[65:66], v[89:90]
	v_add_f64_e32 v[65:66], v[91:92], v[67:68]
	;; [unrolled: 1-line block ×8, first 2 shown]
	v_fma_f64 v[61:62], v[19:20], v[27:28], -v[85:86]
	v_fma_f64 v[69:70], v[21:22], v[27:28], v[87:88]
	v_fma_f64 v[19:20], v[19:20], v[31:32], -v[95:96]
	v_fma_f64 v[21:22], v[21:22], v[31:32], v[97:98]
	;; [unrolled: 2-line block ×4, first 2 shown]
	v_add_f64_e32 v[23:24], v[51:52], v[81:82]
	v_add_f64_e32 v[25:26], v[103:104], v[65:66]
	;; [unrolled: 1-line block ×16, first 2 shown]
	s_cbranch_scc0 .LBB396_18
.LBB396_10:                             ;   Parent Loop BB396_7 Depth=1
                                        ; =>  This Inner Loop Header: Depth=2
	s_wait_alu 0xfffe
	v_add_nc_u32_e32 v1, s2, v38
	s_delay_alu instid0(VALU_DEP_1) | instskip(SKIP_3) | instid1(SALU_CYCLE_1)
	v_cmp_le_i32_e32 vcc_lo, s23, v1
	s_or_b32 s3, s17, vcc_lo
	s_wait_alu 0xfffe
	s_and_saveexec_b32 s21, s3
	s_xor_b32 s3, exec_lo, s21
; %bb.11:                               ;   in Loop: Header=BB396_10 Depth=2
	v_dual_mov_b32 v1, v0 :: v_dual_mov_b32 v2, v0
	v_mov_b32_e32 v3, v0
	ds_store_b128 v39, v[0:3]
; %bb.12:                               ;   in Loop: Header=BB396_10 Depth=2
	s_wait_alu 0xfffe
	s_and_not1_saveexec_b32 s3, s3
	s_cbranch_execz .LBB396_14
; %bb.13:                               ;   in Loop: Header=BB396_10 Depth=2
	flat_load_b128 v[1:4], v[15:16]
	s_wait_loadcnt_dscnt 0x0
	ds_store_2addr_b64 v39, v[1:2], v[3:4] offset1:1
.LBB396_14:                             ;   in Loop: Header=BB396_10 Depth=2
	s_wait_alu 0xfffe
	s_or_b32 exec_lo, exec_lo, s3
	v_add_nc_u32_e32 v1, s2, v35
	s_delay_alu instid0(VALU_DEP_1) | instskip(SKIP_3) | instid1(SALU_CYCLE_1)
	v_cmp_le_i32_e32 vcc_lo, s23, v1
	s_or_b32 s3, vcc_lo, s20
	s_wait_alu 0xfffe
	s_and_saveexec_b32 s21, s3
	s_xor_b32 s3, exec_lo, s21
; %bb.15:                               ;   in Loop: Header=BB396_10 Depth=2
	v_dual_mov_b32 v1, v0 :: v_dual_mov_b32 v2, v0
	v_mov_b32_e32 v3, v0
	ds_store_b128 v40, v[0:3]
; %bb.16:                               ;   in Loop: Header=BB396_10 Depth=2
	s_wait_alu 0xfffe
	s_and_not1_saveexec_b32 s3, s3
	s_cbranch_execz .LBB396_9
; %bb.17:                               ;   in Loop: Header=BB396_10 Depth=2
	flat_load_b128 v[1:4], v[17:18]
	s_wait_loadcnt_dscnt 0x0
	ds_store_2addr_b64 v40, v[1:2], v[3:4] offset1:1
	s_branch .LBB396_9
.LBB396_18:                             ;   in Loop: Header=BB396_7 Depth=1
	s_wait_loadcnt 0x0
	v_add_co_u32 v13, vcc_lo, v13, s0
	s_wait_alu 0xfffd
	v_add_co_ci_u32_e64 v14, null, s1, v14, vcc_lo
	s_delay_alu instid0(VALU_DEP_2) | instskip(SKIP_1) | instid1(VALU_DEP_2)
	v_add_co_u32 v15, vcc_lo, v13, v9
	s_wait_alu 0xfffd
	v_add_co_ci_u32_e64 v16, null, v14, v10, vcc_lo
	s_and_saveexec_b32 s2, s34
	s_cbranch_execz .LBB396_23
; %bb.19:                               ;   in Loop: Header=BB396_7 Depth=1
	v_mul_f64_e32 v[1:2], s[14:15], v[33:34]
	v_mul_f64_e32 v[3:4], s[12:13], v[33:34]
	s_and_b32 vcc_lo, exec_lo, s33
	s_mov_b32 s3, -1
	s_delay_alu instid0(VALU_DEP_2) | instskip(NEXT) | instid1(VALU_DEP_2)
	v_fma_f64 v[1:2], s[12:13], v[31:32], -v[1:2]
	v_fma_f64 v[3:4], s[14:15], v[31:32], v[3:4]
	s_wait_alu 0xfffe
	s_cbranch_vccz .LBB396_21
; %bb.20:                               ;   in Loop: Header=BB396_7 Depth=1
	v_lshlrev_b64_e32 v[17:18], 4, v[5:6]
	s_mov_b32 s3, 0
	s_delay_alu instid0(VALU_DEP_1) | instskip(SKIP_1) | instid1(VALU_DEP_2)
	v_add_co_u32 v17, vcc_lo, v15, v17
	s_wait_alu 0xfffd
	v_add_co_ci_u32_e64 v18, null, v16, v18, vcc_lo
	flat_load_b128 v[31:34], v[17:18]
	s_wait_loadcnt_dscnt 0x0
	v_mul_f64_e32 v[45:46], s[10:11], v[33:34]
	v_mul_f64_e32 v[33:34], s[8:9], v[33:34]
	s_delay_alu instid0(VALU_DEP_2) | instskip(NEXT) | instid1(VALU_DEP_2)
	v_fma_f64 v[45:46], s[8:9], v[31:32], -v[45:46]
	v_fma_f64 v[33:34], s[10:11], v[31:32], v[33:34]
	s_delay_alu instid0(VALU_DEP_2) | instskip(NEXT) | instid1(VALU_DEP_2)
	v_add_f64_e32 v[31:32], v[1:2], v[45:46]
	v_add_f64_e32 v[33:34], v[3:4], v[33:34]
	flat_store_b128 v[17:18], v[31:34]
.LBB396_21:                             ;   in Loop: Header=BB396_7 Depth=1
	s_wait_alu 0xfffe
	s_and_not1_b32 vcc_lo, exec_lo, s3
	s_wait_alu 0xfffe
	s_cbranch_vccnz .LBB396_23
; %bb.22:                               ;   in Loop: Header=BB396_7 Depth=1
	v_lshlrev_b64_e32 v[17:18], 4, v[5:6]
	s_delay_alu instid0(VALU_DEP_1) | instskip(SKIP_1) | instid1(VALU_DEP_2)
	v_add_co_u32 v17, vcc_lo, v15, v17
	s_wait_alu 0xfffd
	v_add_co_ci_u32_e64 v18, null, v16, v18, vcc_lo
	flat_store_b128 v[17:18], v[1:4]
.LBB396_23:                             ;   in Loop: Header=BB396_7 Depth=1
	s_wait_alu 0xfffe
	s_or_b32 exec_lo, exec_lo, s2
	s_and_saveexec_b32 s2, s22
	s_cbranch_execz .LBB396_28
; %bb.24:                               ;   in Loop: Header=BB396_7 Depth=1
	v_mul_f64_e32 v[1:2], s[14:15], v[29:30]
	v_mul_f64_e32 v[3:4], s[12:13], v[29:30]
	s_and_not1_b32 vcc_lo, exec_lo, s33
	s_mov_b32 s3, -1
	s_delay_alu instid0(VALU_DEP_2) | instskip(NEXT) | instid1(VALU_DEP_2)
	v_fma_f64 v[1:2], s[12:13], v[27:28], -v[1:2]
	v_fma_f64 v[3:4], s[14:15], v[27:28], v[3:4]
	s_wait_alu 0xfffe
	s_cbranch_vccnz .LBB396_26
; %bb.25:                               ;   in Loop: Header=BB396_7 Depth=1
	v_lshlrev_b64_e32 v[17:18], 4, v[7:8]
	s_mov_b32 s3, 0
	s_delay_alu instid0(VALU_DEP_1) | instskip(SKIP_1) | instid1(VALU_DEP_2)
	v_add_co_u32 v17, vcc_lo, v15, v17
	s_wait_alu 0xfffd
	v_add_co_ci_u32_e64 v18, null, v16, v18, vcc_lo
	flat_load_b128 v[27:30], v[17:18]
	s_wait_loadcnt_dscnt 0x0
	v_mul_f64_e32 v[31:32], s[10:11], v[29:30]
	v_mul_f64_e32 v[29:30], s[8:9], v[29:30]
	s_delay_alu instid0(VALU_DEP_2) | instskip(NEXT) | instid1(VALU_DEP_2)
	v_fma_f64 v[31:32], s[8:9], v[27:28], -v[31:32]
	v_fma_f64 v[29:30], s[10:11], v[27:28], v[29:30]
	s_delay_alu instid0(VALU_DEP_2) | instskip(NEXT) | instid1(VALU_DEP_2)
	v_add_f64_e32 v[27:28], v[1:2], v[31:32]
	v_add_f64_e32 v[29:30], v[3:4], v[29:30]
	flat_store_b128 v[17:18], v[27:30]
.LBB396_26:                             ;   in Loop: Header=BB396_7 Depth=1
	s_wait_alu 0xfffe
	s_and_not1_b32 vcc_lo, exec_lo, s3
	s_wait_alu 0xfffe
	s_cbranch_vccnz .LBB396_28
; %bb.27:                               ;   in Loop: Header=BB396_7 Depth=1
	v_lshlrev_b64_e32 v[17:18], 4, v[7:8]
	s_delay_alu instid0(VALU_DEP_1) | instskip(SKIP_1) | instid1(VALU_DEP_2)
	v_add_co_u32 v15, vcc_lo, v15, v17
	s_wait_alu 0xfffd
	v_add_co_ci_u32_e64 v16, null, v16, v18, vcc_lo
	flat_store_b128 v[15:16], v[1:4]
.LBB396_28:                             ;   in Loop: Header=BB396_7 Depth=1
	s_wait_alu 0xfffe
	s_or_b32 exec_lo, exec_lo, s2
	v_add_co_u32 v15, vcc_lo, v13, v11
	s_wait_alu 0xfffd
	v_add_co_ci_u32_e64 v16, null, v14, v12, vcc_lo
	s_and_saveexec_b32 s2, s26
	s_cbranch_execz .LBB396_33
; %bb.29:                               ;   in Loop: Header=BB396_7 Depth=1
	v_mul_f64_e32 v[1:2], s[14:15], v[25:26]
	v_mul_f64_e32 v[3:4], s[12:13], v[25:26]
	v_lshlrev_b64_e32 v[13:14], 4, v[5:6]
	s_and_not1_b32 vcc_lo, exec_lo, s33
	s_mov_b32 s3, -1
	s_delay_alu instid0(VALU_DEP_3) | instskip(NEXT) | instid1(VALU_DEP_3)
	v_fma_f64 v[1:2], s[12:13], v[23:24], -v[1:2]
	v_fma_f64 v[3:4], s[14:15], v[23:24], v[3:4]
	s_wait_alu 0xfffe
	s_cbranch_vccnz .LBB396_31
; %bb.30:                               ;   in Loop: Header=BB396_7 Depth=1
	v_add_co_u32 v17, vcc_lo, v15, v13
	s_wait_alu 0xfffd
	v_add_co_ci_u32_e64 v18, null, v16, v14, vcc_lo
	s_mov_b32 s3, 0
	flat_load_b128 v[23:26], v[17:18]
	s_wait_loadcnt_dscnt 0x0
	v_mul_f64_e32 v[27:28], s[10:11], v[25:26]
	v_mul_f64_e32 v[25:26], s[8:9], v[25:26]
	s_delay_alu instid0(VALU_DEP_2) | instskip(NEXT) | instid1(VALU_DEP_2)
	v_fma_f64 v[27:28], s[8:9], v[23:24], -v[27:28]
	v_fma_f64 v[25:26], s[10:11], v[23:24], v[25:26]
	s_delay_alu instid0(VALU_DEP_2) | instskip(NEXT) | instid1(VALU_DEP_2)
	v_add_f64_e32 v[23:24], v[1:2], v[27:28]
	v_add_f64_e32 v[25:26], v[3:4], v[25:26]
	flat_store_b128 v[17:18], v[23:26]
.LBB396_31:                             ;   in Loop: Header=BB396_7 Depth=1
	s_wait_alu 0xfffe
	s_and_not1_b32 vcc_lo, exec_lo, s3
	s_wait_alu 0xfffe
	s_cbranch_vccnz .LBB396_33
; %bb.32:                               ;   in Loop: Header=BB396_7 Depth=1
	v_add_co_u32 v13, vcc_lo, v15, v13
	s_wait_alu 0xfffd
	v_add_co_ci_u32_e64 v14, null, v16, v14, vcc_lo
	flat_store_b128 v[13:14], v[1:4]
.LBB396_33:                             ;   in Loop: Header=BB396_7 Depth=1
	s_wait_alu 0xfffe
	s_or_b32 exec_lo, exec_lo, s2
	s_and_saveexec_b32 s2, s35
	s_cbranch_execz .LBB396_6
; %bb.34:                               ;   in Loop: Header=BB396_7 Depth=1
	v_mul_f64_e32 v[1:2], s[14:15], v[19:20]
	v_mul_f64_e32 v[3:4], s[12:13], v[19:20]
	v_lshlrev_b64_e32 v[13:14], 4, v[7:8]
	s_and_not1_b32 vcc_lo, exec_lo, s33
	s_mov_b32 s3, -1
	s_delay_alu instid0(VALU_DEP_3) | instskip(NEXT) | instid1(VALU_DEP_3)
	v_fma_f64 v[1:2], s[12:13], v[21:22], -v[1:2]
	v_fma_f64 v[3:4], s[14:15], v[21:22], v[3:4]
	s_wait_alu 0xfffe
	s_cbranch_vccnz .LBB396_36
; %bb.35:                               ;   in Loop: Header=BB396_7 Depth=1
	v_add_co_u32 v21, vcc_lo, v15, v13
	s_wait_alu 0xfffd
	v_add_co_ci_u32_e64 v22, null, v16, v14, vcc_lo
	s_mov_b32 s3, 0
	flat_load_b128 v[17:20], v[21:22]
	s_wait_loadcnt_dscnt 0x0
	v_mul_f64_e32 v[23:24], s[10:11], v[19:20]
	v_mul_f64_e32 v[19:20], s[8:9], v[19:20]
	s_delay_alu instid0(VALU_DEP_2) | instskip(NEXT) | instid1(VALU_DEP_2)
	v_fma_f64 v[23:24], s[8:9], v[17:18], -v[23:24]
	v_fma_f64 v[19:20], s[10:11], v[17:18], v[19:20]
	s_delay_alu instid0(VALU_DEP_2) | instskip(NEXT) | instid1(VALU_DEP_2)
	v_add_f64_e32 v[17:18], v[1:2], v[23:24]
	v_add_f64_e32 v[19:20], v[3:4], v[19:20]
	flat_store_b128 v[21:22], v[17:20]
.LBB396_36:                             ;   in Loop: Header=BB396_7 Depth=1
	s_wait_alu 0xfffe
	s_and_not1_b32 vcc_lo, exec_lo, s3
	s_wait_alu 0xfffe
	s_cbranch_vccnz .LBB396_6
; %bb.37:                               ;   in Loop: Header=BB396_7 Depth=1
	v_add_co_u32 v13, vcc_lo, v15, v13
	s_wait_alu 0xfffd
	v_add_co_ci_u32_e64 v14, null, v16, v14, vcc_lo
	flat_store_b128 v[13:14], v[1:4]
	s_branch .LBB396_6
.LBB396_38:
.LBB396_39:
	s_nop 0
	s_sendmsg sendmsg(MSG_DEALLOC_VGPRS)
	s_endpgm
	.section	.rodata,"a",@progbits
	.p2align	6, 0x0
	.amdhsa_kernel _ZL29rocblas_internal_gemmt_kernelIiLi16ELi32ELi8ELc78ELc78ELc85ELb0ELb0E19rocblas_complex_numIdEPKS1_PKS3_PKPS1_EviT_T9_T10_S9_lSB_S9_lSA_T11_S9_li
		.amdhsa_group_segment_fixed_size 8192
		.amdhsa_private_segment_fixed_size 0
		.amdhsa_kernarg_size 100
		.amdhsa_user_sgpr_count 2
		.amdhsa_user_sgpr_dispatch_ptr 0
		.amdhsa_user_sgpr_queue_ptr 0
		.amdhsa_user_sgpr_kernarg_segment_ptr 1
		.amdhsa_user_sgpr_dispatch_id 0
		.amdhsa_user_sgpr_private_segment_size 0
		.amdhsa_wavefront_size32 1
		.amdhsa_uses_dynamic_stack 0
		.amdhsa_enable_private_segment 0
		.amdhsa_system_sgpr_workgroup_id_x 1
		.amdhsa_system_sgpr_workgroup_id_y 1
		.amdhsa_system_sgpr_workgroup_id_z 1
		.amdhsa_system_sgpr_workgroup_info 0
		.amdhsa_system_vgpr_workitem_id 1
		.amdhsa_next_free_vgpr 133
		.amdhsa_next_free_sgpr 40
		.amdhsa_reserve_vcc 1
		.amdhsa_float_round_mode_32 0
		.amdhsa_float_round_mode_16_64 0
		.amdhsa_float_denorm_mode_32 3
		.amdhsa_float_denorm_mode_16_64 3
		.amdhsa_fp16_overflow 0
		.amdhsa_workgroup_processor_mode 1
		.amdhsa_memory_ordered 1
		.amdhsa_forward_progress 1
		.amdhsa_inst_pref_size 28
		.amdhsa_round_robin_scheduling 0
		.amdhsa_exception_fp_ieee_invalid_op 0
		.amdhsa_exception_fp_denorm_src 0
		.amdhsa_exception_fp_ieee_div_zero 0
		.amdhsa_exception_fp_ieee_overflow 0
		.amdhsa_exception_fp_ieee_underflow 0
		.amdhsa_exception_fp_ieee_inexact 0
		.amdhsa_exception_int_div_zero 0
	.end_amdhsa_kernel
	.section	.text._ZL29rocblas_internal_gemmt_kernelIiLi16ELi32ELi8ELc78ELc78ELc85ELb0ELb0E19rocblas_complex_numIdEPKS1_PKS3_PKPS1_EviT_T9_T10_S9_lSB_S9_lSA_T11_S9_li,"axG",@progbits,_ZL29rocblas_internal_gemmt_kernelIiLi16ELi32ELi8ELc78ELc78ELc85ELb0ELb0E19rocblas_complex_numIdEPKS1_PKS3_PKPS1_EviT_T9_T10_S9_lSB_S9_lSA_T11_S9_li,comdat
.Lfunc_end396:
	.size	_ZL29rocblas_internal_gemmt_kernelIiLi16ELi32ELi8ELc78ELc78ELc85ELb0ELb0E19rocblas_complex_numIdEPKS1_PKS3_PKPS1_EviT_T9_T10_S9_lSB_S9_lSA_T11_S9_li, .Lfunc_end396-_ZL29rocblas_internal_gemmt_kernelIiLi16ELi32ELi8ELc78ELc78ELc85ELb0ELb0E19rocblas_complex_numIdEPKS1_PKS3_PKPS1_EviT_T9_T10_S9_lSB_S9_lSA_T11_S9_li
                                        ; -- End function
	.set _ZL29rocblas_internal_gemmt_kernelIiLi16ELi32ELi8ELc78ELc78ELc85ELb0ELb0E19rocblas_complex_numIdEPKS1_PKS3_PKPS1_EviT_T9_T10_S9_lSB_S9_lSA_T11_S9_li.num_vgpr, 133
	.set _ZL29rocblas_internal_gemmt_kernelIiLi16ELi32ELi8ELc78ELc78ELc85ELb0ELb0E19rocblas_complex_numIdEPKS1_PKS3_PKPS1_EviT_T9_T10_S9_lSB_S9_lSA_T11_S9_li.num_agpr, 0
	.set _ZL29rocblas_internal_gemmt_kernelIiLi16ELi32ELi8ELc78ELc78ELc85ELb0ELb0E19rocblas_complex_numIdEPKS1_PKS3_PKPS1_EviT_T9_T10_S9_lSB_S9_lSA_T11_S9_li.numbered_sgpr, 40
	.set _ZL29rocblas_internal_gemmt_kernelIiLi16ELi32ELi8ELc78ELc78ELc85ELb0ELb0E19rocblas_complex_numIdEPKS1_PKS3_PKPS1_EviT_T9_T10_S9_lSB_S9_lSA_T11_S9_li.num_named_barrier, 0
	.set _ZL29rocblas_internal_gemmt_kernelIiLi16ELi32ELi8ELc78ELc78ELc85ELb0ELb0E19rocblas_complex_numIdEPKS1_PKS3_PKPS1_EviT_T9_T10_S9_lSB_S9_lSA_T11_S9_li.private_seg_size, 0
	.set _ZL29rocblas_internal_gemmt_kernelIiLi16ELi32ELi8ELc78ELc78ELc85ELb0ELb0E19rocblas_complex_numIdEPKS1_PKS3_PKPS1_EviT_T9_T10_S9_lSB_S9_lSA_T11_S9_li.uses_vcc, 1
	.set _ZL29rocblas_internal_gemmt_kernelIiLi16ELi32ELi8ELc78ELc78ELc85ELb0ELb0E19rocblas_complex_numIdEPKS1_PKS3_PKPS1_EviT_T9_T10_S9_lSB_S9_lSA_T11_S9_li.uses_flat_scratch, 0
	.set _ZL29rocblas_internal_gemmt_kernelIiLi16ELi32ELi8ELc78ELc78ELc85ELb0ELb0E19rocblas_complex_numIdEPKS1_PKS3_PKPS1_EviT_T9_T10_S9_lSB_S9_lSA_T11_S9_li.has_dyn_sized_stack, 0
	.set _ZL29rocblas_internal_gemmt_kernelIiLi16ELi32ELi8ELc78ELc78ELc85ELb0ELb0E19rocblas_complex_numIdEPKS1_PKS3_PKPS1_EviT_T9_T10_S9_lSB_S9_lSA_T11_S9_li.has_recursion, 0
	.set _ZL29rocblas_internal_gemmt_kernelIiLi16ELi32ELi8ELc78ELc78ELc85ELb0ELb0E19rocblas_complex_numIdEPKS1_PKS3_PKPS1_EviT_T9_T10_S9_lSB_S9_lSA_T11_S9_li.has_indirect_call, 0
	.section	.AMDGPU.csdata,"",@progbits
; Kernel info:
; codeLenInByte = 3476
; TotalNumSgprs: 42
; NumVgprs: 133
; ScratchSize: 0
; MemoryBound: 0
; FloatMode: 240
; IeeeMode: 1
; LDSByteSize: 8192 bytes/workgroup (compile time only)
; SGPRBlocks: 0
; VGPRBlocks: 16
; NumSGPRsForWavesPerEU: 42
; NumVGPRsForWavesPerEU: 133
; Occupancy: 10
; WaveLimiterHint : 1
; COMPUTE_PGM_RSRC2:SCRATCH_EN: 0
; COMPUTE_PGM_RSRC2:USER_SGPR: 2
; COMPUTE_PGM_RSRC2:TRAP_HANDLER: 0
; COMPUTE_PGM_RSRC2:TGID_X_EN: 1
; COMPUTE_PGM_RSRC2:TGID_Y_EN: 1
; COMPUTE_PGM_RSRC2:TGID_Z_EN: 1
; COMPUTE_PGM_RSRC2:TIDIG_COMP_CNT: 1
	.section	.text._ZL29rocblas_internal_gemmt_kernelIiLi16ELi32ELi8ELc78ELc84ELc85ELb0ELb0E19rocblas_complex_numIdEPKS1_PKS3_PKPS1_EviT_T9_T10_S9_lSB_S9_lSA_T11_S9_li,"axG",@progbits,_ZL29rocblas_internal_gemmt_kernelIiLi16ELi32ELi8ELc78ELc84ELc85ELb0ELb0E19rocblas_complex_numIdEPKS1_PKS3_PKPS1_EviT_T9_T10_S9_lSB_S9_lSA_T11_S9_li,comdat
	.globl	_ZL29rocblas_internal_gemmt_kernelIiLi16ELi32ELi8ELc78ELc84ELc85ELb0ELb0E19rocblas_complex_numIdEPKS1_PKS3_PKPS1_EviT_T9_T10_S9_lSB_S9_lSA_T11_S9_li ; -- Begin function _ZL29rocblas_internal_gemmt_kernelIiLi16ELi32ELi8ELc78ELc84ELc85ELb0ELb0E19rocblas_complex_numIdEPKS1_PKS3_PKPS1_EviT_T9_T10_S9_lSB_S9_lSA_T11_S9_li
	.p2align	8
	.type	_ZL29rocblas_internal_gemmt_kernelIiLi16ELi32ELi8ELc78ELc84ELc85ELb0ELb0E19rocblas_complex_numIdEPKS1_PKS3_PKPS1_EviT_T9_T10_S9_lSB_S9_lSA_T11_S9_li,@function
_ZL29rocblas_internal_gemmt_kernelIiLi16ELi32ELi8ELc78ELc84ELc85ELb0ELb0E19rocblas_complex_numIdEPKS1_PKS3_PKPS1_EviT_T9_T10_S9_lSB_S9_lSA_T11_S9_li: ; @_ZL29rocblas_internal_gemmt_kernelIiLi16ELi32ELi8ELc78ELc84ELc85ELb0ELb0E19rocblas_complex_numIdEPKS1_PKS3_PKPS1_EviT_T9_T10_S9_lSB_S9_lSA_T11_S9_li
; %bb.0:
	s_load_b128 s[20:23], s[0:1], 0x38
	s_wait_kmcnt 0x0
	s_load_b128 s[8:11], s[22:23], 0x0
	s_clause 0x1
	s_load_b128 s[4:7], s[0:1], 0x8
	s_load_b64 s[22:23], s[0:1], 0x0
	s_wait_kmcnt 0x0
	s_load_b128 s[12:15], s[4:5], 0x0
	v_cmp_eq_f64_e64 s2, s[8:9], 1.0
	v_cmp_eq_f64_e64 s3, s[10:11], 0
	s_and_b32 s2, s2, s3
	s_delay_alu instid0(SALU_CYCLE_1)
	s_and_not1_b32 vcc_lo, exec_lo, s2
	s_mov_b32 s2, -1
	s_cbranch_vccnz .LBB397_3
; %bb.1:
	s_cmp_lg_u32 s23, 0
	s_cbranch_scc0 .LBB397_38
; %bb.2:
	s_wait_kmcnt 0x0
	v_cmp_neq_f64_e64 s2, s[12:13], 0
	v_cmp_neq_f64_e64 s4, s[14:15], 0
	s_or_b32 s2, s2, s4
.LBB397_3:
	s_delay_alu instid0(SALU_CYCLE_1)
	s_and_b32 vcc_lo, exec_lo, s2
	s_cbranch_vccz .LBB397_39
; %bb.4:
	s_load_b32 s27, s[0:1], 0x60
	s_lshr_b32 s28, ttmp7, 16
	s_wait_kmcnt 0x0
	s_cmp_ge_u32 s28, s27
	s_cbranch_scc1 .LBB397_39
; %bb.5:
	v_cmp_neq_f64_e64 s2, s[12:13], 0
	v_cmp_neq_f64_e64 s4, s[14:15], 0
	;; [unrolled: 1-line block ×3, first 2 shown]
	s_clause 0x4
	s_load_b32 s36, s[0:1], 0x18
	s_load_b128 s[16:19], s[0:1], 0x20
	s_load_b32 s38, s[0:1], 0x30
	s_load_b96 s[24:26], s[0:1], 0x48
	s_load_b64 s[30:31], s[0:1], 0x58
	v_and_b32_e32 v1, 0x3ff, v0
	v_bfe_u32 v2, v0, 10, 10
	s_lshl_b32 s0, ttmp7, 5
	v_and_b32_e32 v35, 7, v0
	s_lshl_b32 s1, ttmp9, 5
	s_and_b32 s33, s0, 0x1fffe0
	v_lshl_add_u32 v0, v2, 4, v1
	v_add_nc_u32_e32 v4, s33, v2
	v_add_nc_u32_e32 v5, s1, v1
	v_lshlrev_b32_e32 v36, 4, v1
	v_lshl_add_u32 v37, v2, 7, 0x1000
	v_lshrrev_b32_e32 v38, 5, v0
	v_lshrrev_b32_e32 v1, 3, v0
	v_and_b32_e32 v2, 31, v0
	v_cmp_gt_i32_e32 vcc_lo, s22, v4
	v_cmp_le_i32_e64 s0, v5, v4
	v_add_nc_u32_e32 v7, 16, v5
	v_lshlrev_b32_e32 v3, 4, v35
	s_wait_kmcnt 0x0
	s_ashr_i32 s37, s36, 31
	s_ashr_i32 s39, s38, 31
	v_mad_co_i64_i32 v[9:10], null, v38, s36, 0
	v_add_nc_u32_e32 v13, 16, v4
	v_or_b32_e32 v0, s1, v2
	v_add_nc_u32_e32 v15, s33, v1
	v_lshl_or_b32 v1, v1, 7, v3
	v_lshlrev_b32_e32 v2, 4, v2
	v_mad_co_i64_i32 v[11:12], null, v13, s26, 0
	v_cmp_gt_i32_e64 s1, s22, v0
	v_lshlrev_b64_e32 v[9:10], 4, v[9:10]
	v_add_nc_u32_e32 v40, 0x1000, v1
	v_ashrrev_i32_e32 v1, 31, v0
	v_lshl_or_b32 v39, v38, 9, v2
	v_mad_co_i64_i32 v[2:3], null, v4, s26, 0
	s_or_b32 s40, s2, s4
	s_cmp_gt_i32 s23, 0
	v_cmp_le_i32_e64 s4, v5, v13
	s_cselect_b32 s41, -1, 0
	s_and_b32 s34, vcc_lo, s0
	v_cmp_le_i32_e64 s0, v7, v4
	s_xor_b32 s3, s3, -1
	v_cmp_gt_i32_e64 s2, s22, v15
	s_or_b32 s33, s5, s3
	v_cmp_gt_i32_e64 s3, s22, v13
	s_and_b32 s22, vcc_lo, s0
	v_cmp_le_i32_e32 vcc_lo, v7, v13
	v_mad_co_i64_i32 v[13:14], null, s38, v35, 0
	s_and_b32 s26, s3, s4
	s_lshl_b64 s[4:5], s[16:17], 4
	s_and_b32 s35, s3, vcc_lo
	v_lshlrev_b64_e32 v[0:1], 4, v[0:1]
	v_add_co_u32 v4, vcc_lo, v9, s4
	s_delay_alu instid0(VALU_DEP_1) | instskip(SKIP_1) | instid1(VALU_DEP_3)
	v_add_co_ci_u32_e64 v16, null, s5, v10, vcc_lo
	v_lshlrev_b64_e32 v[9:10], 4, v[13:14]
	v_add_co_u32 v41, vcc_lo, v4, v0
	s_lshl_b64 s[16:17], s[20:21], 4
	s_wait_alu 0xfffd
	v_add_co_ci_u32_e64 v42, null, v16, v1, vcc_lo
	v_lshlrev_b32_e32 v1, 4, v15
	v_add_co_u32 v4, vcc_lo, v9, s16
	s_wait_alu 0xfffd
	v_add_co_ci_u32_e64 v9, null, s17, v10, vcc_lo
	v_lshlrev_b64_e32 v[11:12], 4, v[11:12]
	s_delay_alu instid0(VALU_DEP_3) | instskip(SKIP_1) | instid1(VALU_DEP_3)
	v_add_co_u32 v43, vcc_lo, v4, v1
	s_wait_alu 0xfffd
	v_add_co_ci_u32_e64 v44, null, 0, v9, vcc_lo
	v_lshlrev_b64_e32 v[9:10], 4, v[2:3]
	v_ashrrev_i32_e32 v6, 31, v5
	v_ashrrev_i32_e32 v8, 31, v7
	v_mov_b32_e32 v0, 0
	s_mov_b32 s29, 0
	s_lshl_b64 s[4:5], s[36:37], 7
	s_lshl_b64 s[16:17], s[38:39], 7
	s_and_b32 s20, s40, s41
	s_xor_b32 s21, s1, -1
	s_xor_b32 s36, s2, -1
	s_lshl_b64 s[0:1], s[30:31], 4
	s_branch .LBB397_7
.LBB397_6:                              ;   in Loop: Header=BB397_7 Depth=1
	s_wait_alu 0xfffe
	s_or_b32 exec_lo, exec_lo, s2
	s_add_co_i32 s28, s28, 0x10000
	s_delay_alu instid0(SALU_CYCLE_1)
	s_cmp_lt_u32 s28, s27
	s_cbranch_scc0 .LBB397_39
.LBB397_7:                              ; =>This Loop Header: Depth=1
                                        ;     Child Loop BB397_10 Depth 2
	s_lshl_b64 s[2:3], s[28:29], 3
	v_mov_b32_e32 v31, 0
	s_wait_alu 0xfffe
	s_add_nc_u64 s[30:31], s[24:25], s[2:3]
	v_mov_b32_e32 v27, 0
	global_load_b64 v[13:14], v0, s[30:31]
	v_mov_b32_e32 v23, 0
	v_dual_mov_b32 v21, 0 :: v_dual_mov_b32 v32, 0
	v_dual_mov_b32 v33, 0 :: v_dual_mov_b32 v28, 0
	;; [unrolled: 1-line block ×5, first 2 shown]
	v_mov_b32_e32 v30, 0
	v_mov_b32_e32 v26, 0
	;; [unrolled: 1-line block ×3, first 2 shown]
	s_and_not1_b32 vcc_lo, exec_lo, s20
	s_wait_alu 0xfffe
	s_cbranch_vccnz .LBB397_18
; %bb.8:                                ;   in Loop: Header=BB397_7 Depth=1
	s_add_nc_u64 s[30:31], s[6:7], s[2:3]
	s_add_nc_u64 s[2:3], s[18:19], s[2:3]
	s_clause 0x1
	global_load_b64 v[1:2], v0, s[30:31]
	global_load_b64 v[3:4], v0, s[2:3]
	v_mov_b32_e32 v19, 0
	v_mov_b32_e32 v25, 0
	;; [unrolled: 1-line block ×3, first 2 shown]
	v_dual_mov_b32 v33, 0 :: v_dual_mov_b32 v20, 0
	v_dual_mov_b32 v21, 0 :: v_dual_mov_b32 v26, 0
	;; [unrolled: 1-line block ×5, first 2 shown]
	v_mov_b32_e32 v24, 0
	v_mov_b32_e32 v28, 0
	;; [unrolled: 1-line block ×3, first 2 shown]
	s_mov_b32 s2, 0
	s_wait_loadcnt 0x1
	v_add_co_u32 v15, vcc_lo, v1, v41
	s_wait_alu 0xfffd
	v_add_co_ci_u32_e64 v16, null, v2, v42, vcc_lo
	s_wait_loadcnt 0x0
	v_add_co_u32 v17, vcc_lo, v3, v43
	s_wait_alu 0xfffd
	v_add_co_ci_u32_e64 v18, null, v4, v44, vcc_lo
	s_branch .LBB397_10
.LBB397_9:                              ;   in Loop: Header=BB397_10 Depth=2
	s_wait_alu 0xfffe
	s_or_b32 exec_lo, exec_lo, s3
	s_wait_dscnt 0x0
	s_barrier_signal -1
	s_barrier_wait -1
	global_inv scope:SCOPE_SE
	ds_load_b128 v[1:4], v37
	ds_load_b128 v[45:48], v36
	ds_load_b128 v[49:52], v36 offset:256
	ds_load_b128 v[53:56], v37 offset:2048
	;; [unrolled: 1-line block ×10, first 2 shown]
	v_add_co_u32 v15, vcc_lo, v15, s4
	s_wait_alu 0xfffd
	v_add_co_ci_u32_e64 v16, null, s5, v16, vcc_lo
	v_add_co_u32 v17, vcc_lo, v17, s16
	s_wait_alu 0xfffd
	v_add_co_ci_u32_e64 v18, null, s17, v18, vcc_lo
	s_add_co_i32 s2, s2, 8
	s_wait_alu 0xfffe
	s_cmp_lt_i32 s2, s23
	s_wait_dscnt 0xa
	v_mul_f64_e32 v[89:90], v[3:4], v[47:48]
	v_mul_f64_e32 v[91:92], v[1:2], v[47:48]
	s_wait_dscnt 0x9
	v_mul_f64_e32 v[93:94], v[3:4], v[51:52]
	v_mul_f64_e32 v[95:96], v[1:2], v[51:52]
	;; [unrolled: 3-line block ×3, first 2 shown]
	v_mul_f64_e32 v[99:100], v[55:56], v[51:52]
	v_mul_f64_e32 v[51:52], v[53:54], v[51:52]
	s_wait_dscnt 0x5
	v_mul_f64_e32 v[101:102], v[59:60], v[67:68]
	v_mul_f64_e32 v[103:104], v[57:58], v[67:68]
	s_wait_dscnt 0x4
	v_mul_f64_e32 v[105:106], v[59:60], v[71:72]
	v_mul_f64_e32 v[107:108], v[57:58], v[71:72]
	v_mul_f64_e32 v[109:110], v[63:64], v[67:68]
	v_mul_f64_e32 v[67:68], v[61:62], v[67:68]
	v_mul_f64_e32 v[111:112], v[63:64], v[71:72]
	v_mul_f64_e32 v[71:72], v[61:62], v[71:72]
	s_wait_dscnt 0x2
	v_mul_f64_e32 v[117:118], v[75:76], v[79:80]
	v_mul_f64_e32 v[119:120], v[73:74], v[79:80]
	s_wait_dscnt 0x1
	v_mul_f64_e32 v[121:122], v[75:76], v[83:84]
	v_mul_f64_e32 v[123:124], v[73:74], v[83:84]
	;; [unrolled: 3-line block ×3, first 2 shown]
	v_mul_f64_e32 v[127:128], v[87:88], v[83:84]
	v_mul_f64_e32 v[83:84], v[85:86], v[83:84]
	v_fma_f64 v[89:90], v[1:2], v[45:46], -v[89:90]
	v_fma_f64 v[91:92], v[3:4], v[45:46], v[91:92]
	v_fma_f64 v[93:94], v[1:2], v[49:50], -v[93:94]
	v_fma_f64 v[95:96], v[3:4], v[49:50], v[95:96]
	;; [unrolled: 2-line block ×8, first 2 shown]
	ds_load_b128 v[1:4], v37 offset:48
	ds_load_b128 v[45:48], v37 offset:2096
	;; [unrolled: 1-line block ×4, first 2 shown]
	v_fma_f64 v[117:118], v[73:74], v[77:78], -v[117:118]
	v_fma_f64 v[119:120], v[75:76], v[77:78], v[119:120]
	v_fma_f64 v[73:74], v[73:74], v[81:82], -v[121:122]
	v_fma_f64 v[75:76], v[75:76], v[81:82], v[123:124]
	;; [unrolled: 2-line block ×4, first 2 shown]
	s_wait_dscnt 0x1
	v_mul_f64_e32 v[107:108], v[1:2], v[51:52]
	s_wait_dscnt 0x0
	v_mul_f64_e32 v[109:110], v[3:4], v[55:56]
	v_mul_f64_e32 v[111:112], v[1:2], v[55:56]
	v_add_f64_e32 v[67:68], v[31:32], v[89:90]
	v_add_f64_e32 v[69:70], v[91:92], v[33:34]
	;; [unrolled: 1-line block ×8, first 2 shown]
	v_mul_f64_e32 v[99:100], v[3:4], v[51:52]
	v_mul_f64_e32 v[113:114], v[47:48], v[51:52]
	;; [unrolled: 1-line block ×5, first 2 shown]
	ds_load_b128 v[19:22], v37 offset:64
	ds_load_b128 v[23:26], v36 offset:2048
	;; [unrolled: 1-line block ×4, first 2 shown]
	s_wait_dscnt 0x0
	v_mul_f64_e32 v[123:124], v[33:34], v[25:26]
	v_mul_f64_e32 v[125:126], v[33:34], v[29:30]
	v_fma_f64 v[107:108], v[3:4], v[49:50], v[107:108]
	v_fma_f64 v[109:110], v[1:2], v[53:54], -v[109:110]
	v_fma_f64 v[111:112], v[3:4], v[53:54], v[111:112]
	v_add_f64_e32 v[83:84], v[67:68], v[101:102]
	v_add_f64_e32 v[85:86], v[103:104], v[69:70]
	v_add_f64_e32 v[71:72], v[71:72], v[57:58]
	v_add_f64_e32 v[87:88], v[59:60], v[89:90]
	v_add_f64_e32 v[89:90], v[91:92], v[105:106]
	v_add_f64_e32 v[91:92], v[65:66], v[93:94]
	v_add_f64_e32 v[93:94], v[95:96], v[61:62]
	v_add_f64_e32 v[95:96], v[63:64], v[97:98]
	v_mul_f64_e32 v[97:98], v[21:22], v[25:26]
	v_mul_f64_e32 v[101:102], v[19:20], v[25:26]
	;; [unrolled: 1-line block ×6, first 2 shown]
	v_fma_f64 v[99:100], v[1:2], v[49:50], -v[99:100]
	v_fma_f64 v[113:114], v[45:46], v[49:50], -v[113:114]
	v_fma_f64 v[127:128], v[47:48], v[49:50], v[51:52]
	v_fma_f64 v[115:116], v[45:46], v[53:54], -v[115:116]
	v_fma_f64 v[53:54], v[47:48], v[53:54], v[129:130]
	ds_load_b128 v[55:58], v37 offset:80
	ds_load_b128 v[59:62], v37 offset:2128
	ds_load_b128 v[63:66], v36 offset:2560
	ds_load_b128 v[67:70], v36 offset:2816
	v_fma_f64 v[123:124], v[31:32], v[23:24], -v[123:124]
	v_fma_f64 v[125:126], v[31:32], v[27:28], -v[125:126]
	v_add_f64_e32 v[83:84], v[83:84], v[117:118]
	v_add_f64_e32 v[85:86], v[119:120], v[85:86]
	v_add_f64_e32 v[117:118], v[71:72], v[73:74]
	v_add_f64_e32 v[75:76], v[75:76], v[87:88]
	v_add_f64_e32 v[87:88], v[89:90], v[121:122]
	v_add_f64_e32 v[77:78], v[77:78], v[91:92]
	v_add_f64_e32 v[79:80], v[93:94], v[79:80]
	v_add_f64_e32 v[81:82], v[81:82], v[95:96]
	s_wait_dscnt 0x1
	v_mul_f64_e32 v[89:90], v[57:58], v[65:66]
	v_mul_f64_e32 v[91:92], v[55:56], v[65:66]
	s_wait_dscnt 0x0
	v_mul_f64_e32 v[93:94], v[57:58], v[69:70]
	v_mul_f64_e32 v[95:96], v[55:56], v[69:70]
	;; [unrolled: 1-line block ×6, first 2 shown]
	v_fma_f64 v[97:98], v[19:20], v[23:24], -v[97:98]
	v_fma_f64 v[101:102], v[21:22], v[23:24], v[101:102]
	v_fma_f64 v[103:104], v[19:20], v[27:28], -v[103:104]
	v_fma_f64 v[105:106], v[21:22], v[27:28], v[105:106]
	v_fma_f64 v[129:130], v[33:34], v[23:24], v[25:26]
	;; [unrolled: 1-line block ×3, first 2 shown]
	ds_load_b128 v[1:4], v37 offset:96
	ds_load_b128 v[45:48], v36 offset:3072
	;; [unrolled: 1-line block ×8, first 2 shown]
	s_wait_loadcnt_dscnt 0x0
	s_barrier_signal -1
	s_barrier_wait -1
	global_inv scope:SCOPE_SE
	v_add_f64_e32 v[83:84], v[83:84], v[99:100]
	v_add_f64_e32 v[85:86], v[107:108], v[85:86]
	;; [unrolled: 1-line block ×8, first 2 shown]
	v_mul_f64_e32 v[81:82], v[3:4], v[47:48]
	v_mul_f64_e32 v[107:108], v[1:2], v[47:48]
	;; [unrolled: 1-line block ×8, first 2 shown]
	v_fma_f64 v[89:90], v[55:56], v[63:64], -v[89:90]
	v_fma_f64 v[91:92], v[57:58], v[63:64], v[91:92]
	v_fma_f64 v[55:56], v[55:56], v[67:68], -v[93:94]
	v_fma_f64 v[57:58], v[57:58], v[67:68], v[95:96]
	;; [unrolled: 2-line block ×4, first 2 shown]
	v_mul_f64_e32 v[95:96], v[21:22], v[33:34]
	v_add_f64_e32 v[65:66], v[83:84], v[97:98]
	v_add_f64_e32 v[67:68], v[101:102], v[85:86]
	;; [unrolled: 1-line block ×8, first 2 shown]
	v_mul_f64_e32 v[85:86], v[21:22], v[29:30]
	v_mul_f64_e32 v[87:88], v[19:20], v[29:30]
	;; [unrolled: 1-line block ×7, first 2 shown]
	v_fma_f64 v[81:82], v[1:2], v[45:46], -v[81:82]
	v_fma_f64 v[103:104], v[3:4], v[45:46], v[107:108]
	v_fma_f64 v[1:2], v[1:2], v[49:50], -v[109:110]
	v_fma_f64 v[3:4], v[3:4], v[49:50], v[111:112]
	;; [unrolled: 2-line block ×4, first 2 shown]
	v_add_f64_e32 v[51:52], v[65:66], v[89:90]
	v_add_f64_e32 v[65:66], v[91:92], v[67:68]
	;; [unrolled: 1-line block ×8, first 2 shown]
	v_fma_f64 v[61:62], v[19:20], v[27:28], -v[85:86]
	v_fma_f64 v[69:70], v[21:22], v[27:28], v[87:88]
	v_fma_f64 v[19:20], v[19:20], v[31:32], -v[95:96]
	v_fma_f64 v[21:22], v[21:22], v[31:32], v[97:98]
	;; [unrolled: 2-line block ×4, first 2 shown]
	v_add_f64_e32 v[23:24], v[51:52], v[81:82]
	v_add_f64_e32 v[25:26], v[103:104], v[65:66]
	;; [unrolled: 1-line block ×16, first 2 shown]
	s_cbranch_scc0 .LBB397_18
.LBB397_10:                             ;   Parent Loop BB397_7 Depth=1
                                        ; =>  This Inner Loop Header: Depth=2
	s_wait_alu 0xfffe
	v_add_nc_u32_e32 v1, s2, v38
	s_delay_alu instid0(VALU_DEP_1) | instskip(SKIP_3) | instid1(SALU_CYCLE_1)
	v_cmp_le_i32_e32 vcc_lo, s23, v1
	s_or_b32 s3, s21, vcc_lo
	s_wait_alu 0xfffe
	s_and_saveexec_b32 s30, s3
	s_xor_b32 s3, exec_lo, s30
; %bb.11:                               ;   in Loop: Header=BB397_10 Depth=2
	v_dual_mov_b32 v1, v0 :: v_dual_mov_b32 v2, v0
	v_mov_b32_e32 v3, v0
	ds_store_b128 v39, v[0:3]
; %bb.12:                               ;   in Loop: Header=BB397_10 Depth=2
	s_wait_alu 0xfffe
	s_and_not1_saveexec_b32 s3, s3
	s_cbranch_execz .LBB397_14
; %bb.13:                               ;   in Loop: Header=BB397_10 Depth=2
	flat_load_b128 v[1:4], v[15:16]
	s_wait_loadcnt_dscnt 0x0
	ds_store_2addr_b64 v39, v[1:2], v[3:4] offset1:1
.LBB397_14:                             ;   in Loop: Header=BB397_10 Depth=2
	s_wait_alu 0xfffe
	s_or_b32 exec_lo, exec_lo, s3
	v_add_nc_u32_e32 v1, s2, v35
	s_delay_alu instid0(VALU_DEP_1) | instskip(SKIP_3) | instid1(SALU_CYCLE_1)
	v_cmp_le_i32_e32 vcc_lo, s23, v1
	s_or_b32 s3, vcc_lo, s36
	s_wait_alu 0xfffe
	s_and_saveexec_b32 s30, s3
	s_xor_b32 s3, exec_lo, s30
; %bb.15:                               ;   in Loop: Header=BB397_10 Depth=2
	v_dual_mov_b32 v1, v0 :: v_dual_mov_b32 v2, v0
	v_mov_b32_e32 v3, v0
	ds_store_b128 v40, v[0:3]
; %bb.16:                               ;   in Loop: Header=BB397_10 Depth=2
	s_wait_alu 0xfffe
	s_and_not1_saveexec_b32 s3, s3
	s_cbranch_execz .LBB397_9
; %bb.17:                               ;   in Loop: Header=BB397_10 Depth=2
	flat_load_b128 v[1:4], v[17:18]
	s_wait_loadcnt_dscnt 0x0
	ds_store_2addr_b64 v40, v[1:2], v[3:4] offset1:1
	s_branch .LBB397_9
.LBB397_18:                             ;   in Loop: Header=BB397_7 Depth=1
	s_wait_loadcnt 0x0
	v_add_co_u32 v13, vcc_lo, v13, s0
	s_wait_alu 0xfffd
	v_add_co_ci_u32_e64 v14, null, s1, v14, vcc_lo
	s_delay_alu instid0(VALU_DEP_2) | instskip(SKIP_1) | instid1(VALU_DEP_2)
	v_add_co_u32 v15, vcc_lo, v13, v9
	s_wait_alu 0xfffd
	v_add_co_ci_u32_e64 v16, null, v14, v10, vcc_lo
	s_and_saveexec_b32 s2, s34
	s_cbranch_execz .LBB397_23
; %bb.19:                               ;   in Loop: Header=BB397_7 Depth=1
	v_mul_f64_e32 v[1:2], s[14:15], v[33:34]
	v_mul_f64_e32 v[3:4], s[12:13], v[33:34]
	s_and_b32 vcc_lo, exec_lo, s33
	s_mov_b32 s3, -1
	s_delay_alu instid0(VALU_DEP_2) | instskip(NEXT) | instid1(VALU_DEP_2)
	v_fma_f64 v[1:2], s[12:13], v[31:32], -v[1:2]
	v_fma_f64 v[3:4], s[14:15], v[31:32], v[3:4]
	s_wait_alu 0xfffe
	s_cbranch_vccz .LBB397_21
; %bb.20:                               ;   in Loop: Header=BB397_7 Depth=1
	v_lshlrev_b64_e32 v[17:18], 4, v[5:6]
	s_mov_b32 s3, 0
	s_delay_alu instid0(VALU_DEP_1) | instskip(SKIP_1) | instid1(VALU_DEP_2)
	v_add_co_u32 v17, vcc_lo, v15, v17
	s_wait_alu 0xfffd
	v_add_co_ci_u32_e64 v18, null, v16, v18, vcc_lo
	flat_load_b128 v[31:34], v[17:18]
	s_wait_loadcnt_dscnt 0x0
	v_mul_f64_e32 v[45:46], s[10:11], v[33:34]
	v_mul_f64_e32 v[33:34], s[8:9], v[33:34]
	s_delay_alu instid0(VALU_DEP_2) | instskip(NEXT) | instid1(VALU_DEP_2)
	v_fma_f64 v[45:46], s[8:9], v[31:32], -v[45:46]
	v_fma_f64 v[33:34], s[10:11], v[31:32], v[33:34]
	s_delay_alu instid0(VALU_DEP_2) | instskip(NEXT) | instid1(VALU_DEP_2)
	v_add_f64_e32 v[31:32], v[1:2], v[45:46]
	v_add_f64_e32 v[33:34], v[3:4], v[33:34]
	flat_store_b128 v[17:18], v[31:34]
.LBB397_21:                             ;   in Loop: Header=BB397_7 Depth=1
	s_wait_alu 0xfffe
	s_and_not1_b32 vcc_lo, exec_lo, s3
	s_wait_alu 0xfffe
	s_cbranch_vccnz .LBB397_23
; %bb.22:                               ;   in Loop: Header=BB397_7 Depth=1
	v_lshlrev_b64_e32 v[17:18], 4, v[5:6]
	s_delay_alu instid0(VALU_DEP_1) | instskip(SKIP_1) | instid1(VALU_DEP_2)
	v_add_co_u32 v17, vcc_lo, v15, v17
	s_wait_alu 0xfffd
	v_add_co_ci_u32_e64 v18, null, v16, v18, vcc_lo
	flat_store_b128 v[17:18], v[1:4]
.LBB397_23:                             ;   in Loop: Header=BB397_7 Depth=1
	s_wait_alu 0xfffe
	s_or_b32 exec_lo, exec_lo, s2
	s_and_saveexec_b32 s2, s22
	s_cbranch_execz .LBB397_28
; %bb.24:                               ;   in Loop: Header=BB397_7 Depth=1
	v_mul_f64_e32 v[1:2], s[14:15], v[29:30]
	v_mul_f64_e32 v[3:4], s[12:13], v[29:30]
	s_and_not1_b32 vcc_lo, exec_lo, s33
	s_mov_b32 s3, -1
	s_delay_alu instid0(VALU_DEP_2) | instskip(NEXT) | instid1(VALU_DEP_2)
	v_fma_f64 v[1:2], s[12:13], v[27:28], -v[1:2]
	v_fma_f64 v[3:4], s[14:15], v[27:28], v[3:4]
	s_wait_alu 0xfffe
	s_cbranch_vccnz .LBB397_26
; %bb.25:                               ;   in Loop: Header=BB397_7 Depth=1
	v_lshlrev_b64_e32 v[17:18], 4, v[7:8]
	s_mov_b32 s3, 0
	s_delay_alu instid0(VALU_DEP_1) | instskip(SKIP_1) | instid1(VALU_DEP_2)
	v_add_co_u32 v17, vcc_lo, v15, v17
	s_wait_alu 0xfffd
	v_add_co_ci_u32_e64 v18, null, v16, v18, vcc_lo
	flat_load_b128 v[27:30], v[17:18]
	s_wait_loadcnt_dscnt 0x0
	v_mul_f64_e32 v[31:32], s[10:11], v[29:30]
	v_mul_f64_e32 v[29:30], s[8:9], v[29:30]
	s_delay_alu instid0(VALU_DEP_2) | instskip(NEXT) | instid1(VALU_DEP_2)
	v_fma_f64 v[31:32], s[8:9], v[27:28], -v[31:32]
	v_fma_f64 v[29:30], s[10:11], v[27:28], v[29:30]
	s_delay_alu instid0(VALU_DEP_2) | instskip(NEXT) | instid1(VALU_DEP_2)
	v_add_f64_e32 v[27:28], v[1:2], v[31:32]
	v_add_f64_e32 v[29:30], v[3:4], v[29:30]
	flat_store_b128 v[17:18], v[27:30]
.LBB397_26:                             ;   in Loop: Header=BB397_7 Depth=1
	s_wait_alu 0xfffe
	s_and_not1_b32 vcc_lo, exec_lo, s3
	s_wait_alu 0xfffe
	s_cbranch_vccnz .LBB397_28
; %bb.27:                               ;   in Loop: Header=BB397_7 Depth=1
	v_lshlrev_b64_e32 v[17:18], 4, v[7:8]
	s_delay_alu instid0(VALU_DEP_1) | instskip(SKIP_1) | instid1(VALU_DEP_2)
	v_add_co_u32 v15, vcc_lo, v15, v17
	s_wait_alu 0xfffd
	v_add_co_ci_u32_e64 v16, null, v16, v18, vcc_lo
	flat_store_b128 v[15:16], v[1:4]
.LBB397_28:                             ;   in Loop: Header=BB397_7 Depth=1
	s_wait_alu 0xfffe
	s_or_b32 exec_lo, exec_lo, s2
	v_add_co_u32 v15, vcc_lo, v13, v11
	s_wait_alu 0xfffd
	v_add_co_ci_u32_e64 v16, null, v14, v12, vcc_lo
	s_and_saveexec_b32 s2, s26
	s_cbranch_execz .LBB397_33
; %bb.29:                               ;   in Loop: Header=BB397_7 Depth=1
	v_mul_f64_e32 v[1:2], s[14:15], v[25:26]
	v_mul_f64_e32 v[3:4], s[12:13], v[25:26]
	v_lshlrev_b64_e32 v[13:14], 4, v[5:6]
	s_and_not1_b32 vcc_lo, exec_lo, s33
	s_mov_b32 s3, -1
	s_delay_alu instid0(VALU_DEP_3) | instskip(NEXT) | instid1(VALU_DEP_3)
	v_fma_f64 v[1:2], s[12:13], v[23:24], -v[1:2]
	v_fma_f64 v[3:4], s[14:15], v[23:24], v[3:4]
	s_wait_alu 0xfffe
	s_cbranch_vccnz .LBB397_31
; %bb.30:                               ;   in Loop: Header=BB397_7 Depth=1
	v_add_co_u32 v17, vcc_lo, v15, v13
	s_wait_alu 0xfffd
	v_add_co_ci_u32_e64 v18, null, v16, v14, vcc_lo
	s_mov_b32 s3, 0
	flat_load_b128 v[23:26], v[17:18]
	s_wait_loadcnt_dscnt 0x0
	v_mul_f64_e32 v[27:28], s[10:11], v[25:26]
	v_mul_f64_e32 v[25:26], s[8:9], v[25:26]
	s_delay_alu instid0(VALU_DEP_2) | instskip(NEXT) | instid1(VALU_DEP_2)
	v_fma_f64 v[27:28], s[8:9], v[23:24], -v[27:28]
	v_fma_f64 v[25:26], s[10:11], v[23:24], v[25:26]
	s_delay_alu instid0(VALU_DEP_2) | instskip(NEXT) | instid1(VALU_DEP_2)
	v_add_f64_e32 v[23:24], v[1:2], v[27:28]
	v_add_f64_e32 v[25:26], v[3:4], v[25:26]
	flat_store_b128 v[17:18], v[23:26]
.LBB397_31:                             ;   in Loop: Header=BB397_7 Depth=1
	s_wait_alu 0xfffe
	s_and_not1_b32 vcc_lo, exec_lo, s3
	s_wait_alu 0xfffe
	s_cbranch_vccnz .LBB397_33
; %bb.32:                               ;   in Loop: Header=BB397_7 Depth=1
	v_add_co_u32 v13, vcc_lo, v15, v13
	s_wait_alu 0xfffd
	v_add_co_ci_u32_e64 v14, null, v16, v14, vcc_lo
	flat_store_b128 v[13:14], v[1:4]
.LBB397_33:                             ;   in Loop: Header=BB397_7 Depth=1
	s_wait_alu 0xfffe
	s_or_b32 exec_lo, exec_lo, s2
	s_and_saveexec_b32 s2, s35
	s_cbranch_execz .LBB397_6
; %bb.34:                               ;   in Loop: Header=BB397_7 Depth=1
	v_mul_f64_e32 v[1:2], s[14:15], v[19:20]
	v_mul_f64_e32 v[3:4], s[12:13], v[19:20]
	v_lshlrev_b64_e32 v[13:14], 4, v[7:8]
	s_and_not1_b32 vcc_lo, exec_lo, s33
	s_mov_b32 s3, -1
	s_delay_alu instid0(VALU_DEP_3) | instskip(NEXT) | instid1(VALU_DEP_3)
	v_fma_f64 v[1:2], s[12:13], v[21:22], -v[1:2]
	v_fma_f64 v[3:4], s[14:15], v[21:22], v[3:4]
	s_wait_alu 0xfffe
	s_cbranch_vccnz .LBB397_36
; %bb.35:                               ;   in Loop: Header=BB397_7 Depth=1
	v_add_co_u32 v21, vcc_lo, v15, v13
	s_wait_alu 0xfffd
	v_add_co_ci_u32_e64 v22, null, v16, v14, vcc_lo
	s_mov_b32 s3, 0
	flat_load_b128 v[17:20], v[21:22]
	s_wait_loadcnt_dscnt 0x0
	v_mul_f64_e32 v[23:24], s[10:11], v[19:20]
	v_mul_f64_e32 v[19:20], s[8:9], v[19:20]
	s_delay_alu instid0(VALU_DEP_2) | instskip(NEXT) | instid1(VALU_DEP_2)
	v_fma_f64 v[23:24], s[8:9], v[17:18], -v[23:24]
	v_fma_f64 v[19:20], s[10:11], v[17:18], v[19:20]
	s_delay_alu instid0(VALU_DEP_2) | instskip(NEXT) | instid1(VALU_DEP_2)
	v_add_f64_e32 v[17:18], v[1:2], v[23:24]
	v_add_f64_e32 v[19:20], v[3:4], v[19:20]
	flat_store_b128 v[21:22], v[17:20]
.LBB397_36:                             ;   in Loop: Header=BB397_7 Depth=1
	s_wait_alu 0xfffe
	s_and_not1_b32 vcc_lo, exec_lo, s3
	s_wait_alu 0xfffe
	s_cbranch_vccnz .LBB397_6
; %bb.37:                               ;   in Loop: Header=BB397_7 Depth=1
	v_add_co_u32 v13, vcc_lo, v15, v13
	s_wait_alu 0xfffd
	v_add_co_ci_u32_e64 v14, null, v16, v14, vcc_lo
	flat_store_b128 v[13:14], v[1:4]
	s_branch .LBB397_6
.LBB397_38:
.LBB397_39:
	s_nop 0
	s_sendmsg sendmsg(MSG_DEALLOC_VGPRS)
	s_endpgm
	.section	.rodata,"a",@progbits
	.p2align	6, 0x0
	.amdhsa_kernel _ZL29rocblas_internal_gemmt_kernelIiLi16ELi32ELi8ELc78ELc84ELc85ELb0ELb0E19rocblas_complex_numIdEPKS1_PKS3_PKPS1_EviT_T9_T10_S9_lSB_S9_lSA_T11_S9_li
		.amdhsa_group_segment_fixed_size 8192
		.amdhsa_private_segment_fixed_size 0
		.amdhsa_kernarg_size 100
		.amdhsa_user_sgpr_count 2
		.amdhsa_user_sgpr_dispatch_ptr 0
		.amdhsa_user_sgpr_queue_ptr 0
		.amdhsa_user_sgpr_kernarg_segment_ptr 1
		.amdhsa_user_sgpr_dispatch_id 0
		.amdhsa_user_sgpr_private_segment_size 0
		.amdhsa_wavefront_size32 1
		.amdhsa_uses_dynamic_stack 0
		.amdhsa_enable_private_segment 0
		.amdhsa_system_sgpr_workgroup_id_x 1
		.amdhsa_system_sgpr_workgroup_id_y 1
		.amdhsa_system_sgpr_workgroup_id_z 1
		.amdhsa_system_sgpr_workgroup_info 0
		.amdhsa_system_vgpr_workitem_id 1
		.amdhsa_next_free_vgpr 133
		.amdhsa_next_free_sgpr 42
		.amdhsa_reserve_vcc 1
		.amdhsa_float_round_mode_32 0
		.amdhsa_float_round_mode_16_64 0
		.amdhsa_float_denorm_mode_32 3
		.amdhsa_float_denorm_mode_16_64 3
		.amdhsa_fp16_overflow 0
		.amdhsa_workgroup_processor_mode 1
		.amdhsa_memory_ordered 1
		.amdhsa_forward_progress 1
		.amdhsa_inst_pref_size 28
		.amdhsa_round_robin_scheduling 0
		.amdhsa_exception_fp_ieee_invalid_op 0
		.amdhsa_exception_fp_denorm_src 0
		.amdhsa_exception_fp_ieee_div_zero 0
		.amdhsa_exception_fp_ieee_overflow 0
		.amdhsa_exception_fp_ieee_underflow 0
		.amdhsa_exception_fp_ieee_inexact 0
		.amdhsa_exception_int_div_zero 0
	.end_amdhsa_kernel
	.section	.text._ZL29rocblas_internal_gemmt_kernelIiLi16ELi32ELi8ELc78ELc84ELc85ELb0ELb0E19rocblas_complex_numIdEPKS1_PKS3_PKPS1_EviT_T9_T10_S9_lSB_S9_lSA_T11_S9_li,"axG",@progbits,_ZL29rocblas_internal_gemmt_kernelIiLi16ELi32ELi8ELc78ELc84ELc85ELb0ELb0E19rocblas_complex_numIdEPKS1_PKS3_PKPS1_EviT_T9_T10_S9_lSB_S9_lSA_T11_S9_li,comdat
.Lfunc_end397:
	.size	_ZL29rocblas_internal_gemmt_kernelIiLi16ELi32ELi8ELc78ELc84ELc85ELb0ELb0E19rocblas_complex_numIdEPKS1_PKS3_PKPS1_EviT_T9_T10_S9_lSB_S9_lSA_T11_S9_li, .Lfunc_end397-_ZL29rocblas_internal_gemmt_kernelIiLi16ELi32ELi8ELc78ELc84ELc85ELb0ELb0E19rocblas_complex_numIdEPKS1_PKS3_PKPS1_EviT_T9_T10_S9_lSB_S9_lSA_T11_S9_li
                                        ; -- End function
	.set _ZL29rocblas_internal_gemmt_kernelIiLi16ELi32ELi8ELc78ELc84ELc85ELb0ELb0E19rocblas_complex_numIdEPKS1_PKS3_PKPS1_EviT_T9_T10_S9_lSB_S9_lSA_T11_S9_li.num_vgpr, 133
	.set _ZL29rocblas_internal_gemmt_kernelIiLi16ELi32ELi8ELc78ELc84ELc85ELb0ELb0E19rocblas_complex_numIdEPKS1_PKS3_PKPS1_EviT_T9_T10_S9_lSB_S9_lSA_T11_S9_li.num_agpr, 0
	.set _ZL29rocblas_internal_gemmt_kernelIiLi16ELi32ELi8ELc78ELc84ELc85ELb0ELb0E19rocblas_complex_numIdEPKS1_PKS3_PKPS1_EviT_T9_T10_S9_lSB_S9_lSA_T11_S9_li.numbered_sgpr, 42
	.set _ZL29rocblas_internal_gemmt_kernelIiLi16ELi32ELi8ELc78ELc84ELc85ELb0ELb0E19rocblas_complex_numIdEPKS1_PKS3_PKPS1_EviT_T9_T10_S9_lSB_S9_lSA_T11_S9_li.num_named_barrier, 0
	.set _ZL29rocblas_internal_gemmt_kernelIiLi16ELi32ELi8ELc78ELc84ELc85ELb0ELb0E19rocblas_complex_numIdEPKS1_PKS3_PKPS1_EviT_T9_T10_S9_lSB_S9_lSA_T11_S9_li.private_seg_size, 0
	.set _ZL29rocblas_internal_gemmt_kernelIiLi16ELi32ELi8ELc78ELc84ELc85ELb0ELb0E19rocblas_complex_numIdEPKS1_PKS3_PKPS1_EviT_T9_T10_S9_lSB_S9_lSA_T11_S9_li.uses_vcc, 1
	.set _ZL29rocblas_internal_gemmt_kernelIiLi16ELi32ELi8ELc78ELc84ELc85ELb0ELb0E19rocblas_complex_numIdEPKS1_PKS3_PKPS1_EviT_T9_T10_S9_lSB_S9_lSA_T11_S9_li.uses_flat_scratch, 0
	.set _ZL29rocblas_internal_gemmt_kernelIiLi16ELi32ELi8ELc78ELc84ELc85ELb0ELb0E19rocblas_complex_numIdEPKS1_PKS3_PKPS1_EviT_T9_T10_S9_lSB_S9_lSA_T11_S9_li.has_dyn_sized_stack, 0
	.set _ZL29rocblas_internal_gemmt_kernelIiLi16ELi32ELi8ELc78ELc84ELc85ELb0ELb0E19rocblas_complex_numIdEPKS1_PKS3_PKPS1_EviT_T9_T10_S9_lSB_S9_lSA_T11_S9_li.has_recursion, 0
	.set _ZL29rocblas_internal_gemmt_kernelIiLi16ELi32ELi8ELc78ELc84ELc85ELb0ELb0E19rocblas_complex_numIdEPKS1_PKS3_PKPS1_EviT_T9_T10_S9_lSB_S9_lSA_T11_S9_li.has_indirect_call, 0
	.section	.AMDGPU.csdata,"",@progbits
; Kernel info:
; codeLenInByte = 3480
; TotalNumSgprs: 44
; NumVgprs: 133
; ScratchSize: 0
; MemoryBound: 0
; FloatMode: 240
; IeeeMode: 1
; LDSByteSize: 8192 bytes/workgroup (compile time only)
; SGPRBlocks: 0
; VGPRBlocks: 16
; NumSGPRsForWavesPerEU: 44
; NumVGPRsForWavesPerEU: 133
; Occupancy: 10
; WaveLimiterHint : 1
; COMPUTE_PGM_RSRC2:SCRATCH_EN: 0
; COMPUTE_PGM_RSRC2:USER_SGPR: 2
; COMPUTE_PGM_RSRC2:TRAP_HANDLER: 0
; COMPUTE_PGM_RSRC2:TGID_X_EN: 1
; COMPUTE_PGM_RSRC2:TGID_Y_EN: 1
; COMPUTE_PGM_RSRC2:TGID_Z_EN: 1
; COMPUTE_PGM_RSRC2:TIDIG_COMP_CNT: 1
	.section	.text._ZL29rocblas_internal_gemmt_kernelIiLi16ELi32ELi8ELc78ELc67ELc85ELb0ELb1E19rocblas_complex_numIdEPKS1_PKS3_PKPS1_EviT_T9_T10_S9_lSB_S9_lSA_T11_S9_li,"axG",@progbits,_ZL29rocblas_internal_gemmt_kernelIiLi16ELi32ELi8ELc78ELc67ELc85ELb0ELb1E19rocblas_complex_numIdEPKS1_PKS3_PKPS1_EviT_T9_T10_S9_lSB_S9_lSA_T11_S9_li,comdat
	.globl	_ZL29rocblas_internal_gemmt_kernelIiLi16ELi32ELi8ELc78ELc67ELc85ELb0ELb1E19rocblas_complex_numIdEPKS1_PKS3_PKPS1_EviT_T9_T10_S9_lSB_S9_lSA_T11_S9_li ; -- Begin function _ZL29rocblas_internal_gemmt_kernelIiLi16ELi32ELi8ELc78ELc67ELc85ELb0ELb1E19rocblas_complex_numIdEPKS1_PKS3_PKPS1_EviT_T9_T10_S9_lSB_S9_lSA_T11_S9_li
	.p2align	8
	.type	_ZL29rocblas_internal_gemmt_kernelIiLi16ELi32ELi8ELc78ELc67ELc85ELb0ELb1E19rocblas_complex_numIdEPKS1_PKS3_PKPS1_EviT_T9_T10_S9_lSB_S9_lSA_T11_S9_li,@function
_ZL29rocblas_internal_gemmt_kernelIiLi16ELi32ELi8ELc78ELc67ELc85ELb0ELb1E19rocblas_complex_numIdEPKS1_PKS3_PKPS1_EviT_T9_T10_S9_lSB_S9_lSA_T11_S9_li: ; @_ZL29rocblas_internal_gemmt_kernelIiLi16ELi32ELi8ELc78ELc67ELc85ELb0ELb1E19rocblas_complex_numIdEPKS1_PKS3_PKPS1_EviT_T9_T10_S9_lSB_S9_lSA_T11_S9_li
; %bb.0:
	s_load_b128 s[20:23], s[0:1], 0x38
	s_wait_kmcnt 0x0
	s_load_b128 s[4:7], s[22:23], 0x0
	s_clause 0x1
	s_load_b128 s[8:11], s[0:1], 0x8
	s_load_b64 s[22:23], s[0:1], 0x0
	s_wait_kmcnt 0x0
	s_load_b128 s[12:15], s[8:9], 0x0
	v_cmp_eq_f64_e64 s2, s[4:5], 1.0
	v_cmp_eq_f64_e64 s27, s[6:7], 0
	s_and_b32 s2, s2, s27
	s_delay_alu instid0(SALU_CYCLE_1)
	s_and_not1_b32 vcc_lo, exec_lo, s2
	s_mov_b32 s2, -1
	s_cbranch_vccnz .LBB398_3
; %bb.1:
	s_cmp_lg_u32 s23, 0
	s_cbranch_scc0 .LBB398_36
; %bb.2:
	s_wait_kmcnt 0x0
	v_cmp_neq_f64_e64 s2, s[12:13], 0
	v_cmp_neq_f64_e64 s3, s[14:15], 0
	s_or_b32 s2, s2, s3
.LBB398_3:
	s_delay_alu instid0(SALU_CYCLE_1)
	s_and_b32 vcc_lo, exec_lo, s2
	s_cbranch_vccz .LBB398_37
; %bb.4:
	s_load_b32 s33, s[0:1], 0x60
	s_lshr_b32 s8, ttmp7, 16
	s_wait_kmcnt 0x0
	s_cmp_ge_u32 s8, s33
	s_cbranch_scc1 .LBB398_37
; %bb.5:
	v_cmp_neq_f64_e64 s34, s[12:13], 0
	v_cmp_neq_f64_e64 s35, s[14:15], 0
	;; [unrolled: 1-line block ×3, first 2 shown]
	v_and_b32_e32 v1, 0x3ff, v0
	v_bfe_u32 v2, v0, 10, 10
	s_clause 0x4
	s_load_b32 s38, s[0:1], 0x18
	s_load_b128 s[16:19], s[0:1], 0x20
	s_load_b32 s28, s[0:1], 0x30
	s_load_b96 s[24:26], s[0:1], 0x48
	s_load_b64 s[30:31], s[0:1], 0x58
	v_and_b32_e32 v35, 7, v0
	s_lshl_b32 s0, ttmp9, 5
	v_lshlrev_b32_e32 v36, 4, v1
	v_lshl_add_u32 v0, v2, 4, v1
	v_add_nc_u32_e32 v5, s0, v1
	s_lshl_b32 s1, ttmp7, 5
	v_lshl_add_u32 v37, v2, 7, 0x1000
	s_wait_alu 0xfffe
	s_and_b32 s2, s1, 0x1fffe0
	v_and_b32_e32 v1, 31, v0
	v_lshrrev_b32_e32 v38, 5, v0
	v_add_nc_u32_e32 v4, s2, v2
	v_lshrrev_b32_e32 v2, 3, v0
	v_add_nc_u32_e32 v7, 16, v5
	v_or_b32_e32 v0, s0, v1
	v_lshlrev_b32_e32 v1, 4, v1
	s_wait_kmcnt 0x0
	v_mad_co_i64_i32 v[9:10], null, v38, s38, 0
	v_lshlrev_b32_e32 v3, 4, v35
	v_cmp_gt_i32_e32 vcc_lo, s22, v4
	v_cmp_le_i32_e64 s1, v5, v4
	v_add_nc_u32_e32 v15, s2, v2
	v_cmp_le_i32_e64 s2, v7, v4
	s_ashr_i32 s39, s38, 31
	s_ashr_i32 s29, s28, 31
	v_lshl_or_b32 v39, v38, 9, v1
	v_add_nc_u32_e32 v1, 16, v4
	v_mad_co_i64_i32 v[11:12], null, s28, v35, 0
	v_lshlrev_b64_e32 v[9:10], 4, v[9:10]
	v_lshl_or_b32 v2, v2, 7, v3
	s_delay_alu instid0(VALU_DEP_4)
	v_mad_co_i64_i32 v[13:14], null, v1, s26, 0
	v_cmp_gt_i32_e64 s3, s22, v0
	s_or_b32 s40, s34, s35
	s_cmp_gt_i32 s23, 0
	v_lshlrev_b64_e32 v[11:12], 4, v[11:12]
	s_cselect_b32 s41, -1, 0
	s_xor_b32 s27, s27, -1
	s_and_b32 s35, vcc_lo, s1
	s_wait_alu 0xfffe
	s_or_b32 s34, s36, s27
	s_and_b32 s36, vcc_lo, s2
	v_cmp_gt_i32_e32 vcc_lo, s22, v1
	v_cmp_le_i32_e64 s1, v5, v1
	v_cmp_le_i32_e64 s2, v7, v1
	v_ashrrev_i32_e32 v1, 31, v0
	s_lshl_b64 s[16:17], s[16:17], 4
	v_cmp_gt_i32_e64 s0, s22, v15
	v_add_nc_u32_e32 v40, 0x1000, v2
	v_mad_co_i64_i32 v[2:3], null, v4, s26, 0
	s_and_b32 s22, vcc_lo, s1
	s_and_b32 s37, vcc_lo, s2
	v_add_co_u32 v4, vcc_lo, v9, s16
	v_lshlrev_b64_e32 v[0:1], 4, v[0:1]
	v_add_co_ci_u32_e64 v9, null, s17, v10, vcc_lo
	s_lshl_b64 s[16:17], s[20:21], 4
	v_ashrrev_i32_e32 v6, 31, v5
	s_wait_alu 0xfffe
	v_add_co_u32 v10, vcc_lo, v11, s16
	v_lshlrev_b32_e32 v11, 4, v15
	v_add_co_u32 v41, s1, v4, v0
	s_wait_alu 0xf1ff
	v_add_co_ci_u32_e64 v42, null, v9, v1, s1
	s_wait_alu 0xfffd
	v_add_co_ci_u32_e64 v1, null, s17, v12, vcc_lo
	v_add_co_u32 v4, vcc_lo, v10, v11
	v_lshlrev_b64_e32 v[9:10], 4, v[2:3]
	v_lshlrev_b64_e32 v[11:12], 4, v[13:14]
	v_ashrrev_i32_e32 v8, 31, v7
	v_mov_b32_e32 v0, 0
	s_wait_alu 0xfffd
	v_add_co_ci_u32_e64 v43, null, 0, v1, vcc_lo
	v_or_b32_e32 v44, 8, v4
	s_mov_b32 s9, 0
	s_lshl_b64 s[16:17], s[38:39], 7
	s_and_b32 s1, s40, s41
	s_lshl_b64 s[20:21], s[28:29], 7
	s_xor_b32 s28, s3, -1
	s_lshl_b64 s[2:3], s[30:31], 4
	s_branch .LBB398_7
.LBB398_6:                              ;   in Loop: Header=BB398_7 Depth=1
	s_wait_alu 0xfffe
	s_or_b32 exec_lo, exec_lo, s26
	s_add_co_i32 s8, s8, 0x10000
	s_delay_alu instid0(SALU_CYCLE_1)
	s_cmp_lt_u32 s8, s33
	s_cbranch_scc0 .LBB398_37
.LBB398_7:                              ; =>This Loop Header: Depth=1
                                        ;     Child Loop BB398_10 Depth 2
	s_lshl_b64 s[26:27], s[8:9], 3
	v_mov_b32_e32 v31, 0
	s_wait_alu 0xfffe
	s_add_nc_u64 s[30:31], s[24:25], s[26:27]
	v_mov_b32_e32 v27, 0
	global_load_b64 v[13:14], v0, s[30:31]
	v_mov_b32_e32 v23, 0
	v_dual_mov_b32 v21, 0 :: v_dual_mov_b32 v32, 0
	v_dual_mov_b32 v33, 0 :: v_dual_mov_b32 v28, 0
	v_dual_mov_b32 v29, 0 :: v_dual_mov_b32 v24, 0
	v_dual_mov_b32 v25, 0 :: v_dual_mov_b32 v22, 0
	v_dual_mov_b32 v19, 0 :: v_dual_mov_b32 v34, 0
	v_mov_b32_e32 v30, 0
	v_mov_b32_e32 v26, 0
	;; [unrolled: 1-line block ×3, first 2 shown]
	s_and_not1_b32 vcc_lo, exec_lo, s1
	s_wait_alu 0xfffe
	s_cbranch_vccnz .LBB398_16
; %bb.8:                                ;   in Loop: Header=BB398_7 Depth=1
	s_add_nc_u64 s[30:31], s[10:11], s[26:27]
	s_add_nc_u64 s[26:27], s[18:19], s[26:27]
	s_clause 0x1
	global_load_b64 v[1:2], v0, s[30:31]
	global_load_b64 v[3:4], v0, s[26:27]
	v_mov_b32_e32 v19, 0
	v_mov_b32_e32 v25, 0
	;; [unrolled: 1-line block ×3, first 2 shown]
	v_dual_mov_b32 v33, 0 :: v_dual_mov_b32 v20, 0
	v_dual_mov_b32 v21, 0 :: v_dual_mov_b32 v26, 0
	;; [unrolled: 1-line block ×5, first 2 shown]
	v_mov_b32_e32 v24, 0
	v_mov_b32_e32 v28, 0
	;; [unrolled: 1-line block ×3, first 2 shown]
	s_mov_b32 s26, 0
	s_wait_loadcnt 0x1
	v_add_co_u32 v15, vcc_lo, v1, v41
	s_wait_alu 0xfffd
	v_add_co_ci_u32_e64 v16, null, v2, v42, vcc_lo
	s_wait_loadcnt 0x0
	v_add_co_u32 v17, vcc_lo, v3, v44
	s_wait_alu 0xfffd
	v_add_co_ci_u32_e64 v18, null, v4, v43, vcc_lo
	s_branch .LBB398_10
.LBB398_9:                              ;   in Loop: Header=BB398_10 Depth=2
	s_wait_alu 0xfffe
	s_or_b32 exec_lo, exec_lo, s27
	ds_store_b128 v40, v[1:4]
	s_wait_dscnt 0x0
	s_barrier_signal -1
	s_barrier_wait -1
	global_inv scope:SCOPE_SE
	ds_load_b128 v[1:4], v37
	ds_load_b128 v[45:48], v36
	ds_load_b128 v[49:52], v36 offset:256
	ds_load_b128 v[53:56], v37 offset:2048
	;; [unrolled: 1-line block ×10, first 2 shown]
	v_add_co_u32 v15, vcc_lo, v15, s16
	s_wait_alu 0xfffd
	v_add_co_ci_u32_e64 v16, null, s17, v16, vcc_lo
	v_add_co_u32 v17, vcc_lo, v17, s20
	s_wait_alu 0xfffd
	v_add_co_ci_u32_e64 v18, null, s21, v18, vcc_lo
	s_add_co_i32 s26, s26, 8
	s_wait_alu 0xfffe
	s_cmp_lt_i32 s26, s23
	s_wait_dscnt 0xa
	v_mul_f64_e32 v[89:90], v[3:4], v[47:48]
	v_mul_f64_e32 v[91:92], v[1:2], v[47:48]
	s_wait_dscnt 0x9
	v_mul_f64_e32 v[93:94], v[3:4], v[51:52]
	v_mul_f64_e32 v[95:96], v[1:2], v[51:52]
	;; [unrolled: 3-line block ×3, first 2 shown]
	v_mul_f64_e32 v[99:100], v[55:56], v[51:52]
	v_mul_f64_e32 v[51:52], v[53:54], v[51:52]
	s_wait_dscnt 0x5
	v_mul_f64_e32 v[101:102], v[59:60], v[67:68]
	v_mul_f64_e32 v[103:104], v[57:58], v[67:68]
	s_wait_dscnt 0x4
	v_mul_f64_e32 v[105:106], v[59:60], v[71:72]
	v_mul_f64_e32 v[107:108], v[57:58], v[71:72]
	;; [unrolled: 1-line block ×6, first 2 shown]
	s_wait_dscnt 0x2
	v_mul_f64_e32 v[117:118], v[75:76], v[79:80]
	v_mul_f64_e32 v[119:120], v[73:74], v[79:80]
	s_wait_dscnt 0x1
	v_mul_f64_e32 v[121:122], v[75:76], v[83:84]
	v_mul_f64_e32 v[123:124], v[73:74], v[83:84]
	;; [unrolled: 3-line block ×3, first 2 shown]
	v_mul_f64_e32 v[127:128], v[87:88], v[83:84]
	v_mul_f64_e32 v[83:84], v[85:86], v[83:84]
	v_fma_f64 v[89:90], v[1:2], v[45:46], -v[89:90]
	v_fma_f64 v[91:92], v[3:4], v[45:46], v[91:92]
	v_fma_f64 v[93:94], v[1:2], v[49:50], -v[93:94]
	v_fma_f64 v[95:96], v[3:4], v[49:50], v[95:96]
	;; [unrolled: 2-line block ×8, first 2 shown]
	ds_load_b128 v[1:4], v37 offset:48
	ds_load_b128 v[45:48], v37 offset:2096
	;; [unrolled: 1-line block ×4, first 2 shown]
	v_fma_f64 v[117:118], v[73:74], v[77:78], -v[117:118]
	v_fma_f64 v[119:120], v[75:76], v[77:78], v[119:120]
	v_fma_f64 v[73:74], v[73:74], v[81:82], -v[121:122]
	v_fma_f64 v[75:76], v[75:76], v[81:82], v[123:124]
	;; [unrolled: 2-line block ×4, first 2 shown]
	s_wait_dscnt 0x1
	v_mul_f64_e32 v[107:108], v[1:2], v[51:52]
	s_wait_dscnt 0x0
	v_mul_f64_e32 v[109:110], v[3:4], v[55:56]
	v_mul_f64_e32 v[111:112], v[1:2], v[55:56]
	v_add_f64_e32 v[67:68], v[31:32], v[89:90]
	v_add_f64_e32 v[69:70], v[91:92], v[33:34]
	;; [unrolled: 1-line block ×8, first 2 shown]
	v_mul_f64_e32 v[99:100], v[3:4], v[51:52]
	v_mul_f64_e32 v[113:114], v[47:48], v[51:52]
	;; [unrolled: 1-line block ×5, first 2 shown]
	ds_load_b128 v[19:22], v37 offset:64
	ds_load_b128 v[23:26], v36 offset:2048
	;; [unrolled: 1-line block ×4, first 2 shown]
	s_wait_dscnt 0x0
	v_mul_f64_e32 v[123:124], v[33:34], v[25:26]
	v_mul_f64_e32 v[125:126], v[33:34], v[29:30]
	v_fma_f64 v[107:108], v[3:4], v[49:50], v[107:108]
	v_fma_f64 v[109:110], v[1:2], v[53:54], -v[109:110]
	v_fma_f64 v[111:112], v[3:4], v[53:54], v[111:112]
	v_add_f64_e32 v[83:84], v[67:68], v[101:102]
	v_add_f64_e32 v[85:86], v[103:104], v[69:70]
	;; [unrolled: 1-line block ×8, first 2 shown]
	v_mul_f64_e32 v[97:98], v[21:22], v[25:26]
	v_mul_f64_e32 v[101:102], v[19:20], v[25:26]
	;; [unrolled: 1-line block ×6, first 2 shown]
	v_fma_f64 v[99:100], v[1:2], v[49:50], -v[99:100]
	v_fma_f64 v[113:114], v[45:46], v[49:50], -v[113:114]
	v_fma_f64 v[127:128], v[47:48], v[49:50], v[51:52]
	v_fma_f64 v[115:116], v[45:46], v[53:54], -v[115:116]
	v_fma_f64 v[53:54], v[47:48], v[53:54], v[129:130]
	ds_load_b128 v[55:58], v37 offset:80
	ds_load_b128 v[59:62], v37 offset:2128
	ds_load_b128 v[63:66], v36 offset:2560
	ds_load_b128 v[67:70], v36 offset:2816
	v_fma_f64 v[123:124], v[31:32], v[23:24], -v[123:124]
	v_fma_f64 v[125:126], v[31:32], v[27:28], -v[125:126]
	v_add_f64_e32 v[83:84], v[83:84], v[117:118]
	v_add_f64_e32 v[85:86], v[119:120], v[85:86]
	;; [unrolled: 1-line block ×8, first 2 shown]
	s_wait_dscnt 0x1
	v_mul_f64_e32 v[89:90], v[57:58], v[65:66]
	v_mul_f64_e32 v[91:92], v[55:56], v[65:66]
	s_wait_dscnt 0x0
	v_mul_f64_e32 v[93:94], v[57:58], v[69:70]
	v_mul_f64_e32 v[95:96], v[55:56], v[69:70]
	;; [unrolled: 1-line block ×6, first 2 shown]
	v_fma_f64 v[97:98], v[19:20], v[23:24], -v[97:98]
	v_fma_f64 v[101:102], v[21:22], v[23:24], v[101:102]
	v_fma_f64 v[103:104], v[19:20], v[27:28], -v[103:104]
	v_fma_f64 v[105:106], v[21:22], v[27:28], v[105:106]
	v_fma_f64 v[129:130], v[33:34], v[23:24], v[25:26]
	;; [unrolled: 1-line block ×3, first 2 shown]
	ds_load_b128 v[1:4], v37 offset:96
	ds_load_b128 v[45:48], v36 offset:3072
	ds_load_b128 v[49:52], v36 offset:3328
	ds_load_b128 v[71:74], v37 offset:2144
	ds_load_b128 v[19:22], v37 offset:112
	ds_load_b128 v[23:26], v37 offset:2160
	ds_load_b128 v[27:30], v36 offset:3584
	ds_load_b128 v[31:34], v36 offset:3840
	s_wait_loadcnt_dscnt 0x0
	s_barrier_signal -1
	s_barrier_wait -1
	global_inv scope:SCOPE_SE
	v_add_f64_e32 v[83:84], v[83:84], v[99:100]
	v_add_f64_e32 v[85:86], v[107:108], v[85:86]
	;; [unrolled: 1-line block ×8, first 2 shown]
	v_mul_f64_e32 v[81:82], v[3:4], v[47:48]
	v_mul_f64_e32 v[107:108], v[1:2], v[47:48]
	v_mul_f64_e32 v[109:110], v[3:4], v[51:52]
	v_mul_f64_e32 v[111:112], v[1:2], v[51:52]
	v_mul_f64_e32 v[113:114], v[73:74], v[47:48]
	v_mul_f64_e32 v[47:48], v[71:72], v[47:48]
	v_mul_f64_e32 v[115:116], v[73:74], v[51:52]
	v_mul_f64_e32 v[51:52], v[71:72], v[51:52]
	v_fma_f64 v[89:90], v[55:56], v[63:64], -v[89:90]
	v_fma_f64 v[91:92], v[57:58], v[63:64], v[91:92]
	v_fma_f64 v[55:56], v[55:56], v[67:68], -v[93:94]
	v_fma_f64 v[57:58], v[57:58], v[67:68], v[95:96]
	;; [unrolled: 2-line block ×4, first 2 shown]
	v_mul_f64_e32 v[95:96], v[21:22], v[33:34]
	v_add_f64_e32 v[65:66], v[83:84], v[97:98]
	v_add_f64_e32 v[67:68], v[101:102], v[85:86]
	;; [unrolled: 1-line block ×8, first 2 shown]
	v_mul_f64_e32 v[85:86], v[21:22], v[29:30]
	v_mul_f64_e32 v[87:88], v[19:20], v[29:30]
	;; [unrolled: 1-line block ×7, first 2 shown]
	v_fma_f64 v[81:82], v[1:2], v[45:46], -v[81:82]
	v_fma_f64 v[103:104], v[3:4], v[45:46], v[107:108]
	v_fma_f64 v[1:2], v[1:2], v[49:50], -v[109:110]
	v_fma_f64 v[3:4], v[3:4], v[49:50], v[111:112]
	;; [unrolled: 2-line block ×4, first 2 shown]
	v_add_f64_e32 v[51:52], v[65:66], v[89:90]
	v_add_f64_e32 v[65:66], v[91:92], v[67:68]
	;; [unrolled: 1-line block ×8, first 2 shown]
	v_fma_f64 v[61:62], v[19:20], v[27:28], -v[85:86]
	v_fma_f64 v[69:70], v[21:22], v[27:28], v[87:88]
	v_fma_f64 v[19:20], v[19:20], v[31:32], -v[95:96]
	v_fma_f64 v[21:22], v[21:22], v[31:32], v[97:98]
	;; [unrolled: 2-line block ×4, first 2 shown]
	v_add_f64_e32 v[23:24], v[51:52], v[81:82]
	v_add_f64_e32 v[25:26], v[103:104], v[65:66]
	;; [unrolled: 1-line block ×16, first 2 shown]
	s_cbranch_scc0 .LBB398_16
.LBB398_10:                             ;   Parent Loop BB398_7 Depth=1
                                        ; =>  This Inner Loop Header: Depth=2
	s_wait_alu 0xfffe
	v_add_nc_u32_e32 v1, s26, v38
	s_delay_alu instid0(VALU_DEP_1)
	v_cmp_le_i32_e32 vcc_lo, s23, v1
	s_or_b32 s27, s28, vcc_lo
	s_wait_alu 0xfffe
	s_and_saveexec_b32 s29, s27
	s_wait_alu 0xfffe
	s_xor_b32 s27, exec_lo, s29
; %bb.11:                               ;   in Loop: Header=BB398_10 Depth=2
	v_dual_mov_b32 v1, v0 :: v_dual_mov_b32 v2, v0
	v_mov_b32_e32 v3, v0
	ds_store_b128 v39, v[0:3]
; %bb.12:                               ;   in Loop: Header=BB398_10 Depth=2
	s_wait_alu 0xfffe
	s_and_not1_saveexec_b32 s27, s27
	s_cbranch_execz .LBB398_14
; %bb.13:                               ;   in Loop: Header=BB398_10 Depth=2
	flat_load_b128 v[1:4], v[15:16]
	s_wait_loadcnt_dscnt 0x0
	ds_store_2addr_b64 v39, v[1:2], v[3:4] offset1:1
.LBB398_14:                             ;   in Loop: Header=BB398_10 Depth=2
	s_wait_alu 0xfffe
	s_or_b32 exec_lo, exec_lo, s27
	v_add_nc_u32_e32 v1, s26, v35
	v_mov_b32_e32 v3, 0
	v_mov_b32_e32 v4, 0
	s_delay_alu instid0(VALU_DEP_3)
	v_cmp_gt_i32_e32 vcc_lo, s23, v1
	v_mov_b32_e32 v1, 0
	v_mov_b32_e32 v2, 0
	s_and_b32 s29, vcc_lo, s0
	s_wait_alu 0xfffe
	s_and_saveexec_b32 s27, s29
	s_cbranch_execz .LBB398_9
; %bb.15:                               ;   in Loop: Header=BB398_10 Depth=2
	flat_load_b128 v[1:4], v[17:18] offset:-8
	s_wait_loadcnt_dscnt 0x0
	v_xor_b32_e32 v4, 0x80000000, v4
	s_branch .LBB398_9
.LBB398_16:                             ;   in Loop: Header=BB398_7 Depth=1
	s_wait_loadcnt 0x0
	v_add_co_u32 v13, vcc_lo, v13, s2
	s_wait_alu 0xfffd
	v_add_co_ci_u32_e64 v14, null, s3, v14, vcc_lo
	s_delay_alu instid0(VALU_DEP_2) | instskip(SKIP_1) | instid1(VALU_DEP_2)
	v_add_co_u32 v15, vcc_lo, v13, v9
	s_wait_alu 0xfffd
	v_add_co_ci_u32_e64 v16, null, v14, v10, vcc_lo
	s_and_saveexec_b32 s26, s35
	s_cbranch_execz .LBB398_21
; %bb.17:                               ;   in Loop: Header=BB398_7 Depth=1
	v_mul_f64_e32 v[1:2], s[14:15], v[33:34]
	v_mul_f64_e32 v[3:4], s[12:13], v[33:34]
	s_and_b32 vcc_lo, exec_lo, s34
	s_mov_b32 s27, -1
	s_delay_alu instid0(VALU_DEP_2) | instskip(NEXT) | instid1(VALU_DEP_2)
	v_fma_f64 v[1:2], s[12:13], v[31:32], -v[1:2]
	v_fma_f64 v[3:4], s[14:15], v[31:32], v[3:4]
	s_wait_alu 0xfffe
	s_cbranch_vccz .LBB398_19
; %bb.18:                               ;   in Loop: Header=BB398_7 Depth=1
	v_lshlrev_b64_e32 v[17:18], 4, v[5:6]
	s_mov_b32 s27, 0
	s_delay_alu instid0(VALU_DEP_1) | instskip(SKIP_1) | instid1(VALU_DEP_2)
	v_add_co_u32 v17, vcc_lo, v15, v17
	s_wait_alu 0xfffd
	v_add_co_ci_u32_e64 v18, null, v16, v18, vcc_lo
	flat_load_b128 v[31:34], v[17:18]
	s_wait_loadcnt_dscnt 0x0
	v_mul_f64_e32 v[45:46], s[6:7], v[33:34]
	v_mul_f64_e32 v[33:34], s[4:5], v[33:34]
	s_delay_alu instid0(VALU_DEP_2) | instskip(NEXT) | instid1(VALU_DEP_2)
	v_fma_f64 v[45:46], s[4:5], v[31:32], -v[45:46]
	v_fma_f64 v[33:34], s[6:7], v[31:32], v[33:34]
	s_delay_alu instid0(VALU_DEP_2) | instskip(NEXT) | instid1(VALU_DEP_2)
	v_add_f64_e32 v[31:32], v[1:2], v[45:46]
	v_add_f64_e32 v[33:34], v[3:4], v[33:34]
	flat_store_b128 v[17:18], v[31:34]
.LBB398_19:                             ;   in Loop: Header=BB398_7 Depth=1
	s_wait_alu 0xfffe
	s_and_not1_b32 vcc_lo, exec_lo, s27
	s_wait_alu 0xfffe
	s_cbranch_vccnz .LBB398_21
; %bb.20:                               ;   in Loop: Header=BB398_7 Depth=1
	v_lshlrev_b64_e32 v[17:18], 4, v[5:6]
	s_delay_alu instid0(VALU_DEP_1) | instskip(SKIP_1) | instid1(VALU_DEP_2)
	v_add_co_u32 v17, vcc_lo, v15, v17
	s_wait_alu 0xfffd
	v_add_co_ci_u32_e64 v18, null, v16, v18, vcc_lo
	flat_store_b128 v[17:18], v[1:4]
.LBB398_21:                             ;   in Loop: Header=BB398_7 Depth=1
	s_wait_alu 0xfffe
	s_or_b32 exec_lo, exec_lo, s26
	s_and_saveexec_b32 s26, s36
	s_cbranch_execz .LBB398_26
; %bb.22:                               ;   in Loop: Header=BB398_7 Depth=1
	v_mul_f64_e32 v[1:2], s[14:15], v[29:30]
	v_mul_f64_e32 v[3:4], s[12:13], v[29:30]
	s_and_not1_b32 vcc_lo, exec_lo, s34
	s_mov_b32 s27, -1
	s_delay_alu instid0(VALU_DEP_2) | instskip(NEXT) | instid1(VALU_DEP_2)
	v_fma_f64 v[1:2], s[12:13], v[27:28], -v[1:2]
	v_fma_f64 v[3:4], s[14:15], v[27:28], v[3:4]
	s_wait_alu 0xfffe
	s_cbranch_vccnz .LBB398_24
; %bb.23:                               ;   in Loop: Header=BB398_7 Depth=1
	v_lshlrev_b64_e32 v[17:18], 4, v[7:8]
	s_mov_b32 s27, 0
	s_delay_alu instid0(VALU_DEP_1) | instskip(SKIP_1) | instid1(VALU_DEP_2)
	v_add_co_u32 v17, vcc_lo, v15, v17
	s_wait_alu 0xfffd
	v_add_co_ci_u32_e64 v18, null, v16, v18, vcc_lo
	flat_load_b128 v[27:30], v[17:18]
	s_wait_loadcnt_dscnt 0x0
	v_mul_f64_e32 v[31:32], s[6:7], v[29:30]
	v_mul_f64_e32 v[29:30], s[4:5], v[29:30]
	s_delay_alu instid0(VALU_DEP_2) | instskip(NEXT) | instid1(VALU_DEP_2)
	v_fma_f64 v[31:32], s[4:5], v[27:28], -v[31:32]
	v_fma_f64 v[29:30], s[6:7], v[27:28], v[29:30]
	s_delay_alu instid0(VALU_DEP_2) | instskip(NEXT) | instid1(VALU_DEP_2)
	v_add_f64_e32 v[27:28], v[1:2], v[31:32]
	v_add_f64_e32 v[29:30], v[3:4], v[29:30]
	flat_store_b128 v[17:18], v[27:30]
.LBB398_24:                             ;   in Loop: Header=BB398_7 Depth=1
	s_wait_alu 0xfffe
	s_and_not1_b32 vcc_lo, exec_lo, s27
	s_wait_alu 0xfffe
	s_cbranch_vccnz .LBB398_26
; %bb.25:                               ;   in Loop: Header=BB398_7 Depth=1
	v_lshlrev_b64_e32 v[17:18], 4, v[7:8]
	s_delay_alu instid0(VALU_DEP_1) | instskip(SKIP_1) | instid1(VALU_DEP_2)
	v_add_co_u32 v15, vcc_lo, v15, v17
	s_wait_alu 0xfffd
	v_add_co_ci_u32_e64 v16, null, v16, v18, vcc_lo
	flat_store_b128 v[15:16], v[1:4]
.LBB398_26:                             ;   in Loop: Header=BB398_7 Depth=1
	s_wait_alu 0xfffe
	s_or_b32 exec_lo, exec_lo, s26
	v_add_co_u32 v15, vcc_lo, v13, v11
	s_wait_alu 0xfffd
	v_add_co_ci_u32_e64 v16, null, v14, v12, vcc_lo
	s_and_saveexec_b32 s26, s22
	s_cbranch_execz .LBB398_31
; %bb.27:                               ;   in Loop: Header=BB398_7 Depth=1
	v_mul_f64_e32 v[1:2], s[14:15], v[25:26]
	v_mul_f64_e32 v[3:4], s[12:13], v[25:26]
	v_lshlrev_b64_e32 v[13:14], 4, v[5:6]
	s_and_not1_b32 vcc_lo, exec_lo, s34
	s_mov_b32 s27, -1
	s_delay_alu instid0(VALU_DEP_3) | instskip(NEXT) | instid1(VALU_DEP_3)
	v_fma_f64 v[1:2], s[12:13], v[23:24], -v[1:2]
	v_fma_f64 v[3:4], s[14:15], v[23:24], v[3:4]
	s_wait_alu 0xfffe
	s_cbranch_vccnz .LBB398_29
; %bb.28:                               ;   in Loop: Header=BB398_7 Depth=1
	v_add_co_u32 v17, vcc_lo, v15, v13
	s_wait_alu 0xfffd
	v_add_co_ci_u32_e64 v18, null, v16, v14, vcc_lo
	s_mov_b32 s27, 0
	flat_load_b128 v[23:26], v[17:18]
	s_wait_loadcnt_dscnt 0x0
	v_mul_f64_e32 v[27:28], s[6:7], v[25:26]
	v_mul_f64_e32 v[25:26], s[4:5], v[25:26]
	s_delay_alu instid0(VALU_DEP_2) | instskip(NEXT) | instid1(VALU_DEP_2)
	v_fma_f64 v[27:28], s[4:5], v[23:24], -v[27:28]
	v_fma_f64 v[25:26], s[6:7], v[23:24], v[25:26]
	s_delay_alu instid0(VALU_DEP_2) | instskip(NEXT) | instid1(VALU_DEP_2)
	v_add_f64_e32 v[23:24], v[1:2], v[27:28]
	v_add_f64_e32 v[25:26], v[3:4], v[25:26]
	flat_store_b128 v[17:18], v[23:26]
.LBB398_29:                             ;   in Loop: Header=BB398_7 Depth=1
	s_wait_alu 0xfffe
	s_and_not1_b32 vcc_lo, exec_lo, s27
	s_wait_alu 0xfffe
	s_cbranch_vccnz .LBB398_31
; %bb.30:                               ;   in Loop: Header=BB398_7 Depth=1
	v_add_co_u32 v13, vcc_lo, v15, v13
	s_wait_alu 0xfffd
	v_add_co_ci_u32_e64 v14, null, v16, v14, vcc_lo
	flat_store_b128 v[13:14], v[1:4]
.LBB398_31:                             ;   in Loop: Header=BB398_7 Depth=1
	s_wait_alu 0xfffe
	s_or_b32 exec_lo, exec_lo, s26
	s_and_saveexec_b32 s26, s37
	s_cbranch_execz .LBB398_6
; %bb.32:                               ;   in Loop: Header=BB398_7 Depth=1
	v_mul_f64_e32 v[1:2], s[14:15], v[19:20]
	v_mul_f64_e32 v[3:4], s[12:13], v[19:20]
	v_lshlrev_b64_e32 v[13:14], 4, v[7:8]
	s_and_not1_b32 vcc_lo, exec_lo, s34
	s_mov_b32 s27, -1
	s_delay_alu instid0(VALU_DEP_3) | instskip(NEXT) | instid1(VALU_DEP_3)
	v_fma_f64 v[1:2], s[12:13], v[21:22], -v[1:2]
	v_fma_f64 v[3:4], s[14:15], v[21:22], v[3:4]
	s_wait_alu 0xfffe
	s_cbranch_vccnz .LBB398_34
; %bb.33:                               ;   in Loop: Header=BB398_7 Depth=1
	v_add_co_u32 v21, vcc_lo, v15, v13
	s_wait_alu 0xfffd
	v_add_co_ci_u32_e64 v22, null, v16, v14, vcc_lo
	s_mov_b32 s27, 0
	flat_load_b128 v[17:20], v[21:22]
	s_wait_loadcnt_dscnt 0x0
	v_mul_f64_e32 v[23:24], s[6:7], v[19:20]
	v_mul_f64_e32 v[19:20], s[4:5], v[19:20]
	s_delay_alu instid0(VALU_DEP_2) | instskip(NEXT) | instid1(VALU_DEP_2)
	v_fma_f64 v[23:24], s[4:5], v[17:18], -v[23:24]
	v_fma_f64 v[19:20], s[6:7], v[17:18], v[19:20]
	s_delay_alu instid0(VALU_DEP_2) | instskip(NEXT) | instid1(VALU_DEP_2)
	v_add_f64_e32 v[17:18], v[1:2], v[23:24]
	v_add_f64_e32 v[19:20], v[3:4], v[19:20]
	flat_store_b128 v[21:22], v[17:20]
.LBB398_34:                             ;   in Loop: Header=BB398_7 Depth=1
	s_wait_alu 0xfffe
	s_and_not1_b32 vcc_lo, exec_lo, s27
	s_wait_alu 0xfffe
	s_cbranch_vccnz .LBB398_6
; %bb.35:                               ;   in Loop: Header=BB398_7 Depth=1
	v_add_co_u32 v13, vcc_lo, v15, v13
	s_wait_alu 0xfffd
	v_add_co_ci_u32_e64 v14, null, v16, v14, vcc_lo
	flat_store_b128 v[13:14], v[1:4]
	s_branch .LBB398_6
.LBB398_36:
.LBB398_37:
	s_nop 0
	s_sendmsg sendmsg(MSG_DEALLOC_VGPRS)
	s_endpgm
	.section	.rodata,"a",@progbits
	.p2align	6, 0x0
	.amdhsa_kernel _ZL29rocblas_internal_gemmt_kernelIiLi16ELi32ELi8ELc78ELc67ELc85ELb0ELb1E19rocblas_complex_numIdEPKS1_PKS3_PKPS1_EviT_T9_T10_S9_lSB_S9_lSA_T11_S9_li
		.amdhsa_group_segment_fixed_size 8192
		.amdhsa_private_segment_fixed_size 0
		.amdhsa_kernarg_size 100
		.amdhsa_user_sgpr_count 2
		.amdhsa_user_sgpr_dispatch_ptr 0
		.amdhsa_user_sgpr_queue_ptr 0
		.amdhsa_user_sgpr_kernarg_segment_ptr 1
		.amdhsa_user_sgpr_dispatch_id 0
		.amdhsa_user_sgpr_private_segment_size 0
		.amdhsa_wavefront_size32 1
		.amdhsa_uses_dynamic_stack 0
		.amdhsa_enable_private_segment 0
		.amdhsa_system_sgpr_workgroup_id_x 1
		.amdhsa_system_sgpr_workgroup_id_y 1
		.amdhsa_system_sgpr_workgroup_id_z 1
		.amdhsa_system_sgpr_workgroup_info 0
		.amdhsa_system_vgpr_workitem_id 1
		.amdhsa_next_free_vgpr 133
		.amdhsa_next_free_sgpr 42
		.amdhsa_reserve_vcc 1
		.amdhsa_float_round_mode_32 0
		.amdhsa_float_round_mode_16_64 0
		.amdhsa_float_denorm_mode_32 3
		.amdhsa_float_denorm_mode_16_64 3
		.amdhsa_fp16_overflow 0
		.amdhsa_workgroup_processor_mode 1
		.amdhsa_memory_ordered 1
		.amdhsa_forward_progress 1
		.amdhsa_inst_pref_size 28
		.amdhsa_round_robin_scheduling 0
		.amdhsa_exception_fp_ieee_invalid_op 0
		.amdhsa_exception_fp_denorm_src 0
		.amdhsa_exception_fp_ieee_div_zero 0
		.amdhsa_exception_fp_ieee_overflow 0
		.amdhsa_exception_fp_ieee_underflow 0
		.amdhsa_exception_fp_ieee_inexact 0
		.amdhsa_exception_int_div_zero 0
	.end_amdhsa_kernel
	.section	.text._ZL29rocblas_internal_gemmt_kernelIiLi16ELi32ELi8ELc78ELc67ELc85ELb0ELb1E19rocblas_complex_numIdEPKS1_PKS3_PKPS1_EviT_T9_T10_S9_lSB_S9_lSA_T11_S9_li,"axG",@progbits,_ZL29rocblas_internal_gemmt_kernelIiLi16ELi32ELi8ELc78ELc67ELc85ELb0ELb1E19rocblas_complex_numIdEPKS1_PKS3_PKPS1_EviT_T9_T10_S9_lSB_S9_lSA_T11_S9_li,comdat
.Lfunc_end398:
	.size	_ZL29rocblas_internal_gemmt_kernelIiLi16ELi32ELi8ELc78ELc67ELc85ELb0ELb1E19rocblas_complex_numIdEPKS1_PKS3_PKPS1_EviT_T9_T10_S9_lSB_S9_lSA_T11_S9_li, .Lfunc_end398-_ZL29rocblas_internal_gemmt_kernelIiLi16ELi32ELi8ELc78ELc67ELc85ELb0ELb1E19rocblas_complex_numIdEPKS1_PKS3_PKPS1_EviT_T9_T10_S9_lSB_S9_lSA_T11_S9_li
                                        ; -- End function
	.set _ZL29rocblas_internal_gemmt_kernelIiLi16ELi32ELi8ELc78ELc67ELc85ELb0ELb1E19rocblas_complex_numIdEPKS1_PKS3_PKPS1_EviT_T9_T10_S9_lSB_S9_lSA_T11_S9_li.num_vgpr, 133
	.set _ZL29rocblas_internal_gemmt_kernelIiLi16ELi32ELi8ELc78ELc67ELc85ELb0ELb1E19rocblas_complex_numIdEPKS1_PKS3_PKPS1_EviT_T9_T10_S9_lSB_S9_lSA_T11_S9_li.num_agpr, 0
	.set _ZL29rocblas_internal_gemmt_kernelIiLi16ELi32ELi8ELc78ELc67ELc85ELb0ELb1E19rocblas_complex_numIdEPKS1_PKS3_PKPS1_EviT_T9_T10_S9_lSB_S9_lSA_T11_S9_li.numbered_sgpr, 42
	.set _ZL29rocblas_internal_gemmt_kernelIiLi16ELi32ELi8ELc78ELc67ELc85ELb0ELb1E19rocblas_complex_numIdEPKS1_PKS3_PKPS1_EviT_T9_T10_S9_lSB_S9_lSA_T11_S9_li.num_named_barrier, 0
	.set _ZL29rocblas_internal_gemmt_kernelIiLi16ELi32ELi8ELc78ELc67ELc85ELb0ELb1E19rocblas_complex_numIdEPKS1_PKS3_PKPS1_EviT_T9_T10_S9_lSB_S9_lSA_T11_S9_li.private_seg_size, 0
	.set _ZL29rocblas_internal_gemmt_kernelIiLi16ELi32ELi8ELc78ELc67ELc85ELb0ELb1E19rocblas_complex_numIdEPKS1_PKS3_PKPS1_EviT_T9_T10_S9_lSB_S9_lSA_T11_S9_li.uses_vcc, 1
	.set _ZL29rocblas_internal_gemmt_kernelIiLi16ELi32ELi8ELc78ELc67ELc85ELb0ELb1E19rocblas_complex_numIdEPKS1_PKS3_PKPS1_EviT_T9_T10_S9_lSB_S9_lSA_T11_S9_li.uses_flat_scratch, 0
	.set _ZL29rocblas_internal_gemmt_kernelIiLi16ELi32ELi8ELc78ELc67ELc85ELb0ELb1E19rocblas_complex_numIdEPKS1_PKS3_PKPS1_EviT_T9_T10_S9_lSB_S9_lSA_T11_S9_li.has_dyn_sized_stack, 0
	.set _ZL29rocblas_internal_gemmt_kernelIiLi16ELi32ELi8ELc78ELc67ELc85ELb0ELb1E19rocblas_complex_numIdEPKS1_PKS3_PKPS1_EviT_T9_T10_S9_lSB_S9_lSA_T11_S9_li.has_recursion, 0
	.set _ZL29rocblas_internal_gemmt_kernelIiLi16ELi32ELi8ELc78ELc67ELc85ELb0ELb1E19rocblas_complex_numIdEPKS1_PKS3_PKPS1_EviT_T9_T10_S9_lSB_S9_lSA_T11_S9_li.has_indirect_call, 0
	.section	.AMDGPU.csdata,"",@progbits
; Kernel info:
; codeLenInByte = 3484
; TotalNumSgprs: 44
; NumVgprs: 133
; ScratchSize: 0
; MemoryBound: 1
; FloatMode: 240
; IeeeMode: 1
; LDSByteSize: 8192 bytes/workgroup (compile time only)
; SGPRBlocks: 0
; VGPRBlocks: 16
; NumSGPRsForWavesPerEU: 44
; NumVGPRsForWavesPerEU: 133
; Occupancy: 10
; WaveLimiterHint : 1
; COMPUTE_PGM_RSRC2:SCRATCH_EN: 0
; COMPUTE_PGM_RSRC2:USER_SGPR: 2
; COMPUTE_PGM_RSRC2:TRAP_HANDLER: 0
; COMPUTE_PGM_RSRC2:TGID_X_EN: 1
; COMPUTE_PGM_RSRC2:TGID_Y_EN: 1
; COMPUTE_PGM_RSRC2:TGID_Z_EN: 1
; COMPUTE_PGM_RSRC2:TIDIG_COMP_CNT: 1
	.section	.text._ZL29rocblas_internal_gemmt_kernelIiLi16ELi32ELi8ELc84ELc78ELc85ELb0ELb0E19rocblas_complex_numIdEPKS1_PKS3_PKPS1_EviT_T9_T10_S9_lSB_S9_lSA_T11_S9_li,"axG",@progbits,_ZL29rocblas_internal_gemmt_kernelIiLi16ELi32ELi8ELc84ELc78ELc85ELb0ELb0E19rocblas_complex_numIdEPKS1_PKS3_PKPS1_EviT_T9_T10_S9_lSB_S9_lSA_T11_S9_li,comdat
	.globl	_ZL29rocblas_internal_gemmt_kernelIiLi16ELi32ELi8ELc84ELc78ELc85ELb0ELb0E19rocblas_complex_numIdEPKS1_PKS3_PKPS1_EviT_T9_T10_S9_lSB_S9_lSA_T11_S9_li ; -- Begin function _ZL29rocblas_internal_gemmt_kernelIiLi16ELi32ELi8ELc84ELc78ELc85ELb0ELb0E19rocblas_complex_numIdEPKS1_PKS3_PKPS1_EviT_T9_T10_S9_lSB_S9_lSA_T11_S9_li
	.p2align	8
	.type	_ZL29rocblas_internal_gemmt_kernelIiLi16ELi32ELi8ELc84ELc78ELc85ELb0ELb0E19rocblas_complex_numIdEPKS1_PKS3_PKPS1_EviT_T9_T10_S9_lSB_S9_lSA_T11_S9_li,@function
_ZL29rocblas_internal_gemmt_kernelIiLi16ELi32ELi8ELc84ELc78ELc85ELb0ELb0E19rocblas_complex_numIdEPKS1_PKS3_PKPS1_EviT_T9_T10_S9_lSB_S9_lSA_T11_S9_li: ; @_ZL29rocblas_internal_gemmt_kernelIiLi16ELi32ELi8ELc84ELc78ELc85ELb0ELb0E19rocblas_complex_numIdEPKS1_PKS3_PKPS1_EviT_T9_T10_S9_lSB_S9_lSA_T11_S9_li
; %bb.0:
	s_load_b128 s[20:23], s[0:1], 0x38
	s_wait_kmcnt 0x0
	s_load_b128 s[4:7], s[22:23], 0x0
	s_clause 0x1
	s_load_b128 s[8:11], s[0:1], 0x8
	s_load_b64 s[22:23], s[0:1], 0x0
	s_wait_kmcnt 0x0
	s_load_b128 s[12:15], s[8:9], 0x0
	v_cmp_eq_f64_e64 s2, s[4:5], 1.0
	v_cmp_eq_f64_e64 s28, s[6:7], 0
	s_and_b32 s2, s2, s28
	s_delay_alu instid0(SALU_CYCLE_1)
	s_and_not1_b32 vcc_lo, exec_lo, s2
	s_mov_b32 s2, -1
	s_cbranch_vccnz .LBB399_3
; %bb.1:
	s_cmp_lg_u32 s23, 0
	s_cbranch_scc0 .LBB399_38
; %bb.2:
	s_wait_kmcnt 0x0
	v_cmp_neq_f64_e64 s2, s[12:13], 0
	v_cmp_neq_f64_e64 s3, s[14:15], 0
	s_or_b32 s2, s2, s3
.LBB399_3:
	s_delay_alu instid0(SALU_CYCLE_1)
	s_and_b32 vcc_lo, exec_lo, s2
	s_cbranch_vccz .LBB399_39
; %bb.4:
	s_load_b32 s27, s[0:1], 0x60
	s_lshr_b32 s8, ttmp7, 16
	s_wait_kmcnt 0x0
	s_cmp_ge_u32 s8, s27
	s_cbranch_scc1 .LBB399_39
; %bb.5:
	v_cmp_neq_f64_e64 s29, s[12:13], 0
	v_cmp_neq_f64_e64 s30, s[14:15], 0
	v_and_b32_e32 v1, 0x3ff, v0
	v_bfe_u32 v2, v0, 10, 10
	s_clause 0x4
	s_load_b32 s33, s[0:1], 0x18
	s_load_b128 s[16:19], s[0:1], 0x20
	s_load_b32 s36, s[0:1], 0x30
	s_load_b96 s[24:26], s[0:1], 0x48
	s_load_b64 s[34:35], s[0:1], 0x58
	v_and_b32_e32 v35, 7, v0
	s_lshl_b32 s1, ttmp9, 5
	v_lshlrev_b32_e32 v36, 4, v1
	v_lshl_add_u32 v0, v2, 4, v1
	v_add_nc_u32_e32 v5, s1, v1
	v_lshlrev_b32_e32 v13, 4, v35
	v_cmp_neq_f64_e64 s31, s[4:5], 0
	s_lshl_b32 s0, ttmp7, 5
	v_lshrrev_b32_e32 v38, 5, v0
	v_and_b32_e32 v1, 31, v0
	v_lshrrev_b32_e32 v0, 3, v0
	s_wait_alu 0xfffe
	s_and_b32 s2, s0, 0x1fffe0
	v_add_nc_u32_e32 v7, 16, v5
	v_add_nc_u32_e32 v3, s2, v2
	v_or_b32_e32 v4, s1, v1
	v_lshlrev_b32_e32 v1, 4, v1
	v_add_nc_u32_e32 v9, s2, v0
	v_lshl_or_b32 v0, v0, 7, v13
	v_lshl_add_u32 v37, v2, 7, 0x1000
	v_cmp_gt_i32_e32 vcc_lo, s22, v3
	v_cmp_le_i32_e64 s0, v5, v3
	v_cmp_le_i32_e64 s1, v7, v3
	v_cmp_gt_i32_e64 s2, s22, v4
	v_lshl_or_b32 v39, v38, 9, v1
	v_add_nc_u32_e32 v40, 0x1000, v0
	s_wait_kmcnt 0x0
	v_mad_co_i64_i32 v[1:2], null, v3, s26, 0
	v_add_nc_u32_e32 v0, 16, v3
	v_mad_co_i64_i32 v[3:4], null, s33, v4, 0
	v_cmp_gt_i32_e64 s3, s22, v9
	v_mad_co_i64_i32 v[9:10], null, s36, v9, 0
	s_delay_alu instid0(VALU_DEP_4)
	v_mad_co_i64_i32 v[11:12], null, v0, s26, 0
	s_or_b32 s37, s29, s30
	s_cmp_gt_i32 s23, 0
	v_lshlrev_b64_e32 v[3:4], 4, v[3:4]
	s_cselect_b32 s38, -1, 0
	s_xor_b32 s29, s28, -1
	s_and_b32 s28, vcc_lo, s0
	s_and_b32 s30, vcc_lo, s1
	v_cmp_gt_i32_e32 vcc_lo, s22, v0
	v_cmp_le_i32_e64 s0, v5, v0
	v_cmp_le_i32_e64 s1, v7, v0
	v_lshlrev_b64_e32 v[9:10], 4, v[9:10]
	v_lshlrev_b32_e32 v14, 4, v38
	v_lshlrev_b64_e32 v[11:12], 4, v[11:12]
	s_and_b32 s22, vcc_lo, s0
	s_and_b32 s26, vcc_lo, s1
	s_lshl_b64 s[0:1], s[16:17], 4
	v_ashrrev_i32_e32 v6, 31, v5
	s_wait_alu 0xfffe
	v_add_co_u32 v3, vcc_lo, v3, s0
	s_delay_alu instid0(VALU_DEP_1)
	v_add_co_ci_u32_e64 v4, null, s1, v4, vcc_lo
	s_lshl_b64 s[0:1], s[20:21], 4
	v_ashrrev_i32_e32 v8, 31, v7
	s_wait_alu 0xfffe
	v_add_co_u32 v9, vcc_lo, v9, s0
	s_wait_alu 0xfffd
	v_add_co_ci_u32_e64 v10, null, s1, v10, vcc_lo
	v_add_co_u32 v41, vcc_lo, v3, v14
	s_wait_alu 0xfffd
	v_add_co_ci_u32_e64 v42, null, 0, v4, vcc_lo
	;; [unrolled: 3-line block ×3, first 2 shown]
	v_lshlrev_b64_e32 v[9:10], 4, v[1:2]
	v_mov_b32_e32 v0, 0
	s_mov_b32 s9, 0
	s_or_b32 s29, s31, s29
	s_and_b32 s16, s37, s38
	s_xor_b32 s17, s2, -1
	s_xor_b32 s20, s3, -1
	s_lshl_b64 s[0:1], s[34:35], 4
	s_branch .LBB399_7
.LBB399_6:                              ;   in Loop: Header=BB399_7 Depth=1
	s_wait_alu 0xfffe
	s_or_b32 exec_lo, exec_lo, s2
	s_add_co_i32 s8, s8, 0x10000
	s_delay_alu instid0(SALU_CYCLE_1)
	s_cmp_lt_u32 s8, s27
	s_cbranch_scc0 .LBB399_39
.LBB399_7:                              ; =>This Loop Header: Depth=1
                                        ;     Child Loop BB399_10 Depth 2
	s_lshl_b64 s[2:3], s[8:9], 3
	v_mov_b32_e32 v31, 0
	s_wait_alu 0xfffe
	s_add_nc_u64 s[34:35], s[24:25], s[2:3]
	v_mov_b32_e32 v27, 0
	global_load_b64 v[13:14], v0, s[34:35]
	v_mov_b32_e32 v23, 0
	v_dual_mov_b32 v21, 0 :: v_dual_mov_b32 v32, 0
	v_dual_mov_b32 v33, 0 :: v_dual_mov_b32 v28, 0
	;; [unrolled: 1-line block ×5, first 2 shown]
	v_mov_b32_e32 v30, 0
	v_mov_b32_e32 v26, 0
	;; [unrolled: 1-line block ×3, first 2 shown]
	s_and_not1_b32 vcc_lo, exec_lo, s16
	s_wait_alu 0xfffe
	s_cbranch_vccnz .LBB399_18
; %bb.8:                                ;   in Loop: Header=BB399_7 Depth=1
	s_add_nc_u64 s[34:35], s[10:11], s[2:3]
	s_add_nc_u64 s[2:3], s[18:19], s[2:3]
	s_clause 0x1
	global_load_b64 v[1:2], v0, s[34:35]
	global_load_b64 v[3:4], v0, s[2:3]
	v_mov_b32_e32 v19, 0
	v_mov_b32_e32 v25, 0
	;; [unrolled: 1-line block ×3, first 2 shown]
	v_dual_mov_b32 v33, 0 :: v_dual_mov_b32 v20, 0
	v_dual_mov_b32 v21, 0 :: v_dual_mov_b32 v26, 0
	v_dual_mov_b32 v23, 0 :: v_dual_mov_b32 v30, 0
	v_dual_mov_b32 v27, 0 :: v_dual_mov_b32 v34, 0
	v_dual_mov_b32 v31, 0 :: v_dual_mov_b32 v22, 0
	v_mov_b32_e32 v24, 0
	v_mov_b32_e32 v28, 0
	;; [unrolled: 1-line block ×3, first 2 shown]
	s_mov_b32 s2, 0
	s_wait_loadcnt 0x1
	v_add_co_u32 v15, vcc_lo, v1, v41
	s_wait_alu 0xfffd
	v_add_co_ci_u32_e64 v16, null, v2, v42, vcc_lo
	s_wait_loadcnt 0x0
	v_add_co_u32 v17, vcc_lo, v3, v43
	s_wait_alu 0xfffd
	v_add_co_ci_u32_e64 v18, null, v4, v44, vcc_lo
	s_branch .LBB399_10
.LBB399_9:                              ;   in Loop: Header=BB399_10 Depth=2
	s_wait_alu 0xfffe
	s_or_b32 exec_lo, exec_lo, s3
	s_wait_dscnt 0x0
	s_barrier_signal -1
	s_barrier_wait -1
	global_inv scope:SCOPE_SE
	ds_load_b128 v[1:4], v37
	ds_load_b128 v[45:48], v36
	ds_load_b128 v[49:52], v36 offset:256
	ds_load_b128 v[53:56], v37 offset:2048
	ds_load_b128 v[57:60], v37 offset:16
	ds_load_b128 v[61:64], v37 offset:2064
	ds_load_b128 v[65:68], v36 offset:512
	ds_load_b128 v[69:72], v36 offset:768
	ds_load_b128 v[73:76], v37 offset:32
	ds_load_b128 v[77:80], v36 offset:1024
	ds_load_b128 v[81:84], v36 offset:1280
	ds_load_b128 v[85:88], v37 offset:2080
	v_add_co_u32 v15, vcc_lo, 0x80, v15
	s_wait_alu 0xfffd
	v_add_co_ci_u32_e64 v16, null, 0, v16, vcc_lo
	v_add_co_u32 v17, vcc_lo, 0x80, v17
	s_wait_alu 0xfffd
	v_add_co_ci_u32_e64 v18, null, 0, v18, vcc_lo
	s_add_co_i32 s2, s2, 8
	s_wait_alu 0xfffe
	s_cmp_lt_i32 s2, s23
	s_wait_dscnt 0xa
	v_mul_f64_e32 v[89:90], v[3:4], v[47:48]
	v_mul_f64_e32 v[91:92], v[1:2], v[47:48]
	s_wait_dscnt 0x9
	v_mul_f64_e32 v[93:94], v[3:4], v[51:52]
	v_mul_f64_e32 v[95:96], v[1:2], v[51:52]
	;; [unrolled: 3-line block ×3, first 2 shown]
	v_mul_f64_e32 v[99:100], v[55:56], v[51:52]
	v_mul_f64_e32 v[51:52], v[53:54], v[51:52]
	s_wait_dscnt 0x5
	v_mul_f64_e32 v[101:102], v[59:60], v[67:68]
	v_mul_f64_e32 v[103:104], v[57:58], v[67:68]
	s_wait_dscnt 0x4
	v_mul_f64_e32 v[105:106], v[59:60], v[71:72]
	v_mul_f64_e32 v[107:108], v[57:58], v[71:72]
	;; [unrolled: 1-line block ×6, first 2 shown]
	s_wait_dscnt 0x2
	v_mul_f64_e32 v[117:118], v[75:76], v[79:80]
	v_mul_f64_e32 v[119:120], v[73:74], v[79:80]
	s_wait_dscnt 0x1
	v_mul_f64_e32 v[121:122], v[75:76], v[83:84]
	v_mul_f64_e32 v[123:124], v[73:74], v[83:84]
	;; [unrolled: 3-line block ×3, first 2 shown]
	v_mul_f64_e32 v[127:128], v[87:88], v[83:84]
	v_mul_f64_e32 v[83:84], v[85:86], v[83:84]
	v_fma_f64 v[89:90], v[1:2], v[45:46], -v[89:90]
	v_fma_f64 v[91:92], v[3:4], v[45:46], v[91:92]
	v_fma_f64 v[93:94], v[1:2], v[49:50], -v[93:94]
	v_fma_f64 v[95:96], v[3:4], v[49:50], v[95:96]
	;; [unrolled: 2-line block ×8, first 2 shown]
	ds_load_b128 v[1:4], v37 offset:48
	ds_load_b128 v[45:48], v37 offset:2096
	;; [unrolled: 1-line block ×4, first 2 shown]
	v_fma_f64 v[117:118], v[73:74], v[77:78], -v[117:118]
	v_fma_f64 v[119:120], v[75:76], v[77:78], v[119:120]
	v_fma_f64 v[73:74], v[73:74], v[81:82], -v[121:122]
	v_fma_f64 v[75:76], v[75:76], v[81:82], v[123:124]
	;; [unrolled: 2-line block ×4, first 2 shown]
	s_wait_dscnt 0x1
	v_mul_f64_e32 v[107:108], v[1:2], v[51:52]
	s_wait_dscnt 0x0
	v_mul_f64_e32 v[109:110], v[3:4], v[55:56]
	v_mul_f64_e32 v[111:112], v[1:2], v[55:56]
	v_add_f64_e32 v[67:68], v[31:32], v[89:90]
	v_add_f64_e32 v[69:70], v[91:92], v[33:34]
	;; [unrolled: 1-line block ×8, first 2 shown]
	v_mul_f64_e32 v[99:100], v[3:4], v[51:52]
	v_mul_f64_e32 v[113:114], v[47:48], v[51:52]
	;; [unrolled: 1-line block ×5, first 2 shown]
	ds_load_b128 v[19:22], v37 offset:64
	ds_load_b128 v[23:26], v36 offset:2048
	ds_load_b128 v[27:30], v36 offset:2304
	ds_load_b128 v[31:34], v37 offset:2112
	s_wait_dscnt 0x0
	v_mul_f64_e32 v[123:124], v[33:34], v[25:26]
	v_mul_f64_e32 v[125:126], v[33:34], v[29:30]
	v_fma_f64 v[107:108], v[3:4], v[49:50], v[107:108]
	v_fma_f64 v[109:110], v[1:2], v[53:54], -v[109:110]
	v_fma_f64 v[111:112], v[3:4], v[53:54], v[111:112]
	v_add_f64_e32 v[83:84], v[67:68], v[101:102]
	v_add_f64_e32 v[85:86], v[103:104], v[69:70]
	v_add_f64_e32 v[71:72], v[71:72], v[57:58]
	v_add_f64_e32 v[87:88], v[59:60], v[89:90]
	v_add_f64_e32 v[89:90], v[91:92], v[105:106]
	v_add_f64_e32 v[91:92], v[65:66], v[93:94]
	v_add_f64_e32 v[93:94], v[95:96], v[61:62]
	v_add_f64_e32 v[95:96], v[63:64], v[97:98]
	v_mul_f64_e32 v[97:98], v[21:22], v[25:26]
	v_mul_f64_e32 v[101:102], v[19:20], v[25:26]
	;; [unrolled: 1-line block ×6, first 2 shown]
	v_fma_f64 v[99:100], v[1:2], v[49:50], -v[99:100]
	v_fma_f64 v[113:114], v[45:46], v[49:50], -v[113:114]
	v_fma_f64 v[127:128], v[47:48], v[49:50], v[51:52]
	v_fma_f64 v[115:116], v[45:46], v[53:54], -v[115:116]
	v_fma_f64 v[53:54], v[47:48], v[53:54], v[129:130]
	ds_load_b128 v[55:58], v37 offset:80
	ds_load_b128 v[59:62], v37 offset:2128
	;; [unrolled: 1-line block ×4, first 2 shown]
	v_fma_f64 v[123:124], v[31:32], v[23:24], -v[123:124]
	v_fma_f64 v[125:126], v[31:32], v[27:28], -v[125:126]
	v_add_f64_e32 v[83:84], v[83:84], v[117:118]
	v_add_f64_e32 v[85:86], v[119:120], v[85:86]
	;; [unrolled: 1-line block ×8, first 2 shown]
	s_wait_dscnt 0x1
	v_mul_f64_e32 v[89:90], v[57:58], v[65:66]
	v_mul_f64_e32 v[91:92], v[55:56], v[65:66]
	s_wait_dscnt 0x0
	v_mul_f64_e32 v[93:94], v[57:58], v[69:70]
	v_mul_f64_e32 v[95:96], v[55:56], v[69:70]
	;; [unrolled: 1-line block ×6, first 2 shown]
	v_fma_f64 v[97:98], v[19:20], v[23:24], -v[97:98]
	v_fma_f64 v[101:102], v[21:22], v[23:24], v[101:102]
	v_fma_f64 v[103:104], v[19:20], v[27:28], -v[103:104]
	v_fma_f64 v[105:106], v[21:22], v[27:28], v[105:106]
	v_fma_f64 v[129:130], v[33:34], v[23:24], v[25:26]
	;; [unrolled: 1-line block ×3, first 2 shown]
	ds_load_b128 v[1:4], v37 offset:96
	ds_load_b128 v[45:48], v36 offset:3072
	ds_load_b128 v[49:52], v36 offset:3328
	ds_load_b128 v[71:74], v37 offset:2144
	ds_load_b128 v[19:22], v37 offset:112
	ds_load_b128 v[23:26], v37 offset:2160
	ds_load_b128 v[27:30], v36 offset:3584
	ds_load_b128 v[31:34], v36 offset:3840
	s_wait_loadcnt_dscnt 0x0
	s_barrier_signal -1
	s_barrier_wait -1
	global_inv scope:SCOPE_SE
	v_add_f64_e32 v[83:84], v[83:84], v[99:100]
	v_add_f64_e32 v[85:86], v[107:108], v[85:86]
	;; [unrolled: 1-line block ×8, first 2 shown]
	v_mul_f64_e32 v[81:82], v[3:4], v[47:48]
	v_mul_f64_e32 v[107:108], v[1:2], v[47:48]
	;; [unrolled: 1-line block ×8, first 2 shown]
	v_fma_f64 v[89:90], v[55:56], v[63:64], -v[89:90]
	v_fma_f64 v[91:92], v[57:58], v[63:64], v[91:92]
	v_fma_f64 v[55:56], v[55:56], v[67:68], -v[93:94]
	v_fma_f64 v[57:58], v[57:58], v[67:68], v[95:96]
	v_fma_f64 v[93:94], v[59:60], v[63:64], -v[119:120]
	v_fma_f64 v[63:64], v[61:62], v[63:64], v[65:66]
	v_fma_f64 v[59:60], v[59:60], v[67:68], -v[121:122]
	v_fma_f64 v[61:62], v[61:62], v[67:68], v[69:70]
	v_mul_f64_e32 v[95:96], v[21:22], v[33:34]
	v_add_f64_e32 v[65:66], v[83:84], v[97:98]
	v_add_f64_e32 v[67:68], v[101:102], v[85:86]
	;; [unrolled: 1-line block ×8, first 2 shown]
	v_mul_f64_e32 v[85:86], v[21:22], v[29:30]
	v_mul_f64_e32 v[87:88], v[19:20], v[29:30]
	;; [unrolled: 1-line block ×7, first 2 shown]
	v_fma_f64 v[81:82], v[1:2], v[45:46], -v[81:82]
	v_fma_f64 v[103:104], v[3:4], v[45:46], v[107:108]
	v_fma_f64 v[1:2], v[1:2], v[49:50], -v[109:110]
	v_fma_f64 v[3:4], v[3:4], v[49:50], v[111:112]
	v_fma_f64 v[105:106], v[71:72], v[45:46], -v[113:114]
	v_fma_f64 v[45:46], v[73:74], v[45:46], v[47:48]
	v_fma_f64 v[47:48], v[71:72], v[49:50], -v[115:116]
	v_fma_f64 v[49:50], v[73:74], v[49:50], v[51:52]
	v_add_f64_e32 v[51:52], v[65:66], v[89:90]
	v_add_f64_e32 v[65:66], v[91:92], v[67:68]
	;; [unrolled: 1-line block ×8, first 2 shown]
	v_fma_f64 v[61:62], v[19:20], v[27:28], -v[85:86]
	v_fma_f64 v[69:70], v[21:22], v[27:28], v[87:88]
	v_fma_f64 v[19:20], v[19:20], v[31:32], -v[95:96]
	v_fma_f64 v[21:22], v[21:22], v[31:32], v[97:98]
	;; [unrolled: 2-line block ×4, first 2 shown]
	v_add_f64_e32 v[23:24], v[51:52], v[81:82]
	v_add_f64_e32 v[25:26], v[103:104], v[65:66]
	;; [unrolled: 1-line block ×16, first 2 shown]
	s_cbranch_scc0 .LBB399_18
.LBB399_10:                             ;   Parent Loop BB399_7 Depth=1
                                        ; =>  This Inner Loop Header: Depth=2
	s_wait_alu 0xfffe
	v_add_nc_u32_e32 v1, s2, v38
	s_delay_alu instid0(VALU_DEP_1) | instskip(SKIP_3) | instid1(SALU_CYCLE_1)
	v_cmp_le_i32_e32 vcc_lo, s23, v1
	s_or_b32 s3, s17, vcc_lo
	s_wait_alu 0xfffe
	s_and_saveexec_b32 s21, s3
	s_xor_b32 s3, exec_lo, s21
; %bb.11:                               ;   in Loop: Header=BB399_10 Depth=2
	v_dual_mov_b32 v1, v0 :: v_dual_mov_b32 v2, v0
	v_mov_b32_e32 v3, v0
	ds_store_b128 v39, v[0:3]
; %bb.12:                               ;   in Loop: Header=BB399_10 Depth=2
	s_wait_alu 0xfffe
	s_and_not1_saveexec_b32 s3, s3
	s_cbranch_execz .LBB399_14
; %bb.13:                               ;   in Loop: Header=BB399_10 Depth=2
	flat_load_b128 v[1:4], v[15:16]
	s_wait_loadcnt_dscnt 0x0
	ds_store_2addr_b64 v39, v[1:2], v[3:4] offset1:1
.LBB399_14:                             ;   in Loop: Header=BB399_10 Depth=2
	s_wait_alu 0xfffe
	s_or_b32 exec_lo, exec_lo, s3
	v_add_nc_u32_e32 v1, s2, v35
	s_delay_alu instid0(VALU_DEP_1) | instskip(SKIP_3) | instid1(SALU_CYCLE_1)
	v_cmp_le_i32_e32 vcc_lo, s23, v1
	s_or_b32 s3, vcc_lo, s20
	s_wait_alu 0xfffe
	s_and_saveexec_b32 s21, s3
	s_xor_b32 s3, exec_lo, s21
; %bb.15:                               ;   in Loop: Header=BB399_10 Depth=2
	v_dual_mov_b32 v1, v0 :: v_dual_mov_b32 v2, v0
	v_mov_b32_e32 v3, v0
	ds_store_b128 v40, v[0:3]
; %bb.16:                               ;   in Loop: Header=BB399_10 Depth=2
	s_wait_alu 0xfffe
	s_and_not1_saveexec_b32 s3, s3
	s_cbranch_execz .LBB399_9
; %bb.17:                               ;   in Loop: Header=BB399_10 Depth=2
	flat_load_b128 v[1:4], v[17:18]
	s_wait_loadcnt_dscnt 0x0
	ds_store_2addr_b64 v40, v[1:2], v[3:4] offset1:1
	s_branch .LBB399_9
.LBB399_18:                             ;   in Loop: Header=BB399_7 Depth=1
	s_wait_loadcnt 0x0
	v_add_co_u32 v13, vcc_lo, v13, s0
	s_wait_alu 0xfffd
	v_add_co_ci_u32_e64 v14, null, s1, v14, vcc_lo
	s_delay_alu instid0(VALU_DEP_2) | instskip(SKIP_1) | instid1(VALU_DEP_2)
	v_add_co_u32 v15, vcc_lo, v13, v9
	s_wait_alu 0xfffd
	v_add_co_ci_u32_e64 v16, null, v14, v10, vcc_lo
	s_and_saveexec_b32 s2, s28
	s_cbranch_execz .LBB399_23
; %bb.19:                               ;   in Loop: Header=BB399_7 Depth=1
	v_mul_f64_e32 v[1:2], s[14:15], v[33:34]
	v_mul_f64_e32 v[3:4], s[12:13], v[33:34]
	s_and_b32 vcc_lo, exec_lo, s29
	s_mov_b32 s3, -1
	s_delay_alu instid0(VALU_DEP_2) | instskip(NEXT) | instid1(VALU_DEP_2)
	v_fma_f64 v[1:2], s[12:13], v[31:32], -v[1:2]
	v_fma_f64 v[3:4], s[14:15], v[31:32], v[3:4]
	s_wait_alu 0xfffe
	s_cbranch_vccz .LBB399_21
; %bb.20:                               ;   in Loop: Header=BB399_7 Depth=1
	v_lshlrev_b64_e32 v[17:18], 4, v[5:6]
	s_mov_b32 s3, 0
	s_delay_alu instid0(VALU_DEP_1) | instskip(SKIP_1) | instid1(VALU_DEP_2)
	v_add_co_u32 v17, vcc_lo, v15, v17
	s_wait_alu 0xfffd
	v_add_co_ci_u32_e64 v18, null, v16, v18, vcc_lo
	flat_load_b128 v[31:34], v[17:18]
	s_wait_loadcnt_dscnt 0x0
	v_mul_f64_e32 v[45:46], s[6:7], v[33:34]
	v_mul_f64_e32 v[33:34], s[4:5], v[33:34]
	s_delay_alu instid0(VALU_DEP_2) | instskip(NEXT) | instid1(VALU_DEP_2)
	v_fma_f64 v[45:46], s[4:5], v[31:32], -v[45:46]
	v_fma_f64 v[33:34], s[6:7], v[31:32], v[33:34]
	s_delay_alu instid0(VALU_DEP_2) | instskip(NEXT) | instid1(VALU_DEP_2)
	v_add_f64_e32 v[31:32], v[1:2], v[45:46]
	v_add_f64_e32 v[33:34], v[3:4], v[33:34]
	flat_store_b128 v[17:18], v[31:34]
.LBB399_21:                             ;   in Loop: Header=BB399_7 Depth=1
	s_wait_alu 0xfffe
	s_and_not1_b32 vcc_lo, exec_lo, s3
	s_wait_alu 0xfffe
	s_cbranch_vccnz .LBB399_23
; %bb.22:                               ;   in Loop: Header=BB399_7 Depth=1
	v_lshlrev_b64_e32 v[17:18], 4, v[5:6]
	s_delay_alu instid0(VALU_DEP_1) | instskip(SKIP_1) | instid1(VALU_DEP_2)
	v_add_co_u32 v17, vcc_lo, v15, v17
	s_wait_alu 0xfffd
	v_add_co_ci_u32_e64 v18, null, v16, v18, vcc_lo
	flat_store_b128 v[17:18], v[1:4]
.LBB399_23:                             ;   in Loop: Header=BB399_7 Depth=1
	s_wait_alu 0xfffe
	s_or_b32 exec_lo, exec_lo, s2
	s_and_saveexec_b32 s2, s30
	s_cbranch_execz .LBB399_28
; %bb.24:                               ;   in Loop: Header=BB399_7 Depth=1
	v_mul_f64_e32 v[1:2], s[14:15], v[29:30]
	v_mul_f64_e32 v[3:4], s[12:13], v[29:30]
	s_and_not1_b32 vcc_lo, exec_lo, s29
	s_mov_b32 s3, -1
	s_delay_alu instid0(VALU_DEP_2) | instskip(NEXT) | instid1(VALU_DEP_2)
	v_fma_f64 v[1:2], s[12:13], v[27:28], -v[1:2]
	v_fma_f64 v[3:4], s[14:15], v[27:28], v[3:4]
	s_wait_alu 0xfffe
	s_cbranch_vccnz .LBB399_26
; %bb.25:                               ;   in Loop: Header=BB399_7 Depth=1
	v_lshlrev_b64_e32 v[17:18], 4, v[7:8]
	s_mov_b32 s3, 0
	s_delay_alu instid0(VALU_DEP_1) | instskip(SKIP_1) | instid1(VALU_DEP_2)
	v_add_co_u32 v17, vcc_lo, v15, v17
	s_wait_alu 0xfffd
	v_add_co_ci_u32_e64 v18, null, v16, v18, vcc_lo
	flat_load_b128 v[27:30], v[17:18]
	s_wait_loadcnt_dscnt 0x0
	v_mul_f64_e32 v[31:32], s[6:7], v[29:30]
	v_mul_f64_e32 v[29:30], s[4:5], v[29:30]
	s_delay_alu instid0(VALU_DEP_2) | instskip(NEXT) | instid1(VALU_DEP_2)
	v_fma_f64 v[31:32], s[4:5], v[27:28], -v[31:32]
	v_fma_f64 v[29:30], s[6:7], v[27:28], v[29:30]
	s_delay_alu instid0(VALU_DEP_2) | instskip(NEXT) | instid1(VALU_DEP_2)
	v_add_f64_e32 v[27:28], v[1:2], v[31:32]
	v_add_f64_e32 v[29:30], v[3:4], v[29:30]
	flat_store_b128 v[17:18], v[27:30]
.LBB399_26:                             ;   in Loop: Header=BB399_7 Depth=1
	s_wait_alu 0xfffe
	s_and_not1_b32 vcc_lo, exec_lo, s3
	s_wait_alu 0xfffe
	s_cbranch_vccnz .LBB399_28
; %bb.27:                               ;   in Loop: Header=BB399_7 Depth=1
	v_lshlrev_b64_e32 v[17:18], 4, v[7:8]
	s_delay_alu instid0(VALU_DEP_1) | instskip(SKIP_1) | instid1(VALU_DEP_2)
	v_add_co_u32 v15, vcc_lo, v15, v17
	s_wait_alu 0xfffd
	v_add_co_ci_u32_e64 v16, null, v16, v18, vcc_lo
	flat_store_b128 v[15:16], v[1:4]
.LBB399_28:                             ;   in Loop: Header=BB399_7 Depth=1
	s_wait_alu 0xfffe
	s_or_b32 exec_lo, exec_lo, s2
	v_add_co_u32 v15, vcc_lo, v13, v11
	s_wait_alu 0xfffd
	v_add_co_ci_u32_e64 v16, null, v14, v12, vcc_lo
	s_and_saveexec_b32 s2, s22
	s_cbranch_execz .LBB399_33
; %bb.29:                               ;   in Loop: Header=BB399_7 Depth=1
	v_mul_f64_e32 v[1:2], s[14:15], v[25:26]
	v_mul_f64_e32 v[3:4], s[12:13], v[25:26]
	v_lshlrev_b64_e32 v[13:14], 4, v[5:6]
	s_and_not1_b32 vcc_lo, exec_lo, s29
	s_mov_b32 s3, -1
	s_delay_alu instid0(VALU_DEP_3) | instskip(NEXT) | instid1(VALU_DEP_3)
	v_fma_f64 v[1:2], s[12:13], v[23:24], -v[1:2]
	v_fma_f64 v[3:4], s[14:15], v[23:24], v[3:4]
	s_wait_alu 0xfffe
	s_cbranch_vccnz .LBB399_31
; %bb.30:                               ;   in Loop: Header=BB399_7 Depth=1
	v_add_co_u32 v17, vcc_lo, v15, v13
	s_wait_alu 0xfffd
	v_add_co_ci_u32_e64 v18, null, v16, v14, vcc_lo
	s_mov_b32 s3, 0
	flat_load_b128 v[23:26], v[17:18]
	s_wait_loadcnt_dscnt 0x0
	v_mul_f64_e32 v[27:28], s[6:7], v[25:26]
	v_mul_f64_e32 v[25:26], s[4:5], v[25:26]
	s_delay_alu instid0(VALU_DEP_2) | instskip(NEXT) | instid1(VALU_DEP_2)
	v_fma_f64 v[27:28], s[4:5], v[23:24], -v[27:28]
	v_fma_f64 v[25:26], s[6:7], v[23:24], v[25:26]
	s_delay_alu instid0(VALU_DEP_2) | instskip(NEXT) | instid1(VALU_DEP_2)
	v_add_f64_e32 v[23:24], v[1:2], v[27:28]
	v_add_f64_e32 v[25:26], v[3:4], v[25:26]
	flat_store_b128 v[17:18], v[23:26]
.LBB399_31:                             ;   in Loop: Header=BB399_7 Depth=1
	s_wait_alu 0xfffe
	s_and_not1_b32 vcc_lo, exec_lo, s3
	s_wait_alu 0xfffe
	s_cbranch_vccnz .LBB399_33
; %bb.32:                               ;   in Loop: Header=BB399_7 Depth=1
	v_add_co_u32 v13, vcc_lo, v15, v13
	s_wait_alu 0xfffd
	v_add_co_ci_u32_e64 v14, null, v16, v14, vcc_lo
	flat_store_b128 v[13:14], v[1:4]
.LBB399_33:                             ;   in Loop: Header=BB399_7 Depth=1
	s_wait_alu 0xfffe
	s_or_b32 exec_lo, exec_lo, s2
	s_and_saveexec_b32 s2, s26
	s_cbranch_execz .LBB399_6
; %bb.34:                               ;   in Loop: Header=BB399_7 Depth=1
	v_mul_f64_e32 v[1:2], s[14:15], v[19:20]
	v_mul_f64_e32 v[3:4], s[12:13], v[19:20]
	v_lshlrev_b64_e32 v[13:14], 4, v[7:8]
	s_and_not1_b32 vcc_lo, exec_lo, s29
	s_mov_b32 s3, -1
	s_delay_alu instid0(VALU_DEP_3) | instskip(NEXT) | instid1(VALU_DEP_3)
	v_fma_f64 v[1:2], s[12:13], v[21:22], -v[1:2]
	v_fma_f64 v[3:4], s[14:15], v[21:22], v[3:4]
	s_wait_alu 0xfffe
	s_cbranch_vccnz .LBB399_36
; %bb.35:                               ;   in Loop: Header=BB399_7 Depth=1
	v_add_co_u32 v21, vcc_lo, v15, v13
	s_wait_alu 0xfffd
	v_add_co_ci_u32_e64 v22, null, v16, v14, vcc_lo
	s_mov_b32 s3, 0
	flat_load_b128 v[17:20], v[21:22]
	s_wait_loadcnt_dscnt 0x0
	v_mul_f64_e32 v[23:24], s[6:7], v[19:20]
	v_mul_f64_e32 v[19:20], s[4:5], v[19:20]
	s_delay_alu instid0(VALU_DEP_2) | instskip(NEXT) | instid1(VALU_DEP_2)
	v_fma_f64 v[23:24], s[4:5], v[17:18], -v[23:24]
	v_fma_f64 v[19:20], s[6:7], v[17:18], v[19:20]
	s_delay_alu instid0(VALU_DEP_2) | instskip(NEXT) | instid1(VALU_DEP_2)
	v_add_f64_e32 v[17:18], v[1:2], v[23:24]
	v_add_f64_e32 v[19:20], v[3:4], v[19:20]
	flat_store_b128 v[21:22], v[17:20]
.LBB399_36:                             ;   in Loop: Header=BB399_7 Depth=1
	s_wait_alu 0xfffe
	s_and_not1_b32 vcc_lo, exec_lo, s3
	s_wait_alu 0xfffe
	s_cbranch_vccnz .LBB399_6
; %bb.37:                               ;   in Loop: Header=BB399_7 Depth=1
	v_add_co_u32 v13, vcc_lo, v15, v13
	s_wait_alu 0xfffd
	v_add_co_ci_u32_e64 v14, null, v16, v14, vcc_lo
	flat_store_b128 v[13:14], v[1:4]
	s_branch .LBB399_6
.LBB399_38:
.LBB399_39:
	s_nop 0
	s_sendmsg sendmsg(MSG_DEALLOC_VGPRS)
	s_endpgm
	.section	.rodata,"a",@progbits
	.p2align	6, 0x0
	.amdhsa_kernel _ZL29rocblas_internal_gemmt_kernelIiLi16ELi32ELi8ELc84ELc78ELc85ELb0ELb0E19rocblas_complex_numIdEPKS1_PKS3_PKPS1_EviT_T9_T10_S9_lSB_S9_lSA_T11_S9_li
		.amdhsa_group_segment_fixed_size 8192
		.amdhsa_private_segment_fixed_size 0
		.amdhsa_kernarg_size 100
		.amdhsa_user_sgpr_count 2
		.amdhsa_user_sgpr_dispatch_ptr 0
		.amdhsa_user_sgpr_queue_ptr 0
		.amdhsa_user_sgpr_kernarg_segment_ptr 1
		.amdhsa_user_sgpr_dispatch_id 0
		.amdhsa_user_sgpr_private_segment_size 0
		.amdhsa_wavefront_size32 1
		.amdhsa_uses_dynamic_stack 0
		.amdhsa_enable_private_segment 0
		.amdhsa_system_sgpr_workgroup_id_x 1
		.amdhsa_system_sgpr_workgroup_id_y 1
		.amdhsa_system_sgpr_workgroup_id_z 1
		.amdhsa_system_sgpr_workgroup_info 0
		.amdhsa_system_vgpr_workitem_id 1
		.amdhsa_next_free_vgpr 133
		.amdhsa_next_free_sgpr 39
		.amdhsa_reserve_vcc 1
		.amdhsa_float_round_mode_32 0
		.amdhsa_float_round_mode_16_64 0
		.amdhsa_float_denorm_mode_32 3
		.amdhsa_float_denorm_mode_16_64 3
		.amdhsa_fp16_overflow 0
		.amdhsa_workgroup_processor_mode 1
		.amdhsa_memory_ordered 1
		.amdhsa_forward_progress 1
		.amdhsa_inst_pref_size 28
		.amdhsa_round_robin_scheduling 0
		.amdhsa_exception_fp_ieee_invalid_op 0
		.amdhsa_exception_fp_denorm_src 0
		.amdhsa_exception_fp_ieee_div_zero 0
		.amdhsa_exception_fp_ieee_overflow 0
		.amdhsa_exception_fp_ieee_underflow 0
		.amdhsa_exception_fp_ieee_inexact 0
		.amdhsa_exception_int_div_zero 0
	.end_amdhsa_kernel
	.section	.text._ZL29rocblas_internal_gemmt_kernelIiLi16ELi32ELi8ELc84ELc78ELc85ELb0ELb0E19rocblas_complex_numIdEPKS1_PKS3_PKPS1_EviT_T9_T10_S9_lSB_S9_lSA_T11_S9_li,"axG",@progbits,_ZL29rocblas_internal_gemmt_kernelIiLi16ELi32ELi8ELc84ELc78ELc85ELb0ELb0E19rocblas_complex_numIdEPKS1_PKS3_PKPS1_EviT_T9_T10_S9_lSB_S9_lSA_T11_S9_li,comdat
.Lfunc_end399:
	.size	_ZL29rocblas_internal_gemmt_kernelIiLi16ELi32ELi8ELc84ELc78ELc85ELb0ELb0E19rocblas_complex_numIdEPKS1_PKS3_PKPS1_EviT_T9_T10_S9_lSB_S9_lSA_T11_S9_li, .Lfunc_end399-_ZL29rocblas_internal_gemmt_kernelIiLi16ELi32ELi8ELc84ELc78ELc85ELb0ELb0E19rocblas_complex_numIdEPKS1_PKS3_PKPS1_EviT_T9_T10_S9_lSB_S9_lSA_T11_S9_li
                                        ; -- End function
	.set _ZL29rocblas_internal_gemmt_kernelIiLi16ELi32ELi8ELc84ELc78ELc85ELb0ELb0E19rocblas_complex_numIdEPKS1_PKS3_PKPS1_EviT_T9_T10_S9_lSB_S9_lSA_T11_S9_li.num_vgpr, 133
	.set _ZL29rocblas_internal_gemmt_kernelIiLi16ELi32ELi8ELc84ELc78ELc85ELb0ELb0E19rocblas_complex_numIdEPKS1_PKS3_PKPS1_EviT_T9_T10_S9_lSB_S9_lSA_T11_S9_li.num_agpr, 0
	.set _ZL29rocblas_internal_gemmt_kernelIiLi16ELi32ELi8ELc84ELc78ELc85ELb0ELb0E19rocblas_complex_numIdEPKS1_PKS3_PKPS1_EviT_T9_T10_S9_lSB_S9_lSA_T11_S9_li.numbered_sgpr, 39
	.set _ZL29rocblas_internal_gemmt_kernelIiLi16ELi32ELi8ELc84ELc78ELc85ELb0ELb0E19rocblas_complex_numIdEPKS1_PKS3_PKPS1_EviT_T9_T10_S9_lSB_S9_lSA_T11_S9_li.num_named_barrier, 0
	.set _ZL29rocblas_internal_gemmt_kernelIiLi16ELi32ELi8ELc84ELc78ELc85ELb0ELb0E19rocblas_complex_numIdEPKS1_PKS3_PKPS1_EviT_T9_T10_S9_lSB_S9_lSA_T11_S9_li.private_seg_size, 0
	.set _ZL29rocblas_internal_gemmt_kernelIiLi16ELi32ELi8ELc84ELc78ELc85ELb0ELb0E19rocblas_complex_numIdEPKS1_PKS3_PKPS1_EviT_T9_T10_S9_lSB_S9_lSA_T11_S9_li.uses_vcc, 1
	.set _ZL29rocblas_internal_gemmt_kernelIiLi16ELi32ELi8ELc84ELc78ELc85ELb0ELb0E19rocblas_complex_numIdEPKS1_PKS3_PKPS1_EviT_T9_T10_S9_lSB_S9_lSA_T11_S9_li.uses_flat_scratch, 0
	.set _ZL29rocblas_internal_gemmt_kernelIiLi16ELi32ELi8ELc84ELc78ELc85ELb0ELb0E19rocblas_complex_numIdEPKS1_PKS3_PKPS1_EviT_T9_T10_S9_lSB_S9_lSA_T11_S9_li.has_dyn_sized_stack, 0
	.set _ZL29rocblas_internal_gemmt_kernelIiLi16ELi32ELi8ELc84ELc78ELc85ELb0ELb0E19rocblas_complex_numIdEPKS1_PKS3_PKPS1_EviT_T9_T10_S9_lSB_S9_lSA_T11_S9_li.has_recursion, 0
	.set _ZL29rocblas_internal_gemmt_kernelIiLi16ELi32ELi8ELc84ELc78ELc85ELb0ELb0E19rocblas_complex_numIdEPKS1_PKS3_PKPS1_EviT_T9_T10_S9_lSB_S9_lSA_T11_S9_li.has_indirect_call, 0
	.section	.AMDGPU.csdata,"",@progbits
; Kernel info:
; codeLenInByte = 3476
; TotalNumSgprs: 41
; NumVgprs: 133
; ScratchSize: 0
; MemoryBound: 0
; FloatMode: 240
; IeeeMode: 1
; LDSByteSize: 8192 bytes/workgroup (compile time only)
; SGPRBlocks: 0
; VGPRBlocks: 16
; NumSGPRsForWavesPerEU: 41
; NumVGPRsForWavesPerEU: 133
; Occupancy: 10
; WaveLimiterHint : 1
; COMPUTE_PGM_RSRC2:SCRATCH_EN: 0
; COMPUTE_PGM_RSRC2:USER_SGPR: 2
; COMPUTE_PGM_RSRC2:TRAP_HANDLER: 0
; COMPUTE_PGM_RSRC2:TGID_X_EN: 1
; COMPUTE_PGM_RSRC2:TGID_Y_EN: 1
; COMPUTE_PGM_RSRC2:TGID_Z_EN: 1
; COMPUTE_PGM_RSRC2:TIDIG_COMP_CNT: 1
	.section	.text._ZL29rocblas_internal_gemmt_kernelIiLi16ELi32ELi8ELc84ELc84ELc85ELb0ELb0E19rocblas_complex_numIdEPKS1_PKS3_PKPS1_EviT_T9_T10_S9_lSB_S9_lSA_T11_S9_li,"axG",@progbits,_ZL29rocblas_internal_gemmt_kernelIiLi16ELi32ELi8ELc84ELc84ELc85ELb0ELb0E19rocblas_complex_numIdEPKS1_PKS3_PKPS1_EviT_T9_T10_S9_lSB_S9_lSA_T11_S9_li,comdat
	.globl	_ZL29rocblas_internal_gemmt_kernelIiLi16ELi32ELi8ELc84ELc84ELc85ELb0ELb0E19rocblas_complex_numIdEPKS1_PKS3_PKPS1_EviT_T9_T10_S9_lSB_S9_lSA_T11_S9_li ; -- Begin function _ZL29rocblas_internal_gemmt_kernelIiLi16ELi32ELi8ELc84ELc84ELc85ELb0ELb0E19rocblas_complex_numIdEPKS1_PKS3_PKPS1_EviT_T9_T10_S9_lSB_S9_lSA_T11_S9_li
	.p2align	8
	.type	_ZL29rocblas_internal_gemmt_kernelIiLi16ELi32ELi8ELc84ELc84ELc85ELb0ELb0E19rocblas_complex_numIdEPKS1_PKS3_PKPS1_EviT_T9_T10_S9_lSB_S9_lSA_T11_S9_li,@function
_ZL29rocblas_internal_gemmt_kernelIiLi16ELi32ELi8ELc84ELc84ELc85ELb0ELb0E19rocblas_complex_numIdEPKS1_PKS3_PKPS1_EviT_T9_T10_S9_lSB_S9_lSA_T11_S9_li: ; @_ZL29rocblas_internal_gemmt_kernelIiLi16ELi32ELi8ELc84ELc84ELc85ELb0ELb0E19rocblas_complex_numIdEPKS1_PKS3_PKPS1_EviT_T9_T10_S9_lSB_S9_lSA_T11_S9_li
; %bb.0:
	s_load_b128 s[20:23], s[0:1], 0x38
	s_wait_kmcnt 0x0
	s_load_b128 s[4:7], s[22:23], 0x0
	s_clause 0x1
	s_load_b128 s[8:11], s[0:1], 0x8
	s_load_b64 s[22:23], s[0:1], 0x0
	s_wait_kmcnt 0x0
	s_load_b128 s[12:15], s[8:9], 0x0
	v_cmp_eq_f64_e64 s2, s[4:5], 1.0
	v_cmp_eq_f64_e64 s30, s[6:7], 0
	s_and_b32 s2, s2, s30
	s_delay_alu instid0(SALU_CYCLE_1)
	s_and_not1_b32 vcc_lo, exec_lo, s2
	s_mov_b32 s2, -1
	s_cbranch_vccnz .LBB400_3
; %bb.1:
	s_cmp_lg_u32 s23, 0
	s_cbranch_scc0 .LBB400_38
; %bb.2:
	s_wait_kmcnt 0x0
	v_cmp_neq_f64_e64 s2, s[12:13], 0
	v_cmp_neq_f64_e64 s3, s[14:15], 0
	s_or_b32 s2, s2, s3
.LBB400_3:
	s_delay_alu instid0(SALU_CYCLE_1)
	s_and_b32 vcc_lo, exec_lo, s2
	s_cbranch_vccz .LBB400_39
; %bb.4:
	s_load_b32 s27, s[0:1], 0x60
	s_lshr_b32 s8, ttmp7, 16
	s_wait_kmcnt 0x0
	s_cmp_ge_u32 s8, s27
	s_cbranch_scc1 .LBB400_39
; %bb.5:
	v_cmp_neq_f64_e64 s31, s[12:13], 0
	v_cmp_neq_f64_e64 s33, s[14:15], 0
	v_and_b32_e32 v1, 0x3ff, v0
	v_bfe_u32 v2, v0, 10, 10
	s_clause 0x4
	s_load_b32 s37, s[0:1], 0x18
	s_load_b128 s[16:19], s[0:1], 0x20
	s_load_b32 s34, s[0:1], 0x30
	s_load_b96 s[24:26], s[0:1], 0x48
	s_load_b64 s[28:29], s[0:1], 0x58
	v_and_b32_e32 v35, 7, v0
	s_lshl_b32 s1, ttmp9, 5
	v_lshlrev_b32_e32 v36, 4, v1
	v_lshl_add_u32 v0, v2, 4, v1
	v_add_nc_u32_e32 v5, s1, v1
	v_lshlrev_b32_e32 v3, 4, v35
	v_cmp_neq_f64_e64 s36, s[4:5], 0
	s_lshl_b32 s0, ttmp7, 5
	v_lshrrev_b32_e32 v38, 5, v0
	v_and_b32_e32 v1, 31, v0
	v_lshrrev_b32_e32 v0, 3, v0
	s_wait_alu 0xfffe
	s_and_b32 s2, s0, 0x1fffe0
	v_add_nc_u32_e32 v7, 16, v5
	v_add_nc_u32_e32 v4, s2, v2
	v_or_b32_e32 v9, s1, v1
	v_add_nc_u32_e32 v13, s2, v0
	v_lshlrev_b32_e32 v1, 4, v1
	v_lshl_or_b32 v0, v0, 7, v3
	v_lshl_add_u32 v37, v2, 7, 0x1000
	v_cmp_gt_i32_e32 vcc_lo, s22, v4
	v_cmp_le_i32_e64 s0, v5, v4
	v_cmp_le_i32_e64 s1, v7, v4
	v_lshl_or_b32 v39, v38, 9, v1
	v_add_nc_u32_e32 v40, 0x1000, v0
	s_wait_kmcnt 0x0
	v_mad_co_i64_i32 v[1:2], null, v4, s26, 0
	v_add_nc_u32_e32 v0, 16, v4
	v_mad_co_i64_i32 v[3:4], null, s37, v9, 0
	s_ashr_i32 s35, s34, 31
	v_cmp_gt_i32_e64 s2, s22, v9
	v_mad_co_i64_i32 v[9:10], null, s34, v35, 0
	v_cmp_gt_i32_e64 s3, s22, v13
	s_or_b32 s38, s31, s33
	s_cmp_gt_i32 s23, 0
	v_lshlrev_b64_e32 v[3:4], 4, v[3:4]
	s_cselect_b32 s39, -1, 0
	s_and_b32 s31, vcc_lo, s0
	s_and_b32 s33, vcc_lo, s1
	v_cmp_gt_i32_e32 vcc_lo, s22, v0
	v_cmp_le_i32_e64 s0, v5, v0
	v_cmp_le_i32_e64 s1, v7, v0
	v_mad_co_i64_i32 v[11:12], null, v0, s26, 0
	v_lshlrev_b64_e32 v[9:10], 4, v[9:10]
	s_delay_alu instid0(VALU_DEP_4) | instskip(NEXT) | instid1(VALU_DEP_3)
	s_and_b32 s22, vcc_lo, s0
	s_and_b32 s26, vcc_lo, s1
	s_lshl_b64 s[0:1], s[16:17], 4
	v_lshlrev_b32_e32 v14, 4, v38
	s_wait_alu 0xfffe
	v_add_co_u32 v3, vcc_lo, v3, s0
	s_delay_alu instid0(VALU_DEP_1)
	v_add_co_ci_u32_e64 v4, null, s1, v4, vcc_lo
	s_lshl_b64 s[0:1], s[20:21], 4
	v_lshlrev_b32_e32 v13, 4, v13
	s_wait_alu 0xfffe
	v_add_co_u32 v9, vcc_lo, v9, s0
	s_wait_alu 0xfffd
	v_add_co_ci_u32_e64 v10, null, s1, v10, vcc_lo
	v_add_co_u32 v41, vcc_lo, v3, v14
	s_wait_alu 0xfffd
	v_add_co_ci_u32_e64 v42, null, 0, v4, vcc_lo
	;; [unrolled: 3-line block ×3, first 2 shown]
	v_lshlrev_b64_e32 v[9:10], 4, v[1:2]
	v_lshlrev_b64_e32 v[11:12], 4, v[11:12]
	v_ashrrev_i32_e32 v6, 31, v5
	v_ashrrev_i32_e32 v8, 31, v7
	v_mov_b32_e32 v0, 0
	s_xor_b32 s30, s30, -1
	s_mov_b32 s9, 0
	s_or_b32 s30, s36, s30
	s_lshl_b64 s[0:1], s[34:35], 7
	s_and_b32 s20, s38, s39
	s_xor_b32 s21, s2, -1
	s_xor_b32 s34, s3, -1
	s_lshl_b64 s[2:3], s[28:29], 4
	s_branch .LBB400_7
.LBB400_6:                              ;   in Loop: Header=BB400_7 Depth=1
	s_wait_alu 0xfffe
	s_or_b32 exec_lo, exec_lo, s16
	s_add_co_i32 s8, s8, 0x10000
	s_delay_alu instid0(SALU_CYCLE_1)
	s_cmp_lt_u32 s8, s27
	s_cbranch_scc0 .LBB400_39
.LBB400_7:                              ; =>This Loop Header: Depth=1
                                        ;     Child Loop BB400_10 Depth 2
	s_lshl_b64 s[16:17], s[8:9], 3
	v_mov_b32_e32 v31, 0
	s_wait_alu 0xfffe
	s_add_nc_u64 s[28:29], s[24:25], s[16:17]
	v_mov_b32_e32 v27, 0
	global_load_b64 v[13:14], v0, s[28:29]
	v_mov_b32_e32 v23, 0
	v_dual_mov_b32 v21, 0 :: v_dual_mov_b32 v32, 0
	v_dual_mov_b32 v33, 0 :: v_dual_mov_b32 v28, 0
	;; [unrolled: 1-line block ×5, first 2 shown]
	v_mov_b32_e32 v30, 0
	v_mov_b32_e32 v26, 0
	;; [unrolled: 1-line block ×3, first 2 shown]
	s_and_not1_b32 vcc_lo, exec_lo, s20
	s_wait_alu 0xfffe
	s_cbranch_vccnz .LBB400_18
; %bb.8:                                ;   in Loop: Header=BB400_7 Depth=1
	s_add_nc_u64 s[28:29], s[10:11], s[16:17]
	s_add_nc_u64 s[16:17], s[18:19], s[16:17]
	s_clause 0x1
	global_load_b64 v[1:2], v0, s[28:29]
	global_load_b64 v[3:4], v0, s[16:17]
	v_mov_b32_e32 v19, 0
	v_mov_b32_e32 v25, 0
	;; [unrolled: 1-line block ×3, first 2 shown]
	v_dual_mov_b32 v33, 0 :: v_dual_mov_b32 v20, 0
	v_dual_mov_b32 v21, 0 :: v_dual_mov_b32 v26, 0
	;; [unrolled: 1-line block ×5, first 2 shown]
	v_mov_b32_e32 v24, 0
	v_mov_b32_e32 v28, 0
	v_mov_b32_e32 v32, 0
	s_mov_b32 s16, 0
	s_wait_loadcnt 0x1
	v_add_co_u32 v15, vcc_lo, v1, v41
	s_wait_alu 0xfffd
	v_add_co_ci_u32_e64 v16, null, v2, v42, vcc_lo
	s_wait_loadcnt 0x0
	v_add_co_u32 v17, vcc_lo, v3, v43
	s_wait_alu 0xfffd
	v_add_co_ci_u32_e64 v18, null, v4, v44, vcc_lo
	s_branch .LBB400_10
.LBB400_9:                              ;   in Loop: Header=BB400_10 Depth=2
	s_wait_alu 0xfffe
	s_or_b32 exec_lo, exec_lo, s17
	s_wait_dscnt 0x0
	s_barrier_signal -1
	s_barrier_wait -1
	global_inv scope:SCOPE_SE
	ds_load_b128 v[1:4], v37
	ds_load_b128 v[45:48], v36
	ds_load_b128 v[49:52], v36 offset:256
	ds_load_b128 v[53:56], v37 offset:2048
	;; [unrolled: 1-line block ×10, first 2 shown]
	v_add_co_u32 v15, vcc_lo, 0x80, v15
	s_wait_alu 0xfffd
	v_add_co_ci_u32_e64 v16, null, 0, v16, vcc_lo
	v_add_co_u32 v17, vcc_lo, v17, s0
	s_wait_alu 0xfffd
	v_add_co_ci_u32_e64 v18, null, s1, v18, vcc_lo
	s_add_co_i32 s16, s16, 8
	s_wait_alu 0xfffe
	s_cmp_lt_i32 s16, s23
	s_wait_dscnt 0xa
	v_mul_f64_e32 v[89:90], v[3:4], v[47:48]
	v_mul_f64_e32 v[91:92], v[1:2], v[47:48]
	s_wait_dscnt 0x9
	v_mul_f64_e32 v[93:94], v[3:4], v[51:52]
	v_mul_f64_e32 v[95:96], v[1:2], v[51:52]
	;; [unrolled: 3-line block ×3, first 2 shown]
	v_mul_f64_e32 v[99:100], v[55:56], v[51:52]
	v_mul_f64_e32 v[51:52], v[53:54], v[51:52]
	s_wait_dscnt 0x5
	v_mul_f64_e32 v[101:102], v[59:60], v[67:68]
	v_mul_f64_e32 v[103:104], v[57:58], v[67:68]
	s_wait_dscnt 0x4
	v_mul_f64_e32 v[105:106], v[59:60], v[71:72]
	v_mul_f64_e32 v[107:108], v[57:58], v[71:72]
	v_mul_f64_e32 v[109:110], v[63:64], v[67:68]
	v_mul_f64_e32 v[67:68], v[61:62], v[67:68]
	v_mul_f64_e32 v[111:112], v[63:64], v[71:72]
	v_mul_f64_e32 v[71:72], v[61:62], v[71:72]
	s_wait_dscnt 0x2
	v_mul_f64_e32 v[117:118], v[75:76], v[79:80]
	v_mul_f64_e32 v[119:120], v[73:74], v[79:80]
	s_wait_dscnt 0x1
	v_mul_f64_e32 v[121:122], v[75:76], v[83:84]
	v_mul_f64_e32 v[123:124], v[73:74], v[83:84]
	;; [unrolled: 3-line block ×3, first 2 shown]
	v_mul_f64_e32 v[127:128], v[87:88], v[83:84]
	v_mul_f64_e32 v[83:84], v[85:86], v[83:84]
	v_fma_f64 v[89:90], v[1:2], v[45:46], -v[89:90]
	v_fma_f64 v[91:92], v[3:4], v[45:46], v[91:92]
	v_fma_f64 v[93:94], v[1:2], v[49:50], -v[93:94]
	v_fma_f64 v[95:96], v[3:4], v[49:50], v[95:96]
	;; [unrolled: 2-line block ×8, first 2 shown]
	ds_load_b128 v[1:4], v37 offset:48
	ds_load_b128 v[45:48], v37 offset:2096
	;; [unrolled: 1-line block ×4, first 2 shown]
	v_fma_f64 v[117:118], v[73:74], v[77:78], -v[117:118]
	v_fma_f64 v[119:120], v[75:76], v[77:78], v[119:120]
	v_fma_f64 v[73:74], v[73:74], v[81:82], -v[121:122]
	v_fma_f64 v[75:76], v[75:76], v[81:82], v[123:124]
	;; [unrolled: 2-line block ×4, first 2 shown]
	s_wait_dscnt 0x1
	v_mul_f64_e32 v[107:108], v[1:2], v[51:52]
	s_wait_dscnt 0x0
	v_mul_f64_e32 v[109:110], v[3:4], v[55:56]
	v_mul_f64_e32 v[111:112], v[1:2], v[55:56]
	v_add_f64_e32 v[67:68], v[31:32], v[89:90]
	v_add_f64_e32 v[69:70], v[91:92], v[33:34]
	;; [unrolled: 1-line block ×8, first 2 shown]
	v_mul_f64_e32 v[99:100], v[3:4], v[51:52]
	v_mul_f64_e32 v[113:114], v[47:48], v[51:52]
	;; [unrolled: 1-line block ×5, first 2 shown]
	ds_load_b128 v[19:22], v37 offset:64
	ds_load_b128 v[23:26], v36 offset:2048
	;; [unrolled: 1-line block ×4, first 2 shown]
	s_wait_dscnt 0x0
	v_mul_f64_e32 v[123:124], v[33:34], v[25:26]
	v_mul_f64_e32 v[125:126], v[33:34], v[29:30]
	v_fma_f64 v[107:108], v[3:4], v[49:50], v[107:108]
	v_fma_f64 v[109:110], v[1:2], v[53:54], -v[109:110]
	v_fma_f64 v[111:112], v[3:4], v[53:54], v[111:112]
	v_add_f64_e32 v[83:84], v[67:68], v[101:102]
	v_add_f64_e32 v[85:86], v[103:104], v[69:70]
	;; [unrolled: 1-line block ×8, first 2 shown]
	v_mul_f64_e32 v[97:98], v[21:22], v[25:26]
	v_mul_f64_e32 v[101:102], v[19:20], v[25:26]
	;; [unrolled: 1-line block ×6, first 2 shown]
	v_fma_f64 v[99:100], v[1:2], v[49:50], -v[99:100]
	v_fma_f64 v[113:114], v[45:46], v[49:50], -v[113:114]
	v_fma_f64 v[127:128], v[47:48], v[49:50], v[51:52]
	v_fma_f64 v[115:116], v[45:46], v[53:54], -v[115:116]
	v_fma_f64 v[53:54], v[47:48], v[53:54], v[129:130]
	ds_load_b128 v[55:58], v37 offset:80
	ds_load_b128 v[59:62], v37 offset:2128
	;; [unrolled: 1-line block ×4, first 2 shown]
	v_fma_f64 v[123:124], v[31:32], v[23:24], -v[123:124]
	v_fma_f64 v[125:126], v[31:32], v[27:28], -v[125:126]
	v_add_f64_e32 v[83:84], v[83:84], v[117:118]
	v_add_f64_e32 v[85:86], v[119:120], v[85:86]
	;; [unrolled: 1-line block ×8, first 2 shown]
	s_wait_dscnt 0x1
	v_mul_f64_e32 v[89:90], v[57:58], v[65:66]
	v_mul_f64_e32 v[91:92], v[55:56], v[65:66]
	s_wait_dscnt 0x0
	v_mul_f64_e32 v[93:94], v[57:58], v[69:70]
	v_mul_f64_e32 v[95:96], v[55:56], v[69:70]
	;; [unrolled: 1-line block ×6, first 2 shown]
	v_fma_f64 v[97:98], v[19:20], v[23:24], -v[97:98]
	v_fma_f64 v[101:102], v[21:22], v[23:24], v[101:102]
	v_fma_f64 v[103:104], v[19:20], v[27:28], -v[103:104]
	v_fma_f64 v[105:106], v[21:22], v[27:28], v[105:106]
	v_fma_f64 v[129:130], v[33:34], v[23:24], v[25:26]
	;; [unrolled: 1-line block ×3, first 2 shown]
	ds_load_b128 v[1:4], v37 offset:96
	ds_load_b128 v[45:48], v36 offset:3072
	;; [unrolled: 1-line block ×8, first 2 shown]
	s_wait_loadcnt_dscnt 0x0
	s_barrier_signal -1
	s_barrier_wait -1
	global_inv scope:SCOPE_SE
	v_add_f64_e32 v[83:84], v[83:84], v[99:100]
	v_add_f64_e32 v[85:86], v[107:108], v[85:86]
	;; [unrolled: 1-line block ×8, first 2 shown]
	v_mul_f64_e32 v[81:82], v[3:4], v[47:48]
	v_mul_f64_e32 v[107:108], v[1:2], v[47:48]
	;; [unrolled: 1-line block ×8, first 2 shown]
	v_fma_f64 v[89:90], v[55:56], v[63:64], -v[89:90]
	v_fma_f64 v[91:92], v[57:58], v[63:64], v[91:92]
	v_fma_f64 v[55:56], v[55:56], v[67:68], -v[93:94]
	v_fma_f64 v[57:58], v[57:58], v[67:68], v[95:96]
	;; [unrolled: 2-line block ×4, first 2 shown]
	v_mul_f64_e32 v[95:96], v[21:22], v[33:34]
	v_add_f64_e32 v[65:66], v[83:84], v[97:98]
	v_add_f64_e32 v[67:68], v[101:102], v[85:86]
	;; [unrolled: 1-line block ×8, first 2 shown]
	v_mul_f64_e32 v[85:86], v[21:22], v[29:30]
	v_mul_f64_e32 v[87:88], v[19:20], v[29:30]
	;; [unrolled: 1-line block ×7, first 2 shown]
	v_fma_f64 v[81:82], v[1:2], v[45:46], -v[81:82]
	v_fma_f64 v[103:104], v[3:4], v[45:46], v[107:108]
	v_fma_f64 v[1:2], v[1:2], v[49:50], -v[109:110]
	v_fma_f64 v[3:4], v[3:4], v[49:50], v[111:112]
	v_fma_f64 v[105:106], v[71:72], v[45:46], -v[113:114]
	v_fma_f64 v[45:46], v[73:74], v[45:46], v[47:48]
	v_fma_f64 v[47:48], v[71:72], v[49:50], -v[115:116]
	v_fma_f64 v[49:50], v[73:74], v[49:50], v[51:52]
	v_add_f64_e32 v[51:52], v[65:66], v[89:90]
	v_add_f64_e32 v[65:66], v[91:92], v[67:68]
	;; [unrolled: 1-line block ×8, first 2 shown]
	v_fma_f64 v[61:62], v[19:20], v[27:28], -v[85:86]
	v_fma_f64 v[69:70], v[21:22], v[27:28], v[87:88]
	v_fma_f64 v[19:20], v[19:20], v[31:32], -v[95:96]
	v_fma_f64 v[21:22], v[21:22], v[31:32], v[97:98]
	;; [unrolled: 2-line block ×4, first 2 shown]
	v_add_f64_e32 v[23:24], v[51:52], v[81:82]
	v_add_f64_e32 v[25:26], v[103:104], v[65:66]
	;; [unrolled: 1-line block ×16, first 2 shown]
	s_cbranch_scc0 .LBB400_18
.LBB400_10:                             ;   Parent Loop BB400_7 Depth=1
                                        ; =>  This Inner Loop Header: Depth=2
	s_wait_alu 0xfffe
	v_add_nc_u32_e32 v1, s16, v38
	s_delay_alu instid0(VALU_DEP_1) | instskip(SKIP_3) | instid1(SALU_CYCLE_1)
	v_cmp_le_i32_e32 vcc_lo, s23, v1
	s_or_b32 s17, s21, vcc_lo
	s_wait_alu 0xfffe
	s_and_saveexec_b32 s28, s17
	s_xor_b32 s17, exec_lo, s28
; %bb.11:                               ;   in Loop: Header=BB400_10 Depth=2
	v_dual_mov_b32 v1, v0 :: v_dual_mov_b32 v2, v0
	v_mov_b32_e32 v3, v0
	ds_store_b128 v39, v[0:3]
; %bb.12:                               ;   in Loop: Header=BB400_10 Depth=2
	s_wait_alu 0xfffe
	s_and_not1_saveexec_b32 s17, s17
	s_cbranch_execz .LBB400_14
; %bb.13:                               ;   in Loop: Header=BB400_10 Depth=2
	flat_load_b128 v[1:4], v[15:16]
	s_wait_loadcnt_dscnt 0x0
	ds_store_2addr_b64 v39, v[1:2], v[3:4] offset1:1
.LBB400_14:                             ;   in Loop: Header=BB400_10 Depth=2
	s_wait_alu 0xfffe
	s_or_b32 exec_lo, exec_lo, s17
	v_add_nc_u32_e32 v1, s16, v35
	s_delay_alu instid0(VALU_DEP_1) | instskip(SKIP_3) | instid1(SALU_CYCLE_1)
	v_cmp_le_i32_e32 vcc_lo, s23, v1
	s_or_b32 s17, vcc_lo, s34
	s_wait_alu 0xfffe
	s_and_saveexec_b32 s28, s17
	s_xor_b32 s17, exec_lo, s28
; %bb.15:                               ;   in Loop: Header=BB400_10 Depth=2
	v_dual_mov_b32 v1, v0 :: v_dual_mov_b32 v2, v0
	v_mov_b32_e32 v3, v0
	ds_store_b128 v40, v[0:3]
; %bb.16:                               ;   in Loop: Header=BB400_10 Depth=2
	s_wait_alu 0xfffe
	s_and_not1_saveexec_b32 s17, s17
	s_cbranch_execz .LBB400_9
; %bb.17:                               ;   in Loop: Header=BB400_10 Depth=2
	flat_load_b128 v[1:4], v[17:18]
	s_wait_loadcnt_dscnt 0x0
	ds_store_2addr_b64 v40, v[1:2], v[3:4] offset1:1
	s_branch .LBB400_9
.LBB400_18:                             ;   in Loop: Header=BB400_7 Depth=1
	s_wait_loadcnt 0x0
	v_add_co_u32 v13, vcc_lo, v13, s2
	s_wait_alu 0xfffd
	v_add_co_ci_u32_e64 v14, null, s3, v14, vcc_lo
	s_delay_alu instid0(VALU_DEP_2) | instskip(SKIP_1) | instid1(VALU_DEP_2)
	v_add_co_u32 v15, vcc_lo, v13, v9
	s_wait_alu 0xfffd
	v_add_co_ci_u32_e64 v16, null, v14, v10, vcc_lo
	s_and_saveexec_b32 s16, s31
	s_cbranch_execz .LBB400_23
; %bb.19:                               ;   in Loop: Header=BB400_7 Depth=1
	v_mul_f64_e32 v[1:2], s[14:15], v[33:34]
	v_mul_f64_e32 v[3:4], s[12:13], v[33:34]
	s_and_b32 vcc_lo, exec_lo, s30
	s_mov_b32 s17, -1
	s_delay_alu instid0(VALU_DEP_2) | instskip(NEXT) | instid1(VALU_DEP_2)
	v_fma_f64 v[1:2], s[12:13], v[31:32], -v[1:2]
	v_fma_f64 v[3:4], s[14:15], v[31:32], v[3:4]
	s_wait_alu 0xfffe
	s_cbranch_vccz .LBB400_21
; %bb.20:                               ;   in Loop: Header=BB400_7 Depth=1
	v_lshlrev_b64_e32 v[17:18], 4, v[5:6]
	s_mov_b32 s17, 0
	s_delay_alu instid0(VALU_DEP_1) | instskip(SKIP_1) | instid1(VALU_DEP_2)
	v_add_co_u32 v17, vcc_lo, v15, v17
	s_wait_alu 0xfffd
	v_add_co_ci_u32_e64 v18, null, v16, v18, vcc_lo
	flat_load_b128 v[31:34], v[17:18]
	s_wait_loadcnt_dscnt 0x0
	v_mul_f64_e32 v[45:46], s[6:7], v[33:34]
	v_mul_f64_e32 v[33:34], s[4:5], v[33:34]
	s_delay_alu instid0(VALU_DEP_2) | instskip(NEXT) | instid1(VALU_DEP_2)
	v_fma_f64 v[45:46], s[4:5], v[31:32], -v[45:46]
	v_fma_f64 v[33:34], s[6:7], v[31:32], v[33:34]
	s_delay_alu instid0(VALU_DEP_2) | instskip(NEXT) | instid1(VALU_DEP_2)
	v_add_f64_e32 v[31:32], v[1:2], v[45:46]
	v_add_f64_e32 v[33:34], v[3:4], v[33:34]
	flat_store_b128 v[17:18], v[31:34]
.LBB400_21:                             ;   in Loop: Header=BB400_7 Depth=1
	s_wait_alu 0xfffe
	s_and_not1_b32 vcc_lo, exec_lo, s17
	s_wait_alu 0xfffe
	s_cbranch_vccnz .LBB400_23
; %bb.22:                               ;   in Loop: Header=BB400_7 Depth=1
	v_lshlrev_b64_e32 v[17:18], 4, v[5:6]
	s_delay_alu instid0(VALU_DEP_1) | instskip(SKIP_1) | instid1(VALU_DEP_2)
	v_add_co_u32 v17, vcc_lo, v15, v17
	s_wait_alu 0xfffd
	v_add_co_ci_u32_e64 v18, null, v16, v18, vcc_lo
	flat_store_b128 v[17:18], v[1:4]
.LBB400_23:                             ;   in Loop: Header=BB400_7 Depth=1
	s_wait_alu 0xfffe
	s_or_b32 exec_lo, exec_lo, s16
	s_and_saveexec_b32 s16, s33
	s_cbranch_execz .LBB400_28
; %bb.24:                               ;   in Loop: Header=BB400_7 Depth=1
	v_mul_f64_e32 v[1:2], s[14:15], v[29:30]
	v_mul_f64_e32 v[3:4], s[12:13], v[29:30]
	s_and_not1_b32 vcc_lo, exec_lo, s30
	s_mov_b32 s17, -1
	s_delay_alu instid0(VALU_DEP_2) | instskip(NEXT) | instid1(VALU_DEP_2)
	v_fma_f64 v[1:2], s[12:13], v[27:28], -v[1:2]
	v_fma_f64 v[3:4], s[14:15], v[27:28], v[3:4]
	s_wait_alu 0xfffe
	s_cbranch_vccnz .LBB400_26
; %bb.25:                               ;   in Loop: Header=BB400_7 Depth=1
	v_lshlrev_b64_e32 v[17:18], 4, v[7:8]
	s_mov_b32 s17, 0
	s_delay_alu instid0(VALU_DEP_1) | instskip(SKIP_1) | instid1(VALU_DEP_2)
	v_add_co_u32 v17, vcc_lo, v15, v17
	s_wait_alu 0xfffd
	v_add_co_ci_u32_e64 v18, null, v16, v18, vcc_lo
	flat_load_b128 v[27:30], v[17:18]
	s_wait_loadcnt_dscnt 0x0
	v_mul_f64_e32 v[31:32], s[6:7], v[29:30]
	v_mul_f64_e32 v[29:30], s[4:5], v[29:30]
	s_delay_alu instid0(VALU_DEP_2) | instskip(NEXT) | instid1(VALU_DEP_2)
	v_fma_f64 v[31:32], s[4:5], v[27:28], -v[31:32]
	v_fma_f64 v[29:30], s[6:7], v[27:28], v[29:30]
	s_delay_alu instid0(VALU_DEP_2) | instskip(NEXT) | instid1(VALU_DEP_2)
	v_add_f64_e32 v[27:28], v[1:2], v[31:32]
	v_add_f64_e32 v[29:30], v[3:4], v[29:30]
	flat_store_b128 v[17:18], v[27:30]
.LBB400_26:                             ;   in Loop: Header=BB400_7 Depth=1
	s_wait_alu 0xfffe
	s_and_not1_b32 vcc_lo, exec_lo, s17
	s_wait_alu 0xfffe
	s_cbranch_vccnz .LBB400_28
; %bb.27:                               ;   in Loop: Header=BB400_7 Depth=1
	v_lshlrev_b64_e32 v[17:18], 4, v[7:8]
	s_delay_alu instid0(VALU_DEP_1) | instskip(SKIP_1) | instid1(VALU_DEP_2)
	v_add_co_u32 v15, vcc_lo, v15, v17
	s_wait_alu 0xfffd
	v_add_co_ci_u32_e64 v16, null, v16, v18, vcc_lo
	flat_store_b128 v[15:16], v[1:4]
.LBB400_28:                             ;   in Loop: Header=BB400_7 Depth=1
	s_wait_alu 0xfffe
	s_or_b32 exec_lo, exec_lo, s16
	v_add_co_u32 v15, vcc_lo, v13, v11
	s_wait_alu 0xfffd
	v_add_co_ci_u32_e64 v16, null, v14, v12, vcc_lo
	s_and_saveexec_b32 s16, s22
	s_cbranch_execz .LBB400_33
; %bb.29:                               ;   in Loop: Header=BB400_7 Depth=1
	v_mul_f64_e32 v[1:2], s[14:15], v[25:26]
	v_mul_f64_e32 v[3:4], s[12:13], v[25:26]
	v_lshlrev_b64_e32 v[13:14], 4, v[5:6]
	s_and_not1_b32 vcc_lo, exec_lo, s30
	s_mov_b32 s17, -1
	s_delay_alu instid0(VALU_DEP_3) | instskip(NEXT) | instid1(VALU_DEP_3)
	v_fma_f64 v[1:2], s[12:13], v[23:24], -v[1:2]
	v_fma_f64 v[3:4], s[14:15], v[23:24], v[3:4]
	s_wait_alu 0xfffe
	s_cbranch_vccnz .LBB400_31
; %bb.30:                               ;   in Loop: Header=BB400_7 Depth=1
	v_add_co_u32 v17, vcc_lo, v15, v13
	s_wait_alu 0xfffd
	v_add_co_ci_u32_e64 v18, null, v16, v14, vcc_lo
	s_mov_b32 s17, 0
	flat_load_b128 v[23:26], v[17:18]
	s_wait_loadcnt_dscnt 0x0
	v_mul_f64_e32 v[27:28], s[6:7], v[25:26]
	v_mul_f64_e32 v[25:26], s[4:5], v[25:26]
	s_delay_alu instid0(VALU_DEP_2) | instskip(NEXT) | instid1(VALU_DEP_2)
	v_fma_f64 v[27:28], s[4:5], v[23:24], -v[27:28]
	v_fma_f64 v[25:26], s[6:7], v[23:24], v[25:26]
	s_delay_alu instid0(VALU_DEP_2) | instskip(NEXT) | instid1(VALU_DEP_2)
	v_add_f64_e32 v[23:24], v[1:2], v[27:28]
	v_add_f64_e32 v[25:26], v[3:4], v[25:26]
	flat_store_b128 v[17:18], v[23:26]
.LBB400_31:                             ;   in Loop: Header=BB400_7 Depth=1
	s_wait_alu 0xfffe
	s_and_not1_b32 vcc_lo, exec_lo, s17
	s_wait_alu 0xfffe
	s_cbranch_vccnz .LBB400_33
; %bb.32:                               ;   in Loop: Header=BB400_7 Depth=1
	v_add_co_u32 v13, vcc_lo, v15, v13
	s_wait_alu 0xfffd
	v_add_co_ci_u32_e64 v14, null, v16, v14, vcc_lo
	flat_store_b128 v[13:14], v[1:4]
.LBB400_33:                             ;   in Loop: Header=BB400_7 Depth=1
	s_wait_alu 0xfffe
	s_or_b32 exec_lo, exec_lo, s16
	s_and_saveexec_b32 s16, s26
	s_cbranch_execz .LBB400_6
; %bb.34:                               ;   in Loop: Header=BB400_7 Depth=1
	v_mul_f64_e32 v[1:2], s[14:15], v[19:20]
	v_mul_f64_e32 v[3:4], s[12:13], v[19:20]
	v_lshlrev_b64_e32 v[13:14], 4, v[7:8]
	s_and_not1_b32 vcc_lo, exec_lo, s30
	s_mov_b32 s17, -1
	s_delay_alu instid0(VALU_DEP_3) | instskip(NEXT) | instid1(VALU_DEP_3)
	v_fma_f64 v[1:2], s[12:13], v[21:22], -v[1:2]
	v_fma_f64 v[3:4], s[14:15], v[21:22], v[3:4]
	s_wait_alu 0xfffe
	s_cbranch_vccnz .LBB400_36
; %bb.35:                               ;   in Loop: Header=BB400_7 Depth=1
	v_add_co_u32 v21, vcc_lo, v15, v13
	s_wait_alu 0xfffd
	v_add_co_ci_u32_e64 v22, null, v16, v14, vcc_lo
	s_mov_b32 s17, 0
	flat_load_b128 v[17:20], v[21:22]
	s_wait_loadcnt_dscnt 0x0
	v_mul_f64_e32 v[23:24], s[6:7], v[19:20]
	v_mul_f64_e32 v[19:20], s[4:5], v[19:20]
	s_delay_alu instid0(VALU_DEP_2) | instskip(NEXT) | instid1(VALU_DEP_2)
	v_fma_f64 v[23:24], s[4:5], v[17:18], -v[23:24]
	v_fma_f64 v[19:20], s[6:7], v[17:18], v[19:20]
	s_delay_alu instid0(VALU_DEP_2) | instskip(NEXT) | instid1(VALU_DEP_2)
	v_add_f64_e32 v[17:18], v[1:2], v[23:24]
	v_add_f64_e32 v[19:20], v[3:4], v[19:20]
	flat_store_b128 v[21:22], v[17:20]
.LBB400_36:                             ;   in Loop: Header=BB400_7 Depth=1
	s_wait_alu 0xfffe
	s_and_not1_b32 vcc_lo, exec_lo, s17
	s_wait_alu 0xfffe
	s_cbranch_vccnz .LBB400_6
; %bb.37:                               ;   in Loop: Header=BB400_7 Depth=1
	v_add_co_u32 v13, vcc_lo, v15, v13
	s_wait_alu 0xfffd
	v_add_co_ci_u32_e64 v14, null, v16, v14, vcc_lo
	flat_store_b128 v[13:14], v[1:4]
	s_branch .LBB400_6
.LBB400_38:
.LBB400_39:
	s_nop 0
	s_sendmsg sendmsg(MSG_DEALLOC_VGPRS)
	s_endpgm
	.section	.rodata,"a",@progbits
	.p2align	6, 0x0
	.amdhsa_kernel _ZL29rocblas_internal_gemmt_kernelIiLi16ELi32ELi8ELc84ELc84ELc85ELb0ELb0E19rocblas_complex_numIdEPKS1_PKS3_PKPS1_EviT_T9_T10_S9_lSB_S9_lSA_T11_S9_li
		.amdhsa_group_segment_fixed_size 8192
		.amdhsa_private_segment_fixed_size 0
		.amdhsa_kernarg_size 100
		.amdhsa_user_sgpr_count 2
		.amdhsa_user_sgpr_dispatch_ptr 0
		.amdhsa_user_sgpr_queue_ptr 0
		.amdhsa_user_sgpr_kernarg_segment_ptr 1
		.amdhsa_user_sgpr_dispatch_id 0
		.amdhsa_user_sgpr_private_segment_size 0
		.amdhsa_wavefront_size32 1
		.amdhsa_uses_dynamic_stack 0
		.amdhsa_enable_private_segment 0
		.amdhsa_system_sgpr_workgroup_id_x 1
		.amdhsa_system_sgpr_workgroup_id_y 1
		.amdhsa_system_sgpr_workgroup_id_z 1
		.amdhsa_system_sgpr_workgroup_info 0
		.amdhsa_system_vgpr_workitem_id 1
		.amdhsa_next_free_vgpr 133
		.amdhsa_next_free_sgpr 40
		.amdhsa_reserve_vcc 1
		.amdhsa_float_round_mode_32 0
		.amdhsa_float_round_mode_16_64 0
		.amdhsa_float_denorm_mode_32 3
		.amdhsa_float_denorm_mode_16_64 3
		.amdhsa_fp16_overflow 0
		.amdhsa_workgroup_processor_mode 1
		.amdhsa_memory_ordered 1
		.amdhsa_forward_progress 1
		.amdhsa_inst_pref_size 28
		.amdhsa_round_robin_scheduling 0
		.amdhsa_exception_fp_ieee_invalid_op 0
		.amdhsa_exception_fp_denorm_src 0
		.amdhsa_exception_fp_ieee_div_zero 0
		.amdhsa_exception_fp_ieee_overflow 0
		.amdhsa_exception_fp_ieee_underflow 0
		.amdhsa_exception_fp_ieee_inexact 0
		.amdhsa_exception_int_div_zero 0
	.end_amdhsa_kernel
	.section	.text._ZL29rocblas_internal_gemmt_kernelIiLi16ELi32ELi8ELc84ELc84ELc85ELb0ELb0E19rocblas_complex_numIdEPKS1_PKS3_PKPS1_EviT_T9_T10_S9_lSB_S9_lSA_T11_S9_li,"axG",@progbits,_ZL29rocblas_internal_gemmt_kernelIiLi16ELi32ELi8ELc84ELc84ELc85ELb0ELb0E19rocblas_complex_numIdEPKS1_PKS3_PKPS1_EviT_T9_T10_S9_lSB_S9_lSA_T11_S9_li,comdat
.Lfunc_end400:
	.size	_ZL29rocblas_internal_gemmt_kernelIiLi16ELi32ELi8ELc84ELc84ELc85ELb0ELb0E19rocblas_complex_numIdEPKS1_PKS3_PKPS1_EviT_T9_T10_S9_lSB_S9_lSA_T11_S9_li, .Lfunc_end400-_ZL29rocblas_internal_gemmt_kernelIiLi16ELi32ELi8ELc84ELc84ELc85ELb0ELb0E19rocblas_complex_numIdEPKS1_PKS3_PKPS1_EviT_T9_T10_S9_lSB_S9_lSA_T11_S9_li
                                        ; -- End function
	.set _ZL29rocblas_internal_gemmt_kernelIiLi16ELi32ELi8ELc84ELc84ELc85ELb0ELb0E19rocblas_complex_numIdEPKS1_PKS3_PKPS1_EviT_T9_T10_S9_lSB_S9_lSA_T11_S9_li.num_vgpr, 133
	.set _ZL29rocblas_internal_gemmt_kernelIiLi16ELi32ELi8ELc84ELc84ELc85ELb0ELb0E19rocblas_complex_numIdEPKS1_PKS3_PKPS1_EviT_T9_T10_S9_lSB_S9_lSA_T11_S9_li.num_agpr, 0
	.set _ZL29rocblas_internal_gemmt_kernelIiLi16ELi32ELi8ELc84ELc84ELc85ELb0ELb0E19rocblas_complex_numIdEPKS1_PKS3_PKPS1_EviT_T9_T10_S9_lSB_S9_lSA_T11_S9_li.numbered_sgpr, 40
	.set _ZL29rocblas_internal_gemmt_kernelIiLi16ELi32ELi8ELc84ELc84ELc85ELb0ELb0E19rocblas_complex_numIdEPKS1_PKS3_PKPS1_EviT_T9_T10_S9_lSB_S9_lSA_T11_S9_li.num_named_barrier, 0
	.set _ZL29rocblas_internal_gemmt_kernelIiLi16ELi32ELi8ELc84ELc84ELc85ELb0ELb0E19rocblas_complex_numIdEPKS1_PKS3_PKPS1_EviT_T9_T10_S9_lSB_S9_lSA_T11_S9_li.private_seg_size, 0
	.set _ZL29rocblas_internal_gemmt_kernelIiLi16ELi32ELi8ELc84ELc84ELc85ELb0ELb0E19rocblas_complex_numIdEPKS1_PKS3_PKPS1_EviT_T9_T10_S9_lSB_S9_lSA_T11_S9_li.uses_vcc, 1
	.set _ZL29rocblas_internal_gemmt_kernelIiLi16ELi32ELi8ELc84ELc84ELc85ELb0ELb0E19rocblas_complex_numIdEPKS1_PKS3_PKPS1_EviT_T9_T10_S9_lSB_S9_lSA_T11_S9_li.uses_flat_scratch, 0
	.set _ZL29rocblas_internal_gemmt_kernelIiLi16ELi32ELi8ELc84ELc84ELc85ELb0ELb0E19rocblas_complex_numIdEPKS1_PKS3_PKPS1_EviT_T9_T10_S9_lSB_S9_lSA_T11_S9_li.has_dyn_sized_stack, 0
	.set _ZL29rocblas_internal_gemmt_kernelIiLi16ELi32ELi8ELc84ELc84ELc85ELb0ELb0E19rocblas_complex_numIdEPKS1_PKS3_PKPS1_EviT_T9_T10_S9_lSB_S9_lSA_T11_S9_li.has_recursion, 0
	.set _ZL29rocblas_internal_gemmt_kernelIiLi16ELi32ELi8ELc84ELc84ELc85ELb0ELb0E19rocblas_complex_numIdEPKS1_PKS3_PKPS1_EviT_T9_T10_S9_lSB_S9_lSA_T11_S9_li.has_indirect_call, 0
	.section	.AMDGPU.csdata,"",@progbits
; Kernel info:
; codeLenInByte = 3484
; TotalNumSgprs: 42
; NumVgprs: 133
; ScratchSize: 0
; MemoryBound: 0
; FloatMode: 240
; IeeeMode: 1
; LDSByteSize: 8192 bytes/workgroup (compile time only)
; SGPRBlocks: 0
; VGPRBlocks: 16
; NumSGPRsForWavesPerEU: 42
; NumVGPRsForWavesPerEU: 133
; Occupancy: 10
; WaveLimiterHint : 1
; COMPUTE_PGM_RSRC2:SCRATCH_EN: 0
; COMPUTE_PGM_RSRC2:USER_SGPR: 2
; COMPUTE_PGM_RSRC2:TRAP_HANDLER: 0
; COMPUTE_PGM_RSRC2:TGID_X_EN: 1
; COMPUTE_PGM_RSRC2:TGID_Y_EN: 1
; COMPUTE_PGM_RSRC2:TGID_Z_EN: 1
; COMPUTE_PGM_RSRC2:TIDIG_COMP_CNT: 1
	.section	.text._ZL29rocblas_internal_gemmt_kernelIiLi16ELi32ELi8ELc84ELc67ELc85ELb0ELb1E19rocblas_complex_numIdEPKS1_PKS3_PKPS1_EviT_T9_T10_S9_lSB_S9_lSA_T11_S9_li,"axG",@progbits,_ZL29rocblas_internal_gemmt_kernelIiLi16ELi32ELi8ELc84ELc67ELc85ELb0ELb1E19rocblas_complex_numIdEPKS1_PKS3_PKPS1_EviT_T9_T10_S9_lSB_S9_lSA_T11_S9_li,comdat
	.globl	_ZL29rocblas_internal_gemmt_kernelIiLi16ELi32ELi8ELc84ELc67ELc85ELb0ELb1E19rocblas_complex_numIdEPKS1_PKS3_PKPS1_EviT_T9_T10_S9_lSB_S9_lSA_T11_S9_li ; -- Begin function _ZL29rocblas_internal_gemmt_kernelIiLi16ELi32ELi8ELc84ELc67ELc85ELb0ELb1E19rocblas_complex_numIdEPKS1_PKS3_PKPS1_EviT_T9_T10_S9_lSB_S9_lSA_T11_S9_li
	.p2align	8
	.type	_ZL29rocblas_internal_gemmt_kernelIiLi16ELi32ELi8ELc84ELc67ELc85ELb0ELb1E19rocblas_complex_numIdEPKS1_PKS3_PKPS1_EviT_T9_T10_S9_lSB_S9_lSA_T11_S9_li,@function
_ZL29rocblas_internal_gemmt_kernelIiLi16ELi32ELi8ELc84ELc67ELc85ELb0ELb1E19rocblas_complex_numIdEPKS1_PKS3_PKPS1_EviT_T9_T10_S9_lSB_S9_lSA_T11_S9_li: ; @_ZL29rocblas_internal_gemmt_kernelIiLi16ELi32ELi8ELc84ELc67ELc85ELb0ELb1E19rocblas_complex_numIdEPKS1_PKS3_PKPS1_EviT_T9_T10_S9_lSB_S9_lSA_T11_S9_li
; %bb.0:
	s_load_b128 s[20:23], s[0:1], 0x38
	s_wait_kmcnt 0x0
	s_load_b128 s[4:7], s[22:23], 0x0
	s_clause 0x1
	s_load_b128 s[8:11], s[0:1], 0x8
	s_load_b64 s[22:23], s[0:1], 0x0
	s_wait_kmcnt 0x0
	s_load_b128 s[12:15], s[8:9], 0x0
	v_cmp_eq_f64_e64 s2, s[4:5], 1.0
	v_cmp_eq_f64_e64 s33, s[6:7], 0
	s_and_b32 s2, s2, s33
	s_delay_alu instid0(SALU_CYCLE_1)
	s_and_not1_b32 vcc_lo, exec_lo, s2
	s_mov_b32 s2, -1
	s_cbranch_vccnz .LBB401_3
; %bb.1:
	s_cmp_lg_u32 s23, 0
	s_cbranch_scc0 .LBB401_36
; %bb.2:
	s_wait_kmcnt 0x0
	v_cmp_neq_f64_e64 s2, s[12:13], 0
	v_cmp_neq_f64_e64 s3, s[14:15], 0
	s_or_b32 s2, s2, s3
.LBB401_3:
	s_delay_alu instid0(SALU_CYCLE_1)
	s_and_b32 vcc_lo, exec_lo, s2
	s_cbranch_vccz .LBB401_37
; %bb.4:
	s_load_b32 s27, s[0:1], 0x60
	s_lshr_b32 s8, ttmp7, 16
	s_wait_kmcnt 0x0
	s_cmp_ge_u32 s8, s27
	s_cbranch_scc1 .LBB401_37
; %bb.5:
	v_cmp_neq_f64_e64 s34, s[12:13], 0
	v_cmp_neq_f64_e64 s35, s[14:15], 0
	v_and_b32_e32 v1, 0x3ff, v0
	v_bfe_u32 v2, v0, 10, 10
	s_clause 0x4
	s_load_b32 s37, s[0:1], 0x18
	s_load_b128 s[16:19], s[0:1], 0x20
	s_load_b32 s28, s[0:1], 0x30
	s_load_b96 s[24:26], s[0:1], 0x48
	s_load_b64 s[30:31], s[0:1], 0x58
	v_and_b32_e32 v35, 7, v0
	s_lshl_b32 s0, ttmp9, 5
	v_lshlrev_b32_e32 v36, 4, v1
	v_lshl_add_u32 v0, v2, 4, v1
	v_add_nc_u32_e32 v5, s0, v1
	v_lshlrev_b32_e32 v3, 4, v35
	s_lshl_b32 s1, ttmp7, 5
	v_cmp_neq_f64_e64 s36, s[4:5], 0
	v_lshrrev_b32_e32 v38, 5, v0
	v_and_b32_e32 v1, 31, v0
	v_lshrrev_b32_e32 v0, 3, v0
	s_wait_alu 0xfffe
	s_and_b32 s2, s1, 0x1fffe0
	v_add_nc_u32_e32 v7, 16, v5
	v_add_nc_u32_e32 v4, s2, v2
	v_or_b32_e32 v9, s0, v1
	v_add_nc_u32_e32 v13, s2, v0
	v_lshlrev_b32_e32 v1, 4, v1
	v_lshl_or_b32 v0, v0, 7, v3
	v_lshl_add_u32 v37, v2, 7, 0x1000
	v_cmp_gt_i32_e32 vcc_lo, s22, v4
	v_cmp_le_i32_e64 s1, v5, v4
	v_cmp_le_i32_e64 s2, v7, v4
	v_lshl_or_b32 v39, v38, 9, v1
	v_add_nc_u32_e32 v40, 0x1000, v0
	s_wait_kmcnt 0x0
	v_mad_co_i64_i32 v[1:2], null, v4, s26, 0
	v_add_nc_u32_e32 v0, 16, v4
	v_mad_co_i64_i32 v[3:4], null, s37, v9, 0
	v_cmp_gt_i32_e64 s3, s22, v9
	v_mad_co_i64_i32 v[9:10], null, s28, v35, 0
	s_ashr_i32 s29, s28, 31
	v_cmp_gt_i32_e64 s0, s22, v13
	s_or_b32 s38, s34, s35
	s_cmp_gt_i32 s23, 0
	v_lshlrev_b64_e32 v[3:4], 4, v[3:4]
	s_cselect_b32 s39, -1, 0
	s_and_b32 s34, vcc_lo, s1
	s_and_b32 s35, vcc_lo, s2
	v_cmp_gt_i32_e32 vcc_lo, s22, v0
	v_cmp_le_i32_e64 s1, v5, v0
	v_cmp_le_i32_e64 s2, v7, v0
	s_lshl_b64 s[16:17], s[16:17], 4
	v_lshlrev_b64_e32 v[9:10], 4, v[9:10]
	v_mad_co_i64_i32 v[11:12], null, v0, s26, 0
	s_and_b32 s22, vcc_lo, s1
	s_and_b32 s26, vcc_lo, s2
	v_add_co_u32 v3, vcc_lo, v3, s16
	s_delay_alu instid0(VALU_DEP_1)
	v_add_co_ci_u32_e64 v4, null, s17, v4, vcc_lo
	s_lshl_b64 s[16:17], s[20:21], 4
	v_lshlrev_b32_e32 v13, 4, v13
	s_wait_alu 0xfffe
	v_add_co_u32 v9, vcc_lo, v9, s16
	v_lshlrev_b32_e32 v14, 4, v38
	s_wait_alu 0xfffd
	v_add_co_ci_u32_e64 v10, null, s17, v10, vcc_lo
	s_delay_alu instid0(VALU_DEP_3) | instskip(NEXT) | instid1(VALU_DEP_3)
	v_add_co_u32 v9, vcc_lo, v9, v13
	v_add_co_u32 v41, s1, v3, v14
	s_wait_alu 0xfffd
	s_delay_alu instid0(VALU_DEP_3) | instskip(NEXT) | instid1(VALU_DEP_3)
	v_add_co_ci_u32_e64 v43, null, 0, v10, vcc_lo
	v_or_b32_e32 v44, 8, v9
	v_lshlrev_b64_e32 v[9:10], 4, v[1:2]
	v_lshlrev_b64_e32 v[11:12], 4, v[11:12]
	v_ashrrev_i32_e32 v6, 31, v5
	v_ashrrev_i32_e32 v8, 31, v7
	v_mov_b32_e32 v0, 0
	s_wait_alu 0xf1ff
	v_add_co_ci_u32_e64 v42, null, 0, v4, s1
	s_xor_b32 s33, s33, -1
	s_mov_b32 s9, 0
	s_or_b32 s33, s36, s33
	s_and_b32 s1, s38, s39
	s_lshl_b64 s[16:17], s[28:29], 7
	s_xor_b32 s28, s3, -1
	s_lshl_b64 s[2:3], s[30:31], 4
	s_branch .LBB401_7
.LBB401_6:                              ;   in Loop: Header=BB401_7 Depth=1
	s_wait_alu 0xfffe
	s_or_b32 exec_lo, exec_lo, s20
	s_add_co_i32 s8, s8, 0x10000
	s_delay_alu instid0(SALU_CYCLE_1)
	s_cmp_lt_u32 s8, s27
	s_cbranch_scc0 .LBB401_37
.LBB401_7:                              ; =>This Loop Header: Depth=1
                                        ;     Child Loop BB401_10 Depth 2
	s_lshl_b64 s[20:21], s[8:9], 3
	v_mov_b32_e32 v31, 0
	s_wait_alu 0xfffe
	s_add_nc_u64 s[30:31], s[24:25], s[20:21]
	v_mov_b32_e32 v27, 0
	global_load_b64 v[13:14], v0, s[30:31]
	v_mov_b32_e32 v23, 0
	v_dual_mov_b32 v21, 0 :: v_dual_mov_b32 v32, 0
	v_dual_mov_b32 v33, 0 :: v_dual_mov_b32 v28, 0
	;; [unrolled: 1-line block ×5, first 2 shown]
	v_mov_b32_e32 v30, 0
	v_mov_b32_e32 v26, 0
	;; [unrolled: 1-line block ×3, first 2 shown]
	s_and_not1_b32 vcc_lo, exec_lo, s1
	s_wait_alu 0xfffe
	s_cbranch_vccnz .LBB401_16
; %bb.8:                                ;   in Loop: Header=BB401_7 Depth=1
	s_add_nc_u64 s[30:31], s[10:11], s[20:21]
	s_add_nc_u64 s[20:21], s[18:19], s[20:21]
	s_clause 0x1
	global_load_b64 v[1:2], v0, s[30:31]
	global_load_b64 v[3:4], v0, s[20:21]
	v_mov_b32_e32 v19, 0
	v_mov_b32_e32 v25, 0
	;; [unrolled: 1-line block ×3, first 2 shown]
	v_dual_mov_b32 v33, 0 :: v_dual_mov_b32 v20, 0
	v_dual_mov_b32 v21, 0 :: v_dual_mov_b32 v26, 0
	;; [unrolled: 1-line block ×5, first 2 shown]
	v_mov_b32_e32 v24, 0
	v_mov_b32_e32 v28, 0
	;; [unrolled: 1-line block ×3, first 2 shown]
	s_mov_b32 s20, 0
	s_wait_loadcnt 0x1
	v_add_co_u32 v15, vcc_lo, v1, v41
	s_wait_alu 0xfffd
	v_add_co_ci_u32_e64 v16, null, v2, v42, vcc_lo
	s_wait_loadcnt 0x0
	v_add_co_u32 v17, vcc_lo, v3, v44
	s_wait_alu 0xfffd
	v_add_co_ci_u32_e64 v18, null, v4, v43, vcc_lo
	s_branch .LBB401_10
.LBB401_9:                              ;   in Loop: Header=BB401_10 Depth=2
	s_wait_alu 0xfffe
	s_or_b32 exec_lo, exec_lo, s21
	ds_store_b128 v40, v[1:4]
	s_wait_dscnt 0x0
	s_barrier_signal -1
	s_barrier_wait -1
	global_inv scope:SCOPE_SE
	ds_load_b128 v[1:4], v37
	ds_load_b128 v[45:48], v36
	ds_load_b128 v[49:52], v36 offset:256
	ds_load_b128 v[53:56], v37 offset:2048
	;; [unrolled: 1-line block ×10, first 2 shown]
	v_add_co_u32 v15, vcc_lo, 0x80, v15
	s_wait_alu 0xfffd
	v_add_co_ci_u32_e64 v16, null, 0, v16, vcc_lo
	v_add_co_u32 v17, vcc_lo, v17, s16
	s_wait_alu 0xfffd
	v_add_co_ci_u32_e64 v18, null, s17, v18, vcc_lo
	s_add_co_i32 s20, s20, 8
	s_wait_alu 0xfffe
	s_cmp_lt_i32 s20, s23
	s_wait_dscnt 0xa
	v_mul_f64_e32 v[89:90], v[3:4], v[47:48]
	v_mul_f64_e32 v[91:92], v[1:2], v[47:48]
	s_wait_dscnt 0x9
	v_mul_f64_e32 v[93:94], v[3:4], v[51:52]
	v_mul_f64_e32 v[95:96], v[1:2], v[51:52]
	;; [unrolled: 3-line block ×3, first 2 shown]
	v_mul_f64_e32 v[99:100], v[55:56], v[51:52]
	v_mul_f64_e32 v[51:52], v[53:54], v[51:52]
	s_wait_dscnt 0x5
	v_mul_f64_e32 v[101:102], v[59:60], v[67:68]
	v_mul_f64_e32 v[103:104], v[57:58], v[67:68]
	s_wait_dscnt 0x4
	v_mul_f64_e32 v[105:106], v[59:60], v[71:72]
	v_mul_f64_e32 v[107:108], v[57:58], v[71:72]
	v_mul_f64_e32 v[109:110], v[63:64], v[67:68]
	v_mul_f64_e32 v[67:68], v[61:62], v[67:68]
	v_mul_f64_e32 v[111:112], v[63:64], v[71:72]
	v_mul_f64_e32 v[71:72], v[61:62], v[71:72]
	s_wait_dscnt 0x2
	v_mul_f64_e32 v[117:118], v[75:76], v[79:80]
	v_mul_f64_e32 v[119:120], v[73:74], v[79:80]
	s_wait_dscnt 0x1
	v_mul_f64_e32 v[121:122], v[75:76], v[83:84]
	v_mul_f64_e32 v[123:124], v[73:74], v[83:84]
	s_wait_dscnt 0x0
	v_mul_f64_e32 v[125:126], v[87:88], v[79:80]
	v_mul_f64_e32 v[79:80], v[85:86], v[79:80]
	v_mul_f64_e32 v[127:128], v[87:88], v[83:84]
	v_mul_f64_e32 v[83:84], v[85:86], v[83:84]
	v_fma_f64 v[89:90], v[1:2], v[45:46], -v[89:90]
	v_fma_f64 v[91:92], v[3:4], v[45:46], v[91:92]
	v_fma_f64 v[93:94], v[1:2], v[49:50], -v[93:94]
	v_fma_f64 v[95:96], v[3:4], v[49:50], v[95:96]
	;; [unrolled: 2-line block ×8, first 2 shown]
	ds_load_b128 v[1:4], v37 offset:48
	ds_load_b128 v[45:48], v37 offset:2096
	;; [unrolled: 1-line block ×4, first 2 shown]
	v_fma_f64 v[117:118], v[73:74], v[77:78], -v[117:118]
	v_fma_f64 v[119:120], v[75:76], v[77:78], v[119:120]
	v_fma_f64 v[73:74], v[73:74], v[81:82], -v[121:122]
	v_fma_f64 v[75:76], v[75:76], v[81:82], v[123:124]
	;; [unrolled: 2-line block ×4, first 2 shown]
	s_wait_dscnt 0x1
	v_mul_f64_e32 v[107:108], v[1:2], v[51:52]
	s_wait_dscnt 0x0
	v_mul_f64_e32 v[109:110], v[3:4], v[55:56]
	v_mul_f64_e32 v[111:112], v[1:2], v[55:56]
	v_add_f64_e32 v[67:68], v[31:32], v[89:90]
	v_add_f64_e32 v[69:70], v[91:92], v[33:34]
	;; [unrolled: 1-line block ×8, first 2 shown]
	v_mul_f64_e32 v[99:100], v[3:4], v[51:52]
	v_mul_f64_e32 v[113:114], v[47:48], v[51:52]
	;; [unrolled: 1-line block ×5, first 2 shown]
	ds_load_b128 v[19:22], v37 offset:64
	ds_load_b128 v[23:26], v36 offset:2048
	;; [unrolled: 1-line block ×4, first 2 shown]
	s_wait_dscnt 0x0
	v_mul_f64_e32 v[123:124], v[33:34], v[25:26]
	v_mul_f64_e32 v[125:126], v[33:34], v[29:30]
	v_fma_f64 v[107:108], v[3:4], v[49:50], v[107:108]
	v_fma_f64 v[109:110], v[1:2], v[53:54], -v[109:110]
	v_fma_f64 v[111:112], v[3:4], v[53:54], v[111:112]
	v_add_f64_e32 v[83:84], v[67:68], v[101:102]
	v_add_f64_e32 v[85:86], v[103:104], v[69:70]
	;; [unrolled: 1-line block ×8, first 2 shown]
	v_mul_f64_e32 v[97:98], v[21:22], v[25:26]
	v_mul_f64_e32 v[101:102], v[19:20], v[25:26]
	;; [unrolled: 1-line block ×6, first 2 shown]
	v_fma_f64 v[99:100], v[1:2], v[49:50], -v[99:100]
	v_fma_f64 v[113:114], v[45:46], v[49:50], -v[113:114]
	v_fma_f64 v[127:128], v[47:48], v[49:50], v[51:52]
	v_fma_f64 v[115:116], v[45:46], v[53:54], -v[115:116]
	v_fma_f64 v[53:54], v[47:48], v[53:54], v[129:130]
	ds_load_b128 v[55:58], v37 offset:80
	ds_load_b128 v[59:62], v37 offset:2128
	;; [unrolled: 1-line block ×4, first 2 shown]
	v_fma_f64 v[123:124], v[31:32], v[23:24], -v[123:124]
	v_fma_f64 v[125:126], v[31:32], v[27:28], -v[125:126]
	v_add_f64_e32 v[83:84], v[83:84], v[117:118]
	v_add_f64_e32 v[85:86], v[119:120], v[85:86]
	;; [unrolled: 1-line block ×8, first 2 shown]
	s_wait_dscnt 0x1
	v_mul_f64_e32 v[89:90], v[57:58], v[65:66]
	v_mul_f64_e32 v[91:92], v[55:56], v[65:66]
	s_wait_dscnt 0x0
	v_mul_f64_e32 v[93:94], v[57:58], v[69:70]
	v_mul_f64_e32 v[95:96], v[55:56], v[69:70]
	;; [unrolled: 1-line block ×6, first 2 shown]
	v_fma_f64 v[97:98], v[19:20], v[23:24], -v[97:98]
	v_fma_f64 v[101:102], v[21:22], v[23:24], v[101:102]
	v_fma_f64 v[103:104], v[19:20], v[27:28], -v[103:104]
	v_fma_f64 v[105:106], v[21:22], v[27:28], v[105:106]
	v_fma_f64 v[129:130], v[33:34], v[23:24], v[25:26]
	;; [unrolled: 1-line block ×3, first 2 shown]
	ds_load_b128 v[1:4], v37 offset:96
	ds_load_b128 v[45:48], v36 offset:3072
	;; [unrolled: 1-line block ×8, first 2 shown]
	s_wait_loadcnt_dscnt 0x0
	s_barrier_signal -1
	s_barrier_wait -1
	global_inv scope:SCOPE_SE
	v_add_f64_e32 v[83:84], v[83:84], v[99:100]
	v_add_f64_e32 v[85:86], v[107:108], v[85:86]
	;; [unrolled: 1-line block ×8, first 2 shown]
	v_mul_f64_e32 v[81:82], v[3:4], v[47:48]
	v_mul_f64_e32 v[107:108], v[1:2], v[47:48]
	;; [unrolled: 1-line block ×8, first 2 shown]
	v_fma_f64 v[89:90], v[55:56], v[63:64], -v[89:90]
	v_fma_f64 v[91:92], v[57:58], v[63:64], v[91:92]
	v_fma_f64 v[55:56], v[55:56], v[67:68], -v[93:94]
	v_fma_f64 v[57:58], v[57:58], v[67:68], v[95:96]
	;; [unrolled: 2-line block ×4, first 2 shown]
	v_mul_f64_e32 v[95:96], v[21:22], v[33:34]
	v_add_f64_e32 v[65:66], v[83:84], v[97:98]
	v_add_f64_e32 v[67:68], v[101:102], v[85:86]
	;; [unrolled: 1-line block ×8, first 2 shown]
	v_mul_f64_e32 v[85:86], v[21:22], v[29:30]
	v_mul_f64_e32 v[87:88], v[19:20], v[29:30]
	v_mul_f64_e32 v[97:98], v[19:20], v[33:34]
	v_mul_f64_e32 v[99:100], v[25:26], v[29:30]
	v_mul_f64_e32 v[29:30], v[23:24], v[29:30]
	v_mul_f64_e32 v[101:102], v[25:26], v[33:34]
	v_mul_f64_e32 v[33:34], v[23:24], v[33:34]
	v_fma_f64 v[81:82], v[1:2], v[45:46], -v[81:82]
	v_fma_f64 v[103:104], v[3:4], v[45:46], v[107:108]
	v_fma_f64 v[1:2], v[1:2], v[49:50], -v[109:110]
	v_fma_f64 v[3:4], v[3:4], v[49:50], v[111:112]
	;; [unrolled: 2-line block ×4, first 2 shown]
	v_add_f64_e32 v[51:52], v[65:66], v[89:90]
	v_add_f64_e32 v[65:66], v[91:92], v[67:68]
	v_add_f64_e32 v[55:56], v[69:70], v[55:56]
	v_add_f64_e32 v[57:58], v[57:58], v[75:76]
	v_add_f64_e32 v[67:68], v[83:84], v[93:94]
	v_add_f64_e32 v[63:64], v[63:64], v[77:78]
	v_add_f64_e32 v[59:60], v[79:80], v[59:60]
	v_add_f64_e32 v[53:54], v[61:62], v[53:54]
	v_fma_f64 v[61:62], v[19:20], v[27:28], -v[85:86]
	v_fma_f64 v[69:70], v[21:22], v[27:28], v[87:88]
	v_fma_f64 v[19:20], v[19:20], v[31:32], -v[95:96]
	v_fma_f64 v[21:22], v[21:22], v[31:32], v[97:98]
	;; [unrolled: 2-line block ×4, first 2 shown]
	v_add_f64_e32 v[23:24], v[51:52], v[81:82]
	v_add_f64_e32 v[25:26], v[103:104], v[65:66]
	;; [unrolled: 1-line block ×16, first 2 shown]
	s_cbranch_scc0 .LBB401_16
.LBB401_10:                             ;   Parent Loop BB401_7 Depth=1
                                        ; =>  This Inner Loop Header: Depth=2
	s_wait_alu 0xfffe
	v_add_nc_u32_e32 v1, s20, v38
	s_delay_alu instid0(VALU_DEP_1)
	v_cmp_le_i32_e32 vcc_lo, s23, v1
	s_or_b32 s21, s28, vcc_lo
	s_wait_alu 0xfffe
	s_and_saveexec_b32 s29, s21
	s_wait_alu 0xfffe
	s_xor_b32 s21, exec_lo, s29
; %bb.11:                               ;   in Loop: Header=BB401_10 Depth=2
	v_dual_mov_b32 v1, v0 :: v_dual_mov_b32 v2, v0
	v_mov_b32_e32 v3, v0
	ds_store_b128 v39, v[0:3]
; %bb.12:                               ;   in Loop: Header=BB401_10 Depth=2
	s_wait_alu 0xfffe
	s_and_not1_saveexec_b32 s21, s21
	s_cbranch_execz .LBB401_14
; %bb.13:                               ;   in Loop: Header=BB401_10 Depth=2
	flat_load_b128 v[1:4], v[15:16]
	s_wait_loadcnt_dscnt 0x0
	ds_store_2addr_b64 v39, v[1:2], v[3:4] offset1:1
.LBB401_14:                             ;   in Loop: Header=BB401_10 Depth=2
	s_wait_alu 0xfffe
	s_or_b32 exec_lo, exec_lo, s21
	v_add_nc_u32_e32 v1, s20, v35
	v_mov_b32_e32 v3, 0
	v_mov_b32_e32 v4, 0
	s_delay_alu instid0(VALU_DEP_3)
	v_cmp_gt_i32_e32 vcc_lo, s23, v1
	v_mov_b32_e32 v1, 0
	v_mov_b32_e32 v2, 0
	s_and_b32 s29, vcc_lo, s0
	s_wait_alu 0xfffe
	s_and_saveexec_b32 s21, s29
	s_cbranch_execz .LBB401_9
; %bb.15:                               ;   in Loop: Header=BB401_10 Depth=2
	flat_load_b128 v[1:4], v[17:18] offset:-8
	s_wait_loadcnt_dscnt 0x0
	v_xor_b32_e32 v4, 0x80000000, v4
	s_branch .LBB401_9
.LBB401_16:                             ;   in Loop: Header=BB401_7 Depth=1
	s_wait_loadcnt 0x0
	v_add_co_u32 v13, vcc_lo, v13, s2
	s_wait_alu 0xfffd
	v_add_co_ci_u32_e64 v14, null, s3, v14, vcc_lo
	s_delay_alu instid0(VALU_DEP_2) | instskip(SKIP_1) | instid1(VALU_DEP_2)
	v_add_co_u32 v15, vcc_lo, v13, v9
	s_wait_alu 0xfffd
	v_add_co_ci_u32_e64 v16, null, v14, v10, vcc_lo
	s_and_saveexec_b32 s20, s34
	s_cbranch_execz .LBB401_21
; %bb.17:                               ;   in Loop: Header=BB401_7 Depth=1
	v_mul_f64_e32 v[1:2], s[14:15], v[33:34]
	v_mul_f64_e32 v[3:4], s[12:13], v[33:34]
	s_and_b32 vcc_lo, exec_lo, s33
	s_mov_b32 s21, -1
	s_delay_alu instid0(VALU_DEP_2) | instskip(NEXT) | instid1(VALU_DEP_2)
	v_fma_f64 v[1:2], s[12:13], v[31:32], -v[1:2]
	v_fma_f64 v[3:4], s[14:15], v[31:32], v[3:4]
	s_wait_alu 0xfffe
	s_cbranch_vccz .LBB401_19
; %bb.18:                               ;   in Loop: Header=BB401_7 Depth=1
	v_lshlrev_b64_e32 v[17:18], 4, v[5:6]
	s_mov_b32 s21, 0
	s_delay_alu instid0(VALU_DEP_1) | instskip(SKIP_1) | instid1(VALU_DEP_2)
	v_add_co_u32 v17, vcc_lo, v15, v17
	s_wait_alu 0xfffd
	v_add_co_ci_u32_e64 v18, null, v16, v18, vcc_lo
	flat_load_b128 v[31:34], v[17:18]
	s_wait_loadcnt_dscnt 0x0
	v_mul_f64_e32 v[45:46], s[6:7], v[33:34]
	v_mul_f64_e32 v[33:34], s[4:5], v[33:34]
	s_delay_alu instid0(VALU_DEP_2) | instskip(NEXT) | instid1(VALU_DEP_2)
	v_fma_f64 v[45:46], s[4:5], v[31:32], -v[45:46]
	v_fma_f64 v[33:34], s[6:7], v[31:32], v[33:34]
	s_delay_alu instid0(VALU_DEP_2) | instskip(NEXT) | instid1(VALU_DEP_2)
	v_add_f64_e32 v[31:32], v[1:2], v[45:46]
	v_add_f64_e32 v[33:34], v[3:4], v[33:34]
	flat_store_b128 v[17:18], v[31:34]
.LBB401_19:                             ;   in Loop: Header=BB401_7 Depth=1
	s_wait_alu 0xfffe
	s_and_not1_b32 vcc_lo, exec_lo, s21
	s_wait_alu 0xfffe
	s_cbranch_vccnz .LBB401_21
; %bb.20:                               ;   in Loop: Header=BB401_7 Depth=1
	v_lshlrev_b64_e32 v[17:18], 4, v[5:6]
	s_delay_alu instid0(VALU_DEP_1) | instskip(SKIP_1) | instid1(VALU_DEP_2)
	v_add_co_u32 v17, vcc_lo, v15, v17
	s_wait_alu 0xfffd
	v_add_co_ci_u32_e64 v18, null, v16, v18, vcc_lo
	flat_store_b128 v[17:18], v[1:4]
.LBB401_21:                             ;   in Loop: Header=BB401_7 Depth=1
	s_wait_alu 0xfffe
	s_or_b32 exec_lo, exec_lo, s20
	s_and_saveexec_b32 s20, s35
	s_cbranch_execz .LBB401_26
; %bb.22:                               ;   in Loop: Header=BB401_7 Depth=1
	v_mul_f64_e32 v[1:2], s[14:15], v[29:30]
	v_mul_f64_e32 v[3:4], s[12:13], v[29:30]
	s_and_not1_b32 vcc_lo, exec_lo, s33
	s_mov_b32 s21, -1
	s_delay_alu instid0(VALU_DEP_2) | instskip(NEXT) | instid1(VALU_DEP_2)
	v_fma_f64 v[1:2], s[12:13], v[27:28], -v[1:2]
	v_fma_f64 v[3:4], s[14:15], v[27:28], v[3:4]
	s_wait_alu 0xfffe
	s_cbranch_vccnz .LBB401_24
; %bb.23:                               ;   in Loop: Header=BB401_7 Depth=1
	v_lshlrev_b64_e32 v[17:18], 4, v[7:8]
	s_mov_b32 s21, 0
	s_delay_alu instid0(VALU_DEP_1) | instskip(SKIP_1) | instid1(VALU_DEP_2)
	v_add_co_u32 v17, vcc_lo, v15, v17
	s_wait_alu 0xfffd
	v_add_co_ci_u32_e64 v18, null, v16, v18, vcc_lo
	flat_load_b128 v[27:30], v[17:18]
	s_wait_loadcnt_dscnt 0x0
	v_mul_f64_e32 v[31:32], s[6:7], v[29:30]
	v_mul_f64_e32 v[29:30], s[4:5], v[29:30]
	s_delay_alu instid0(VALU_DEP_2) | instskip(NEXT) | instid1(VALU_DEP_2)
	v_fma_f64 v[31:32], s[4:5], v[27:28], -v[31:32]
	v_fma_f64 v[29:30], s[6:7], v[27:28], v[29:30]
	s_delay_alu instid0(VALU_DEP_2) | instskip(NEXT) | instid1(VALU_DEP_2)
	v_add_f64_e32 v[27:28], v[1:2], v[31:32]
	v_add_f64_e32 v[29:30], v[3:4], v[29:30]
	flat_store_b128 v[17:18], v[27:30]
.LBB401_24:                             ;   in Loop: Header=BB401_7 Depth=1
	s_wait_alu 0xfffe
	s_and_not1_b32 vcc_lo, exec_lo, s21
	s_wait_alu 0xfffe
	s_cbranch_vccnz .LBB401_26
; %bb.25:                               ;   in Loop: Header=BB401_7 Depth=1
	v_lshlrev_b64_e32 v[17:18], 4, v[7:8]
	s_delay_alu instid0(VALU_DEP_1) | instskip(SKIP_1) | instid1(VALU_DEP_2)
	v_add_co_u32 v15, vcc_lo, v15, v17
	s_wait_alu 0xfffd
	v_add_co_ci_u32_e64 v16, null, v16, v18, vcc_lo
	flat_store_b128 v[15:16], v[1:4]
.LBB401_26:                             ;   in Loop: Header=BB401_7 Depth=1
	s_wait_alu 0xfffe
	s_or_b32 exec_lo, exec_lo, s20
	v_add_co_u32 v15, vcc_lo, v13, v11
	s_wait_alu 0xfffd
	v_add_co_ci_u32_e64 v16, null, v14, v12, vcc_lo
	s_and_saveexec_b32 s20, s22
	s_cbranch_execz .LBB401_31
; %bb.27:                               ;   in Loop: Header=BB401_7 Depth=1
	v_mul_f64_e32 v[1:2], s[14:15], v[25:26]
	v_mul_f64_e32 v[3:4], s[12:13], v[25:26]
	v_lshlrev_b64_e32 v[13:14], 4, v[5:6]
	s_and_not1_b32 vcc_lo, exec_lo, s33
	s_mov_b32 s21, -1
	s_delay_alu instid0(VALU_DEP_3) | instskip(NEXT) | instid1(VALU_DEP_3)
	v_fma_f64 v[1:2], s[12:13], v[23:24], -v[1:2]
	v_fma_f64 v[3:4], s[14:15], v[23:24], v[3:4]
	s_wait_alu 0xfffe
	s_cbranch_vccnz .LBB401_29
; %bb.28:                               ;   in Loop: Header=BB401_7 Depth=1
	v_add_co_u32 v17, vcc_lo, v15, v13
	s_wait_alu 0xfffd
	v_add_co_ci_u32_e64 v18, null, v16, v14, vcc_lo
	s_mov_b32 s21, 0
	flat_load_b128 v[23:26], v[17:18]
	s_wait_loadcnt_dscnt 0x0
	v_mul_f64_e32 v[27:28], s[6:7], v[25:26]
	v_mul_f64_e32 v[25:26], s[4:5], v[25:26]
	s_delay_alu instid0(VALU_DEP_2) | instskip(NEXT) | instid1(VALU_DEP_2)
	v_fma_f64 v[27:28], s[4:5], v[23:24], -v[27:28]
	v_fma_f64 v[25:26], s[6:7], v[23:24], v[25:26]
	s_delay_alu instid0(VALU_DEP_2) | instskip(NEXT) | instid1(VALU_DEP_2)
	v_add_f64_e32 v[23:24], v[1:2], v[27:28]
	v_add_f64_e32 v[25:26], v[3:4], v[25:26]
	flat_store_b128 v[17:18], v[23:26]
.LBB401_29:                             ;   in Loop: Header=BB401_7 Depth=1
	s_wait_alu 0xfffe
	s_and_not1_b32 vcc_lo, exec_lo, s21
	s_wait_alu 0xfffe
	s_cbranch_vccnz .LBB401_31
; %bb.30:                               ;   in Loop: Header=BB401_7 Depth=1
	v_add_co_u32 v13, vcc_lo, v15, v13
	s_wait_alu 0xfffd
	v_add_co_ci_u32_e64 v14, null, v16, v14, vcc_lo
	flat_store_b128 v[13:14], v[1:4]
.LBB401_31:                             ;   in Loop: Header=BB401_7 Depth=1
	s_wait_alu 0xfffe
	s_or_b32 exec_lo, exec_lo, s20
	s_and_saveexec_b32 s20, s26
	s_cbranch_execz .LBB401_6
; %bb.32:                               ;   in Loop: Header=BB401_7 Depth=1
	v_mul_f64_e32 v[1:2], s[14:15], v[19:20]
	v_mul_f64_e32 v[3:4], s[12:13], v[19:20]
	v_lshlrev_b64_e32 v[13:14], 4, v[7:8]
	s_and_not1_b32 vcc_lo, exec_lo, s33
	s_mov_b32 s21, -1
	s_delay_alu instid0(VALU_DEP_3) | instskip(NEXT) | instid1(VALU_DEP_3)
	v_fma_f64 v[1:2], s[12:13], v[21:22], -v[1:2]
	v_fma_f64 v[3:4], s[14:15], v[21:22], v[3:4]
	s_wait_alu 0xfffe
	s_cbranch_vccnz .LBB401_34
; %bb.33:                               ;   in Loop: Header=BB401_7 Depth=1
	v_add_co_u32 v21, vcc_lo, v15, v13
	s_wait_alu 0xfffd
	v_add_co_ci_u32_e64 v22, null, v16, v14, vcc_lo
	s_mov_b32 s21, 0
	flat_load_b128 v[17:20], v[21:22]
	s_wait_loadcnt_dscnt 0x0
	v_mul_f64_e32 v[23:24], s[6:7], v[19:20]
	v_mul_f64_e32 v[19:20], s[4:5], v[19:20]
	s_delay_alu instid0(VALU_DEP_2) | instskip(NEXT) | instid1(VALU_DEP_2)
	v_fma_f64 v[23:24], s[4:5], v[17:18], -v[23:24]
	v_fma_f64 v[19:20], s[6:7], v[17:18], v[19:20]
	s_delay_alu instid0(VALU_DEP_2) | instskip(NEXT) | instid1(VALU_DEP_2)
	v_add_f64_e32 v[17:18], v[1:2], v[23:24]
	v_add_f64_e32 v[19:20], v[3:4], v[19:20]
	flat_store_b128 v[21:22], v[17:20]
.LBB401_34:                             ;   in Loop: Header=BB401_7 Depth=1
	s_wait_alu 0xfffe
	s_and_not1_b32 vcc_lo, exec_lo, s21
	s_wait_alu 0xfffe
	s_cbranch_vccnz .LBB401_6
; %bb.35:                               ;   in Loop: Header=BB401_7 Depth=1
	v_add_co_u32 v13, vcc_lo, v15, v13
	s_wait_alu 0xfffd
	v_add_co_ci_u32_e64 v14, null, v16, v14, vcc_lo
	flat_store_b128 v[13:14], v[1:4]
	s_branch .LBB401_6
.LBB401_36:
.LBB401_37:
	s_nop 0
	s_sendmsg sendmsg(MSG_DEALLOC_VGPRS)
	s_endpgm
	.section	.rodata,"a",@progbits
	.p2align	6, 0x0
	.amdhsa_kernel _ZL29rocblas_internal_gemmt_kernelIiLi16ELi32ELi8ELc84ELc67ELc85ELb0ELb1E19rocblas_complex_numIdEPKS1_PKS3_PKPS1_EviT_T9_T10_S9_lSB_S9_lSA_T11_S9_li
		.amdhsa_group_segment_fixed_size 8192
		.amdhsa_private_segment_fixed_size 0
		.amdhsa_kernarg_size 100
		.amdhsa_user_sgpr_count 2
		.amdhsa_user_sgpr_dispatch_ptr 0
		.amdhsa_user_sgpr_queue_ptr 0
		.amdhsa_user_sgpr_kernarg_segment_ptr 1
		.amdhsa_user_sgpr_dispatch_id 0
		.amdhsa_user_sgpr_private_segment_size 0
		.amdhsa_wavefront_size32 1
		.amdhsa_uses_dynamic_stack 0
		.amdhsa_enable_private_segment 0
		.amdhsa_system_sgpr_workgroup_id_x 1
		.amdhsa_system_sgpr_workgroup_id_y 1
		.amdhsa_system_sgpr_workgroup_id_z 1
		.amdhsa_system_sgpr_workgroup_info 0
		.amdhsa_system_vgpr_workitem_id 1
		.amdhsa_next_free_vgpr 133
		.amdhsa_next_free_sgpr 40
		.amdhsa_reserve_vcc 1
		.amdhsa_float_round_mode_32 0
		.amdhsa_float_round_mode_16_64 0
		.amdhsa_float_denorm_mode_32 3
		.amdhsa_float_denorm_mode_16_64 3
		.amdhsa_fp16_overflow 0
		.amdhsa_workgroup_processor_mode 1
		.amdhsa_memory_ordered 1
		.amdhsa_forward_progress 1
		.amdhsa_inst_pref_size 28
		.amdhsa_round_robin_scheduling 0
		.amdhsa_exception_fp_ieee_invalid_op 0
		.amdhsa_exception_fp_denorm_src 0
		.amdhsa_exception_fp_ieee_div_zero 0
		.amdhsa_exception_fp_ieee_overflow 0
		.amdhsa_exception_fp_ieee_underflow 0
		.amdhsa_exception_fp_ieee_inexact 0
		.amdhsa_exception_int_div_zero 0
	.end_amdhsa_kernel
	.section	.text._ZL29rocblas_internal_gemmt_kernelIiLi16ELi32ELi8ELc84ELc67ELc85ELb0ELb1E19rocblas_complex_numIdEPKS1_PKS3_PKPS1_EviT_T9_T10_S9_lSB_S9_lSA_T11_S9_li,"axG",@progbits,_ZL29rocblas_internal_gemmt_kernelIiLi16ELi32ELi8ELc84ELc67ELc85ELb0ELb1E19rocblas_complex_numIdEPKS1_PKS3_PKPS1_EviT_T9_T10_S9_lSB_S9_lSA_T11_S9_li,comdat
.Lfunc_end401:
	.size	_ZL29rocblas_internal_gemmt_kernelIiLi16ELi32ELi8ELc84ELc67ELc85ELb0ELb1E19rocblas_complex_numIdEPKS1_PKS3_PKPS1_EviT_T9_T10_S9_lSB_S9_lSA_T11_S9_li, .Lfunc_end401-_ZL29rocblas_internal_gemmt_kernelIiLi16ELi32ELi8ELc84ELc67ELc85ELb0ELb1E19rocblas_complex_numIdEPKS1_PKS3_PKPS1_EviT_T9_T10_S9_lSB_S9_lSA_T11_S9_li
                                        ; -- End function
	.set _ZL29rocblas_internal_gemmt_kernelIiLi16ELi32ELi8ELc84ELc67ELc85ELb0ELb1E19rocblas_complex_numIdEPKS1_PKS3_PKPS1_EviT_T9_T10_S9_lSB_S9_lSA_T11_S9_li.num_vgpr, 133
	.set _ZL29rocblas_internal_gemmt_kernelIiLi16ELi32ELi8ELc84ELc67ELc85ELb0ELb1E19rocblas_complex_numIdEPKS1_PKS3_PKPS1_EviT_T9_T10_S9_lSB_S9_lSA_T11_S9_li.num_agpr, 0
	.set _ZL29rocblas_internal_gemmt_kernelIiLi16ELi32ELi8ELc84ELc67ELc85ELb0ELb1E19rocblas_complex_numIdEPKS1_PKS3_PKPS1_EviT_T9_T10_S9_lSB_S9_lSA_T11_S9_li.numbered_sgpr, 40
	.set _ZL29rocblas_internal_gemmt_kernelIiLi16ELi32ELi8ELc84ELc67ELc85ELb0ELb1E19rocblas_complex_numIdEPKS1_PKS3_PKPS1_EviT_T9_T10_S9_lSB_S9_lSA_T11_S9_li.num_named_barrier, 0
	.set _ZL29rocblas_internal_gemmt_kernelIiLi16ELi32ELi8ELc84ELc67ELc85ELb0ELb1E19rocblas_complex_numIdEPKS1_PKS3_PKPS1_EviT_T9_T10_S9_lSB_S9_lSA_T11_S9_li.private_seg_size, 0
	.set _ZL29rocblas_internal_gemmt_kernelIiLi16ELi32ELi8ELc84ELc67ELc85ELb0ELb1E19rocblas_complex_numIdEPKS1_PKS3_PKPS1_EviT_T9_T10_S9_lSB_S9_lSA_T11_S9_li.uses_vcc, 1
	.set _ZL29rocblas_internal_gemmt_kernelIiLi16ELi32ELi8ELc84ELc67ELc85ELb0ELb1E19rocblas_complex_numIdEPKS1_PKS3_PKPS1_EviT_T9_T10_S9_lSB_S9_lSA_T11_S9_li.uses_flat_scratch, 0
	.set _ZL29rocblas_internal_gemmt_kernelIiLi16ELi32ELi8ELc84ELc67ELc85ELb0ELb1E19rocblas_complex_numIdEPKS1_PKS3_PKPS1_EviT_T9_T10_S9_lSB_S9_lSA_T11_S9_li.has_dyn_sized_stack, 0
	.set _ZL29rocblas_internal_gemmt_kernelIiLi16ELi32ELi8ELc84ELc67ELc85ELb0ELb1E19rocblas_complex_numIdEPKS1_PKS3_PKPS1_EviT_T9_T10_S9_lSB_S9_lSA_T11_S9_li.has_recursion, 0
	.set _ZL29rocblas_internal_gemmt_kernelIiLi16ELi32ELi8ELc84ELc67ELc85ELb0ELb1E19rocblas_complex_numIdEPKS1_PKS3_PKPS1_EviT_T9_T10_S9_lSB_S9_lSA_T11_S9_li.has_indirect_call, 0
	.section	.AMDGPU.csdata,"",@progbits
; Kernel info:
; codeLenInByte = 3480
; TotalNumSgprs: 42
; NumVgprs: 133
; ScratchSize: 0
; MemoryBound: 1
; FloatMode: 240
; IeeeMode: 1
; LDSByteSize: 8192 bytes/workgroup (compile time only)
; SGPRBlocks: 0
; VGPRBlocks: 16
; NumSGPRsForWavesPerEU: 42
; NumVGPRsForWavesPerEU: 133
; Occupancy: 10
; WaveLimiterHint : 1
; COMPUTE_PGM_RSRC2:SCRATCH_EN: 0
; COMPUTE_PGM_RSRC2:USER_SGPR: 2
; COMPUTE_PGM_RSRC2:TRAP_HANDLER: 0
; COMPUTE_PGM_RSRC2:TGID_X_EN: 1
; COMPUTE_PGM_RSRC2:TGID_Y_EN: 1
; COMPUTE_PGM_RSRC2:TGID_Z_EN: 1
; COMPUTE_PGM_RSRC2:TIDIG_COMP_CNT: 1
	.section	.text._ZL29rocblas_internal_gemmt_kernelIiLi16ELi32ELi8ELc67ELc78ELc85ELb1ELb0E19rocblas_complex_numIdEPKS1_PKS3_PKPS1_EviT_T9_T10_S9_lSB_S9_lSA_T11_S9_li,"axG",@progbits,_ZL29rocblas_internal_gemmt_kernelIiLi16ELi32ELi8ELc67ELc78ELc85ELb1ELb0E19rocblas_complex_numIdEPKS1_PKS3_PKPS1_EviT_T9_T10_S9_lSB_S9_lSA_T11_S9_li,comdat
	.globl	_ZL29rocblas_internal_gemmt_kernelIiLi16ELi32ELi8ELc67ELc78ELc85ELb1ELb0E19rocblas_complex_numIdEPKS1_PKS3_PKPS1_EviT_T9_T10_S9_lSB_S9_lSA_T11_S9_li ; -- Begin function _ZL29rocblas_internal_gemmt_kernelIiLi16ELi32ELi8ELc67ELc78ELc85ELb1ELb0E19rocblas_complex_numIdEPKS1_PKS3_PKPS1_EviT_T9_T10_S9_lSB_S9_lSA_T11_S9_li
	.p2align	8
	.type	_ZL29rocblas_internal_gemmt_kernelIiLi16ELi32ELi8ELc67ELc78ELc85ELb1ELb0E19rocblas_complex_numIdEPKS1_PKS3_PKPS1_EviT_T9_T10_S9_lSB_S9_lSA_T11_S9_li,@function
_ZL29rocblas_internal_gemmt_kernelIiLi16ELi32ELi8ELc67ELc78ELc85ELb1ELb0E19rocblas_complex_numIdEPKS1_PKS3_PKPS1_EviT_T9_T10_S9_lSB_S9_lSA_T11_S9_li: ; @_ZL29rocblas_internal_gemmt_kernelIiLi16ELi32ELi8ELc67ELc78ELc85ELb1ELb0E19rocblas_complex_numIdEPKS1_PKS3_PKPS1_EviT_T9_T10_S9_lSB_S9_lSA_T11_S9_li
; %bb.0:
	s_load_b128 s[20:23], s[0:1], 0x38
	s_wait_kmcnt 0x0
	s_load_b128 s[8:11], s[22:23], 0x0
	s_clause 0x1
	s_load_b128 s[4:7], s[0:1], 0x8
	s_load_b64 s[22:23], s[0:1], 0x0
	s_wait_kmcnt 0x0
	s_load_b128 s[12:15], s[4:5], 0x0
	v_cmp_eq_f64_e64 s2, s[8:9], 1.0
	v_cmp_eq_f64_e64 s3, s[10:11], 0
	s_and_b32 s2, s2, s3
	s_delay_alu instid0(SALU_CYCLE_1)
	s_and_not1_b32 vcc_lo, exec_lo, s2
	s_mov_b32 s2, -1
	s_cbranch_vccnz .LBB402_3
; %bb.1:
	s_cmp_lg_u32 s23, 0
	s_cbranch_scc0 .LBB402_36
; %bb.2:
	s_wait_kmcnt 0x0
	v_cmp_neq_f64_e64 s2, s[12:13], 0
	v_cmp_neq_f64_e64 s4, s[14:15], 0
	s_or_b32 s2, s2, s4
.LBB402_3:
	s_delay_alu instid0(SALU_CYCLE_1)
	s_and_b32 vcc_lo, exec_lo, s2
	s_cbranch_vccz .LBB402_37
; %bb.4:
	s_load_b32 s27, s[0:1], 0x60
	s_lshr_b32 s28, ttmp7, 16
	s_wait_kmcnt 0x0
	s_cmp_ge_u32 s28, s27
	s_cbranch_scc1 .LBB402_37
; %bb.5:
	v_cmp_neq_f64_e64 s4, s[12:13], 0
	v_cmp_neq_f64_e64 s5, s[14:15], 0
	;; [unrolled: 1-line block ×3, first 2 shown]
	v_and_b32_e32 v1, 0x3ff, v0
	v_bfe_u32 v2, v0, 10, 10
	s_clause 0x4
	s_load_b32 s33, s[0:1], 0x18
	s_load_b128 s[16:19], s[0:1], 0x20
	s_load_b32 s36, s[0:1], 0x30
	s_load_b96 s[24:26], s[0:1], 0x48
	s_load_b64 s[34:35], s[0:1], 0x58
	v_and_b32_e32 v35, 7, v0
	s_lshl_b32 s1, ttmp7, 5
	s_lshl_b32 s0, ttmp9, 5
	v_lshl_add_u32 v0, v2, 4, v1
	s_and_b32 s2, s1, 0x1fffe0
	v_lshlrev_b32_e32 v36, 4, v1
	v_add_nc_u32_e32 v3, s2, v2
	v_add_nc_u32_e32 v5, s0, v1
	v_and_b32_e32 v1, 31, v0
	v_lshrrev_b32_e32 v38, 5, v0
	v_lshrrev_b32_e32 v0, 3, v0
	v_cmp_gt_i32_e32 vcc_lo, s22, v3
	v_cmp_le_i32_e64 s1, v5, v3
	v_add_nc_u32_e32 v7, 16, v5
	v_or_b32_e32 v4, s0, v1
	v_lshlrev_b32_e32 v1, 4, v1
	v_lshl_add_u32 v37, v2, 7, 0x1000
	v_add_nc_u32_e32 v10, 16, v3
	v_add_nc_u32_e32 v9, s2, v0
	v_cmp_gt_i32_e64 s0, s22, v4
	v_lshl_or_b32 v39, v38, 9, v1
	s_wait_kmcnt 0x0
	v_mad_co_i64_i32 v[1:2], null, v3, s26, 0
	v_cmp_gt_i32_e64 s2, s22, v9
	v_mad_co_i64_i32 v[11:12], null, v10, s26, 0
	v_lshlrev_b32_e32 v14, 4, v38
	v_lshlrev_b32_e32 v13, 4, v35
	v_ashrrev_i32_e32 v6, 31, v5
	v_ashrrev_i32_e32 v8, 31, v7
	s_mov_b32 s29, 0
	s_delay_alu instid0(VALU_DEP_3)
	v_lshl_or_b32 v0, v0, 7, v13
	s_or_b32 s37, s4, s5
	s_cmp_gt_i32 s23, 0
	v_cmp_le_i32_e64 s4, v5, v10
	s_cselect_b32 s38, -1, 0
	s_and_b32 s30, vcc_lo, s1
	v_cmp_le_i32_e64 s1, v7, v3
	v_mad_co_i64_i32 v[3:4], null, s33, v4, 0
	s_xor_b32 s3, s3, -1
	v_lshlrev_b64_e32 v[11:12], 4, v[11:12]
	s_wait_alu 0xfffe
	s_or_b32 s31, s31, s3
	v_cmp_gt_i32_e64 s3, s22, v10
	s_and_b32 s22, vcc_lo, s1
	v_cmp_le_i32_e32 vcc_lo, v7, v10
	v_lshlrev_b64_e32 v[3:4], 4, v[3:4]
	v_mad_co_i64_i32 v[9:10], null, s36, v9, 0
	s_and_b32 s26, s3, s4
	s_lshl_b64 s[4:5], s[16:17], 4
	v_add_nc_u32_e32 v40, 0x1000, v0
	v_add_co_u32 v15, s1, v3, s4
	s_wait_alu 0xf1ff
	v_add_co_ci_u32_e64 v16, null, s5, v4, s1
	v_lshlrev_b64_e32 v[3:4], 4, v[9:10]
	s_delay_alu instid0(VALU_DEP_3)
	v_add_co_u32 v9, s1, v15, v14
	s_lshl_b64 s[4:5], s[20:21], 4
	s_wait_alu 0xf1ff
	v_add_co_ci_u32_e64 v41, null, 0, v16, s1
	s_wait_alu 0xfffe
	v_add_co_u32 v3, s1, v3, s4
	s_wait_alu 0xf1ff
	v_add_co_ci_u32_e64 v4, null, s5, v4, s1
	v_or_b32_e32 v42, 8, v9
	s_delay_alu instid0(VALU_DEP_3)
	v_add_co_u32 v43, s1, v3, v13
	v_lshlrev_b64_e32 v[9:10], 4, v[1:2]
	v_mov_b32_e32 v0, 0
	s_wait_alu 0xf1ff
	v_add_co_ci_u32_e64 v44, null, 0, v4, s1
	s_and_b32 s1, s37, s38
	s_and_b32 s16, s3, vcc_lo
	s_xor_b32 s17, s2, -1
	s_lshl_b64 s[2:3], s[34:35], 4
	s_branch .LBB402_7
.LBB402_6:                              ;   in Loop: Header=BB402_7 Depth=1
	s_wait_alu 0xfffe
	s_or_b32 exec_lo, exec_lo, s4
	s_add_co_i32 s28, s28, 0x10000
	s_delay_alu instid0(SALU_CYCLE_1)
	s_cmp_lt_u32 s28, s27
	s_cbranch_scc0 .LBB402_37
.LBB402_7:                              ; =>This Loop Header: Depth=1
                                        ;     Child Loop BB402_10 Depth 2
	s_lshl_b64 s[4:5], s[28:29], 3
	v_mov_b32_e32 v31, 0
	s_wait_alu 0xfffe
	s_add_nc_u64 s[20:21], s[24:25], s[4:5]
	v_mov_b32_e32 v27, 0
	global_load_b64 v[13:14], v0, s[20:21]
	v_mov_b32_e32 v23, 0
	v_dual_mov_b32 v21, 0 :: v_dual_mov_b32 v32, 0
	v_dual_mov_b32 v33, 0 :: v_dual_mov_b32 v28, 0
	;; [unrolled: 1-line block ×5, first 2 shown]
	v_mov_b32_e32 v30, 0
	v_mov_b32_e32 v26, 0
	;; [unrolled: 1-line block ×3, first 2 shown]
	s_and_not1_b32 vcc_lo, exec_lo, s1
	s_wait_alu 0xfffe
	s_cbranch_vccnz .LBB402_16
; %bb.8:                                ;   in Loop: Header=BB402_7 Depth=1
	s_add_nc_u64 s[20:21], s[6:7], s[4:5]
	s_add_nc_u64 s[4:5], s[18:19], s[4:5]
	s_clause 0x1
	global_load_b64 v[1:2], v0, s[20:21]
	global_load_b64 v[3:4], v0, s[4:5]
	v_mov_b32_e32 v19, 0
	v_mov_b32_e32 v25, 0
	v_mov_b32_e32 v29, 0
	v_dual_mov_b32 v33, 0 :: v_dual_mov_b32 v20, 0
	v_dual_mov_b32 v21, 0 :: v_dual_mov_b32 v26, 0
	;; [unrolled: 1-line block ×5, first 2 shown]
	v_mov_b32_e32 v24, 0
	v_mov_b32_e32 v28, 0
	;; [unrolled: 1-line block ×3, first 2 shown]
	s_mov_b32 s4, 0
	s_wait_loadcnt 0x1
	v_add_co_u32 v15, vcc_lo, v1, v42
	s_wait_alu 0xfffd
	v_add_co_ci_u32_e64 v16, null, v2, v41, vcc_lo
	s_wait_loadcnt 0x0
	v_add_co_u32 v17, vcc_lo, v3, v43
	s_wait_alu 0xfffd
	v_add_co_ci_u32_e64 v18, null, v4, v44, vcc_lo
	s_branch .LBB402_10
.LBB402_9:                              ;   in Loop: Header=BB402_10 Depth=2
	s_wait_alu 0xfffe
	s_or_b32 exec_lo, exec_lo, s5
	s_wait_dscnt 0x0
	s_barrier_signal -1
	s_barrier_wait -1
	global_inv scope:SCOPE_SE
	ds_load_b128 v[1:4], v37
	ds_load_b128 v[45:48], v36
	ds_load_b128 v[49:52], v36 offset:256
	ds_load_b128 v[53:56], v37 offset:2048
	;; [unrolled: 1-line block ×10, first 2 shown]
	v_add_co_u32 v15, vcc_lo, 0x80, v15
	s_wait_alu 0xfffd
	v_add_co_ci_u32_e64 v16, null, 0, v16, vcc_lo
	v_add_co_u32 v17, vcc_lo, 0x80, v17
	s_wait_alu 0xfffd
	v_add_co_ci_u32_e64 v18, null, 0, v18, vcc_lo
	s_add_co_i32 s4, s4, 8
	s_wait_alu 0xfffe
	s_cmp_lt_i32 s4, s23
	s_wait_dscnt 0xa
	v_mul_f64_e32 v[89:90], v[3:4], v[47:48]
	v_mul_f64_e32 v[91:92], v[1:2], v[47:48]
	s_wait_dscnt 0x9
	v_mul_f64_e32 v[93:94], v[3:4], v[51:52]
	v_mul_f64_e32 v[95:96], v[1:2], v[51:52]
	;; [unrolled: 3-line block ×3, first 2 shown]
	v_mul_f64_e32 v[99:100], v[55:56], v[51:52]
	v_mul_f64_e32 v[51:52], v[53:54], v[51:52]
	s_wait_dscnt 0x5
	v_mul_f64_e32 v[101:102], v[59:60], v[67:68]
	v_mul_f64_e32 v[103:104], v[57:58], v[67:68]
	s_wait_dscnt 0x4
	v_mul_f64_e32 v[105:106], v[59:60], v[71:72]
	v_mul_f64_e32 v[107:108], v[57:58], v[71:72]
	v_mul_f64_e32 v[109:110], v[63:64], v[67:68]
	v_mul_f64_e32 v[67:68], v[61:62], v[67:68]
	v_mul_f64_e32 v[111:112], v[63:64], v[71:72]
	v_mul_f64_e32 v[71:72], v[61:62], v[71:72]
	s_wait_dscnt 0x2
	v_mul_f64_e32 v[117:118], v[75:76], v[79:80]
	v_mul_f64_e32 v[119:120], v[73:74], v[79:80]
	s_wait_dscnt 0x1
	v_mul_f64_e32 v[121:122], v[75:76], v[83:84]
	v_mul_f64_e32 v[123:124], v[73:74], v[83:84]
	;; [unrolled: 3-line block ×3, first 2 shown]
	v_mul_f64_e32 v[127:128], v[87:88], v[83:84]
	v_mul_f64_e32 v[83:84], v[85:86], v[83:84]
	v_fma_f64 v[89:90], v[1:2], v[45:46], -v[89:90]
	v_fma_f64 v[91:92], v[3:4], v[45:46], v[91:92]
	v_fma_f64 v[93:94], v[1:2], v[49:50], -v[93:94]
	v_fma_f64 v[95:96], v[3:4], v[49:50], v[95:96]
	;; [unrolled: 2-line block ×8, first 2 shown]
	ds_load_b128 v[1:4], v37 offset:48
	ds_load_b128 v[45:48], v37 offset:2096
	;; [unrolled: 1-line block ×4, first 2 shown]
	v_fma_f64 v[117:118], v[73:74], v[77:78], -v[117:118]
	v_fma_f64 v[119:120], v[75:76], v[77:78], v[119:120]
	v_fma_f64 v[73:74], v[73:74], v[81:82], -v[121:122]
	v_fma_f64 v[75:76], v[75:76], v[81:82], v[123:124]
	;; [unrolled: 2-line block ×4, first 2 shown]
	s_wait_dscnt 0x1
	v_mul_f64_e32 v[107:108], v[1:2], v[51:52]
	s_wait_dscnt 0x0
	v_mul_f64_e32 v[109:110], v[3:4], v[55:56]
	v_mul_f64_e32 v[111:112], v[1:2], v[55:56]
	v_add_f64_e32 v[67:68], v[31:32], v[89:90]
	v_add_f64_e32 v[69:70], v[91:92], v[33:34]
	;; [unrolled: 1-line block ×8, first 2 shown]
	v_mul_f64_e32 v[99:100], v[3:4], v[51:52]
	v_mul_f64_e32 v[113:114], v[47:48], v[51:52]
	;; [unrolled: 1-line block ×5, first 2 shown]
	ds_load_b128 v[19:22], v37 offset:64
	ds_load_b128 v[23:26], v36 offset:2048
	;; [unrolled: 1-line block ×4, first 2 shown]
	s_wait_dscnt 0x0
	v_mul_f64_e32 v[123:124], v[33:34], v[25:26]
	v_mul_f64_e32 v[125:126], v[33:34], v[29:30]
	v_fma_f64 v[107:108], v[3:4], v[49:50], v[107:108]
	v_fma_f64 v[109:110], v[1:2], v[53:54], -v[109:110]
	v_fma_f64 v[111:112], v[3:4], v[53:54], v[111:112]
	v_add_f64_e32 v[83:84], v[67:68], v[101:102]
	v_add_f64_e32 v[85:86], v[103:104], v[69:70]
	;; [unrolled: 1-line block ×8, first 2 shown]
	v_mul_f64_e32 v[97:98], v[21:22], v[25:26]
	v_mul_f64_e32 v[101:102], v[19:20], v[25:26]
	;; [unrolled: 1-line block ×6, first 2 shown]
	v_fma_f64 v[99:100], v[1:2], v[49:50], -v[99:100]
	v_fma_f64 v[113:114], v[45:46], v[49:50], -v[113:114]
	v_fma_f64 v[127:128], v[47:48], v[49:50], v[51:52]
	v_fma_f64 v[115:116], v[45:46], v[53:54], -v[115:116]
	v_fma_f64 v[53:54], v[47:48], v[53:54], v[129:130]
	ds_load_b128 v[55:58], v37 offset:80
	ds_load_b128 v[59:62], v37 offset:2128
	;; [unrolled: 1-line block ×4, first 2 shown]
	v_fma_f64 v[123:124], v[31:32], v[23:24], -v[123:124]
	v_fma_f64 v[125:126], v[31:32], v[27:28], -v[125:126]
	v_add_f64_e32 v[83:84], v[83:84], v[117:118]
	v_add_f64_e32 v[85:86], v[119:120], v[85:86]
	;; [unrolled: 1-line block ×8, first 2 shown]
	s_wait_dscnt 0x1
	v_mul_f64_e32 v[89:90], v[57:58], v[65:66]
	v_mul_f64_e32 v[91:92], v[55:56], v[65:66]
	s_wait_dscnt 0x0
	v_mul_f64_e32 v[93:94], v[57:58], v[69:70]
	v_mul_f64_e32 v[95:96], v[55:56], v[69:70]
	;; [unrolled: 1-line block ×6, first 2 shown]
	v_fma_f64 v[97:98], v[19:20], v[23:24], -v[97:98]
	v_fma_f64 v[101:102], v[21:22], v[23:24], v[101:102]
	v_fma_f64 v[103:104], v[19:20], v[27:28], -v[103:104]
	v_fma_f64 v[105:106], v[21:22], v[27:28], v[105:106]
	v_fma_f64 v[129:130], v[33:34], v[23:24], v[25:26]
	;; [unrolled: 1-line block ×3, first 2 shown]
	ds_load_b128 v[1:4], v37 offset:96
	ds_load_b128 v[45:48], v36 offset:3072
	ds_load_b128 v[49:52], v36 offset:3328
	ds_load_b128 v[71:74], v37 offset:2144
	ds_load_b128 v[19:22], v37 offset:112
	ds_load_b128 v[23:26], v37 offset:2160
	ds_load_b128 v[27:30], v36 offset:3584
	ds_load_b128 v[31:34], v36 offset:3840
	s_wait_loadcnt_dscnt 0x0
	s_barrier_signal -1
	s_barrier_wait -1
	global_inv scope:SCOPE_SE
	v_add_f64_e32 v[83:84], v[83:84], v[99:100]
	v_add_f64_e32 v[85:86], v[107:108], v[85:86]
	;; [unrolled: 1-line block ×8, first 2 shown]
	v_mul_f64_e32 v[81:82], v[3:4], v[47:48]
	v_mul_f64_e32 v[107:108], v[1:2], v[47:48]
	;; [unrolled: 1-line block ×8, first 2 shown]
	v_fma_f64 v[89:90], v[55:56], v[63:64], -v[89:90]
	v_fma_f64 v[91:92], v[57:58], v[63:64], v[91:92]
	v_fma_f64 v[55:56], v[55:56], v[67:68], -v[93:94]
	v_fma_f64 v[57:58], v[57:58], v[67:68], v[95:96]
	;; [unrolled: 2-line block ×4, first 2 shown]
	v_mul_f64_e32 v[95:96], v[21:22], v[33:34]
	v_add_f64_e32 v[65:66], v[83:84], v[97:98]
	v_add_f64_e32 v[67:68], v[101:102], v[85:86]
	;; [unrolled: 1-line block ×8, first 2 shown]
	v_mul_f64_e32 v[85:86], v[21:22], v[29:30]
	v_mul_f64_e32 v[87:88], v[19:20], v[29:30]
	;; [unrolled: 1-line block ×7, first 2 shown]
	v_fma_f64 v[81:82], v[1:2], v[45:46], -v[81:82]
	v_fma_f64 v[103:104], v[3:4], v[45:46], v[107:108]
	v_fma_f64 v[1:2], v[1:2], v[49:50], -v[109:110]
	v_fma_f64 v[3:4], v[3:4], v[49:50], v[111:112]
	;; [unrolled: 2-line block ×4, first 2 shown]
	v_add_f64_e32 v[51:52], v[65:66], v[89:90]
	v_add_f64_e32 v[65:66], v[91:92], v[67:68]
	;; [unrolled: 1-line block ×8, first 2 shown]
	v_fma_f64 v[61:62], v[19:20], v[27:28], -v[85:86]
	v_fma_f64 v[69:70], v[21:22], v[27:28], v[87:88]
	v_fma_f64 v[19:20], v[19:20], v[31:32], -v[95:96]
	v_fma_f64 v[21:22], v[21:22], v[31:32], v[97:98]
	;; [unrolled: 2-line block ×4, first 2 shown]
	v_add_f64_e32 v[23:24], v[51:52], v[81:82]
	v_add_f64_e32 v[25:26], v[103:104], v[65:66]
	;; [unrolled: 1-line block ×16, first 2 shown]
	s_cbranch_scc0 .LBB402_16
.LBB402_10:                             ;   Parent Loop BB402_7 Depth=1
                                        ; =>  This Inner Loop Header: Depth=2
	s_wait_alu 0xfffe
	v_add_nc_u32_e32 v1, s4, v38
	v_mov_b32_e32 v3, 0
	v_mov_b32_e32 v4, 0
	s_delay_alu instid0(VALU_DEP_3) | instskip(SKIP_3) | instid1(SALU_CYCLE_1)
	v_cmp_gt_i32_e32 vcc_lo, s23, v1
	v_mov_b32_e32 v1, 0
	v_mov_b32_e32 v2, 0
	s_and_b32 s20, s0, vcc_lo
	s_and_saveexec_b32 s5, s20
	s_cbranch_execz .LBB402_12
; %bb.11:                               ;   in Loop: Header=BB402_10 Depth=2
	flat_load_b128 v[1:4], v[15:16] offset:-8
	s_wait_loadcnt_dscnt 0x0
	v_xor_b32_e32 v4, 0x80000000, v4
.LBB402_12:                             ;   in Loop: Header=BB402_10 Depth=2
	s_wait_alu 0xfffe
	s_or_b32 exec_lo, exec_lo, s5
	v_add_nc_u32_e32 v45, s4, v35
	ds_store_b128 v39, v[1:4]
	v_cmp_le_i32_e32 vcc_lo, s23, v45
	s_or_b32 s5, vcc_lo, s17
	s_wait_alu 0xfffe
	s_and_saveexec_b32 s20, s5
	s_delay_alu instid0(SALU_CYCLE_1)
	s_xor_b32 s5, exec_lo, s20
; %bb.13:                               ;   in Loop: Header=BB402_10 Depth=2
	v_dual_mov_b32 v1, v0 :: v_dual_mov_b32 v2, v0
	v_mov_b32_e32 v3, v0
	ds_store_b128 v40, v[0:3]
; %bb.14:                               ;   in Loop: Header=BB402_10 Depth=2
	s_wait_alu 0xfffe
	s_and_not1_saveexec_b32 s5, s5
	s_cbranch_execz .LBB402_9
; %bb.15:                               ;   in Loop: Header=BB402_10 Depth=2
	flat_load_b128 v[1:4], v[17:18]
	s_wait_loadcnt_dscnt 0x0
	ds_store_2addr_b64 v40, v[1:2], v[3:4] offset1:1
	s_branch .LBB402_9
.LBB402_16:                             ;   in Loop: Header=BB402_7 Depth=1
	s_wait_loadcnt 0x0
	v_add_co_u32 v13, vcc_lo, v13, s2
	s_wait_alu 0xfffd
	v_add_co_ci_u32_e64 v14, null, s3, v14, vcc_lo
	s_delay_alu instid0(VALU_DEP_2) | instskip(SKIP_1) | instid1(VALU_DEP_2)
	v_add_co_u32 v15, vcc_lo, v13, v9
	s_wait_alu 0xfffd
	v_add_co_ci_u32_e64 v16, null, v14, v10, vcc_lo
	s_and_saveexec_b32 s4, s30
	s_cbranch_execz .LBB402_21
; %bb.17:                               ;   in Loop: Header=BB402_7 Depth=1
	v_mul_f64_e32 v[1:2], s[14:15], v[33:34]
	v_mul_f64_e32 v[3:4], s[12:13], v[33:34]
	s_and_b32 vcc_lo, exec_lo, s31
	s_mov_b32 s5, -1
	s_delay_alu instid0(VALU_DEP_2) | instskip(NEXT) | instid1(VALU_DEP_2)
	v_fma_f64 v[1:2], s[12:13], v[31:32], -v[1:2]
	v_fma_f64 v[3:4], s[14:15], v[31:32], v[3:4]
	s_wait_alu 0xfffe
	s_cbranch_vccz .LBB402_19
; %bb.18:                               ;   in Loop: Header=BB402_7 Depth=1
	v_lshlrev_b64_e32 v[17:18], 4, v[5:6]
	s_mov_b32 s5, 0
	s_delay_alu instid0(VALU_DEP_1) | instskip(SKIP_1) | instid1(VALU_DEP_2)
	v_add_co_u32 v17, vcc_lo, v15, v17
	s_wait_alu 0xfffd
	v_add_co_ci_u32_e64 v18, null, v16, v18, vcc_lo
	flat_load_b128 v[31:34], v[17:18]
	s_wait_loadcnt_dscnt 0x0
	v_mul_f64_e32 v[45:46], s[10:11], v[33:34]
	v_mul_f64_e32 v[33:34], s[8:9], v[33:34]
	s_delay_alu instid0(VALU_DEP_2) | instskip(NEXT) | instid1(VALU_DEP_2)
	v_fma_f64 v[45:46], s[8:9], v[31:32], -v[45:46]
	v_fma_f64 v[33:34], s[10:11], v[31:32], v[33:34]
	s_delay_alu instid0(VALU_DEP_2) | instskip(NEXT) | instid1(VALU_DEP_2)
	v_add_f64_e32 v[31:32], v[1:2], v[45:46]
	v_add_f64_e32 v[33:34], v[3:4], v[33:34]
	flat_store_b128 v[17:18], v[31:34]
.LBB402_19:                             ;   in Loop: Header=BB402_7 Depth=1
	s_wait_alu 0xfffe
	s_and_not1_b32 vcc_lo, exec_lo, s5
	s_wait_alu 0xfffe
	s_cbranch_vccnz .LBB402_21
; %bb.20:                               ;   in Loop: Header=BB402_7 Depth=1
	v_lshlrev_b64_e32 v[17:18], 4, v[5:6]
	s_delay_alu instid0(VALU_DEP_1) | instskip(SKIP_1) | instid1(VALU_DEP_2)
	v_add_co_u32 v17, vcc_lo, v15, v17
	s_wait_alu 0xfffd
	v_add_co_ci_u32_e64 v18, null, v16, v18, vcc_lo
	flat_store_b128 v[17:18], v[1:4]
.LBB402_21:                             ;   in Loop: Header=BB402_7 Depth=1
	s_wait_alu 0xfffe
	s_or_b32 exec_lo, exec_lo, s4
	s_and_saveexec_b32 s4, s22
	s_cbranch_execz .LBB402_26
; %bb.22:                               ;   in Loop: Header=BB402_7 Depth=1
	v_mul_f64_e32 v[1:2], s[14:15], v[29:30]
	v_mul_f64_e32 v[3:4], s[12:13], v[29:30]
	s_and_not1_b32 vcc_lo, exec_lo, s31
	s_mov_b32 s5, -1
	s_delay_alu instid0(VALU_DEP_2) | instskip(NEXT) | instid1(VALU_DEP_2)
	v_fma_f64 v[1:2], s[12:13], v[27:28], -v[1:2]
	v_fma_f64 v[3:4], s[14:15], v[27:28], v[3:4]
	s_wait_alu 0xfffe
	s_cbranch_vccnz .LBB402_24
; %bb.23:                               ;   in Loop: Header=BB402_7 Depth=1
	v_lshlrev_b64_e32 v[17:18], 4, v[7:8]
	s_mov_b32 s5, 0
	s_delay_alu instid0(VALU_DEP_1) | instskip(SKIP_1) | instid1(VALU_DEP_2)
	v_add_co_u32 v17, vcc_lo, v15, v17
	s_wait_alu 0xfffd
	v_add_co_ci_u32_e64 v18, null, v16, v18, vcc_lo
	flat_load_b128 v[27:30], v[17:18]
	s_wait_loadcnt_dscnt 0x0
	v_mul_f64_e32 v[31:32], s[10:11], v[29:30]
	v_mul_f64_e32 v[29:30], s[8:9], v[29:30]
	s_delay_alu instid0(VALU_DEP_2) | instskip(NEXT) | instid1(VALU_DEP_2)
	v_fma_f64 v[31:32], s[8:9], v[27:28], -v[31:32]
	v_fma_f64 v[29:30], s[10:11], v[27:28], v[29:30]
	s_delay_alu instid0(VALU_DEP_2) | instskip(NEXT) | instid1(VALU_DEP_2)
	v_add_f64_e32 v[27:28], v[1:2], v[31:32]
	v_add_f64_e32 v[29:30], v[3:4], v[29:30]
	flat_store_b128 v[17:18], v[27:30]
.LBB402_24:                             ;   in Loop: Header=BB402_7 Depth=1
	s_wait_alu 0xfffe
	s_and_not1_b32 vcc_lo, exec_lo, s5
	s_wait_alu 0xfffe
	s_cbranch_vccnz .LBB402_26
; %bb.25:                               ;   in Loop: Header=BB402_7 Depth=1
	v_lshlrev_b64_e32 v[17:18], 4, v[7:8]
	s_delay_alu instid0(VALU_DEP_1) | instskip(SKIP_1) | instid1(VALU_DEP_2)
	v_add_co_u32 v15, vcc_lo, v15, v17
	s_wait_alu 0xfffd
	v_add_co_ci_u32_e64 v16, null, v16, v18, vcc_lo
	flat_store_b128 v[15:16], v[1:4]
.LBB402_26:                             ;   in Loop: Header=BB402_7 Depth=1
	s_wait_alu 0xfffe
	s_or_b32 exec_lo, exec_lo, s4
	v_add_co_u32 v15, vcc_lo, v13, v11
	s_wait_alu 0xfffd
	v_add_co_ci_u32_e64 v16, null, v14, v12, vcc_lo
	s_and_saveexec_b32 s4, s26
	s_cbranch_execz .LBB402_31
; %bb.27:                               ;   in Loop: Header=BB402_7 Depth=1
	v_mul_f64_e32 v[1:2], s[14:15], v[25:26]
	v_mul_f64_e32 v[3:4], s[12:13], v[25:26]
	v_lshlrev_b64_e32 v[13:14], 4, v[5:6]
	s_and_not1_b32 vcc_lo, exec_lo, s31
	s_mov_b32 s5, -1
	s_delay_alu instid0(VALU_DEP_3) | instskip(NEXT) | instid1(VALU_DEP_3)
	v_fma_f64 v[1:2], s[12:13], v[23:24], -v[1:2]
	v_fma_f64 v[3:4], s[14:15], v[23:24], v[3:4]
	s_wait_alu 0xfffe
	s_cbranch_vccnz .LBB402_29
; %bb.28:                               ;   in Loop: Header=BB402_7 Depth=1
	v_add_co_u32 v17, vcc_lo, v15, v13
	s_wait_alu 0xfffd
	v_add_co_ci_u32_e64 v18, null, v16, v14, vcc_lo
	s_mov_b32 s5, 0
	flat_load_b128 v[23:26], v[17:18]
	s_wait_loadcnt_dscnt 0x0
	v_mul_f64_e32 v[27:28], s[10:11], v[25:26]
	v_mul_f64_e32 v[25:26], s[8:9], v[25:26]
	s_delay_alu instid0(VALU_DEP_2) | instskip(NEXT) | instid1(VALU_DEP_2)
	v_fma_f64 v[27:28], s[8:9], v[23:24], -v[27:28]
	v_fma_f64 v[25:26], s[10:11], v[23:24], v[25:26]
	s_delay_alu instid0(VALU_DEP_2) | instskip(NEXT) | instid1(VALU_DEP_2)
	v_add_f64_e32 v[23:24], v[1:2], v[27:28]
	v_add_f64_e32 v[25:26], v[3:4], v[25:26]
	flat_store_b128 v[17:18], v[23:26]
.LBB402_29:                             ;   in Loop: Header=BB402_7 Depth=1
	s_wait_alu 0xfffe
	s_and_not1_b32 vcc_lo, exec_lo, s5
	s_wait_alu 0xfffe
	s_cbranch_vccnz .LBB402_31
; %bb.30:                               ;   in Loop: Header=BB402_7 Depth=1
	v_add_co_u32 v13, vcc_lo, v15, v13
	s_wait_alu 0xfffd
	v_add_co_ci_u32_e64 v14, null, v16, v14, vcc_lo
	flat_store_b128 v[13:14], v[1:4]
.LBB402_31:                             ;   in Loop: Header=BB402_7 Depth=1
	s_wait_alu 0xfffe
	s_or_b32 exec_lo, exec_lo, s4
	s_and_saveexec_b32 s4, s16
	s_cbranch_execz .LBB402_6
; %bb.32:                               ;   in Loop: Header=BB402_7 Depth=1
	v_mul_f64_e32 v[1:2], s[14:15], v[19:20]
	v_mul_f64_e32 v[3:4], s[12:13], v[19:20]
	v_lshlrev_b64_e32 v[13:14], 4, v[7:8]
	s_and_not1_b32 vcc_lo, exec_lo, s31
	s_mov_b32 s5, -1
	s_delay_alu instid0(VALU_DEP_3) | instskip(NEXT) | instid1(VALU_DEP_3)
	v_fma_f64 v[1:2], s[12:13], v[21:22], -v[1:2]
	v_fma_f64 v[3:4], s[14:15], v[21:22], v[3:4]
	s_wait_alu 0xfffe
	s_cbranch_vccnz .LBB402_34
; %bb.33:                               ;   in Loop: Header=BB402_7 Depth=1
	v_add_co_u32 v21, vcc_lo, v15, v13
	s_wait_alu 0xfffd
	v_add_co_ci_u32_e64 v22, null, v16, v14, vcc_lo
	s_mov_b32 s5, 0
	flat_load_b128 v[17:20], v[21:22]
	s_wait_loadcnt_dscnt 0x0
	v_mul_f64_e32 v[23:24], s[10:11], v[19:20]
	v_mul_f64_e32 v[19:20], s[8:9], v[19:20]
	s_delay_alu instid0(VALU_DEP_2) | instskip(NEXT) | instid1(VALU_DEP_2)
	v_fma_f64 v[23:24], s[8:9], v[17:18], -v[23:24]
	v_fma_f64 v[19:20], s[10:11], v[17:18], v[19:20]
	s_delay_alu instid0(VALU_DEP_2) | instskip(NEXT) | instid1(VALU_DEP_2)
	v_add_f64_e32 v[17:18], v[1:2], v[23:24]
	v_add_f64_e32 v[19:20], v[3:4], v[19:20]
	flat_store_b128 v[21:22], v[17:20]
.LBB402_34:                             ;   in Loop: Header=BB402_7 Depth=1
	s_wait_alu 0xfffe
	s_and_not1_b32 vcc_lo, exec_lo, s5
	s_wait_alu 0xfffe
	s_cbranch_vccnz .LBB402_6
; %bb.35:                               ;   in Loop: Header=BB402_7 Depth=1
	v_add_co_u32 v13, vcc_lo, v15, v13
	s_wait_alu 0xfffd
	v_add_co_ci_u32_e64 v14, null, v16, v14, vcc_lo
	flat_store_b128 v[13:14], v[1:4]
	s_branch .LBB402_6
.LBB402_36:
.LBB402_37:
	s_nop 0
	s_sendmsg sendmsg(MSG_DEALLOC_VGPRS)
	s_endpgm
	.section	.rodata,"a",@progbits
	.p2align	6, 0x0
	.amdhsa_kernel _ZL29rocblas_internal_gemmt_kernelIiLi16ELi32ELi8ELc67ELc78ELc85ELb1ELb0E19rocblas_complex_numIdEPKS1_PKS3_PKPS1_EviT_T9_T10_S9_lSB_S9_lSA_T11_S9_li
		.amdhsa_group_segment_fixed_size 8192
		.amdhsa_private_segment_fixed_size 0
		.amdhsa_kernarg_size 100
		.amdhsa_user_sgpr_count 2
		.amdhsa_user_sgpr_dispatch_ptr 0
		.amdhsa_user_sgpr_queue_ptr 0
		.amdhsa_user_sgpr_kernarg_segment_ptr 1
		.amdhsa_user_sgpr_dispatch_id 0
		.amdhsa_user_sgpr_private_segment_size 0
		.amdhsa_wavefront_size32 1
		.amdhsa_uses_dynamic_stack 0
		.amdhsa_enable_private_segment 0
		.amdhsa_system_sgpr_workgroup_id_x 1
		.amdhsa_system_sgpr_workgroup_id_y 1
		.amdhsa_system_sgpr_workgroup_id_z 1
		.amdhsa_system_sgpr_workgroup_info 0
		.amdhsa_system_vgpr_workitem_id 1
		.amdhsa_next_free_vgpr 133
		.amdhsa_next_free_sgpr 39
		.amdhsa_reserve_vcc 1
		.amdhsa_float_round_mode_32 0
		.amdhsa_float_round_mode_16_64 0
		.amdhsa_float_denorm_mode_32 3
		.amdhsa_float_denorm_mode_16_64 3
		.amdhsa_fp16_overflow 0
		.amdhsa_workgroup_processor_mode 1
		.amdhsa_memory_ordered 1
		.amdhsa_forward_progress 1
		.amdhsa_inst_pref_size 28
		.amdhsa_round_robin_scheduling 0
		.amdhsa_exception_fp_ieee_invalid_op 0
		.amdhsa_exception_fp_denorm_src 0
		.amdhsa_exception_fp_ieee_div_zero 0
		.amdhsa_exception_fp_ieee_overflow 0
		.amdhsa_exception_fp_ieee_underflow 0
		.amdhsa_exception_fp_ieee_inexact 0
		.amdhsa_exception_int_div_zero 0
	.end_amdhsa_kernel
	.section	.text._ZL29rocblas_internal_gemmt_kernelIiLi16ELi32ELi8ELc67ELc78ELc85ELb1ELb0E19rocblas_complex_numIdEPKS1_PKS3_PKPS1_EviT_T9_T10_S9_lSB_S9_lSA_T11_S9_li,"axG",@progbits,_ZL29rocblas_internal_gemmt_kernelIiLi16ELi32ELi8ELc67ELc78ELc85ELb1ELb0E19rocblas_complex_numIdEPKS1_PKS3_PKPS1_EviT_T9_T10_S9_lSB_S9_lSA_T11_S9_li,comdat
.Lfunc_end402:
	.size	_ZL29rocblas_internal_gemmt_kernelIiLi16ELi32ELi8ELc67ELc78ELc85ELb1ELb0E19rocblas_complex_numIdEPKS1_PKS3_PKPS1_EviT_T9_T10_S9_lSB_S9_lSA_T11_S9_li, .Lfunc_end402-_ZL29rocblas_internal_gemmt_kernelIiLi16ELi32ELi8ELc67ELc78ELc85ELb1ELb0E19rocblas_complex_numIdEPKS1_PKS3_PKPS1_EviT_T9_T10_S9_lSB_S9_lSA_T11_S9_li
                                        ; -- End function
	.set _ZL29rocblas_internal_gemmt_kernelIiLi16ELi32ELi8ELc67ELc78ELc85ELb1ELb0E19rocblas_complex_numIdEPKS1_PKS3_PKPS1_EviT_T9_T10_S9_lSB_S9_lSA_T11_S9_li.num_vgpr, 133
	.set _ZL29rocblas_internal_gemmt_kernelIiLi16ELi32ELi8ELc67ELc78ELc85ELb1ELb0E19rocblas_complex_numIdEPKS1_PKS3_PKPS1_EviT_T9_T10_S9_lSB_S9_lSA_T11_S9_li.num_agpr, 0
	.set _ZL29rocblas_internal_gemmt_kernelIiLi16ELi32ELi8ELc67ELc78ELc85ELb1ELb0E19rocblas_complex_numIdEPKS1_PKS3_PKPS1_EviT_T9_T10_S9_lSB_S9_lSA_T11_S9_li.numbered_sgpr, 39
	.set _ZL29rocblas_internal_gemmt_kernelIiLi16ELi32ELi8ELc67ELc78ELc85ELb1ELb0E19rocblas_complex_numIdEPKS1_PKS3_PKPS1_EviT_T9_T10_S9_lSB_S9_lSA_T11_S9_li.num_named_barrier, 0
	.set _ZL29rocblas_internal_gemmt_kernelIiLi16ELi32ELi8ELc67ELc78ELc85ELb1ELb0E19rocblas_complex_numIdEPKS1_PKS3_PKPS1_EviT_T9_T10_S9_lSB_S9_lSA_T11_S9_li.private_seg_size, 0
	.set _ZL29rocblas_internal_gemmt_kernelIiLi16ELi32ELi8ELc67ELc78ELc85ELb1ELb0E19rocblas_complex_numIdEPKS1_PKS3_PKPS1_EviT_T9_T10_S9_lSB_S9_lSA_T11_S9_li.uses_vcc, 1
	.set _ZL29rocblas_internal_gemmt_kernelIiLi16ELi32ELi8ELc67ELc78ELc85ELb1ELb0E19rocblas_complex_numIdEPKS1_PKS3_PKPS1_EviT_T9_T10_S9_lSB_S9_lSA_T11_S9_li.uses_flat_scratch, 0
	.set _ZL29rocblas_internal_gemmt_kernelIiLi16ELi32ELi8ELc67ELc78ELc85ELb1ELb0E19rocblas_complex_numIdEPKS1_PKS3_PKPS1_EviT_T9_T10_S9_lSB_S9_lSA_T11_S9_li.has_dyn_sized_stack, 0
	.set _ZL29rocblas_internal_gemmt_kernelIiLi16ELi32ELi8ELc67ELc78ELc85ELb1ELb0E19rocblas_complex_numIdEPKS1_PKS3_PKPS1_EviT_T9_T10_S9_lSB_S9_lSA_T11_S9_li.has_recursion, 0
	.set _ZL29rocblas_internal_gemmt_kernelIiLi16ELi32ELi8ELc67ELc78ELc85ELb1ELb0E19rocblas_complex_numIdEPKS1_PKS3_PKPS1_EviT_T9_T10_S9_lSB_S9_lSA_T11_S9_li.has_indirect_call, 0
	.section	.AMDGPU.csdata,"",@progbits
; Kernel info:
; codeLenInByte = 3468
; TotalNumSgprs: 41
; NumVgprs: 133
; ScratchSize: 0
; MemoryBound: 1
; FloatMode: 240
; IeeeMode: 1
; LDSByteSize: 8192 bytes/workgroup (compile time only)
; SGPRBlocks: 0
; VGPRBlocks: 16
; NumSGPRsForWavesPerEU: 41
; NumVGPRsForWavesPerEU: 133
; Occupancy: 10
; WaveLimiterHint : 1
; COMPUTE_PGM_RSRC2:SCRATCH_EN: 0
; COMPUTE_PGM_RSRC2:USER_SGPR: 2
; COMPUTE_PGM_RSRC2:TRAP_HANDLER: 0
; COMPUTE_PGM_RSRC2:TGID_X_EN: 1
; COMPUTE_PGM_RSRC2:TGID_Y_EN: 1
; COMPUTE_PGM_RSRC2:TGID_Z_EN: 1
; COMPUTE_PGM_RSRC2:TIDIG_COMP_CNT: 1
	.section	.text._ZL29rocblas_internal_gemmt_kernelIiLi16ELi32ELi8ELc67ELc84ELc85ELb1ELb0E19rocblas_complex_numIdEPKS1_PKS3_PKPS1_EviT_T9_T10_S9_lSB_S9_lSA_T11_S9_li,"axG",@progbits,_ZL29rocblas_internal_gemmt_kernelIiLi16ELi32ELi8ELc67ELc84ELc85ELb1ELb0E19rocblas_complex_numIdEPKS1_PKS3_PKPS1_EviT_T9_T10_S9_lSB_S9_lSA_T11_S9_li,comdat
	.globl	_ZL29rocblas_internal_gemmt_kernelIiLi16ELi32ELi8ELc67ELc84ELc85ELb1ELb0E19rocblas_complex_numIdEPKS1_PKS3_PKPS1_EviT_T9_T10_S9_lSB_S9_lSA_T11_S9_li ; -- Begin function _ZL29rocblas_internal_gemmt_kernelIiLi16ELi32ELi8ELc67ELc84ELc85ELb1ELb0E19rocblas_complex_numIdEPKS1_PKS3_PKPS1_EviT_T9_T10_S9_lSB_S9_lSA_T11_S9_li
	.p2align	8
	.type	_ZL29rocblas_internal_gemmt_kernelIiLi16ELi32ELi8ELc67ELc84ELc85ELb1ELb0E19rocblas_complex_numIdEPKS1_PKS3_PKPS1_EviT_T9_T10_S9_lSB_S9_lSA_T11_S9_li,@function
_ZL29rocblas_internal_gemmt_kernelIiLi16ELi32ELi8ELc67ELc84ELc85ELb1ELb0E19rocblas_complex_numIdEPKS1_PKS3_PKPS1_EviT_T9_T10_S9_lSB_S9_lSA_T11_S9_li: ; @_ZL29rocblas_internal_gemmt_kernelIiLi16ELi32ELi8ELc67ELc84ELc85ELb1ELb0E19rocblas_complex_numIdEPKS1_PKS3_PKPS1_EviT_T9_T10_S9_lSB_S9_lSA_T11_S9_li
; %bb.0:
	s_load_b128 s[20:23], s[0:1], 0x38
	s_wait_kmcnt 0x0
	s_load_b128 s[4:7], s[22:23], 0x0
	s_clause 0x1
	s_load_b128 s[8:11], s[0:1], 0x8
	s_load_b64 s[22:23], s[0:1], 0x0
	s_wait_kmcnt 0x0
	s_load_b128 s[12:15], s[8:9], 0x0
	v_cmp_eq_f64_e64 s2, s[4:5], 1.0
	v_cmp_eq_f64_e64 s33, s[6:7], 0
	s_and_b32 s2, s2, s33
	s_delay_alu instid0(SALU_CYCLE_1)
	s_and_not1_b32 vcc_lo, exec_lo, s2
	s_mov_b32 s2, -1
	s_cbranch_vccnz .LBB403_3
; %bb.1:
	s_cmp_lg_u32 s23, 0
	s_cbranch_scc0 .LBB403_36
; %bb.2:
	s_wait_kmcnt 0x0
	v_cmp_neq_f64_e64 s2, s[12:13], 0
	v_cmp_neq_f64_e64 s3, s[14:15], 0
	s_or_b32 s2, s2, s3
.LBB403_3:
	s_delay_alu instid0(SALU_CYCLE_1)
	s_and_b32 vcc_lo, exec_lo, s2
	s_cbranch_vccz .LBB403_37
; %bb.4:
	s_load_b32 s27, s[0:1], 0x60
	s_lshr_b32 s8, ttmp7, 16
	s_wait_kmcnt 0x0
	s_cmp_ge_u32 s8, s27
	s_cbranch_scc1 .LBB403_37
; %bb.5:
	v_cmp_neq_f64_e64 s3, s[12:13], 0
	v_cmp_neq_f64_e64 s34, s[14:15], 0
	;; [unrolled: 1-line block ×3, first 2 shown]
	v_and_b32_e32 v1, 0x3ff, v0
	v_bfe_u32 v2, v0, 10, 10
	s_clause 0x4
	s_load_b32 s36, s[0:1], 0x18
	s_load_b128 s[16:19], s[0:1], 0x20
	s_load_b32 s28, s[0:1], 0x30
	s_load_b96 s[24:26], s[0:1], 0x48
	s_load_b64 s[30:31], s[0:1], 0x58
	v_and_b32_e32 v35, 7, v0
	s_lshl_b32 s0, ttmp9, 5
	v_lshlrev_b32_e32 v36, 4, v1
	v_lshl_add_u32 v0, v2, 4, v1
	v_add_nc_u32_e32 v5, s0, v1
	s_lshl_b32 s1, ttmp7, 5
	v_lshlrev_b32_e32 v3, 4, v35
	s_wait_alu 0xfffe
	s_and_b32 s2, s1, 0x1fffe0
	v_lshrrev_b32_e32 v38, 5, v0
	v_lshrrev_b32_e32 v1, 3, v0
	v_and_b32_e32 v0, 31, v0
	v_lshl_add_u32 v37, v2, 7, 0x1000
	v_add_nc_u32_e32 v2, s2, v2
	v_add_nc_u32_e32 v7, 16, v5
	;; [unrolled: 1-line block ×3, first 2 shown]
	v_or_b32_e32 v4, s0, v0
	v_lshl_or_b32 v1, v1, 7, v3
	v_cmp_gt_i32_e32 vcc_lo, s22, v2
	v_cmp_le_i32_e64 s1, v5, v2
	v_add_nc_u32_e32 v9, 16, v2
	v_cmp_gt_i32_e64 s0, s22, v4
	s_wait_kmcnt 0x0
	v_mad_co_i64_i32 v[3:4], null, s36, v4, 0
	v_cmp_le_i32_e64 s2, v7, v2
	s_ashr_i32 s29, s28, 31
	v_mad_co_i64_i32 v[11:12], null, v9, s26, 0
	v_lshlrev_b32_e32 v14, 4, v38
	v_add_nc_u32_e32 v40, 0x1000, v1
	v_lshlrev_b64_e32 v[3:4], 4, v[3:4]
	v_mad_co_i64_i32 v[1:2], null, v2, s26, 0
	v_lshlrev_b32_e32 v0, 4, v0
	s_or_b32 s37, s3, s34
	s_cmp_gt_i32 s23, 0
	v_cmp_gt_i32_e64 s3, s22, v13
	s_cselect_b32 s38, -1, 0
	s_xor_b32 s33, s33, -1
	s_and_b32 s34, vcc_lo, s1
	s_or_b32 s33, s35, s33
	s_and_b32 s35, vcc_lo, s2
	v_cmp_gt_i32_e32 vcc_lo, s22, v9
	v_cmp_le_i32_e64 s1, v5, v9
	v_cmp_le_i32_e64 s2, v7, v9
	v_mad_co_i64_i32 v[9:10], null, s28, v35, 0
	s_lshl_b64 s[16:17], s[16:17], 4
	s_and_b32 s1, vcc_lo, s1
	s_and_b32 s22, vcc_lo, s2
	v_add_co_u32 v15, vcc_lo, v3, s16
	s_delay_alu instid0(VALU_DEP_1) | instskip(SKIP_1) | instid1(VALU_DEP_3)
	v_add_co_ci_u32_e64 v16, null, s17, v4, vcc_lo
	v_lshlrev_b64_e32 v[3:4], 4, v[9:10]
	v_add_co_u32 v9, vcc_lo, v15, v14
	s_lshl_b64 s[16:17], s[20:21], 4
	s_wait_alu 0xfffd
	v_add_co_ci_u32_e64 v41, null, 0, v16, vcc_lo
	v_lshlrev_b32_e32 v10, 4, v13
	s_wait_alu 0xfffe
	v_add_co_u32 v3, vcc_lo, v3, s16
	s_wait_alu 0xfffd
	v_add_co_ci_u32_e64 v4, null, s17, v4, vcc_lo
	v_or_b32_e32 v42, 8, v9
	s_delay_alu instid0(VALU_DEP_3)
	v_add_co_u32 v43, vcc_lo, v3, v10
	v_lshlrev_b64_e32 v[9:10], 4, v[1:2]
	v_lshlrev_b64_e32 v[11:12], 4, v[11:12]
	v_lshl_or_b32 v39, v38, 9, v0
	v_ashrrev_i32_e32 v6, 31, v5
	v_ashrrev_i32_e32 v8, 31, v7
	v_mov_b32_e32 v0, 0
	s_wait_alu 0xfffd
	v_add_co_ci_u32_e64 v44, null, 0, v4, vcc_lo
	s_mov_b32 s9, 0
	s_and_b32 s26, s37, s38
	s_lshl_b64 s[16:17], s[28:29], 7
	s_xor_b32 s28, s3, -1
	s_lshl_b64 s[2:3], s[30:31], 4
	s_branch .LBB403_7
.LBB403_6:                              ;   in Loop: Header=BB403_7 Depth=1
	s_wait_alu 0xfffe
	s_or_b32 exec_lo, exec_lo, s20
	s_add_co_i32 s8, s8, 0x10000
	s_delay_alu instid0(SALU_CYCLE_1)
	s_cmp_lt_u32 s8, s27
	s_cbranch_scc0 .LBB403_37
.LBB403_7:                              ; =>This Loop Header: Depth=1
                                        ;     Child Loop BB403_10 Depth 2
	s_lshl_b64 s[20:21], s[8:9], 3
	v_mov_b32_e32 v31, 0
	s_wait_alu 0xfffe
	s_add_nc_u64 s[30:31], s[24:25], s[20:21]
	v_mov_b32_e32 v27, 0
	global_load_b64 v[13:14], v0, s[30:31]
	v_mov_b32_e32 v23, 0
	v_dual_mov_b32 v21, 0 :: v_dual_mov_b32 v32, 0
	v_dual_mov_b32 v33, 0 :: v_dual_mov_b32 v28, 0
	;; [unrolled: 1-line block ×5, first 2 shown]
	v_mov_b32_e32 v30, 0
	v_mov_b32_e32 v26, 0
	;; [unrolled: 1-line block ×3, first 2 shown]
	s_and_not1_b32 vcc_lo, exec_lo, s26
	s_wait_alu 0xfffe
	s_cbranch_vccnz .LBB403_16
; %bb.8:                                ;   in Loop: Header=BB403_7 Depth=1
	s_add_nc_u64 s[30:31], s[10:11], s[20:21]
	s_add_nc_u64 s[20:21], s[18:19], s[20:21]
	s_clause 0x1
	global_load_b64 v[1:2], v0, s[30:31]
	global_load_b64 v[3:4], v0, s[20:21]
	v_mov_b32_e32 v19, 0
	v_mov_b32_e32 v25, 0
	;; [unrolled: 1-line block ×3, first 2 shown]
	v_dual_mov_b32 v33, 0 :: v_dual_mov_b32 v20, 0
	v_dual_mov_b32 v21, 0 :: v_dual_mov_b32 v26, 0
	;; [unrolled: 1-line block ×5, first 2 shown]
	v_mov_b32_e32 v24, 0
	v_mov_b32_e32 v28, 0
	;; [unrolled: 1-line block ×3, first 2 shown]
	s_mov_b32 s20, 0
	s_wait_loadcnt 0x1
	v_add_co_u32 v15, vcc_lo, v1, v42
	s_wait_alu 0xfffd
	v_add_co_ci_u32_e64 v16, null, v2, v41, vcc_lo
	s_wait_loadcnt 0x0
	v_add_co_u32 v17, vcc_lo, v3, v43
	s_wait_alu 0xfffd
	v_add_co_ci_u32_e64 v18, null, v4, v44, vcc_lo
	s_branch .LBB403_10
.LBB403_9:                              ;   in Loop: Header=BB403_10 Depth=2
	s_wait_alu 0xfffe
	s_or_b32 exec_lo, exec_lo, s21
	s_wait_dscnt 0x0
	s_barrier_signal -1
	s_barrier_wait -1
	global_inv scope:SCOPE_SE
	ds_load_b128 v[1:4], v37
	ds_load_b128 v[45:48], v36
	ds_load_b128 v[49:52], v36 offset:256
	ds_load_b128 v[53:56], v37 offset:2048
	;; [unrolled: 1-line block ×10, first 2 shown]
	v_add_co_u32 v15, vcc_lo, 0x80, v15
	s_wait_alu 0xfffd
	v_add_co_ci_u32_e64 v16, null, 0, v16, vcc_lo
	v_add_co_u32 v17, vcc_lo, v17, s16
	s_wait_alu 0xfffd
	v_add_co_ci_u32_e64 v18, null, s17, v18, vcc_lo
	s_add_co_i32 s20, s20, 8
	s_wait_alu 0xfffe
	s_cmp_lt_i32 s20, s23
	s_wait_dscnt 0xa
	v_mul_f64_e32 v[89:90], v[3:4], v[47:48]
	v_mul_f64_e32 v[91:92], v[1:2], v[47:48]
	s_wait_dscnt 0x9
	v_mul_f64_e32 v[93:94], v[3:4], v[51:52]
	v_mul_f64_e32 v[95:96], v[1:2], v[51:52]
	;; [unrolled: 3-line block ×3, first 2 shown]
	v_mul_f64_e32 v[99:100], v[55:56], v[51:52]
	v_mul_f64_e32 v[51:52], v[53:54], v[51:52]
	s_wait_dscnt 0x5
	v_mul_f64_e32 v[101:102], v[59:60], v[67:68]
	v_mul_f64_e32 v[103:104], v[57:58], v[67:68]
	s_wait_dscnt 0x4
	v_mul_f64_e32 v[105:106], v[59:60], v[71:72]
	v_mul_f64_e32 v[107:108], v[57:58], v[71:72]
	;; [unrolled: 1-line block ×6, first 2 shown]
	s_wait_dscnt 0x2
	v_mul_f64_e32 v[117:118], v[75:76], v[79:80]
	v_mul_f64_e32 v[119:120], v[73:74], v[79:80]
	s_wait_dscnt 0x1
	v_mul_f64_e32 v[121:122], v[75:76], v[83:84]
	v_mul_f64_e32 v[123:124], v[73:74], v[83:84]
	s_wait_dscnt 0x0
	v_mul_f64_e32 v[125:126], v[87:88], v[79:80]
	v_mul_f64_e32 v[79:80], v[85:86], v[79:80]
	v_mul_f64_e32 v[127:128], v[87:88], v[83:84]
	v_mul_f64_e32 v[83:84], v[85:86], v[83:84]
	v_fma_f64 v[89:90], v[1:2], v[45:46], -v[89:90]
	v_fma_f64 v[91:92], v[3:4], v[45:46], v[91:92]
	v_fma_f64 v[93:94], v[1:2], v[49:50], -v[93:94]
	v_fma_f64 v[95:96], v[3:4], v[49:50], v[95:96]
	;; [unrolled: 2-line block ×8, first 2 shown]
	ds_load_b128 v[1:4], v37 offset:48
	ds_load_b128 v[45:48], v37 offset:2096
	;; [unrolled: 1-line block ×4, first 2 shown]
	v_fma_f64 v[117:118], v[73:74], v[77:78], -v[117:118]
	v_fma_f64 v[119:120], v[75:76], v[77:78], v[119:120]
	v_fma_f64 v[73:74], v[73:74], v[81:82], -v[121:122]
	v_fma_f64 v[75:76], v[75:76], v[81:82], v[123:124]
	;; [unrolled: 2-line block ×4, first 2 shown]
	s_wait_dscnt 0x1
	v_mul_f64_e32 v[107:108], v[1:2], v[51:52]
	s_wait_dscnt 0x0
	v_mul_f64_e32 v[109:110], v[3:4], v[55:56]
	v_mul_f64_e32 v[111:112], v[1:2], v[55:56]
	v_add_f64_e32 v[67:68], v[31:32], v[89:90]
	v_add_f64_e32 v[69:70], v[91:92], v[33:34]
	;; [unrolled: 1-line block ×8, first 2 shown]
	v_mul_f64_e32 v[99:100], v[3:4], v[51:52]
	v_mul_f64_e32 v[113:114], v[47:48], v[51:52]
	;; [unrolled: 1-line block ×5, first 2 shown]
	ds_load_b128 v[19:22], v37 offset:64
	ds_load_b128 v[23:26], v36 offset:2048
	;; [unrolled: 1-line block ×4, first 2 shown]
	s_wait_dscnt 0x0
	v_mul_f64_e32 v[123:124], v[33:34], v[25:26]
	v_mul_f64_e32 v[125:126], v[33:34], v[29:30]
	v_fma_f64 v[107:108], v[3:4], v[49:50], v[107:108]
	v_fma_f64 v[109:110], v[1:2], v[53:54], -v[109:110]
	v_fma_f64 v[111:112], v[3:4], v[53:54], v[111:112]
	v_add_f64_e32 v[83:84], v[67:68], v[101:102]
	v_add_f64_e32 v[85:86], v[103:104], v[69:70]
	;; [unrolled: 1-line block ×8, first 2 shown]
	v_mul_f64_e32 v[97:98], v[21:22], v[25:26]
	v_mul_f64_e32 v[101:102], v[19:20], v[25:26]
	;; [unrolled: 1-line block ×6, first 2 shown]
	v_fma_f64 v[99:100], v[1:2], v[49:50], -v[99:100]
	v_fma_f64 v[113:114], v[45:46], v[49:50], -v[113:114]
	v_fma_f64 v[127:128], v[47:48], v[49:50], v[51:52]
	v_fma_f64 v[115:116], v[45:46], v[53:54], -v[115:116]
	v_fma_f64 v[53:54], v[47:48], v[53:54], v[129:130]
	ds_load_b128 v[55:58], v37 offset:80
	ds_load_b128 v[59:62], v37 offset:2128
	;; [unrolled: 1-line block ×4, first 2 shown]
	v_fma_f64 v[123:124], v[31:32], v[23:24], -v[123:124]
	v_fma_f64 v[125:126], v[31:32], v[27:28], -v[125:126]
	v_add_f64_e32 v[83:84], v[83:84], v[117:118]
	v_add_f64_e32 v[85:86], v[119:120], v[85:86]
	v_add_f64_e32 v[117:118], v[71:72], v[73:74]
	v_add_f64_e32 v[75:76], v[75:76], v[87:88]
	v_add_f64_e32 v[87:88], v[89:90], v[121:122]
	v_add_f64_e32 v[77:78], v[77:78], v[91:92]
	v_add_f64_e32 v[79:80], v[93:94], v[79:80]
	v_add_f64_e32 v[81:82], v[81:82], v[95:96]
	s_wait_dscnt 0x1
	v_mul_f64_e32 v[89:90], v[57:58], v[65:66]
	v_mul_f64_e32 v[91:92], v[55:56], v[65:66]
	s_wait_dscnt 0x0
	v_mul_f64_e32 v[93:94], v[57:58], v[69:70]
	v_mul_f64_e32 v[95:96], v[55:56], v[69:70]
	;; [unrolled: 1-line block ×6, first 2 shown]
	v_fma_f64 v[97:98], v[19:20], v[23:24], -v[97:98]
	v_fma_f64 v[101:102], v[21:22], v[23:24], v[101:102]
	v_fma_f64 v[103:104], v[19:20], v[27:28], -v[103:104]
	v_fma_f64 v[105:106], v[21:22], v[27:28], v[105:106]
	v_fma_f64 v[129:130], v[33:34], v[23:24], v[25:26]
	;; [unrolled: 1-line block ×3, first 2 shown]
	ds_load_b128 v[1:4], v37 offset:96
	ds_load_b128 v[45:48], v36 offset:3072
	;; [unrolled: 1-line block ×8, first 2 shown]
	s_wait_loadcnt_dscnt 0x0
	s_barrier_signal -1
	s_barrier_wait -1
	global_inv scope:SCOPE_SE
	v_add_f64_e32 v[83:84], v[83:84], v[99:100]
	v_add_f64_e32 v[85:86], v[107:108], v[85:86]
	;; [unrolled: 1-line block ×8, first 2 shown]
	v_mul_f64_e32 v[81:82], v[3:4], v[47:48]
	v_mul_f64_e32 v[107:108], v[1:2], v[47:48]
	;; [unrolled: 1-line block ×8, first 2 shown]
	v_fma_f64 v[89:90], v[55:56], v[63:64], -v[89:90]
	v_fma_f64 v[91:92], v[57:58], v[63:64], v[91:92]
	v_fma_f64 v[55:56], v[55:56], v[67:68], -v[93:94]
	v_fma_f64 v[57:58], v[57:58], v[67:68], v[95:96]
	;; [unrolled: 2-line block ×4, first 2 shown]
	v_mul_f64_e32 v[95:96], v[21:22], v[33:34]
	v_add_f64_e32 v[65:66], v[83:84], v[97:98]
	v_add_f64_e32 v[67:68], v[101:102], v[85:86]
	;; [unrolled: 1-line block ×8, first 2 shown]
	v_mul_f64_e32 v[85:86], v[21:22], v[29:30]
	v_mul_f64_e32 v[87:88], v[19:20], v[29:30]
	;; [unrolled: 1-line block ×7, first 2 shown]
	v_fma_f64 v[81:82], v[1:2], v[45:46], -v[81:82]
	v_fma_f64 v[103:104], v[3:4], v[45:46], v[107:108]
	v_fma_f64 v[1:2], v[1:2], v[49:50], -v[109:110]
	v_fma_f64 v[3:4], v[3:4], v[49:50], v[111:112]
	;; [unrolled: 2-line block ×4, first 2 shown]
	v_add_f64_e32 v[51:52], v[65:66], v[89:90]
	v_add_f64_e32 v[65:66], v[91:92], v[67:68]
	;; [unrolled: 1-line block ×8, first 2 shown]
	v_fma_f64 v[61:62], v[19:20], v[27:28], -v[85:86]
	v_fma_f64 v[69:70], v[21:22], v[27:28], v[87:88]
	v_fma_f64 v[19:20], v[19:20], v[31:32], -v[95:96]
	v_fma_f64 v[21:22], v[21:22], v[31:32], v[97:98]
	;; [unrolled: 2-line block ×4, first 2 shown]
	v_add_f64_e32 v[23:24], v[51:52], v[81:82]
	v_add_f64_e32 v[25:26], v[103:104], v[65:66]
	;; [unrolled: 1-line block ×16, first 2 shown]
	s_cbranch_scc0 .LBB403_16
.LBB403_10:                             ;   Parent Loop BB403_7 Depth=1
                                        ; =>  This Inner Loop Header: Depth=2
	s_wait_alu 0xfffe
	v_add_nc_u32_e32 v1, s20, v38
	v_mov_b32_e32 v3, 0
	v_mov_b32_e32 v4, 0
	s_delay_alu instid0(VALU_DEP_3)
	v_cmp_gt_i32_e32 vcc_lo, s23, v1
	v_mov_b32_e32 v1, 0
	v_mov_b32_e32 v2, 0
	s_and_b32 s29, s0, vcc_lo
	s_wait_alu 0xfffe
	s_and_saveexec_b32 s21, s29
	s_cbranch_execz .LBB403_12
; %bb.11:                               ;   in Loop: Header=BB403_10 Depth=2
	flat_load_b128 v[1:4], v[15:16] offset:-8
	s_wait_loadcnt_dscnt 0x0
	v_xor_b32_e32 v4, 0x80000000, v4
.LBB403_12:                             ;   in Loop: Header=BB403_10 Depth=2
	s_wait_alu 0xfffe
	s_or_b32 exec_lo, exec_lo, s21
	v_add_nc_u32_e32 v45, s20, v35
	ds_store_b128 v39, v[1:4]
	v_cmp_le_i32_e32 vcc_lo, s23, v45
	s_or_b32 s21, vcc_lo, s28
	s_wait_alu 0xfffe
	s_and_saveexec_b32 s29, s21
	s_wait_alu 0xfffe
	s_xor_b32 s21, exec_lo, s29
; %bb.13:                               ;   in Loop: Header=BB403_10 Depth=2
	v_dual_mov_b32 v1, v0 :: v_dual_mov_b32 v2, v0
	v_mov_b32_e32 v3, v0
	ds_store_b128 v40, v[0:3]
; %bb.14:                               ;   in Loop: Header=BB403_10 Depth=2
	s_wait_alu 0xfffe
	s_and_not1_saveexec_b32 s21, s21
	s_cbranch_execz .LBB403_9
; %bb.15:                               ;   in Loop: Header=BB403_10 Depth=2
	flat_load_b128 v[1:4], v[17:18]
	s_wait_loadcnt_dscnt 0x0
	ds_store_2addr_b64 v40, v[1:2], v[3:4] offset1:1
	s_branch .LBB403_9
.LBB403_16:                             ;   in Loop: Header=BB403_7 Depth=1
	s_wait_loadcnt 0x0
	v_add_co_u32 v13, vcc_lo, v13, s2
	s_wait_alu 0xfffd
	v_add_co_ci_u32_e64 v14, null, s3, v14, vcc_lo
	s_delay_alu instid0(VALU_DEP_2) | instskip(SKIP_1) | instid1(VALU_DEP_2)
	v_add_co_u32 v15, vcc_lo, v13, v9
	s_wait_alu 0xfffd
	v_add_co_ci_u32_e64 v16, null, v14, v10, vcc_lo
	s_and_saveexec_b32 s20, s34
	s_cbranch_execz .LBB403_21
; %bb.17:                               ;   in Loop: Header=BB403_7 Depth=1
	v_mul_f64_e32 v[1:2], s[14:15], v[33:34]
	v_mul_f64_e32 v[3:4], s[12:13], v[33:34]
	s_and_b32 vcc_lo, exec_lo, s33
	s_mov_b32 s21, -1
	s_delay_alu instid0(VALU_DEP_2) | instskip(NEXT) | instid1(VALU_DEP_2)
	v_fma_f64 v[1:2], s[12:13], v[31:32], -v[1:2]
	v_fma_f64 v[3:4], s[14:15], v[31:32], v[3:4]
	s_wait_alu 0xfffe
	s_cbranch_vccz .LBB403_19
; %bb.18:                               ;   in Loop: Header=BB403_7 Depth=1
	v_lshlrev_b64_e32 v[17:18], 4, v[5:6]
	s_mov_b32 s21, 0
	s_delay_alu instid0(VALU_DEP_1) | instskip(SKIP_1) | instid1(VALU_DEP_2)
	v_add_co_u32 v17, vcc_lo, v15, v17
	s_wait_alu 0xfffd
	v_add_co_ci_u32_e64 v18, null, v16, v18, vcc_lo
	flat_load_b128 v[31:34], v[17:18]
	s_wait_loadcnt_dscnt 0x0
	v_mul_f64_e32 v[45:46], s[6:7], v[33:34]
	v_mul_f64_e32 v[33:34], s[4:5], v[33:34]
	s_delay_alu instid0(VALU_DEP_2) | instskip(NEXT) | instid1(VALU_DEP_2)
	v_fma_f64 v[45:46], s[4:5], v[31:32], -v[45:46]
	v_fma_f64 v[33:34], s[6:7], v[31:32], v[33:34]
	s_delay_alu instid0(VALU_DEP_2) | instskip(NEXT) | instid1(VALU_DEP_2)
	v_add_f64_e32 v[31:32], v[1:2], v[45:46]
	v_add_f64_e32 v[33:34], v[3:4], v[33:34]
	flat_store_b128 v[17:18], v[31:34]
.LBB403_19:                             ;   in Loop: Header=BB403_7 Depth=1
	s_wait_alu 0xfffe
	s_and_not1_b32 vcc_lo, exec_lo, s21
	s_wait_alu 0xfffe
	s_cbranch_vccnz .LBB403_21
; %bb.20:                               ;   in Loop: Header=BB403_7 Depth=1
	v_lshlrev_b64_e32 v[17:18], 4, v[5:6]
	s_delay_alu instid0(VALU_DEP_1) | instskip(SKIP_1) | instid1(VALU_DEP_2)
	v_add_co_u32 v17, vcc_lo, v15, v17
	s_wait_alu 0xfffd
	v_add_co_ci_u32_e64 v18, null, v16, v18, vcc_lo
	flat_store_b128 v[17:18], v[1:4]
.LBB403_21:                             ;   in Loop: Header=BB403_7 Depth=1
	s_wait_alu 0xfffe
	s_or_b32 exec_lo, exec_lo, s20
	s_and_saveexec_b32 s20, s35
	s_cbranch_execz .LBB403_26
; %bb.22:                               ;   in Loop: Header=BB403_7 Depth=1
	v_mul_f64_e32 v[1:2], s[14:15], v[29:30]
	v_mul_f64_e32 v[3:4], s[12:13], v[29:30]
	s_and_not1_b32 vcc_lo, exec_lo, s33
	s_mov_b32 s21, -1
	s_delay_alu instid0(VALU_DEP_2) | instskip(NEXT) | instid1(VALU_DEP_2)
	v_fma_f64 v[1:2], s[12:13], v[27:28], -v[1:2]
	v_fma_f64 v[3:4], s[14:15], v[27:28], v[3:4]
	s_wait_alu 0xfffe
	s_cbranch_vccnz .LBB403_24
; %bb.23:                               ;   in Loop: Header=BB403_7 Depth=1
	v_lshlrev_b64_e32 v[17:18], 4, v[7:8]
	s_mov_b32 s21, 0
	s_delay_alu instid0(VALU_DEP_1) | instskip(SKIP_1) | instid1(VALU_DEP_2)
	v_add_co_u32 v17, vcc_lo, v15, v17
	s_wait_alu 0xfffd
	v_add_co_ci_u32_e64 v18, null, v16, v18, vcc_lo
	flat_load_b128 v[27:30], v[17:18]
	s_wait_loadcnt_dscnt 0x0
	v_mul_f64_e32 v[31:32], s[6:7], v[29:30]
	v_mul_f64_e32 v[29:30], s[4:5], v[29:30]
	s_delay_alu instid0(VALU_DEP_2) | instskip(NEXT) | instid1(VALU_DEP_2)
	v_fma_f64 v[31:32], s[4:5], v[27:28], -v[31:32]
	v_fma_f64 v[29:30], s[6:7], v[27:28], v[29:30]
	s_delay_alu instid0(VALU_DEP_2) | instskip(NEXT) | instid1(VALU_DEP_2)
	v_add_f64_e32 v[27:28], v[1:2], v[31:32]
	v_add_f64_e32 v[29:30], v[3:4], v[29:30]
	flat_store_b128 v[17:18], v[27:30]
.LBB403_24:                             ;   in Loop: Header=BB403_7 Depth=1
	s_wait_alu 0xfffe
	s_and_not1_b32 vcc_lo, exec_lo, s21
	s_wait_alu 0xfffe
	s_cbranch_vccnz .LBB403_26
; %bb.25:                               ;   in Loop: Header=BB403_7 Depth=1
	v_lshlrev_b64_e32 v[17:18], 4, v[7:8]
	s_delay_alu instid0(VALU_DEP_1) | instskip(SKIP_1) | instid1(VALU_DEP_2)
	v_add_co_u32 v15, vcc_lo, v15, v17
	s_wait_alu 0xfffd
	v_add_co_ci_u32_e64 v16, null, v16, v18, vcc_lo
	flat_store_b128 v[15:16], v[1:4]
.LBB403_26:                             ;   in Loop: Header=BB403_7 Depth=1
	s_wait_alu 0xfffe
	s_or_b32 exec_lo, exec_lo, s20
	v_add_co_u32 v15, vcc_lo, v13, v11
	s_wait_alu 0xfffd
	v_add_co_ci_u32_e64 v16, null, v14, v12, vcc_lo
	s_and_saveexec_b32 s20, s1
	s_cbranch_execz .LBB403_31
; %bb.27:                               ;   in Loop: Header=BB403_7 Depth=1
	v_mul_f64_e32 v[1:2], s[14:15], v[25:26]
	v_mul_f64_e32 v[3:4], s[12:13], v[25:26]
	v_lshlrev_b64_e32 v[13:14], 4, v[5:6]
	s_and_not1_b32 vcc_lo, exec_lo, s33
	s_mov_b32 s21, -1
	s_delay_alu instid0(VALU_DEP_3) | instskip(NEXT) | instid1(VALU_DEP_3)
	v_fma_f64 v[1:2], s[12:13], v[23:24], -v[1:2]
	v_fma_f64 v[3:4], s[14:15], v[23:24], v[3:4]
	s_wait_alu 0xfffe
	s_cbranch_vccnz .LBB403_29
; %bb.28:                               ;   in Loop: Header=BB403_7 Depth=1
	v_add_co_u32 v17, vcc_lo, v15, v13
	s_wait_alu 0xfffd
	v_add_co_ci_u32_e64 v18, null, v16, v14, vcc_lo
	s_mov_b32 s21, 0
	flat_load_b128 v[23:26], v[17:18]
	s_wait_loadcnt_dscnt 0x0
	v_mul_f64_e32 v[27:28], s[6:7], v[25:26]
	v_mul_f64_e32 v[25:26], s[4:5], v[25:26]
	s_delay_alu instid0(VALU_DEP_2) | instskip(NEXT) | instid1(VALU_DEP_2)
	v_fma_f64 v[27:28], s[4:5], v[23:24], -v[27:28]
	v_fma_f64 v[25:26], s[6:7], v[23:24], v[25:26]
	s_delay_alu instid0(VALU_DEP_2) | instskip(NEXT) | instid1(VALU_DEP_2)
	v_add_f64_e32 v[23:24], v[1:2], v[27:28]
	v_add_f64_e32 v[25:26], v[3:4], v[25:26]
	flat_store_b128 v[17:18], v[23:26]
.LBB403_29:                             ;   in Loop: Header=BB403_7 Depth=1
	s_wait_alu 0xfffe
	s_and_not1_b32 vcc_lo, exec_lo, s21
	s_wait_alu 0xfffe
	s_cbranch_vccnz .LBB403_31
; %bb.30:                               ;   in Loop: Header=BB403_7 Depth=1
	v_add_co_u32 v13, vcc_lo, v15, v13
	s_wait_alu 0xfffd
	v_add_co_ci_u32_e64 v14, null, v16, v14, vcc_lo
	flat_store_b128 v[13:14], v[1:4]
.LBB403_31:                             ;   in Loop: Header=BB403_7 Depth=1
	s_wait_alu 0xfffe
	s_or_b32 exec_lo, exec_lo, s20
	s_and_saveexec_b32 s20, s22
	s_cbranch_execz .LBB403_6
; %bb.32:                               ;   in Loop: Header=BB403_7 Depth=1
	v_mul_f64_e32 v[1:2], s[14:15], v[19:20]
	v_mul_f64_e32 v[3:4], s[12:13], v[19:20]
	v_lshlrev_b64_e32 v[13:14], 4, v[7:8]
	s_and_not1_b32 vcc_lo, exec_lo, s33
	s_mov_b32 s21, -1
	s_delay_alu instid0(VALU_DEP_3) | instskip(NEXT) | instid1(VALU_DEP_3)
	v_fma_f64 v[1:2], s[12:13], v[21:22], -v[1:2]
	v_fma_f64 v[3:4], s[14:15], v[21:22], v[3:4]
	s_wait_alu 0xfffe
	s_cbranch_vccnz .LBB403_34
; %bb.33:                               ;   in Loop: Header=BB403_7 Depth=1
	v_add_co_u32 v21, vcc_lo, v15, v13
	s_wait_alu 0xfffd
	v_add_co_ci_u32_e64 v22, null, v16, v14, vcc_lo
	s_mov_b32 s21, 0
	flat_load_b128 v[17:20], v[21:22]
	s_wait_loadcnt_dscnt 0x0
	v_mul_f64_e32 v[23:24], s[6:7], v[19:20]
	v_mul_f64_e32 v[19:20], s[4:5], v[19:20]
	s_delay_alu instid0(VALU_DEP_2) | instskip(NEXT) | instid1(VALU_DEP_2)
	v_fma_f64 v[23:24], s[4:5], v[17:18], -v[23:24]
	v_fma_f64 v[19:20], s[6:7], v[17:18], v[19:20]
	s_delay_alu instid0(VALU_DEP_2) | instskip(NEXT) | instid1(VALU_DEP_2)
	v_add_f64_e32 v[17:18], v[1:2], v[23:24]
	v_add_f64_e32 v[19:20], v[3:4], v[19:20]
	flat_store_b128 v[21:22], v[17:20]
.LBB403_34:                             ;   in Loop: Header=BB403_7 Depth=1
	s_wait_alu 0xfffe
	s_and_not1_b32 vcc_lo, exec_lo, s21
	s_wait_alu 0xfffe
	s_cbranch_vccnz .LBB403_6
; %bb.35:                               ;   in Loop: Header=BB403_7 Depth=1
	v_add_co_u32 v13, vcc_lo, v15, v13
	s_wait_alu 0xfffd
	v_add_co_ci_u32_e64 v14, null, v16, v14, vcc_lo
	flat_store_b128 v[13:14], v[1:4]
	s_branch .LBB403_6
.LBB403_36:
.LBB403_37:
	s_nop 0
	s_sendmsg sendmsg(MSG_DEALLOC_VGPRS)
	s_endpgm
	.section	.rodata,"a",@progbits
	.p2align	6, 0x0
	.amdhsa_kernel _ZL29rocblas_internal_gemmt_kernelIiLi16ELi32ELi8ELc67ELc84ELc85ELb1ELb0E19rocblas_complex_numIdEPKS1_PKS3_PKPS1_EviT_T9_T10_S9_lSB_S9_lSA_T11_S9_li
		.amdhsa_group_segment_fixed_size 8192
		.amdhsa_private_segment_fixed_size 0
		.amdhsa_kernarg_size 100
		.amdhsa_user_sgpr_count 2
		.amdhsa_user_sgpr_dispatch_ptr 0
		.amdhsa_user_sgpr_queue_ptr 0
		.amdhsa_user_sgpr_kernarg_segment_ptr 1
		.amdhsa_user_sgpr_dispatch_id 0
		.amdhsa_user_sgpr_private_segment_size 0
		.amdhsa_wavefront_size32 1
		.amdhsa_uses_dynamic_stack 0
		.amdhsa_enable_private_segment 0
		.amdhsa_system_sgpr_workgroup_id_x 1
		.amdhsa_system_sgpr_workgroup_id_y 1
		.amdhsa_system_sgpr_workgroup_id_z 1
		.amdhsa_system_sgpr_workgroup_info 0
		.amdhsa_system_vgpr_workitem_id 1
		.amdhsa_next_free_vgpr 133
		.amdhsa_next_free_sgpr 39
		.amdhsa_reserve_vcc 1
		.amdhsa_float_round_mode_32 0
		.amdhsa_float_round_mode_16_64 0
		.amdhsa_float_denorm_mode_32 3
		.amdhsa_float_denorm_mode_16_64 3
		.amdhsa_fp16_overflow 0
		.amdhsa_workgroup_processor_mode 1
		.amdhsa_memory_ordered 1
		.amdhsa_forward_progress 1
		.amdhsa_inst_pref_size 28
		.amdhsa_round_robin_scheduling 0
		.amdhsa_exception_fp_ieee_invalid_op 0
		.amdhsa_exception_fp_denorm_src 0
		.amdhsa_exception_fp_ieee_div_zero 0
		.amdhsa_exception_fp_ieee_overflow 0
		.amdhsa_exception_fp_ieee_underflow 0
		.amdhsa_exception_fp_ieee_inexact 0
		.amdhsa_exception_int_div_zero 0
	.end_amdhsa_kernel
	.section	.text._ZL29rocblas_internal_gemmt_kernelIiLi16ELi32ELi8ELc67ELc84ELc85ELb1ELb0E19rocblas_complex_numIdEPKS1_PKS3_PKPS1_EviT_T9_T10_S9_lSB_S9_lSA_T11_S9_li,"axG",@progbits,_ZL29rocblas_internal_gemmt_kernelIiLi16ELi32ELi8ELc67ELc84ELc85ELb1ELb0E19rocblas_complex_numIdEPKS1_PKS3_PKPS1_EviT_T9_T10_S9_lSB_S9_lSA_T11_S9_li,comdat
.Lfunc_end403:
	.size	_ZL29rocblas_internal_gemmt_kernelIiLi16ELi32ELi8ELc67ELc84ELc85ELb1ELb0E19rocblas_complex_numIdEPKS1_PKS3_PKPS1_EviT_T9_T10_S9_lSB_S9_lSA_T11_S9_li, .Lfunc_end403-_ZL29rocblas_internal_gemmt_kernelIiLi16ELi32ELi8ELc67ELc84ELc85ELb1ELb0E19rocblas_complex_numIdEPKS1_PKS3_PKPS1_EviT_T9_T10_S9_lSB_S9_lSA_T11_S9_li
                                        ; -- End function
	.set _ZL29rocblas_internal_gemmt_kernelIiLi16ELi32ELi8ELc67ELc84ELc85ELb1ELb0E19rocblas_complex_numIdEPKS1_PKS3_PKPS1_EviT_T9_T10_S9_lSB_S9_lSA_T11_S9_li.num_vgpr, 133
	.set _ZL29rocblas_internal_gemmt_kernelIiLi16ELi32ELi8ELc67ELc84ELc85ELb1ELb0E19rocblas_complex_numIdEPKS1_PKS3_PKPS1_EviT_T9_T10_S9_lSB_S9_lSA_T11_S9_li.num_agpr, 0
	.set _ZL29rocblas_internal_gemmt_kernelIiLi16ELi32ELi8ELc67ELc84ELc85ELb1ELb0E19rocblas_complex_numIdEPKS1_PKS3_PKPS1_EviT_T9_T10_S9_lSB_S9_lSA_T11_S9_li.numbered_sgpr, 39
	.set _ZL29rocblas_internal_gemmt_kernelIiLi16ELi32ELi8ELc67ELc84ELc85ELb1ELb0E19rocblas_complex_numIdEPKS1_PKS3_PKPS1_EviT_T9_T10_S9_lSB_S9_lSA_T11_S9_li.num_named_barrier, 0
	.set _ZL29rocblas_internal_gemmt_kernelIiLi16ELi32ELi8ELc67ELc84ELc85ELb1ELb0E19rocblas_complex_numIdEPKS1_PKS3_PKPS1_EviT_T9_T10_S9_lSB_S9_lSA_T11_S9_li.private_seg_size, 0
	.set _ZL29rocblas_internal_gemmt_kernelIiLi16ELi32ELi8ELc67ELc84ELc85ELb1ELb0E19rocblas_complex_numIdEPKS1_PKS3_PKPS1_EviT_T9_T10_S9_lSB_S9_lSA_T11_S9_li.uses_vcc, 1
	.set _ZL29rocblas_internal_gemmt_kernelIiLi16ELi32ELi8ELc67ELc84ELc85ELb1ELb0E19rocblas_complex_numIdEPKS1_PKS3_PKPS1_EviT_T9_T10_S9_lSB_S9_lSA_T11_S9_li.uses_flat_scratch, 0
	.set _ZL29rocblas_internal_gemmt_kernelIiLi16ELi32ELi8ELc67ELc84ELc85ELb1ELb0E19rocblas_complex_numIdEPKS1_PKS3_PKPS1_EviT_T9_T10_S9_lSB_S9_lSA_T11_S9_li.has_dyn_sized_stack, 0
	.set _ZL29rocblas_internal_gemmt_kernelIiLi16ELi32ELi8ELc67ELc84ELc85ELb1ELb0E19rocblas_complex_numIdEPKS1_PKS3_PKPS1_EviT_T9_T10_S9_lSB_S9_lSA_T11_S9_li.has_recursion, 0
	.set _ZL29rocblas_internal_gemmt_kernelIiLi16ELi32ELi8ELc67ELc84ELc85ELb1ELb0E19rocblas_complex_numIdEPKS1_PKS3_PKPS1_EviT_T9_T10_S9_lSB_S9_lSA_T11_S9_li.has_indirect_call, 0
	.section	.AMDGPU.csdata,"",@progbits
; Kernel info:
; codeLenInByte = 3472
; TotalNumSgprs: 41
; NumVgprs: 133
; ScratchSize: 0
; MemoryBound: 1
; FloatMode: 240
; IeeeMode: 1
; LDSByteSize: 8192 bytes/workgroup (compile time only)
; SGPRBlocks: 0
; VGPRBlocks: 16
; NumSGPRsForWavesPerEU: 41
; NumVGPRsForWavesPerEU: 133
; Occupancy: 10
; WaveLimiterHint : 1
; COMPUTE_PGM_RSRC2:SCRATCH_EN: 0
; COMPUTE_PGM_RSRC2:USER_SGPR: 2
; COMPUTE_PGM_RSRC2:TRAP_HANDLER: 0
; COMPUTE_PGM_RSRC2:TGID_X_EN: 1
; COMPUTE_PGM_RSRC2:TGID_Y_EN: 1
; COMPUTE_PGM_RSRC2:TGID_Z_EN: 1
; COMPUTE_PGM_RSRC2:TIDIG_COMP_CNT: 1
	.section	.text._ZL29rocblas_internal_gemmt_kernelIiLi16ELi32ELi8ELc67ELc67ELc85ELb1ELb1E19rocblas_complex_numIdEPKS1_PKS3_PKPS1_EviT_T9_T10_S9_lSB_S9_lSA_T11_S9_li,"axG",@progbits,_ZL29rocblas_internal_gemmt_kernelIiLi16ELi32ELi8ELc67ELc67ELc85ELb1ELb1E19rocblas_complex_numIdEPKS1_PKS3_PKPS1_EviT_T9_T10_S9_lSB_S9_lSA_T11_S9_li,comdat
	.globl	_ZL29rocblas_internal_gemmt_kernelIiLi16ELi32ELi8ELc67ELc67ELc85ELb1ELb1E19rocblas_complex_numIdEPKS1_PKS3_PKPS1_EviT_T9_T10_S9_lSB_S9_lSA_T11_S9_li ; -- Begin function _ZL29rocblas_internal_gemmt_kernelIiLi16ELi32ELi8ELc67ELc67ELc85ELb1ELb1E19rocblas_complex_numIdEPKS1_PKS3_PKPS1_EviT_T9_T10_S9_lSB_S9_lSA_T11_S9_li
	.p2align	8
	.type	_ZL29rocblas_internal_gemmt_kernelIiLi16ELi32ELi8ELc67ELc67ELc85ELb1ELb1E19rocblas_complex_numIdEPKS1_PKS3_PKPS1_EviT_T9_T10_S9_lSB_S9_lSA_T11_S9_li,@function
_ZL29rocblas_internal_gemmt_kernelIiLi16ELi32ELi8ELc67ELc67ELc85ELb1ELb1E19rocblas_complex_numIdEPKS1_PKS3_PKPS1_EviT_T9_T10_S9_lSB_S9_lSA_T11_S9_li: ; @_ZL29rocblas_internal_gemmt_kernelIiLi16ELi32ELi8ELc67ELc67ELc85ELb1ELb1E19rocblas_complex_numIdEPKS1_PKS3_PKPS1_EviT_T9_T10_S9_lSB_S9_lSA_T11_S9_li
; %bb.0:
	s_load_b128 s[20:23], s[0:1], 0x38
	s_wait_kmcnt 0x0
	s_load_b128 s[8:11], s[22:23], 0x0
	s_clause 0x1
	s_load_b128 s[4:7], s[0:1], 0x8
	s_load_b64 s[22:23], s[0:1], 0x0
	s_wait_kmcnt 0x0
	s_load_b128 s[12:15], s[4:5], 0x0
	v_cmp_eq_f64_e64 s2, s[8:9], 1.0
	v_cmp_eq_f64_e64 s33, s[10:11], 0
	s_and_b32 s2, s2, s33
	s_delay_alu instid0(SALU_CYCLE_1)
	s_and_not1_b32 vcc_lo, exec_lo, s2
	s_mov_b32 s2, -1
	s_cbranch_vccnz .LBB404_3
; %bb.1:
	s_cmp_lg_u32 s23, 0
	s_cbranch_scc0 .LBB404_34
; %bb.2:
	s_wait_kmcnt 0x0
	v_cmp_neq_f64_e64 s2, s[12:13], 0
	v_cmp_neq_f64_e64 s3, s[14:15], 0
	s_or_b32 s2, s2, s3
.LBB404_3:
	s_delay_alu instid0(SALU_CYCLE_1)
	s_and_b32 vcc_lo, exec_lo, s2
	s_cbranch_vccz .LBB404_35
; %bb.4:
	s_load_b32 s27, s[0:1], 0x60
	s_lshr_b32 s28, ttmp7, 16
	s_wait_kmcnt 0x0
	s_cmp_ge_u32 s28, s27
	s_cbranch_scc1 .LBB404_35
; %bb.5:
	v_cmp_neq_f64_e64 s4, s[12:13], 0
	v_cmp_neq_f64_e64 s5, s[14:15], 0
	;; [unrolled: 1-line block ×3, first 2 shown]
	v_dual_mov_b32 v44, 0 :: v_dual_and_b32 v1, 0x3ff, v0
	v_bfe_u32 v2, v0, 10, 10
	s_clause 0x4
	s_load_b32 s38, s[0:1], 0x18
	s_load_b128 s[16:19], s[0:1], 0x20
	s_load_b32 s30, s[0:1], 0x30
	s_load_b96 s[24:26], s[0:1], 0x48
	s_load_b64 s[34:35], s[0:1], 0x58
	v_and_b32_e32 v38, 7, v0
	s_lshl_b32 s0, ttmp9, 5
	v_lshlrev_b32_e32 v39, 4, v1
	v_lshl_add_u32 v0, v2, 4, v1
	v_add_nc_u32_e32 v8, s0, v1
	v_lshlrev_b32_e32 v3, 4, v38
	s_lshl_b32 s1, ttmp7, 5
	v_lshl_add_u32 v40, v2, 7, 0x1000
	v_lshrrev_b32_e32 v41, 5, v0
	v_and_b32_e32 v1, 31, v0
	v_lshrrev_b32_e32 v0, 3, v0
	s_wait_alu 0xfffe
	s_and_b32 s1, s1, 0x1fffe0
	v_add_nc_u32_e32 v10, 16, v8
	s_wait_alu 0xfffe
	v_add_nc_u32_e32 v2, s1, v2
	v_or_b32_e32 v4, s0, v1
	v_add_nc_u32_e32 v12, s1, v0
	v_lshlrev_b32_e32 v1, 4, v1
	v_lshl_or_b32 v0, v0, 7, v3
	v_cmp_gt_i32_e32 vcc_lo, s22, v2
	v_cmp_le_i32_e64 s2, v8, v2
	v_cmp_le_i32_e64 s3, v10, v2
	v_lshl_or_b32 v42, v41, 9, v1
	v_add_nc_u32_e32 v43, 0x1000, v0
	s_wait_kmcnt 0x0
	v_mad_co_i64_i32 v[0:1], null, v2, s26, 0
	v_add_nc_u32_e32 v13, 16, v2
	v_mad_co_i64_i32 v[2:3], null, s38, v4, 0
	v_cmp_gt_i32_e64 s0, s22, v4
	v_mad_co_i64_i32 v[4:5], null, s30, v38, 0
	s_ashr_i32 s31, s30, 31
	s_or_b32 s39, s4, s5
	s_cmp_gt_i32 s23, 0
	v_lshlrev_b64_e32 v[2:3], 4, v[2:3]
	s_cselect_b32 s40, -1, 0
	s_xor_b32 s4, s33, -1
	v_lshlrev_b64_e32 v[4:5], 4, v[4:5]
	s_or_b32 s33, s36, s4
	s_lshl_b64 s[4:5], s[16:17], 4
	s_and_b32 s36, vcc_lo, s2
	s_and_b32 s37, vcc_lo, s3
	v_cmp_gt_i32_e32 vcc_lo, s22, v13
	v_cmp_le_i32_e64 s2, v8, v13
	v_add_co_u32 v2, s3, v2, s4
	s_delay_alu instid0(VALU_DEP_1)
	v_add_co_ci_u32_e64 v3, null, s5, v3, s3
	s_lshl_b64 s[4:5], s[20:21], 4
	v_cmp_gt_i32_e64 s1, s22, v12
	v_mad_co_i64_i32 v[6:7], null, v13, s26, 0
	s_and_b32 s22, vcc_lo, s2
	v_cmp_le_i32_e64 s2, v10, v13
	v_lshlrev_b32_e32 v13, 4, v41
	s_wait_alu 0xfffe
	v_add_co_u32 v4, s3, v4, s4
	v_lshlrev_b32_e32 v12, 4, v12
	s_wait_alu 0xf1ff
	v_add_co_ci_u32_e64 v5, null, s5, v5, s3
	v_add_co_u32 v2, s4, v2, v13
	s_delay_alu instid0(VALU_DEP_3)
	v_add_co_u32 v4, s3, v4, v12
	v_lshlrev_b64_e32 v[12:13], 4, v[0:1]
	v_lshlrev_b64_e32 v[14:15], 4, v[6:7]
	v_ashrrev_i32_e32 v9, 31, v8
	v_ashrrev_i32_e32 v11, 31, v10
	s_wait_alu 0xf1ff
	v_add_co_ci_u32_e64 v45, null, 0, v3, s4
	v_or_b32_e32 v46, 8, v2
	v_add_co_ci_u32_e64 v47, null, 0, v5, s3
	v_or_b32_e32 v48, 8, v4
	s_mov_b32 s29, 0
	s_and_b32 s20, s39, s40
	s_and_b32 s21, vcc_lo, s2
	s_lshl_b64 s[2:3], s[30:31], 7
	s_lshl_b64 s[4:5], s[34:35], 4
	s_branch .LBB404_7
.LBB404_6:                              ;   in Loop: Header=BB404_7 Depth=1
	s_wait_alu 0xfffe
	s_or_b32 exec_lo, exec_lo, s16
	s_add_co_i32 s28, s28, 0x10000
	s_delay_alu instid0(SALU_CYCLE_1)
	s_cmp_lt_u32 s28, s27
	s_cbranch_scc0 .LBB404_35
.LBB404_7:                              ; =>This Loop Header: Depth=1
                                        ;     Child Loop BB404_10 Depth 2
	s_lshl_b64 s[16:17], s[28:29], 3
	v_mov_b32_e32 v34, 0
	s_wait_alu 0xfffe
	s_add_nc_u64 s[30:31], s[24:25], s[16:17]
	v_mov_b32_e32 v30, 0
	global_load_b64 v[16:17], v44, s[30:31]
	v_mov_b32_e32 v26, 0
	v_dual_mov_b32 v24, 0 :: v_dual_mov_b32 v35, 0
	v_dual_mov_b32 v36, 0 :: v_dual_mov_b32 v31, 0
	;; [unrolled: 1-line block ×5, first 2 shown]
	v_mov_b32_e32 v33, 0
	v_mov_b32_e32 v29, 0
	;; [unrolled: 1-line block ×3, first 2 shown]
	s_and_not1_b32 vcc_lo, exec_lo, s20
	s_wait_alu 0xfffe
	s_cbranch_vccnz .LBB404_14
; %bb.8:                                ;   in Loop: Header=BB404_7 Depth=1
	s_add_nc_u64 s[30:31], s[6:7], s[16:17]
	s_add_nc_u64 s[16:17], s[18:19], s[16:17]
	s_clause 0x1
	global_load_b64 v[0:1], v44, s[30:31]
	global_load_b64 v[2:3], v44, s[16:17]
	v_mov_b32_e32 v22, 0
	v_mov_b32_e32 v28, 0
	;; [unrolled: 1-line block ×3, first 2 shown]
	v_dual_mov_b32 v36, 0 :: v_dual_mov_b32 v23, 0
	v_dual_mov_b32 v24, 0 :: v_dual_mov_b32 v29, 0
	;; [unrolled: 1-line block ×5, first 2 shown]
	v_mov_b32_e32 v27, 0
	v_mov_b32_e32 v31, 0
	;; [unrolled: 1-line block ×3, first 2 shown]
	s_mov_b32 s16, 0
	s_wait_loadcnt 0x1
	v_add_co_u32 v18, vcc_lo, v0, v46
	s_wait_alu 0xfffd
	v_add_co_ci_u32_e64 v19, null, v1, v45, vcc_lo
	s_wait_loadcnt 0x0
	v_add_co_u32 v20, vcc_lo, v2, v48
	s_wait_alu 0xfffd
	v_add_co_ci_u32_e64 v21, null, v3, v47, vcc_lo
	s_branch .LBB404_10
.LBB404_9:                              ;   in Loop: Header=BB404_10 Depth=2
	s_wait_alu 0xfffe
	s_or_b32 exec_lo, exec_lo, s17
	ds_store_b128 v43, v[4:7]
	s_wait_dscnt 0x0
	s_barrier_signal -1
	s_barrier_wait -1
	global_inv scope:SCOPE_SE
	ds_load_b128 v[0:3], v40
	ds_load_b128 v[4:7], v39
	ds_load_b128 v[49:52], v39 offset:256
	ds_load_b128 v[53:56], v40 offset:2048
	;; [unrolled: 1-line block ×10, first 2 shown]
	v_add_co_u32 v18, vcc_lo, 0x80, v18
	s_wait_alu 0xfffd
	v_add_co_ci_u32_e64 v19, null, 0, v19, vcc_lo
	v_add_co_u32 v20, vcc_lo, v20, s2
	s_wait_alu 0xfffd
	v_add_co_ci_u32_e64 v21, null, s3, v21, vcc_lo
	s_add_co_i32 s16, s16, 8
	s_wait_alu 0xfffe
	s_cmp_lt_i32 s16, s23
	s_wait_dscnt 0xa
	v_mul_f64_e32 v[89:90], v[2:3], v[6:7]
	v_mul_f64_e32 v[91:92], v[0:1], v[6:7]
	s_wait_dscnt 0x9
	v_mul_f64_e32 v[93:94], v[2:3], v[51:52]
	v_mul_f64_e32 v[95:96], v[0:1], v[51:52]
	;; [unrolled: 3-line block ×3, first 2 shown]
	v_mul_f64_e32 v[99:100], v[55:56], v[51:52]
	v_mul_f64_e32 v[51:52], v[53:54], v[51:52]
	s_wait_dscnt 0x5
	v_mul_f64_e32 v[101:102], v[59:60], v[67:68]
	v_mul_f64_e32 v[103:104], v[57:58], v[67:68]
	s_wait_dscnt 0x4
	v_mul_f64_e32 v[105:106], v[59:60], v[71:72]
	v_mul_f64_e32 v[107:108], v[57:58], v[71:72]
	;; [unrolled: 1-line block ×6, first 2 shown]
	s_wait_dscnt 0x2
	v_mul_f64_e32 v[117:118], v[75:76], v[79:80]
	v_mul_f64_e32 v[119:120], v[73:74], v[79:80]
	s_wait_dscnt 0x1
	v_mul_f64_e32 v[121:122], v[75:76], v[83:84]
	v_mul_f64_e32 v[123:124], v[73:74], v[83:84]
	;; [unrolled: 3-line block ×3, first 2 shown]
	v_mul_f64_e32 v[127:128], v[87:88], v[83:84]
	v_mul_f64_e32 v[83:84], v[85:86], v[83:84]
	v_fma_f64 v[89:90], v[0:1], v[4:5], -v[89:90]
	v_fma_f64 v[91:92], v[2:3], v[4:5], v[91:92]
	v_fma_f64 v[93:94], v[0:1], v[49:50], -v[93:94]
	v_fma_f64 v[95:96], v[2:3], v[49:50], v[95:96]
	;; [unrolled: 2-line block ×8, first 2 shown]
	ds_load_b128 v[0:3], v40 offset:48
	ds_load_b128 v[4:7], v40 offset:2096
	;; [unrolled: 1-line block ×4, first 2 shown]
	v_fma_f64 v[117:118], v[73:74], v[77:78], -v[117:118]
	v_fma_f64 v[119:120], v[75:76], v[77:78], v[119:120]
	v_fma_f64 v[73:74], v[73:74], v[81:82], -v[121:122]
	v_fma_f64 v[75:76], v[75:76], v[81:82], v[123:124]
	;; [unrolled: 2-line block ×4, first 2 shown]
	s_wait_dscnt 0x1
	v_mul_f64_e32 v[107:108], v[0:1], v[51:52]
	s_wait_dscnt 0x0
	v_mul_f64_e32 v[109:110], v[2:3], v[55:56]
	v_mul_f64_e32 v[111:112], v[0:1], v[55:56]
	v_add_f64_e32 v[67:68], v[34:35], v[89:90]
	v_add_f64_e32 v[69:70], v[91:92], v[36:37]
	;; [unrolled: 1-line block ×8, first 2 shown]
	v_mul_f64_e32 v[99:100], v[2:3], v[51:52]
	v_mul_f64_e32 v[113:114], v[6:7], v[51:52]
	;; [unrolled: 1-line block ×5, first 2 shown]
	ds_load_b128 v[22:25], v40 offset:64
	ds_load_b128 v[26:29], v39 offset:2048
	ds_load_b128 v[30:33], v39 offset:2304
	ds_load_b128 v[34:37], v40 offset:2112
	s_wait_dscnt 0x0
	v_mul_f64_e32 v[123:124], v[36:37], v[28:29]
	v_mul_f64_e32 v[125:126], v[36:37], v[32:33]
	v_fma_f64 v[107:108], v[2:3], v[49:50], v[107:108]
	v_fma_f64 v[109:110], v[0:1], v[53:54], -v[109:110]
	v_fma_f64 v[111:112], v[2:3], v[53:54], v[111:112]
	v_add_f64_e32 v[83:84], v[67:68], v[101:102]
	v_add_f64_e32 v[85:86], v[103:104], v[69:70]
	;; [unrolled: 1-line block ×8, first 2 shown]
	v_mul_f64_e32 v[97:98], v[24:25], v[28:29]
	v_mul_f64_e32 v[101:102], v[22:23], v[28:29]
	;; [unrolled: 1-line block ×6, first 2 shown]
	v_fma_f64 v[99:100], v[0:1], v[49:50], -v[99:100]
	v_fma_f64 v[113:114], v[4:5], v[49:50], -v[113:114]
	v_fma_f64 v[127:128], v[6:7], v[49:50], v[51:52]
	v_fma_f64 v[115:116], v[4:5], v[53:54], -v[115:116]
	v_fma_f64 v[53:54], v[6:7], v[53:54], v[129:130]
	ds_load_b128 v[55:58], v40 offset:80
	ds_load_b128 v[59:62], v40 offset:2128
	;; [unrolled: 1-line block ×4, first 2 shown]
	v_fma_f64 v[123:124], v[34:35], v[26:27], -v[123:124]
	v_fma_f64 v[125:126], v[34:35], v[30:31], -v[125:126]
	v_add_f64_e32 v[83:84], v[83:84], v[117:118]
	v_add_f64_e32 v[85:86], v[119:120], v[85:86]
	;; [unrolled: 1-line block ×8, first 2 shown]
	s_wait_dscnt 0x1
	v_mul_f64_e32 v[89:90], v[57:58], v[65:66]
	v_mul_f64_e32 v[91:92], v[55:56], v[65:66]
	s_wait_dscnt 0x0
	v_mul_f64_e32 v[93:94], v[57:58], v[69:70]
	v_mul_f64_e32 v[95:96], v[55:56], v[69:70]
	v_mul_f64_e32 v[119:120], v[61:62], v[65:66]
	v_mul_f64_e32 v[65:66], v[59:60], v[65:66]
	v_mul_f64_e32 v[121:122], v[61:62], v[69:70]
	v_mul_f64_e32 v[69:70], v[59:60], v[69:70]
	v_fma_f64 v[97:98], v[22:23], v[26:27], -v[97:98]
	v_fma_f64 v[101:102], v[24:25], v[26:27], v[101:102]
	v_fma_f64 v[103:104], v[22:23], v[30:31], -v[103:104]
	v_fma_f64 v[105:106], v[24:25], v[30:31], v[105:106]
	v_fma_f64 v[129:130], v[36:37], v[26:27], v[28:29]
	;; [unrolled: 1-line block ×3, first 2 shown]
	ds_load_b128 v[0:3], v40 offset:96
	ds_load_b128 v[4:7], v39 offset:3072
	;; [unrolled: 1-line block ×8, first 2 shown]
	s_wait_loadcnt_dscnt 0x0
	s_barrier_signal -1
	s_barrier_wait -1
	global_inv scope:SCOPE_SE
	v_add_f64_e32 v[83:84], v[83:84], v[99:100]
	v_add_f64_e32 v[85:86], v[107:108], v[85:86]
	;; [unrolled: 1-line block ×8, first 2 shown]
	v_mul_f64_e32 v[81:82], v[2:3], v[6:7]
	v_mul_f64_e32 v[107:108], v[0:1], v[6:7]
	;; [unrolled: 1-line block ×8, first 2 shown]
	v_fma_f64 v[89:90], v[55:56], v[63:64], -v[89:90]
	v_fma_f64 v[91:92], v[57:58], v[63:64], v[91:92]
	v_fma_f64 v[55:56], v[55:56], v[67:68], -v[93:94]
	v_fma_f64 v[57:58], v[57:58], v[67:68], v[95:96]
	;; [unrolled: 2-line block ×4, first 2 shown]
	v_mul_f64_e32 v[95:96], v[24:25], v[36:37]
	v_add_f64_e32 v[65:66], v[83:84], v[97:98]
	v_add_f64_e32 v[67:68], v[101:102], v[85:86]
	;; [unrolled: 1-line block ×8, first 2 shown]
	v_mul_f64_e32 v[85:86], v[24:25], v[32:33]
	v_mul_f64_e32 v[87:88], v[22:23], v[32:33]
	;; [unrolled: 1-line block ×7, first 2 shown]
	v_fma_f64 v[81:82], v[0:1], v[4:5], -v[81:82]
	v_fma_f64 v[103:104], v[2:3], v[4:5], v[107:108]
	v_fma_f64 v[0:1], v[0:1], v[49:50], -v[109:110]
	v_fma_f64 v[2:3], v[2:3], v[49:50], v[111:112]
	;; [unrolled: 2-line block ×4, first 2 shown]
	v_add_f64_e32 v[51:52], v[65:66], v[89:90]
	v_add_f64_e32 v[65:66], v[91:92], v[67:68]
	;; [unrolled: 1-line block ×8, first 2 shown]
	v_fma_f64 v[61:62], v[22:23], v[30:31], -v[85:86]
	v_fma_f64 v[69:70], v[24:25], v[30:31], v[87:88]
	v_fma_f64 v[22:23], v[22:23], v[34:35], -v[95:96]
	v_fma_f64 v[24:25], v[24:25], v[34:35], v[97:98]
	;; [unrolled: 2-line block ×4, first 2 shown]
	v_add_f64_e32 v[26:27], v[51:52], v[81:82]
	v_add_f64_e32 v[28:29], v[103:104], v[65:66]
	;; [unrolled: 1-line block ×16, first 2 shown]
	s_cbranch_scc0 .LBB404_14
.LBB404_10:                             ;   Parent Loop BB404_7 Depth=1
                                        ; =>  This Inner Loop Header: Depth=2
	s_wait_alu 0xfffe
	v_add_nc_u32_e32 v0, s16, v41
	v_mov_b32_e32 v2, 0
	v_mov_b32_e32 v3, 0
	s_delay_alu instid0(VALU_DEP_3)
	v_cmp_gt_i32_e32 vcc_lo, s23, v0
	v_mov_b32_e32 v0, 0
	v_mov_b32_e32 v1, 0
	s_and_b32 s26, s0, vcc_lo
	s_wait_alu 0xfffe
	s_and_saveexec_b32 s17, s26
	s_cbranch_execz .LBB404_12
; %bb.11:                               ;   in Loop: Header=BB404_10 Depth=2
	flat_load_b128 v[0:3], v[18:19] offset:-8
	s_wait_loadcnt_dscnt 0x0
	v_xor_b32_e32 v3, 0x80000000, v3
.LBB404_12:                             ;   in Loop: Header=BB404_10 Depth=2
	s_wait_alu 0xfffe
	s_or_b32 exec_lo, exec_lo, s17
	v_add_nc_u32_e32 v4, s16, v38
	v_mov_b32_e32 v6, 0
	v_mov_b32_e32 v7, 0
	ds_store_b128 v42, v[0:3]
	v_cmp_gt_i32_e32 vcc_lo, s23, v4
	v_mov_b32_e32 v4, 0
	v_mov_b32_e32 v5, 0
	s_and_b32 s26, vcc_lo, s1
	s_wait_alu 0xfffe
	s_and_saveexec_b32 s17, s26
	s_cbranch_execz .LBB404_9
; %bb.13:                               ;   in Loop: Header=BB404_10 Depth=2
	flat_load_b128 v[4:7], v[20:21] offset:-8
	s_wait_loadcnt_dscnt 0x0
	v_xor_b32_e32 v7, 0x80000000, v7
	s_branch .LBB404_9
.LBB404_14:                             ;   in Loop: Header=BB404_7 Depth=1
	s_wait_loadcnt 0x0
	s_wait_alu 0xfffe
	v_add_co_u32 v4, vcc_lo, v16, s4
	s_wait_alu 0xfffd
	v_add_co_ci_u32_e64 v5, null, s5, v17, vcc_lo
	s_delay_alu instid0(VALU_DEP_2) | instskip(SKIP_1) | instid1(VALU_DEP_2)
	v_add_co_u32 v6, vcc_lo, v4, v12
	s_wait_alu 0xfffd
	v_add_co_ci_u32_e64 v7, null, v5, v13, vcc_lo
	s_and_saveexec_b32 s16, s36
	s_cbranch_execz .LBB404_19
; %bb.15:                               ;   in Loop: Header=BB404_7 Depth=1
	v_mul_f64_e32 v[0:1], s[14:15], v[36:37]
	v_mul_f64_e32 v[2:3], s[12:13], v[36:37]
	s_and_b32 vcc_lo, exec_lo, s33
	s_mov_b32 s17, -1
	s_delay_alu instid0(VALU_DEP_2) | instskip(NEXT) | instid1(VALU_DEP_2)
	v_fma_f64 v[0:1], s[12:13], v[34:35], -v[0:1]
	v_fma_f64 v[2:3], s[14:15], v[34:35], v[2:3]
	s_wait_alu 0xfffe
	s_cbranch_vccz .LBB404_17
; %bb.16:                               ;   in Loop: Header=BB404_7 Depth=1
	v_lshlrev_b64_e32 v[16:17], 4, v[8:9]
	s_mov_b32 s17, 0
	s_delay_alu instid0(VALU_DEP_1) | instskip(SKIP_1) | instid1(VALU_DEP_2)
	v_add_co_u32 v20, vcc_lo, v6, v16
	s_wait_alu 0xfffd
	v_add_co_ci_u32_e64 v21, null, v7, v17, vcc_lo
	flat_load_b128 v[16:19], v[20:21]
	s_wait_loadcnt_dscnt 0x0
	v_mul_f64_e32 v[34:35], s[10:11], v[18:19]
	v_mul_f64_e32 v[18:19], s[8:9], v[18:19]
	s_delay_alu instid0(VALU_DEP_2) | instskip(NEXT) | instid1(VALU_DEP_2)
	v_fma_f64 v[34:35], s[8:9], v[16:17], -v[34:35]
	v_fma_f64 v[18:19], s[10:11], v[16:17], v[18:19]
	s_delay_alu instid0(VALU_DEP_2) | instskip(NEXT) | instid1(VALU_DEP_2)
	v_add_f64_e32 v[16:17], v[0:1], v[34:35]
	v_add_f64_e32 v[18:19], v[2:3], v[18:19]
	flat_store_b128 v[20:21], v[16:19]
.LBB404_17:                             ;   in Loop: Header=BB404_7 Depth=1
	s_wait_alu 0xfffe
	s_and_not1_b32 vcc_lo, exec_lo, s17
	s_wait_alu 0xfffe
	s_cbranch_vccnz .LBB404_19
; %bb.18:                               ;   in Loop: Header=BB404_7 Depth=1
	v_lshlrev_b64_e32 v[16:17], 4, v[8:9]
	s_delay_alu instid0(VALU_DEP_1) | instskip(SKIP_1) | instid1(VALU_DEP_2)
	v_add_co_u32 v16, vcc_lo, v6, v16
	s_wait_alu 0xfffd
	v_add_co_ci_u32_e64 v17, null, v7, v17, vcc_lo
	flat_store_b128 v[16:17], v[0:3]
.LBB404_19:                             ;   in Loop: Header=BB404_7 Depth=1
	s_wait_alu 0xfffe
	s_or_b32 exec_lo, exec_lo, s16
	s_and_saveexec_b32 s16, s37
	s_cbranch_execz .LBB404_24
; %bb.20:                               ;   in Loop: Header=BB404_7 Depth=1
	v_mul_f64_e32 v[0:1], s[14:15], v[32:33]
	v_mul_f64_e32 v[2:3], s[12:13], v[32:33]
	s_and_not1_b32 vcc_lo, exec_lo, s33
	s_mov_b32 s17, -1
	s_delay_alu instid0(VALU_DEP_2) | instskip(NEXT) | instid1(VALU_DEP_2)
	v_fma_f64 v[0:1], s[12:13], v[30:31], -v[0:1]
	v_fma_f64 v[2:3], s[14:15], v[30:31], v[2:3]
	s_wait_alu 0xfffe
	s_cbranch_vccnz .LBB404_22
; %bb.21:                               ;   in Loop: Header=BB404_7 Depth=1
	v_lshlrev_b64_e32 v[16:17], 4, v[10:11]
	s_mov_b32 s17, 0
	s_delay_alu instid0(VALU_DEP_1) | instskip(SKIP_1) | instid1(VALU_DEP_2)
	v_add_co_u32 v20, vcc_lo, v6, v16
	s_wait_alu 0xfffd
	v_add_co_ci_u32_e64 v21, null, v7, v17, vcc_lo
	flat_load_b128 v[16:19], v[20:21]
	s_wait_loadcnt_dscnt 0x0
	v_mul_f64_e32 v[30:31], s[10:11], v[18:19]
	v_mul_f64_e32 v[18:19], s[8:9], v[18:19]
	s_delay_alu instid0(VALU_DEP_2) | instskip(NEXT) | instid1(VALU_DEP_2)
	v_fma_f64 v[30:31], s[8:9], v[16:17], -v[30:31]
	v_fma_f64 v[18:19], s[10:11], v[16:17], v[18:19]
	s_delay_alu instid0(VALU_DEP_2) | instskip(NEXT) | instid1(VALU_DEP_2)
	v_add_f64_e32 v[16:17], v[0:1], v[30:31]
	v_add_f64_e32 v[18:19], v[2:3], v[18:19]
	flat_store_b128 v[20:21], v[16:19]
.LBB404_22:                             ;   in Loop: Header=BB404_7 Depth=1
	s_wait_alu 0xfffe
	s_and_not1_b32 vcc_lo, exec_lo, s17
	s_wait_alu 0xfffe
	s_cbranch_vccnz .LBB404_24
; %bb.23:                               ;   in Loop: Header=BB404_7 Depth=1
	v_lshlrev_b64_e32 v[16:17], 4, v[10:11]
	s_delay_alu instid0(VALU_DEP_1) | instskip(SKIP_1) | instid1(VALU_DEP_2)
	v_add_co_u32 v6, vcc_lo, v6, v16
	s_wait_alu 0xfffd
	v_add_co_ci_u32_e64 v7, null, v7, v17, vcc_lo
	flat_store_b128 v[6:7], v[0:3]
.LBB404_24:                             ;   in Loop: Header=BB404_7 Depth=1
	s_wait_alu 0xfffe
	s_or_b32 exec_lo, exec_lo, s16
	v_add_co_u32 v6, vcc_lo, v4, v14
	s_wait_alu 0xfffd
	v_add_co_ci_u32_e64 v7, null, v5, v15, vcc_lo
	s_and_saveexec_b32 s16, s22
	s_cbranch_execz .LBB404_29
; %bb.25:                               ;   in Loop: Header=BB404_7 Depth=1
	v_mul_f64_e32 v[0:1], s[14:15], v[28:29]
	v_mul_f64_e32 v[2:3], s[12:13], v[28:29]
	v_lshlrev_b64_e32 v[4:5], 4, v[8:9]
	s_and_not1_b32 vcc_lo, exec_lo, s33
	s_mov_b32 s17, -1
	s_delay_alu instid0(VALU_DEP_3) | instskip(NEXT) | instid1(VALU_DEP_3)
	v_fma_f64 v[0:1], s[12:13], v[26:27], -v[0:1]
	v_fma_f64 v[2:3], s[14:15], v[26:27], v[2:3]
	s_wait_alu 0xfffe
	s_cbranch_vccnz .LBB404_27
; %bb.26:                               ;   in Loop: Header=BB404_7 Depth=1
	v_add_co_u32 v20, vcc_lo, v6, v4
	s_wait_alu 0xfffd
	v_add_co_ci_u32_e64 v21, null, v7, v5, vcc_lo
	s_mov_b32 s17, 0
	flat_load_b128 v[16:19], v[20:21]
	s_wait_loadcnt_dscnt 0x0
	v_mul_f64_e32 v[26:27], s[10:11], v[18:19]
	v_mul_f64_e32 v[18:19], s[8:9], v[18:19]
	s_delay_alu instid0(VALU_DEP_2) | instskip(NEXT) | instid1(VALU_DEP_2)
	v_fma_f64 v[26:27], s[8:9], v[16:17], -v[26:27]
	v_fma_f64 v[18:19], s[10:11], v[16:17], v[18:19]
	s_delay_alu instid0(VALU_DEP_2) | instskip(NEXT) | instid1(VALU_DEP_2)
	v_add_f64_e32 v[16:17], v[0:1], v[26:27]
	v_add_f64_e32 v[18:19], v[2:3], v[18:19]
	flat_store_b128 v[20:21], v[16:19]
.LBB404_27:                             ;   in Loop: Header=BB404_7 Depth=1
	s_wait_alu 0xfffe
	s_and_not1_b32 vcc_lo, exec_lo, s17
	s_wait_alu 0xfffe
	s_cbranch_vccnz .LBB404_29
; %bb.28:                               ;   in Loop: Header=BB404_7 Depth=1
	v_add_co_u32 v4, vcc_lo, v6, v4
	s_wait_alu 0xfffd
	v_add_co_ci_u32_e64 v5, null, v7, v5, vcc_lo
	flat_store_b128 v[4:5], v[0:3]
.LBB404_29:                             ;   in Loop: Header=BB404_7 Depth=1
	s_wait_alu 0xfffe
	s_or_b32 exec_lo, exec_lo, s16
	s_and_saveexec_b32 s16, s21
	s_cbranch_execz .LBB404_6
; %bb.30:                               ;   in Loop: Header=BB404_7 Depth=1
	v_mul_f64_e32 v[0:1], s[14:15], v[22:23]
	v_mul_f64_e32 v[2:3], s[12:13], v[22:23]
	v_lshlrev_b64_e32 v[4:5], 4, v[10:11]
	s_and_not1_b32 vcc_lo, exec_lo, s33
	s_mov_b32 s17, -1
	s_delay_alu instid0(VALU_DEP_3) | instskip(NEXT) | instid1(VALU_DEP_3)
	v_fma_f64 v[0:1], s[12:13], v[24:25], -v[0:1]
	v_fma_f64 v[2:3], s[14:15], v[24:25], v[2:3]
	s_wait_alu 0xfffe
	s_cbranch_vccnz .LBB404_32
; %bb.31:                               ;   in Loop: Header=BB404_7 Depth=1
	v_add_co_u32 v20, vcc_lo, v6, v4
	s_wait_alu 0xfffd
	v_add_co_ci_u32_e64 v21, null, v7, v5, vcc_lo
	s_mov_b32 s17, 0
	flat_load_b128 v[16:19], v[20:21]
	s_wait_loadcnt_dscnt 0x0
	v_mul_f64_e32 v[22:23], s[10:11], v[18:19]
	v_mul_f64_e32 v[18:19], s[8:9], v[18:19]
	s_delay_alu instid0(VALU_DEP_2) | instskip(NEXT) | instid1(VALU_DEP_2)
	v_fma_f64 v[22:23], s[8:9], v[16:17], -v[22:23]
	v_fma_f64 v[18:19], s[10:11], v[16:17], v[18:19]
	s_delay_alu instid0(VALU_DEP_2) | instskip(NEXT) | instid1(VALU_DEP_2)
	v_add_f64_e32 v[16:17], v[0:1], v[22:23]
	v_add_f64_e32 v[18:19], v[2:3], v[18:19]
	flat_store_b128 v[20:21], v[16:19]
.LBB404_32:                             ;   in Loop: Header=BB404_7 Depth=1
	s_wait_alu 0xfffe
	s_and_not1_b32 vcc_lo, exec_lo, s17
	s_wait_alu 0xfffe
	s_cbranch_vccnz .LBB404_6
; %bb.33:                               ;   in Loop: Header=BB404_7 Depth=1
	v_add_co_u32 v4, vcc_lo, v6, v4
	s_wait_alu 0xfffd
	v_add_co_ci_u32_e64 v5, null, v7, v5, vcc_lo
	flat_store_b128 v[4:5], v[0:3]
	s_branch .LBB404_6
.LBB404_34:
.LBB404_35:
	s_nop 0
	s_sendmsg sendmsg(MSG_DEALLOC_VGPRS)
	s_endpgm
	.section	.rodata,"a",@progbits
	.p2align	6, 0x0
	.amdhsa_kernel _ZL29rocblas_internal_gemmt_kernelIiLi16ELi32ELi8ELc67ELc67ELc85ELb1ELb1E19rocblas_complex_numIdEPKS1_PKS3_PKPS1_EviT_T9_T10_S9_lSB_S9_lSA_T11_S9_li
		.amdhsa_group_segment_fixed_size 8192
		.amdhsa_private_segment_fixed_size 0
		.amdhsa_kernarg_size 100
		.amdhsa_user_sgpr_count 2
		.amdhsa_user_sgpr_dispatch_ptr 0
		.amdhsa_user_sgpr_queue_ptr 0
		.amdhsa_user_sgpr_kernarg_segment_ptr 1
		.amdhsa_user_sgpr_dispatch_id 0
		.amdhsa_user_sgpr_private_segment_size 0
		.amdhsa_wavefront_size32 1
		.amdhsa_uses_dynamic_stack 0
		.amdhsa_enable_private_segment 0
		.amdhsa_system_sgpr_workgroup_id_x 1
		.amdhsa_system_sgpr_workgroup_id_y 1
		.amdhsa_system_sgpr_workgroup_id_z 1
		.amdhsa_system_sgpr_workgroup_info 0
		.amdhsa_system_vgpr_workitem_id 1
		.amdhsa_next_free_vgpr 133
		.amdhsa_next_free_sgpr 41
		.amdhsa_reserve_vcc 1
		.amdhsa_float_round_mode_32 0
		.amdhsa_float_round_mode_16_64 0
		.amdhsa_float_denorm_mode_32 3
		.amdhsa_float_denorm_mode_16_64 3
		.amdhsa_fp16_overflow 0
		.amdhsa_workgroup_processor_mode 1
		.amdhsa_memory_ordered 1
		.amdhsa_forward_progress 1
		.amdhsa_inst_pref_size 28
		.amdhsa_round_robin_scheduling 0
		.amdhsa_exception_fp_ieee_invalid_op 0
		.amdhsa_exception_fp_denorm_src 0
		.amdhsa_exception_fp_ieee_div_zero 0
		.amdhsa_exception_fp_ieee_overflow 0
		.amdhsa_exception_fp_ieee_underflow 0
		.amdhsa_exception_fp_ieee_inexact 0
		.amdhsa_exception_int_div_zero 0
	.end_amdhsa_kernel
	.section	.text._ZL29rocblas_internal_gemmt_kernelIiLi16ELi32ELi8ELc67ELc67ELc85ELb1ELb1E19rocblas_complex_numIdEPKS1_PKS3_PKPS1_EviT_T9_T10_S9_lSB_S9_lSA_T11_S9_li,"axG",@progbits,_ZL29rocblas_internal_gemmt_kernelIiLi16ELi32ELi8ELc67ELc67ELc85ELb1ELb1E19rocblas_complex_numIdEPKS1_PKS3_PKPS1_EviT_T9_T10_S9_lSB_S9_lSA_T11_S9_li,comdat
.Lfunc_end404:
	.size	_ZL29rocblas_internal_gemmt_kernelIiLi16ELi32ELi8ELc67ELc67ELc85ELb1ELb1E19rocblas_complex_numIdEPKS1_PKS3_PKPS1_EviT_T9_T10_S9_lSB_S9_lSA_T11_S9_li, .Lfunc_end404-_ZL29rocblas_internal_gemmt_kernelIiLi16ELi32ELi8ELc67ELc67ELc85ELb1ELb1E19rocblas_complex_numIdEPKS1_PKS3_PKPS1_EviT_T9_T10_S9_lSB_S9_lSA_T11_S9_li
                                        ; -- End function
	.set _ZL29rocblas_internal_gemmt_kernelIiLi16ELi32ELi8ELc67ELc67ELc85ELb1ELb1E19rocblas_complex_numIdEPKS1_PKS3_PKPS1_EviT_T9_T10_S9_lSB_S9_lSA_T11_S9_li.num_vgpr, 133
	.set _ZL29rocblas_internal_gemmt_kernelIiLi16ELi32ELi8ELc67ELc67ELc85ELb1ELb1E19rocblas_complex_numIdEPKS1_PKS3_PKPS1_EviT_T9_T10_S9_lSB_S9_lSA_T11_S9_li.num_agpr, 0
	.set _ZL29rocblas_internal_gemmt_kernelIiLi16ELi32ELi8ELc67ELc67ELc85ELb1ELb1E19rocblas_complex_numIdEPKS1_PKS3_PKPS1_EviT_T9_T10_S9_lSB_S9_lSA_T11_S9_li.numbered_sgpr, 41
	.set _ZL29rocblas_internal_gemmt_kernelIiLi16ELi32ELi8ELc67ELc67ELc85ELb1ELb1E19rocblas_complex_numIdEPKS1_PKS3_PKPS1_EviT_T9_T10_S9_lSB_S9_lSA_T11_S9_li.num_named_barrier, 0
	.set _ZL29rocblas_internal_gemmt_kernelIiLi16ELi32ELi8ELc67ELc67ELc85ELb1ELb1E19rocblas_complex_numIdEPKS1_PKS3_PKPS1_EviT_T9_T10_S9_lSB_S9_lSA_T11_S9_li.private_seg_size, 0
	.set _ZL29rocblas_internal_gemmt_kernelIiLi16ELi32ELi8ELc67ELc67ELc85ELb1ELb1E19rocblas_complex_numIdEPKS1_PKS3_PKPS1_EviT_T9_T10_S9_lSB_S9_lSA_T11_S9_li.uses_vcc, 1
	.set _ZL29rocblas_internal_gemmt_kernelIiLi16ELi32ELi8ELc67ELc67ELc85ELb1ELb1E19rocblas_complex_numIdEPKS1_PKS3_PKPS1_EviT_T9_T10_S9_lSB_S9_lSA_T11_S9_li.uses_flat_scratch, 0
	.set _ZL29rocblas_internal_gemmt_kernelIiLi16ELi32ELi8ELc67ELc67ELc85ELb1ELb1E19rocblas_complex_numIdEPKS1_PKS3_PKPS1_EviT_T9_T10_S9_lSB_S9_lSA_T11_S9_li.has_dyn_sized_stack, 0
	.set _ZL29rocblas_internal_gemmt_kernelIiLi16ELi32ELi8ELc67ELc67ELc85ELb1ELb1E19rocblas_complex_numIdEPKS1_PKS3_PKPS1_EviT_T9_T10_S9_lSB_S9_lSA_T11_S9_li.has_recursion, 0
	.set _ZL29rocblas_internal_gemmt_kernelIiLi16ELi32ELi8ELc67ELc67ELc85ELb1ELb1E19rocblas_complex_numIdEPKS1_PKS3_PKPS1_EviT_T9_T10_S9_lSB_S9_lSA_T11_S9_li.has_indirect_call, 0
	.section	.AMDGPU.csdata,"",@progbits
; Kernel info:
; codeLenInByte = 3464
; TotalNumSgprs: 43
; NumVgprs: 133
; ScratchSize: 0
; MemoryBound: 1
; FloatMode: 240
; IeeeMode: 1
; LDSByteSize: 8192 bytes/workgroup (compile time only)
; SGPRBlocks: 0
; VGPRBlocks: 16
; NumSGPRsForWavesPerEU: 43
; NumVGPRsForWavesPerEU: 133
; Occupancy: 10
; WaveLimiterHint : 1
; COMPUTE_PGM_RSRC2:SCRATCH_EN: 0
; COMPUTE_PGM_RSRC2:USER_SGPR: 2
; COMPUTE_PGM_RSRC2:TRAP_HANDLER: 0
; COMPUTE_PGM_RSRC2:TGID_X_EN: 1
; COMPUTE_PGM_RSRC2:TGID_Y_EN: 1
; COMPUTE_PGM_RSRC2:TGID_Z_EN: 1
; COMPUTE_PGM_RSRC2:TIDIG_COMP_CNT: 1
	.section	.text._ZL29rocblas_internal_gemmt_kernelIiLi16ELi32ELi8ELc78ELc78ELc76ELb0ELb0E19rocblas_complex_numIdEPKS1_PKS3_PKPS1_EviT_T9_T10_S9_lSB_S9_lSA_T11_S9_li,"axG",@progbits,_ZL29rocblas_internal_gemmt_kernelIiLi16ELi32ELi8ELc78ELc78ELc76ELb0ELb0E19rocblas_complex_numIdEPKS1_PKS3_PKPS1_EviT_T9_T10_S9_lSB_S9_lSA_T11_S9_li,comdat
	.globl	_ZL29rocblas_internal_gemmt_kernelIiLi16ELi32ELi8ELc78ELc78ELc76ELb0ELb0E19rocblas_complex_numIdEPKS1_PKS3_PKPS1_EviT_T9_T10_S9_lSB_S9_lSA_T11_S9_li ; -- Begin function _ZL29rocblas_internal_gemmt_kernelIiLi16ELi32ELi8ELc78ELc78ELc76ELb0ELb0E19rocblas_complex_numIdEPKS1_PKS3_PKPS1_EviT_T9_T10_S9_lSB_S9_lSA_T11_S9_li
	.p2align	8
	.type	_ZL29rocblas_internal_gemmt_kernelIiLi16ELi32ELi8ELc78ELc78ELc76ELb0ELb0E19rocblas_complex_numIdEPKS1_PKS3_PKPS1_EviT_T9_T10_S9_lSB_S9_lSA_T11_S9_li,@function
_ZL29rocblas_internal_gemmt_kernelIiLi16ELi32ELi8ELc78ELc78ELc76ELb0ELb0E19rocblas_complex_numIdEPKS1_PKS3_PKPS1_EviT_T9_T10_S9_lSB_S9_lSA_T11_S9_li: ; @_ZL29rocblas_internal_gemmt_kernelIiLi16ELi32ELi8ELc78ELc78ELc76ELb0ELb0E19rocblas_complex_numIdEPKS1_PKS3_PKPS1_EviT_T9_T10_S9_lSB_S9_lSA_T11_S9_li
; %bb.0:
	s_load_b128 s[20:23], s[0:1], 0x38
	s_wait_kmcnt 0x0
	s_load_b128 s[8:11], s[22:23], 0x0
	s_clause 0x1
	s_load_b128 s[4:7], s[0:1], 0x8
	s_load_b64 s[22:23], s[0:1], 0x0
	s_wait_kmcnt 0x0
	s_load_b128 s[12:15], s[4:5], 0x0
	v_cmp_eq_f64_e64 s2, s[8:9], 1.0
	v_cmp_eq_f64_e64 s3, s[10:11], 0
	s_and_b32 s2, s2, s3
	s_delay_alu instid0(SALU_CYCLE_1)
	s_and_not1_b32 vcc_lo, exec_lo, s2
	s_mov_b32 s2, -1
	s_cbranch_vccnz .LBB405_3
; %bb.1:
	s_cmp_lg_u32 s23, 0
	s_cbranch_scc0 .LBB405_38
; %bb.2:
	s_wait_kmcnt 0x0
	v_cmp_neq_f64_e64 s2, s[12:13], 0
	v_cmp_neq_f64_e64 s4, s[14:15], 0
	s_or_b32 s2, s2, s4
.LBB405_3:
	s_delay_alu instid0(SALU_CYCLE_1)
	s_and_b32 vcc_lo, exec_lo, s2
	s_cbranch_vccz .LBB405_39
; %bb.4:
	s_load_b32 s27, s[0:1], 0x60
	s_lshr_b32 s28, ttmp7, 16
	s_wait_kmcnt 0x0
	s_cmp_ge_u32 s28, s27
	s_cbranch_scc1 .LBB405_39
; %bb.5:
	v_cmp_neq_f64_e64 s4, s[12:13], 0
	v_cmp_neq_f64_e64 s5, s[14:15], 0
	;; [unrolled: 1-line block ×3, first 2 shown]
	v_and_b32_e32 v1, 0x3ff, v0
	v_bfe_u32 v2, v0, 10, 10
	s_clause 0x4
	s_load_b32 s36, s[0:1], 0x18
	s_load_b128 s[16:19], s[0:1], 0x20
	s_load_b32 s35, s[0:1], 0x30
	s_load_b96 s[24:26], s[0:1], 0x48
	s_load_b64 s[30:31], s[0:1], 0x58
	v_and_b32_e32 v35, 7, v0
	s_lshl_b32 s0, ttmp7, 5
	s_lshl_b32 s1, ttmp9, 5
	v_lshl_add_u32 v0, v2, 4, v1
	s_and_b32 s2, s0, 0x1fffe0
	v_lshlrev_b32_e32 v4, 4, v35
	v_lshlrev_b32_e32 v36, 4, v1
	v_add_nc_u32_e32 v5, s1, v1
	v_add_nc_u32_e32 v1, s2, v2
	v_lshl_add_u32 v37, v2, 7, 0x1000
	v_and_b32_e32 v2, 31, v0
	v_lshrrev_b32_e32 v3, 3, v0
	v_lshrrev_b32_e32 v38, 5, v0
	v_cmp_le_i32_e32 vcc_lo, v1, v5
	v_cmp_gt_i32_e64 s0, s22, v5
	v_add_nc_u32_e32 v7, 16, v5
	v_or_b32_e32 v0, s1, v2
	v_lshlrev_b32_e32 v2, 4, v2
	v_add_nc_u32_e32 v13, s2, v3
	v_lshl_or_b32 v3, v3, 7, v4
	s_wait_kmcnt 0x0
	s_ashr_i32 s37, s36, 31
	v_mad_co_i64_i32 v[9:10], null, v38, s36, 0
	v_lshl_or_b32 v39, v38, 9, v2
	v_add_nc_u32_e32 v40, 0x1000, v3
	v_mad_co_i64_i32 v[2:3], null, v1, s26, 0
	v_cmp_gt_i32_e64 s2, s22, v13
	v_mad_co_i64_i32 v[13:14], null, s35, v13, 0
	v_lshlrev_b64_e32 v[9:10], 4, v[9:10]
	v_cmp_gt_i32_e64 s1, s22, v0
	v_ashrrev_i32_e32 v6, 31, v5
	s_or_b32 s38, s4, s5
	s_cmp_gt_i32 s23, 0
	v_ashrrev_i32_e32 v8, 31, v7
	s_cselect_b32 s39, -1, 0
	s_xor_b32 s3, s3, -1
	s_and_b32 s33, vcc_lo, s0
	v_cmp_le_i32_e32 vcc_lo, v1, v7
	v_add_nc_u32_e32 v1, 16, v1
	s_wait_alu 0xfffe
	s_or_b32 s34, s34, s3
	v_cmp_gt_i32_e64 s3, s22, v7
	s_mov_b32 s29, 0
	v_cmp_le_i32_e64 s4, v1, v5
	v_mad_co_i64_i32 v[11:12], null, v1, s26, 0
	s_and_b32 s22, vcc_lo, s3
	v_cmp_le_i32_e32 vcc_lo, v1, v7
	v_ashrrev_i32_e32 v1, 31, v0
	s_and_b32 s26, s4, s0
	s_lshl_b64 s[4:5], s[16:17], 4
	s_lshl_b64 s[16:17], s[20:21], 4
	s_and_b32 s35, vcc_lo, s3
	v_lshlrev_b64_e32 v[0:1], 4, v[0:1]
	v_add_co_u32 v15, vcc_lo, v9, s4
	s_delay_alu instid0(VALU_DEP_1) | instskip(SKIP_1) | instid1(VALU_DEP_3)
	v_add_co_ci_u32_e64 v16, null, s5, v10, vcc_lo
	v_lshlrev_b64_e32 v[9:10], 4, v[13:14]
	v_add_co_u32 v41, vcc_lo, v15, v0
	s_wait_alu 0xfffd
	s_delay_alu instid0(VALU_DEP_3) | instskip(SKIP_1) | instid1(VALU_DEP_4)
	v_add_co_ci_u32_e64 v42, null, v16, v1, vcc_lo
	v_lshlrev_b64_e32 v[11:12], 4, v[11:12]
	v_add_co_u32 v1, vcc_lo, v9, s16
	s_wait_alu 0xfffd
	v_add_co_ci_u32_e64 v9, null, s17, v10, vcc_lo
	v_mov_b32_e32 v0, 0
	s_delay_alu instid0(VALU_DEP_3) | instskip(SKIP_1) | instid1(VALU_DEP_3)
	v_add_co_u32 v43, vcc_lo, v1, v4
	s_wait_alu 0xfffd
	v_add_co_ci_u32_e64 v44, null, 0, v9, vcc_lo
	v_lshlrev_b64_e32 v[9:10], 4, v[2:3]
	s_lshl_b64 s[4:5], s[36:37], 7
	s_and_b32 s16, s38, s39
	s_xor_b32 s17, s1, -1
	s_xor_b32 s20, s2, -1
	s_lshl_b64 s[0:1], s[30:31], 4
	s_branch .LBB405_7
.LBB405_6:                              ;   in Loop: Header=BB405_7 Depth=1
	s_wait_alu 0xfffe
	s_or_b32 exec_lo, exec_lo, s2
	s_add_co_i32 s28, s28, 0x10000
	s_delay_alu instid0(SALU_CYCLE_1)
	s_cmp_lt_u32 s28, s27
	s_cbranch_scc0 .LBB405_39
.LBB405_7:                              ; =>This Loop Header: Depth=1
                                        ;     Child Loop BB405_10 Depth 2
	s_lshl_b64 s[2:3], s[28:29], 3
	v_mov_b32_e32 v31, 0
	s_wait_alu 0xfffe
	s_add_nc_u64 s[30:31], s[24:25], s[2:3]
	v_mov_b32_e32 v27, 0
	global_load_b64 v[13:14], v0, s[30:31]
	v_mov_b32_e32 v23, 0
	v_dual_mov_b32 v21, 0 :: v_dual_mov_b32 v32, 0
	v_dual_mov_b32 v33, 0 :: v_dual_mov_b32 v28, 0
	;; [unrolled: 1-line block ×5, first 2 shown]
	v_mov_b32_e32 v30, 0
	v_mov_b32_e32 v26, 0
	;; [unrolled: 1-line block ×3, first 2 shown]
	s_and_not1_b32 vcc_lo, exec_lo, s16
	s_wait_alu 0xfffe
	s_cbranch_vccnz .LBB405_18
; %bb.8:                                ;   in Loop: Header=BB405_7 Depth=1
	s_add_nc_u64 s[30:31], s[6:7], s[2:3]
	s_add_nc_u64 s[2:3], s[18:19], s[2:3]
	s_clause 0x1
	global_load_b64 v[1:2], v0, s[30:31]
	global_load_b64 v[3:4], v0, s[2:3]
	v_mov_b32_e32 v19, 0
	v_mov_b32_e32 v25, 0
	;; [unrolled: 1-line block ×3, first 2 shown]
	v_dual_mov_b32 v33, 0 :: v_dual_mov_b32 v20, 0
	v_dual_mov_b32 v21, 0 :: v_dual_mov_b32 v26, 0
	;; [unrolled: 1-line block ×5, first 2 shown]
	v_mov_b32_e32 v24, 0
	v_mov_b32_e32 v28, 0
	;; [unrolled: 1-line block ×3, first 2 shown]
	s_mov_b32 s2, 0
	s_wait_loadcnt 0x1
	v_add_co_u32 v15, vcc_lo, v1, v41
	s_wait_alu 0xfffd
	v_add_co_ci_u32_e64 v16, null, v2, v42, vcc_lo
	s_wait_loadcnt 0x0
	v_add_co_u32 v17, vcc_lo, v3, v43
	s_wait_alu 0xfffd
	v_add_co_ci_u32_e64 v18, null, v4, v44, vcc_lo
	s_branch .LBB405_10
.LBB405_9:                              ;   in Loop: Header=BB405_10 Depth=2
	s_wait_alu 0xfffe
	s_or_b32 exec_lo, exec_lo, s3
	s_wait_dscnt 0x0
	s_barrier_signal -1
	s_barrier_wait -1
	global_inv scope:SCOPE_SE
	ds_load_b128 v[1:4], v37
	ds_load_b128 v[45:48], v36
	ds_load_b128 v[49:52], v36 offset:256
	ds_load_b128 v[53:56], v37 offset:2048
	;; [unrolled: 1-line block ×10, first 2 shown]
	v_add_co_u32 v15, vcc_lo, v15, s4
	s_wait_alu 0xfffd
	v_add_co_ci_u32_e64 v16, null, s5, v16, vcc_lo
	v_add_co_u32 v17, vcc_lo, 0x80, v17
	s_wait_alu 0xfffd
	v_add_co_ci_u32_e64 v18, null, 0, v18, vcc_lo
	s_add_co_i32 s2, s2, 8
	s_wait_alu 0xfffe
	s_cmp_lt_i32 s2, s23
	s_wait_dscnt 0xa
	v_mul_f64_e32 v[89:90], v[3:4], v[47:48]
	v_mul_f64_e32 v[91:92], v[1:2], v[47:48]
	s_wait_dscnt 0x9
	v_mul_f64_e32 v[93:94], v[3:4], v[51:52]
	v_mul_f64_e32 v[95:96], v[1:2], v[51:52]
	;; [unrolled: 3-line block ×3, first 2 shown]
	v_mul_f64_e32 v[99:100], v[55:56], v[51:52]
	v_mul_f64_e32 v[51:52], v[53:54], v[51:52]
	s_wait_dscnt 0x5
	v_mul_f64_e32 v[101:102], v[59:60], v[67:68]
	v_mul_f64_e32 v[103:104], v[57:58], v[67:68]
	s_wait_dscnt 0x4
	v_mul_f64_e32 v[105:106], v[59:60], v[71:72]
	v_mul_f64_e32 v[107:108], v[57:58], v[71:72]
	v_mul_f64_e32 v[109:110], v[63:64], v[67:68]
	v_mul_f64_e32 v[67:68], v[61:62], v[67:68]
	v_mul_f64_e32 v[111:112], v[63:64], v[71:72]
	v_mul_f64_e32 v[71:72], v[61:62], v[71:72]
	s_wait_dscnt 0x2
	v_mul_f64_e32 v[117:118], v[75:76], v[79:80]
	v_mul_f64_e32 v[119:120], v[73:74], v[79:80]
	s_wait_dscnt 0x1
	v_mul_f64_e32 v[121:122], v[75:76], v[83:84]
	v_mul_f64_e32 v[123:124], v[73:74], v[83:84]
	;; [unrolled: 3-line block ×3, first 2 shown]
	v_mul_f64_e32 v[127:128], v[87:88], v[83:84]
	v_mul_f64_e32 v[83:84], v[85:86], v[83:84]
	v_fma_f64 v[89:90], v[1:2], v[45:46], -v[89:90]
	v_fma_f64 v[91:92], v[3:4], v[45:46], v[91:92]
	v_fma_f64 v[93:94], v[1:2], v[49:50], -v[93:94]
	v_fma_f64 v[95:96], v[3:4], v[49:50], v[95:96]
	v_fma_f64 v[97:98], v[53:54], v[45:46], -v[97:98]
	v_fma_f64 v[113:114], v[55:56], v[45:46], v[47:48]
	v_fma_f64 v[99:100], v[53:54], v[49:50], -v[99:100]
	v_fma_f64 v[115:116], v[55:56], v[49:50], v[51:52]
	v_fma_f64 v[101:102], v[57:58], v[65:66], -v[101:102]
	v_fma_f64 v[103:104], v[59:60], v[65:66], v[103:104]
	v_fma_f64 v[57:58], v[57:58], v[69:70], -v[105:106]
	v_fma_f64 v[59:60], v[59:60], v[69:70], v[107:108]
	v_fma_f64 v[105:106], v[61:62], v[65:66], -v[109:110]
	v_fma_f64 v[65:66], v[63:64], v[65:66], v[67:68]
	v_fma_f64 v[61:62], v[61:62], v[69:70], -v[111:112]
	v_fma_f64 v[63:64], v[63:64], v[69:70], v[71:72]
	ds_load_b128 v[1:4], v37 offset:48
	ds_load_b128 v[45:48], v37 offset:2096
	;; [unrolled: 1-line block ×4, first 2 shown]
	v_fma_f64 v[117:118], v[73:74], v[77:78], -v[117:118]
	v_fma_f64 v[119:120], v[75:76], v[77:78], v[119:120]
	v_fma_f64 v[73:74], v[73:74], v[81:82], -v[121:122]
	v_fma_f64 v[75:76], v[75:76], v[81:82], v[123:124]
	;; [unrolled: 2-line block ×4, first 2 shown]
	s_wait_dscnt 0x1
	v_mul_f64_e32 v[107:108], v[1:2], v[51:52]
	s_wait_dscnt 0x0
	v_mul_f64_e32 v[109:110], v[3:4], v[55:56]
	v_mul_f64_e32 v[111:112], v[1:2], v[55:56]
	v_add_f64_e32 v[67:68], v[31:32], v[89:90]
	v_add_f64_e32 v[69:70], v[91:92], v[33:34]
	;; [unrolled: 1-line block ×8, first 2 shown]
	v_mul_f64_e32 v[99:100], v[3:4], v[51:52]
	v_mul_f64_e32 v[113:114], v[47:48], v[51:52]
	;; [unrolled: 1-line block ×5, first 2 shown]
	ds_load_b128 v[19:22], v37 offset:64
	ds_load_b128 v[23:26], v36 offset:2048
	;; [unrolled: 1-line block ×4, first 2 shown]
	s_wait_dscnt 0x0
	v_mul_f64_e32 v[123:124], v[33:34], v[25:26]
	v_mul_f64_e32 v[125:126], v[33:34], v[29:30]
	v_fma_f64 v[107:108], v[3:4], v[49:50], v[107:108]
	v_fma_f64 v[109:110], v[1:2], v[53:54], -v[109:110]
	v_fma_f64 v[111:112], v[3:4], v[53:54], v[111:112]
	v_add_f64_e32 v[83:84], v[67:68], v[101:102]
	v_add_f64_e32 v[85:86], v[103:104], v[69:70]
	;; [unrolled: 1-line block ×8, first 2 shown]
	v_mul_f64_e32 v[97:98], v[21:22], v[25:26]
	v_mul_f64_e32 v[101:102], v[19:20], v[25:26]
	;; [unrolled: 1-line block ×6, first 2 shown]
	v_fma_f64 v[99:100], v[1:2], v[49:50], -v[99:100]
	v_fma_f64 v[113:114], v[45:46], v[49:50], -v[113:114]
	v_fma_f64 v[127:128], v[47:48], v[49:50], v[51:52]
	v_fma_f64 v[115:116], v[45:46], v[53:54], -v[115:116]
	v_fma_f64 v[53:54], v[47:48], v[53:54], v[129:130]
	ds_load_b128 v[55:58], v37 offset:80
	ds_load_b128 v[59:62], v37 offset:2128
	;; [unrolled: 1-line block ×4, first 2 shown]
	v_fma_f64 v[123:124], v[31:32], v[23:24], -v[123:124]
	v_fma_f64 v[125:126], v[31:32], v[27:28], -v[125:126]
	v_add_f64_e32 v[83:84], v[83:84], v[117:118]
	v_add_f64_e32 v[85:86], v[119:120], v[85:86]
	;; [unrolled: 1-line block ×8, first 2 shown]
	s_wait_dscnt 0x1
	v_mul_f64_e32 v[89:90], v[57:58], v[65:66]
	v_mul_f64_e32 v[91:92], v[55:56], v[65:66]
	s_wait_dscnt 0x0
	v_mul_f64_e32 v[93:94], v[57:58], v[69:70]
	v_mul_f64_e32 v[95:96], v[55:56], v[69:70]
	;; [unrolled: 1-line block ×6, first 2 shown]
	v_fma_f64 v[97:98], v[19:20], v[23:24], -v[97:98]
	v_fma_f64 v[101:102], v[21:22], v[23:24], v[101:102]
	v_fma_f64 v[103:104], v[19:20], v[27:28], -v[103:104]
	v_fma_f64 v[105:106], v[21:22], v[27:28], v[105:106]
	v_fma_f64 v[129:130], v[33:34], v[23:24], v[25:26]
	v_fma_f64 v[131:132], v[33:34], v[27:28], v[29:30]
	ds_load_b128 v[1:4], v37 offset:96
	ds_load_b128 v[45:48], v36 offset:3072
	;; [unrolled: 1-line block ×8, first 2 shown]
	s_wait_loadcnt_dscnt 0x0
	s_barrier_signal -1
	s_barrier_wait -1
	global_inv scope:SCOPE_SE
	v_add_f64_e32 v[83:84], v[83:84], v[99:100]
	v_add_f64_e32 v[85:86], v[107:108], v[85:86]
	;; [unrolled: 1-line block ×8, first 2 shown]
	v_mul_f64_e32 v[81:82], v[3:4], v[47:48]
	v_mul_f64_e32 v[107:108], v[1:2], v[47:48]
	;; [unrolled: 1-line block ×8, first 2 shown]
	v_fma_f64 v[89:90], v[55:56], v[63:64], -v[89:90]
	v_fma_f64 v[91:92], v[57:58], v[63:64], v[91:92]
	v_fma_f64 v[55:56], v[55:56], v[67:68], -v[93:94]
	v_fma_f64 v[57:58], v[57:58], v[67:68], v[95:96]
	v_fma_f64 v[93:94], v[59:60], v[63:64], -v[119:120]
	v_fma_f64 v[63:64], v[61:62], v[63:64], v[65:66]
	v_fma_f64 v[59:60], v[59:60], v[67:68], -v[121:122]
	v_fma_f64 v[61:62], v[61:62], v[67:68], v[69:70]
	v_mul_f64_e32 v[95:96], v[21:22], v[33:34]
	v_add_f64_e32 v[65:66], v[83:84], v[97:98]
	v_add_f64_e32 v[67:68], v[101:102], v[85:86]
	;; [unrolled: 1-line block ×8, first 2 shown]
	v_mul_f64_e32 v[85:86], v[21:22], v[29:30]
	v_mul_f64_e32 v[87:88], v[19:20], v[29:30]
	;; [unrolled: 1-line block ×7, first 2 shown]
	v_fma_f64 v[81:82], v[1:2], v[45:46], -v[81:82]
	v_fma_f64 v[103:104], v[3:4], v[45:46], v[107:108]
	v_fma_f64 v[1:2], v[1:2], v[49:50], -v[109:110]
	v_fma_f64 v[3:4], v[3:4], v[49:50], v[111:112]
	;; [unrolled: 2-line block ×4, first 2 shown]
	v_add_f64_e32 v[51:52], v[65:66], v[89:90]
	v_add_f64_e32 v[65:66], v[91:92], v[67:68]
	;; [unrolled: 1-line block ×8, first 2 shown]
	v_fma_f64 v[61:62], v[19:20], v[27:28], -v[85:86]
	v_fma_f64 v[69:70], v[21:22], v[27:28], v[87:88]
	v_fma_f64 v[19:20], v[19:20], v[31:32], -v[95:96]
	v_fma_f64 v[21:22], v[21:22], v[31:32], v[97:98]
	;; [unrolled: 2-line block ×4, first 2 shown]
	v_add_f64_e32 v[23:24], v[51:52], v[81:82]
	v_add_f64_e32 v[25:26], v[103:104], v[65:66]
	;; [unrolled: 1-line block ×16, first 2 shown]
	s_cbranch_scc0 .LBB405_18
.LBB405_10:                             ;   Parent Loop BB405_7 Depth=1
                                        ; =>  This Inner Loop Header: Depth=2
	s_wait_alu 0xfffe
	v_add_nc_u32_e32 v1, s2, v38
	s_delay_alu instid0(VALU_DEP_1) | instskip(SKIP_3) | instid1(SALU_CYCLE_1)
	v_cmp_le_i32_e32 vcc_lo, s23, v1
	s_or_b32 s3, s17, vcc_lo
	s_wait_alu 0xfffe
	s_and_saveexec_b32 s21, s3
	s_xor_b32 s3, exec_lo, s21
; %bb.11:                               ;   in Loop: Header=BB405_10 Depth=2
	v_dual_mov_b32 v1, v0 :: v_dual_mov_b32 v2, v0
	v_mov_b32_e32 v3, v0
	ds_store_b128 v39, v[0:3]
; %bb.12:                               ;   in Loop: Header=BB405_10 Depth=2
	s_wait_alu 0xfffe
	s_and_not1_saveexec_b32 s3, s3
	s_cbranch_execz .LBB405_14
; %bb.13:                               ;   in Loop: Header=BB405_10 Depth=2
	flat_load_b128 v[1:4], v[15:16]
	s_wait_loadcnt_dscnt 0x0
	ds_store_2addr_b64 v39, v[1:2], v[3:4] offset1:1
.LBB405_14:                             ;   in Loop: Header=BB405_10 Depth=2
	s_wait_alu 0xfffe
	s_or_b32 exec_lo, exec_lo, s3
	v_add_nc_u32_e32 v1, s2, v35
	s_delay_alu instid0(VALU_DEP_1) | instskip(SKIP_3) | instid1(SALU_CYCLE_1)
	v_cmp_le_i32_e32 vcc_lo, s23, v1
	s_or_b32 s3, vcc_lo, s20
	s_wait_alu 0xfffe
	s_and_saveexec_b32 s21, s3
	s_xor_b32 s3, exec_lo, s21
; %bb.15:                               ;   in Loop: Header=BB405_10 Depth=2
	v_dual_mov_b32 v1, v0 :: v_dual_mov_b32 v2, v0
	v_mov_b32_e32 v3, v0
	ds_store_b128 v40, v[0:3]
; %bb.16:                               ;   in Loop: Header=BB405_10 Depth=2
	s_wait_alu 0xfffe
	s_and_not1_saveexec_b32 s3, s3
	s_cbranch_execz .LBB405_9
; %bb.17:                               ;   in Loop: Header=BB405_10 Depth=2
	flat_load_b128 v[1:4], v[17:18]
	s_wait_loadcnt_dscnt 0x0
	ds_store_2addr_b64 v40, v[1:2], v[3:4] offset1:1
	s_branch .LBB405_9
.LBB405_18:                             ;   in Loop: Header=BB405_7 Depth=1
	s_wait_loadcnt 0x0
	v_add_co_u32 v13, vcc_lo, v13, s0
	s_wait_alu 0xfffd
	v_add_co_ci_u32_e64 v14, null, s1, v14, vcc_lo
	s_delay_alu instid0(VALU_DEP_2) | instskip(SKIP_1) | instid1(VALU_DEP_2)
	v_add_co_u32 v15, vcc_lo, v13, v9
	s_wait_alu 0xfffd
	v_add_co_ci_u32_e64 v16, null, v14, v10, vcc_lo
	s_and_saveexec_b32 s2, s33
	s_cbranch_execz .LBB405_23
; %bb.19:                               ;   in Loop: Header=BB405_7 Depth=1
	v_mul_f64_e32 v[1:2], s[14:15], v[33:34]
	v_mul_f64_e32 v[3:4], s[12:13], v[33:34]
	s_and_b32 vcc_lo, exec_lo, s34
	s_mov_b32 s3, -1
	s_delay_alu instid0(VALU_DEP_2) | instskip(NEXT) | instid1(VALU_DEP_2)
	v_fma_f64 v[1:2], s[12:13], v[31:32], -v[1:2]
	v_fma_f64 v[3:4], s[14:15], v[31:32], v[3:4]
	s_wait_alu 0xfffe
	s_cbranch_vccz .LBB405_21
; %bb.20:                               ;   in Loop: Header=BB405_7 Depth=1
	v_lshlrev_b64_e32 v[17:18], 4, v[5:6]
	s_mov_b32 s3, 0
	s_delay_alu instid0(VALU_DEP_1) | instskip(SKIP_1) | instid1(VALU_DEP_2)
	v_add_co_u32 v17, vcc_lo, v15, v17
	s_wait_alu 0xfffd
	v_add_co_ci_u32_e64 v18, null, v16, v18, vcc_lo
	flat_load_b128 v[31:34], v[17:18]
	s_wait_loadcnt_dscnt 0x0
	v_mul_f64_e32 v[45:46], s[10:11], v[33:34]
	v_mul_f64_e32 v[33:34], s[8:9], v[33:34]
	s_delay_alu instid0(VALU_DEP_2) | instskip(NEXT) | instid1(VALU_DEP_2)
	v_fma_f64 v[45:46], s[8:9], v[31:32], -v[45:46]
	v_fma_f64 v[33:34], s[10:11], v[31:32], v[33:34]
	s_delay_alu instid0(VALU_DEP_2) | instskip(NEXT) | instid1(VALU_DEP_2)
	v_add_f64_e32 v[31:32], v[1:2], v[45:46]
	v_add_f64_e32 v[33:34], v[3:4], v[33:34]
	flat_store_b128 v[17:18], v[31:34]
.LBB405_21:                             ;   in Loop: Header=BB405_7 Depth=1
	s_wait_alu 0xfffe
	s_and_not1_b32 vcc_lo, exec_lo, s3
	s_wait_alu 0xfffe
	s_cbranch_vccnz .LBB405_23
; %bb.22:                               ;   in Loop: Header=BB405_7 Depth=1
	v_lshlrev_b64_e32 v[17:18], 4, v[5:6]
	s_delay_alu instid0(VALU_DEP_1) | instskip(SKIP_1) | instid1(VALU_DEP_2)
	v_add_co_u32 v17, vcc_lo, v15, v17
	s_wait_alu 0xfffd
	v_add_co_ci_u32_e64 v18, null, v16, v18, vcc_lo
	flat_store_b128 v[17:18], v[1:4]
.LBB405_23:                             ;   in Loop: Header=BB405_7 Depth=1
	s_wait_alu 0xfffe
	s_or_b32 exec_lo, exec_lo, s2
	s_and_saveexec_b32 s2, s22
	s_cbranch_execz .LBB405_28
; %bb.24:                               ;   in Loop: Header=BB405_7 Depth=1
	v_mul_f64_e32 v[1:2], s[14:15], v[29:30]
	v_mul_f64_e32 v[3:4], s[12:13], v[29:30]
	s_and_not1_b32 vcc_lo, exec_lo, s34
	s_mov_b32 s3, -1
	s_delay_alu instid0(VALU_DEP_2) | instskip(NEXT) | instid1(VALU_DEP_2)
	v_fma_f64 v[1:2], s[12:13], v[27:28], -v[1:2]
	v_fma_f64 v[3:4], s[14:15], v[27:28], v[3:4]
	s_wait_alu 0xfffe
	s_cbranch_vccnz .LBB405_26
; %bb.25:                               ;   in Loop: Header=BB405_7 Depth=1
	v_lshlrev_b64_e32 v[17:18], 4, v[7:8]
	s_mov_b32 s3, 0
	s_delay_alu instid0(VALU_DEP_1) | instskip(SKIP_1) | instid1(VALU_DEP_2)
	v_add_co_u32 v17, vcc_lo, v15, v17
	s_wait_alu 0xfffd
	v_add_co_ci_u32_e64 v18, null, v16, v18, vcc_lo
	flat_load_b128 v[27:30], v[17:18]
	s_wait_loadcnt_dscnt 0x0
	v_mul_f64_e32 v[31:32], s[10:11], v[29:30]
	v_mul_f64_e32 v[29:30], s[8:9], v[29:30]
	s_delay_alu instid0(VALU_DEP_2) | instskip(NEXT) | instid1(VALU_DEP_2)
	v_fma_f64 v[31:32], s[8:9], v[27:28], -v[31:32]
	v_fma_f64 v[29:30], s[10:11], v[27:28], v[29:30]
	s_delay_alu instid0(VALU_DEP_2) | instskip(NEXT) | instid1(VALU_DEP_2)
	v_add_f64_e32 v[27:28], v[1:2], v[31:32]
	v_add_f64_e32 v[29:30], v[3:4], v[29:30]
	flat_store_b128 v[17:18], v[27:30]
.LBB405_26:                             ;   in Loop: Header=BB405_7 Depth=1
	s_wait_alu 0xfffe
	s_and_not1_b32 vcc_lo, exec_lo, s3
	s_wait_alu 0xfffe
	s_cbranch_vccnz .LBB405_28
; %bb.27:                               ;   in Loop: Header=BB405_7 Depth=1
	v_lshlrev_b64_e32 v[17:18], 4, v[7:8]
	s_delay_alu instid0(VALU_DEP_1) | instskip(SKIP_1) | instid1(VALU_DEP_2)
	v_add_co_u32 v15, vcc_lo, v15, v17
	s_wait_alu 0xfffd
	v_add_co_ci_u32_e64 v16, null, v16, v18, vcc_lo
	flat_store_b128 v[15:16], v[1:4]
.LBB405_28:                             ;   in Loop: Header=BB405_7 Depth=1
	s_wait_alu 0xfffe
	s_or_b32 exec_lo, exec_lo, s2
	v_add_co_u32 v15, vcc_lo, v13, v11
	s_wait_alu 0xfffd
	v_add_co_ci_u32_e64 v16, null, v14, v12, vcc_lo
	s_and_saveexec_b32 s2, s26
	s_cbranch_execz .LBB405_33
; %bb.29:                               ;   in Loop: Header=BB405_7 Depth=1
	v_mul_f64_e32 v[1:2], s[14:15], v[25:26]
	v_mul_f64_e32 v[3:4], s[12:13], v[25:26]
	v_lshlrev_b64_e32 v[13:14], 4, v[5:6]
	s_and_not1_b32 vcc_lo, exec_lo, s34
	s_mov_b32 s3, -1
	s_delay_alu instid0(VALU_DEP_3) | instskip(NEXT) | instid1(VALU_DEP_3)
	v_fma_f64 v[1:2], s[12:13], v[23:24], -v[1:2]
	v_fma_f64 v[3:4], s[14:15], v[23:24], v[3:4]
	s_wait_alu 0xfffe
	s_cbranch_vccnz .LBB405_31
; %bb.30:                               ;   in Loop: Header=BB405_7 Depth=1
	v_add_co_u32 v17, vcc_lo, v15, v13
	s_wait_alu 0xfffd
	v_add_co_ci_u32_e64 v18, null, v16, v14, vcc_lo
	s_mov_b32 s3, 0
	flat_load_b128 v[23:26], v[17:18]
	s_wait_loadcnt_dscnt 0x0
	v_mul_f64_e32 v[27:28], s[10:11], v[25:26]
	v_mul_f64_e32 v[25:26], s[8:9], v[25:26]
	s_delay_alu instid0(VALU_DEP_2) | instskip(NEXT) | instid1(VALU_DEP_2)
	v_fma_f64 v[27:28], s[8:9], v[23:24], -v[27:28]
	v_fma_f64 v[25:26], s[10:11], v[23:24], v[25:26]
	s_delay_alu instid0(VALU_DEP_2) | instskip(NEXT) | instid1(VALU_DEP_2)
	v_add_f64_e32 v[23:24], v[1:2], v[27:28]
	v_add_f64_e32 v[25:26], v[3:4], v[25:26]
	flat_store_b128 v[17:18], v[23:26]
.LBB405_31:                             ;   in Loop: Header=BB405_7 Depth=1
	s_wait_alu 0xfffe
	s_and_not1_b32 vcc_lo, exec_lo, s3
	s_wait_alu 0xfffe
	s_cbranch_vccnz .LBB405_33
; %bb.32:                               ;   in Loop: Header=BB405_7 Depth=1
	v_add_co_u32 v13, vcc_lo, v15, v13
	s_wait_alu 0xfffd
	v_add_co_ci_u32_e64 v14, null, v16, v14, vcc_lo
	flat_store_b128 v[13:14], v[1:4]
.LBB405_33:                             ;   in Loop: Header=BB405_7 Depth=1
	s_wait_alu 0xfffe
	s_or_b32 exec_lo, exec_lo, s2
	s_and_saveexec_b32 s2, s35
	s_cbranch_execz .LBB405_6
; %bb.34:                               ;   in Loop: Header=BB405_7 Depth=1
	v_mul_f64_e32 v[1:2], s[14:15], v[19:20]
	v_mul_f64_e32 v[3:4], s[12:13], v[19:20]
	v_lshlrev_b64_e32 v[13:14], 4, v[7:8]
	s_and_not1_b32 vcc_lo, exec_lo, s34
	s_mov_b32 s3, -1
	s_delay_alu instid0(VALU_DEP_3) | instskip(NEXT) | instid1(VALU_DEP_3)
	v_fma_f64 v[1:2], s[12:13], v[21:22], -v[1:2]
	v_fma_f64 v[3:4], s[14:15], v[21:22], v[3:4]
	s_wait_alu 0xfffe
	s_cbranch_vccnz .LBB405_36
; %bb.35:                               ;   in Loop: Header=BB405_7 Depth=1
	v_add_co_u32 v21, vcc_lo, v15, v13
	s_wait_alu 0xfffd
	v_add_co_ci_u32_e64 v22, null, v16, v14, vcc_lo
	s_mov_b32 s3, 0
	flat_load_b128 v[17:20], v[21:22]
	s_wait_loadcnt_dscnt 0x0
	v_mul_f64_e32 v[23:24], s[10:11], v[19:20]
	v_mul_f64_e32 v[19:20], s[8:9], v[19:20]
	s_delay_alu instid0(VALU_DEP_2) | instskip(NEXT) | instid1(VALU_DEP_2)
	v_fma_f64 v[23:24], s[8:9], v[17:18], -v[23:24]
	v_fma_f64 v[19:20], s[10:11], v[17:18], v[19:20]
	s_delay_alu instid0(VALU_DEP_2) | instskip(NEXT) | instid1(VALU_DEP_2)
	v_add_f64_e32 v[17:18], v[1:2], v[23:24]
	v_add_f64_e32 v[19:20], v[3:4], v[19:20]
	flat_store_b128 v[21:22], v[17:20]
.LBB405_36:                             ;   in Loop: Header=BB405_7 Depth=1
	s_wait_alu 0xfffe
	s_and_not1_b32 vcc_lo, exec_lo, s3
	s_wait_alu 0xfffe
	s_cbranch_vccnz .LBB405_6
; %bb.37:                               ;   in Loop: Header=BB405_7 Depth=1
	v_add_co_u32 v13, vcc_lo, v15, v13
	s_wait_alu 0xfffd
	v_add_co_ci_u32_e64 v14, null, v16, v14, vcc_lo
	flat_store_b128 v[13:14], v[1:4]
	s_branch .LBB405_6
.LBB405_38:
.LBB405_39:
	s_nop 0
	s_sendmsg sendmsg(MSG_DEALLOC_VGPRS)
	s_endpgm
	.section	.rodata,"a",@progbits
	.p2align	6, 0x0
	.amdhsa_kernel _ZL29rocblas_internal_gemmt_kernelIiLi16ELi32ELi8ELc78ELc78ELc76ELb0ELb0E19rocblas_complex_numIdEPKS1_PKS3_PKPS1_EviT_T9_T10_S9_lSB_S9_lSA_T11_S9_li
		.amdhsa_group_segment_fixed_size 8192
		.amdhsa_private_segment_fixed_size 0
		.amdhsa_kernarg_size 100
		.amdhsa_user_sgpr_count 2
		.amdhsa_user_sgpr_dispatch_ptr 0
		.amdhsa_user_sgpr_queue_ptr 0
		.amdhsa_user_sgpr_kernarg_segment_ptr 1
		.amdhsa_user_sgpr_dispatch_id 0
		.amdhsa_user_sgpr_private_segment_size 0
		.amdhsa_wavefront_size32 1
		.amdhsa_uses_dynamic_stack 0
		.amdhsa_enable_private_segment 0
		.amdhsa_system_sgpr_workgroup_id_x 1
		.amdhsa_system_sgpr_workgroup_id_y 1
		.amdhsa_system_sgpr_workgroup_id_z 1
		.amdhsa_system_sgpr_workgroup_info 0
		.amdhsa_system_vgpr_workitem_id 1
		.amdhsa_next_free_vgpr 133
		.amdhsa_next_free_sgpr 40
		.amdhsa_reserve_vcc 1
		.amdhsa_float_round_mode_32 0
		.amdhsa_float_round_mode_16_64 0
		.amdhsa_float_denorm_mode_32 3
		.amdhsa_float_denorm_mode_16_64 3
		.amdhsa_fp16_overflow 0
		.amdhsa_workgroup_processor_mode 1
		.amdhsa_memory_ordered 1
		.amdhsa_forward_progress 1
		.amdhsa_inst_pref_size 28
		.amdhsa_round_robin_scheduling 0
		.amdhsa_exception_fp_ieee_invalid_op 0
		.amdhsa_exception_fp_denorm_src 0
		.amdhsa_exception_fp_ieee_div_zero 0
		.amdhsa_exception_fp_ieee_overflow 0
		.amdhsa_exception_fp_ieee_underflow 0
		.amdhsa_exception_fp_ieee_inexact 0
		.amdhsa_exception_int_div_zero 0
	.end_amdhsa_kernel
	.section	.text._ZL29rocblas_internal_gemmt_kernelIiLi16ELi32ELi8ELc78ELc78ELc76ELb0ELb0E19rocblas_complex_numIdEPKS1_PKS3_PKPS1_EviT_T9_T10_S9_lSB_S9_lSA_T11_S9_li,"axG",@progbits,_ZL29rocblas_internal_gemmt_kernelIiLi16ELi32ELi8ELc78ELc78ELc76ELb0ELb0E19rocblas_complex_numIdEPKS1_PKS3_PKPS1_EviT_T9_T10_S9_lSB_S9_lSA_T11_S9_li,comdat
.Lfunc_end405:
	.size	_ZL29rocblas_internal_gemmt_kernelIiLi16ELi32ELi8ELc78ELc78ELc76ELb0ELb0E19rocblas_complex_numIdEPKS1_PKS3_PKPS1_EviT_T9_T10_S9_lSB_S9_lSA_T11_S9_li, .Lfunc_end405-_ZL29rocblas_internal_gemmt_kernelIiLi16ELi32ELi8ELc78ELc78ELc76ELb0ELb0E19rocblas_complex_numIdEPKS1_PKS3_PKPS1_EviT_T9_T10_S9_lSB_S9_lSA_T11_S9_li
                                        ; -- End function
	.set _ZL29rocblas_internal_gemmt_kernelIiLi16ELi32ELi8ELc78ELc78ELc76ELb0ELb0E19rocblas_complex_numIdEPKS1_PKS3_PKPS1_EviT_T9_T10_S9_lSB_S9_lSA_T11_S9_li.num_vgpr, 133
	.set _ZL29rocblas_internal_gemmt_kernelIiLi16ELi32ELi8ELc78ELc78ELc76ELb0ELb0E19rocblas_complex_numIdEPKS1_PKS3_PKPS1_EviT_T9_T10_S9_lSB_S9_lSA_T11_S9_li.num_agpr, 0
	.set _ZL29rocblas_internal_gemmt_kernelIiLi16ELi32ELi8ELc78ELc78ELc76ELb0ELb0E19rocblas_complex_numIdEPKS1_PKS3_PKPS1_EviT_T9_T10_S9_lSB_S9_lSA_T11_S9_li.numbered_sgpr, 40
	.set _ZL29rocblas_internal_gemmt_kernelIiLi16ELi32ELi8ELc78ELc78ELc76ELb0ELb0E19rocblas_complex_numIdEPKS1_PKS3_PKPS1_EviT_T9_T10_S9_lSB_S9_lSA_T11_S9_li.num_named_barrier, 0
	.set _ZL29rocblas_internal_gemmt_kernelIiLi16ELi32ELi8ELc78ELc78ELc76ELb0ELb0E19rocblas_complex_numIdEPKS1_PKS3_PKPS1_EviT_T9_T10_S9_lSB_S9_lSA_T11_S9_li.private_seg_size, 0
	.set _ZL29rocblas_internal_gemmt_kernelIiLi16ELi32ELi8ELc78ELc78ELc76ELb0ELb0E19rocblas_complex_numIdEPKS1_PKS3_PKPS1_EviT_T9_T10_S9_lSB_S9_lSA_T11_S9_li.uses_vcc, 1
	.set _ZL29rocblas_internal_gemmt_kernelIiLi16ELi32ELi8ELc78ELc78ELc76ELb0ELb0E19rocblas_complex_numIdEPKS1_PKS3_PKPS1_EviT_T9_T10_S9_lSB_S9_lSA_T11_S9_li.uses_flat_scratch, 0
	.set _ZL29rocblas_internal_gemmt_kernelIiLi16ELi32ELi8ELc78ELc78ELc76ELb0ELb0E19rocblas_complex_numIdEPKS1_PKS3_PKPS1_EviT_T9_T10_S9_lSB_S9_lSA_T11_S9_li.has_dyn_sized_stack, 0
	.set _ZL29rocblas_internal_gemmt_kernelIiLi16ELi32ELi8ELc78ELc78ELc76ELb0ELb0E19rocblas_complex_numIdEPKS1_PKS3_PKPS1_EviT_T9_T10_S9_lSB_S9_lSA_T11_S9_li.has_recursion, 0
	.set _ZL29rocblas_internal_gemmt_kernelIiLi16ELi32ELi8ELc78ELc78ELc76ELb0ELb0E19rocblas_complex_numIdEPKS1_PKS3_PKPS1_EviT_T9_T10_S9_lSB_S9_lSA_T11_S9_li.has_indirect_call, 0
	.section	.AMDGPU.csdata,"",@progbits
; Kernel info:
; codeLenInByte = 3476
; TotalNumSgprs: 42
; NumVgprs: 133
; ScratchSize: 0
; MemoryBound: 0
; FloatMode: 240
; IeeeMode: 1
; LDSByteSize: 8192 bytes/workgroup (compile time only)
; SGPRBlocks: 0
; VGPRBlocks: 16
; NumSGPRsForWavesPerEU: 42
; NumVGPRsForWavesPerEU: 133
; Occupancy: 10
; WaveLimiterHint : 1
; COMPUTE_PGM_RSRC2:SCRATCH_EN: 0
; COMPUTE_PGM_RSRC2:USER_SGPR: 2
; COMPUTE_PGM_RSRC2:TRAP_HANDLER: 0
; COMPUTE_PGM_RSRC2:TGID_X_EN: 1
; COMPUTE_PGM_RSRC2:TGID_Y_EN: 1
; COMPUTE_PGM_RSRC2:TGID_Z_EN: 1
; COMPUTE_PGM_RSRC2:TIDIG_COMP_CNT: 1
	.section	.text._ZL29rocblas_internal_gemmt_kernelIiLi16ELi32ELi8ELc78ELc84ELc76ELb0ELb0E19rocblas_complex_numIdEPKS1_PKS3_PKPS1_EviT_T9_T10_S9_lSB_S9_lSA_T11_S9_li,"axG",@progbits,_ZL29rocblas_internal_gemmt_kernelIiLi16ELi32ELi8ELc78ELc84ELc76ELb0ELb0E19rocblas_complex_numIdEPKS1_PKS3_PKPS1_EviT_T9_T10_S9_lSB_S9_lSA_T11_S9_li,comdat
	.globl	_ZL29rocblas_internal_gemmt_kernelIiLi16ELi32ELi8ELc78ELc84ELc76ELb0ELb0E19rocblas_complex_numIdEPKS1_PKS3_PKPS1_EviT_T9_T10_S9_lSB_S9_lSA_T11_S9_li ; -- Begin function _ZL29rocblas_internal_gemmt_kernelIiLi16ELi32ELi8ELc78ELc84ELc76ELb0ELb0E19rocblas_complex_numIdEPKS1_PKS3_PKPS1_EviT_T9_T10_S9_lSB_S9_lSA_T11_S9_li
	.p2align	8
	.type	_ZL29rocblas_internal_gemmt_kernelIiLi16ELi32ELi8ELc78ELc84ELc76ELb0ELb0E19rocblas_complex_numIdEPKS1_PKS3_PKPS1_EviT_T9_T10_S9_lSB_S9_lSA_T11_S9_li,@function
_ZL29rocblas_internal_gemmt_kernelIiLi16ELi32ELi8ELc78ELc84ELc76ELb0ELb0E19rocblas_complex_numIdEPKS1_PKS3_PKPS1_EviT_T9_T10_S9_lSB_S9_lSA_T11_S9_li: ; @_ZL29rocblas_internal_gemmt_kernelIiLi16ELi32ELi8ELc78ELc84ELc76ELb0ELb0E19rocblas_complex_numIdEPKS1_PKS3_PKPS1_EviT_T9_T10_S9_lSB_S9_lSA_T11_S9_li
; %bb.0:
	s_load_b128 s[20:23], s[0:1], 0x38
	s_wait_kmcnt 0x0
	s_load_b128 s[8:11], s[22:23], 0x0
	s_clause 0x1
	s_load_b128 s[4:7], s[0:1], 0x8
	s_load_b64 s[22:23], s[0:1], 0x0
	s_wait_kmcnt 0x0
	s_load_b128 s[12:15], s[4:5], 0x0
	v_cmp_eq_f64_e64 s2, s[8:9], 1.0
	v_cmp_eq_f64_e64 s3, s[10:11], 0
	s_and_b32 s2, s2, s3
	s_delay_alu instid0(SALU_CYCLE_1)
	s_and_not1_b32 vcc_lo, exec_lo, s2
	s_mov_b32 s2, -1
	s_cbranch_vccnz .LBB406_3
; %bb.1:
	s_cmp_lg_u32 s23, 0
	s_cbranch_scc0 .LBB406_38
; %bb.2:
	s_wait_kmcnt 0x0
	v_cmp_neq_f64_e64 s2, s[12:13], 0
	v_cmp_neq_f64_e64 s4, s[14:15], 0
	s_or_b32 s2, s2, s4
.LBB406_3:
	s_delay_alu instid0(SALU_CYCLE_1)
	s_and_b32 vcc_lo, exec_lo, s2
	s_cbranch_vccz .LBB406_39
; %bb.4:
	s_load_b32 s27, s[0:1], 0x60
	s_lshr_b32 s28, ttmp7, 16
	s_wait_kmcnt 0x0
	s_cmp_ge_u32 s28, s27
	s_cbranch_scc1 .LBB406_39
; %bb.5:
	v_cmp_neq_f64_e64 s4, s[12:13], 0
	v_cmp_neq_f64_e64 s5, s[14:15], 0
	;; [unrolled: 1-line block ×3, first 2 shown]
	s_clause 0x4
	s_load_b32 s36, s[0:1], 0x18
	s_load_b128 s[16:19], s[0:1], 0x20
	s_load_b32 s38, s[0:1], 0x30
	s_load_b96 s[24:26], s[0:1], 0x48
	s_load_b64 s[30:31], s[0:1], 0x58
	v_and_b32_e32 v1, 0x3ff, v0
	v_bfe_u32 v2, v0, 10, 10
	v_and_b32_e32 v35, 7, v0
	s_lshl_b32 s0, ttmp7, 5
	s_lshl_b32 s1, ttmp9, 5
	s_and_b32 s2, s0, 0x1fffe0
	v_lshl_add_u32 v0, v2, 4, v1
	v_lshlrev_b32_e32 v3, 4, v35
	v_lshlrev_b32_e32 v36, 4, v1
	v_add_nc_u32_e32 v5, s1, v1
	v_add_nc_u32_e32 v1, s2, v2
	v_lshl_add_u32 v37, v2, 7, 0x1000
	v_and_b32_e32 v2, 31, v0
	v_lshrrev_b32_e32 v4, 3, v0
	v_lshrrev_b32_e32 v38, 5, v0
	v_cmp_le_i32_e32 vcc_lo, v1, v5
	v_cmp_gt_i32_e64 s0, s22, v5
	v_add_nc_u32_e32 v7, 16, v5
	v_or_b32_e32 v0, s1, v2
	v_lshlrev_b32_e32 v2, 4, v2
	v_lshl_or_b32 v3, v4, 7, v3
	s_wait_kmcnt 0x0
	s_ashr_i32 s37, s36, 31
	s_ashr_i32 s39, s38, 31
	v_mad_co_i64_i32 v[9:10], null, v38, s36, 0
	v_lshl_or_b32 v39, v38, 9, v2
	v_add_nc_u32_e32 v40, 0x1000, v3
	v_mad_co_i64_i32 v[2:3], null, v1, s26, 0
	v_add_nc_u32_e32 v15, s2, v4
	v_mad_co_i64_i32 v[13:14], null, s38, v35, 0
	v_lshlrev_b64_e32 v[9:10], 4, v[9:10]
	v_cmp_gt_i32_e64 s1, s22, v0
	s_delay_alu instid0(VALU_DEP_4)
	v_cmp_gt_i32_e64 s2, s22, v15
	s_or_b32 s40, s4, s5
	s_cmp_gt_i32 s23, 0
	v_ashrrev_i32_e32 v6, 31, v5
	s_cselect_b32 s41, -1, 0
	s_xor_b32 s3, s3, -1
	s_and_b32 s34, vcc_lo, s0
	v_cmp_le_i32_e32 vcc_lo, v1, v7
	v_add_nc_u32_e32 v1, 16, v1
	s_wait_alu 0xfffe
	s_or_b32 s33, s33, s3
	v_cmp_gt_i32_e64 s3, s22, v7
	v_ashrrev_i32_e32 v8, 31, v7
	s_mov_b32 s29, 0
	v_cmp_le_i32_e64 s4, v1, v5
	v_mad_co_i64_i32 v[11:12], null, v1, s26, 0
	s_and_b32 s22, vcc_lo, s3
	v_cmp_le_i32_e32 vcc_lo, v1, v7
	v_ashrrev_i32_e32 v1, 31, v0
	s_and_b32 s26, s4, s0
	s_lshl_b64 s[4:5], s[16:17], 4
	s_lshl_b64 s[16:17], s[20:21], 4
	s_and_b32 s35, vcc_lo, s3
	v_lshlrev_b64_e32 v[0:1], 4, v[0:1]
	v_add_co_u32 v4, vcc_lo, v9, s4
	s_delay_alu instid0(VALU_DEP_1) | instskip(SKIP_1) | instid1(VALU_DEP_3)
	v_add_co_ci_u32_e64 v16, null, s5, v10, vcc_lo
	v_lshlrev_b64_e32 v[9:10], 4, v[13:14]
	v_add_co_u32 v41, vcc_lo, v4, v0
	s_wait_alu 0xfffd
	s_delay_alu instid0(VALU_DEP_3) | instskip(SKIP_1) | instid1(VALU_DEP_4)
	v_add_co_ci_u32_e64 v42, null, v16, v1, vcc_lo
	v_lshlrev_b32_e32 v1, 4, v15
	v_add_co_u32 v4, vcc_lo, v9, s16
	s_wait_alu 0xfffd
	v_add_co_ci_u32_e64 v9, null, s17, v10, vcc_lo
	v_lshlrev_b64_e32 v[11:12], 4, v[11:12]
	s_delay_alu instid0(VALU_DEP_3) | instskip(SKIP_1) | instid1(VALU_DEP_3)
	v_add_co_u32 v43, vcc_lo, v4, v1
	s_wait_alu 0xfffd
	v_add_co_ci_u32_e64 v44, null, 0, v9, vcc_lo
	v_lshlrev_b64_e32 v[9:10], 4, v[2:3]
	v_mov_b32_e32 v0, 0
	s_lshl_b64 s[4:5], s[36:37], 7
	s_lshl_b64 s[16:17], s[38:39], 7
	s_and_b32 s20, s40, s41
	s_xor_b32 s21, s1, -1
	s_xor_b32 s36, s2, -1
	s_lshl_b64 s[0:1], s[30:31], 4
	s_branch .LBB406_7
.LBB406_6:                              ;   in Loop: Header=BB406_7 Depth=1
	s_wait_alu 0xfffe
	s_or_b32 exec_lo, exec_lo, s2
	s_add_co_i32 s28, s28, 0x10000
	s_delay_alu instid0(SALU_CYCLE_1)
	s_cmp_lt_u32 s28, s27
	s_cbranch_scc0 .LBB406_39
.LBB406_7:                              ; =>This Loop Header: Depth=1
                                        ;     Child Loop BB406_10 Depth 2
	s_lshl_b64 s[2:3], s[28:29], 3
	v_mov_b32_e32 v31, 0
	s_wait_alu 0xfffe
	s_add_nc_u64 s[30:31], s[24:25], s[2:3]
	v_mov_b32_e32 v27, 0
	global_load_b64 v[13:14], v0, s[30:31]
	v_mov_b32_e32 v23, 0
	v_dual_mov_b32 v21, 0 :: v_dual_mov_b32 v32, 0
	v_dual_mov_b32 v33, 0 :: v_dual_mov_b32 v28, 0
	;; [unrolled: 1-line block ×5, first 2 shown]
	v_mov_b32_e32 v30, 0
	v_mov_b32_e32 v26, 0
	v_mov_b32_e32 v20, 0
	s_and_not1_b32 vcc_lo, exec_lo, s20
	s_wait_alu 0xfffe
	s_cbranch_vccnz .LBB406_18
; %bb.8:                                ;   in Loop: Header=BB406_7 Depth=1
	s_add_nc_u64 s[30:31], s[6:7], s[2:3]
	s_add_nc_u64 s[2:3], s[18:19], s[2:3]
	s_clause 0x1
	global_load_b64 v[1:2], v0, s[30:31]
	global_load_b64 v[3:4], v0, s[2:3]
	v_mov_b32_e32 v19, 0
	v_mov_b32_e32 v25, 0
	;; [unrolled: 1-line block ×3, first 2 shown]
	v_dual_mov_b32 v33, 0 :: v_dual_mov_b32 v20, 0
	v_dual_mov_b32 v21, 0 :: v_dual_mov_b32 v26, 0
	;; [unrolled: 1-line block ×5, first 2 shown]
	v_mov_b32_e32 v24, 0
	v_mov_b32_e32 v28, 0
	;; [unrolled: 1-line block ×3, first 2 shown]
	s_mov_b32 s2, 0
	s_wait_loadcnt 0x1
	v_add_co_u32 v15, vcc_lo, v1, v41
	s_wait_alu 0xfffd
	v_add_co_ci_u32_e64 v16, null, v2, v42, vcc_lo
	s_wait_loadcnt 0x0
	v_add_co_u32 v17, vcc_lo, v3, v43
	s_wait_alu 0xfffd
	v_add_co_ci_u32_e64 v18, null, v4, v44, vcc_lo
	s_branch .LBB406_10
.LBB406_9:                              ;   in Loop: Header=BB406_10 Depth=2
	s_wait_alu 0xfffe
	s_or_b32 exec_lo, exec_lo, s3
	s_wait_dscnt 0x0
	s_barrier_signal -1
	s_barrier_wait -1
	global_inv scope:SCOPE_SE
	ds_load_b128 v[1:4], v37
	ds_load_b128 v[45:48], v36
	ds_load_b128 v[49:52], v36 offset:256
	ds_load_b128 v[53:56], v37 offset:2048
	;; [unrolled: 1-line block ×10, first 2 shown]
	v_add_co_u32 v15, vcc_lo, v15, s4
	s_wait_alu 0xfffd
	v_add_co_ci_u32_e64 v16, null, s5, v16, vcc_lo
	v_add_co_u32 v17, vcc_lo, v17, s16
	s_wait_alu 0xfffd
	v_add_co_ci_u32_e64 v18, null, s17, v18, vcc_lo
	s_add_co_i32 s2, s2, 8
	s_wait_alu 0xfffe
	s_cmp_lt_i32 s2, s23
	s_wait_dscnt 0xa
	v_mul_f64_e32 v[89:90], v[3:4], v[47:48]
	v_mul_f64_e32 v[91:92], v[1:2], v[47:48]
	s_wait_dscnt 0x9
	v_mul_f64_e32 v[93:94], v[3:4], v[51:52]
	v_mul_f64_e32 v[95:96], v[1:2], v[51:52]
	;; [unrolled: 3-line block ×3, first 2 shown]
	v_mul_f64_e32 v[99:100], v[55:56], v[51:52]
	v_mul_f64_e32 v[51:52], v[53:54], v[51:52]
	s_wait_dscnt 0x5
	v_mul_f64_e32 v[101:102], v[59:60], v[67:68]
	v_mul_f64_e32 v[103:104], v[57:58], v[67:68]
	s_wait_dscnt 0x4
	v_mul_f64_e32 v[105:106], v[59:60], v[71:72]
	v_mul_f64_e32 v[107:108], v[57:58], v[71:72]
	;; [unrolled: 1-line block ×6, first 2 shown]
	s_wait_dscnt 0x2
	v_mul_f64_e32 v[117:118], v[75:76], v[79:80]
	v_mul_f64_e32 v[119:120], v[73:74], v[79:80]
	s_wait_dscnt 0x1
	v_mul_f64_e32 v[121:122], v[75:76], v[83:84]
	v_mul_f64_e32 v[123:124], v[73:74], v[83:84]
	;; [unrolled: 3-line block ×3, first 2 shown]
	v_mul_f64_e32 v[127:128], v[87:88], v[83:84]
	v_mul_f64_e32 v[83:84], v[85:86], v[83:84]
	v_fma_f64 v[89:90], v[1:2], v[45:46], -v[89:90]
	v_fma_f64 v[91:92], v[3:4], v[45:46], v[91:92]
	v_fma_f64 v[93:94], v[1:2], v[49:50], -v[93:94]
	v_fma_f64 v[95:96], v[3:4], v[49:50], v[95:96]
	;; [unrolled: 2-line block ×8, first 2 shown]
	ds_load_b128 v[1:4], v37 offset:48
	ds_load_b128 v[45:48], v37 offset:2096
	;; [unrolled: 1-line block ×4, first 2 shown]
	v_fma_f64 v[117:118], v[73:74], v[77:78], -v[117:118]
	v_fma_f64 v[119:120], v[75:76], v[77:78], v[119:120]
	v_fma_f64 v[73:74], v[73:74], v[81:82], -v[121:122]
	v_fma_f64 v[75:76], v[75:76], v[81:82], v[123:124]
	;; [unrolled: 2-line block ×4, first 2 shown]
	s_wait_dscnt 0x1
	v_mul_f64_e32 v[107:108], v[1:2], v[51:52]
	s_wait_dscnt 0x0
	v_mul_f64_e32 v[109:110], v[3:4], v[55:56]
	v_mul_f64_e32 v[111:112], v[1:2], v[55:56]
	v_add_f64_e32 v[67:68], v[31:32], v[89:90]
	v_add_f64_e32 v[69:70], v[91:92], v[33:34]
	;; [unrolled: 1-line block ×8, first 2 shown]
	v_mul_f64_e32 v[99:100], v[3:4], v[51:52]
	v_mul_f64_e32 v[113:114], v[47:48], v[51:52]
	;; [unrolled: 1-line block ×5, first 2 shown]
	ds_load_b128 v[19:22], v37 offset:64
	ds_load_b128 v[23:26], v36 offset:2048
	;; [unrolled: 1-line block ×4, first 2 shown]
	s_wait_dscnt 0x0
	v_mul_f64_e32 v[123:124], v[33:34], v[25:26]
	v_mul_f64_e32 v[125:126], v[33:34], v[29:30]
	v_fma_f64 v[107:108], v[3:4], v[49:50], v[107:108]
	v_fma_f64 v[109:110], v[1:2], v[53:54], -v[109:110]
	v_fma_f64 v[111:112], v[3:4], v[53:54], v[111:112]
	v_add_f64_e32 v[83:84], v[67:68], v[101:102]
	v_add_f64_e32 v[85:86], v[103:104], v[69:70]
	;; [unrolled: 1-line block ×8, first 2 shown]
	v_mul_f64_e32 v[97:98], v[21:22], v[25:26]
	v_mul_f64_e32 v[101:102], v[19:20], v[25:26]
	v_mul_f64_e32 v[103:104], v[21:22], v[29:30]
	v_mul_f64_e32 v[105:106], v[19:20], v[29:30]
	v_mul_f64_e32 v[25:26], v[31:32], v[25:26]
	v_mul_f64_e32 v[29:30], v[31:32], v[29:30]
	v_fma_f64 v[99:100], v[1:2], v[49:50], -v[99:100]
	v_fma_f64 v[113:114], v[45:46], v[49:50], -v[113:114]
	v_fma_f64 v[127:128], v[47:48], v[49:50], v[51:52]
	v_fma_f64 v[115:116], v[45:46], v[53:54], -v[115:116]
	v_fma_f64 v[53:54], v[47:48], v[53:54], v[129:130]
	ds_load_b128 v[55:58], v37 offset:80
	ds_load_b128 v[59:62], v37 offset:2128
	;; [unrolled: 1-line block ×4, first 2 shown]
	v_fma_f64 v[123:124], v[31:32], v[23:24], -v[123:124]
	v_fma_f64 v[125:126], v[31:32], v[27:28], -v[125:126]
	v_add_f64_e32 v[83:84], v[83:84], v[117:118]
	v_add_f64_e32 v[85:86], v[119:120], v[85:86]
	;; [unrolled: 1-line block ×8, first 2 shown]
	s_wait_dscnt 0x1
	v_mul_f64_e32 v[89:90], v[57:58], v[65:66]
	v_mul_f64_e32 v[91:92], v[55:56], v[65:66]
	s_wait_dscnt 0x0
	v_mul_f64_e32 v[93:94], v[57:58], v[69:70]
	v_mul_f64_e32 v[95:96], v[55:56], v[69:70]
	;; [unrolled: 1-line block ×6, first 2 shown]
	v_fma_f64 v[97:98], v[19:20], v[23:24], -v[97:98]
	v_fma_f64 v[101:102], v[21:22], v[23:24], v[101:102]
	v_fma_f64 v[103:104], v[19:20], v[27:28], -v[103:104]
	v_fma_f64 v[105:106], v[21:22], v[27:28], v[105:106]
	v_fma_f64 v[129:130], v[33:34], v[23:24], v[25:26]
	;; [unrolled: 1-line block ×3, first 2 shown]
	ds_load_b128 v[1:4], v37 offset:96
	ds_load_b128 v[45:48], v36 offset:3072
	;; [unrolled: 1-line block ×8, first 2 shown]
	s_wait_loadcnt_dscnt 0x0
	s_barrier_signal -1
	s_barrier_wait -1
	global_inv scope:SCOPE_SE
	v_add_f64_e32 v[83:84], v[83:84], v[99:100]
	v_add_f64_e32 v[85:86], v[107:108], v[85:86]
	;; [unrolled: 1-line block ×8, first 2 shown]
	v_mul_f64_e32 v[81:82], v[3:4], v[47:48]
	v_mul_f64_e32 v[107:108], v[1:2], v[47:48]
	;; [unrolled: 1-line block ×8, first 2 shown]
	v_fma_f64 v[89:90], v[55:56], v[63:64], -v[89:90]
	v_fma_f64 v[91:92], v[57:58], v[63:64], v[91:92]
	v_fma_f64 v[55:56], v[55:56], v[67:68], -v[93:94]
	v_fma_f64 v[57:58], v[57:58], v[67:68], v[95:96]
	;; [unrolled: 2-line block ×4, first 2 shown]
	v_mul_f64_e32 v[95:96], v[21:22], v[33:34]
	v_add_f64_e32 v[65:66], v[83:84], v[97:98]
	v_add_f64_e32 v[67:68], v[101:102], v[85:86]
	;; [unrolled: 1-line block ×8, first 2 shown]
	v_mul_f64_e32 v[85:86], v[21:22], v[29:30]
	v_mul_f64_e32 v[87:88], v[19:20], v[29:30]
	;; [unrolled: 1-line block ×7, first 2 shown]
	v_fma_f64 v[81:82], v[1:2], v[45:46], -v[81:82]
	v_fma_f64 v[103:104], v[3:4], v[45:46], v[107:108]
	v_fma_f64 v[1:2], v[1:2], v[49:50], -v[109:110]
	v_fma_f64 v[3:4], v[3:4], v[49:50], v[111:112]
	;; [unrolled: 2-line block ×4, first 2 shown]
	v_add_f64_e32 v[51:52], v[65:66], v[89:90]
	v_add_f64_e32 v[65:66], v[91:92], v[67:68]
	;; [unrolled: 1-line block ×8, first 2 shown]
	v_fma_f64 v[61:62], v[19:20], v[27:28], -v[85:86]
	v_fma_f64 v[69:70], v[21:22], v[27:28], v[87:88]
	v_fma_f64 v[19:20], v[19:20], v[31:32], -v[95:96]
	v_fma_f64 v[21:22], v[21:22], v[31:32], v[97:98]
	;; [unrolled: 2-line block ×4, first 2 shown]
	v_add_f64_e32 v[23:24], v[51:52], v[81:82]
	v_add_f64_e32 v[25:26], v[103:104], v[65:66]
	;; [unrolled: 1-line block ×16, first 2 shown]
	s_cbranch_scc0 .LBB406_18
.LBB406_10:                             ;   Parent Loop BB406_7 Depth=1
                                        ; =>  This Inner Loop Header: Depth=2
	s_wait_alu 0xfffe
	v_add_nc_u32_e32 v1, s2, v38
	s_delay_alu instid0(VALU_DEP_1) | instskip(SKIP_3) | instid1(SALU_CYCLE_1)
	v_cmp_le_i32_e32 vcc_lo, s23, v1
	s_or_b32 s3, s21, vcc_lo
	s_wait_alu 0xfffe
	s_and_saveexec_b32 s30, s3
	s_xor_b32 s3, exec_lo, s30
; %bb.11:                               ;   in Loop: Header=BB406_10 Depth=2
	v_dual_mov_b32 v1, v0 :: v_dual_mov_b32 v2, v0
	v_mov_b32_e32 v3, v0
	ds_store_b128 v39, v[0:3]
; %bb.12:                               ;   in Loop: Header=BB406_10 Depth=2
	s_wait_alu 0xfffe
	s_and_not1_saveexec_b32 s3, s3
	s_cbranch_execz .LBB406_14
; %bb.13:                               ;   in Loop: Header=BB406_10 Depth=2
	flat_load_b128 v[1:4], v[15:16]
	s_wait_loadcnt_dscnt 0x0
	ds_store_2addr_b64 v39, v[1:2], v[3:4] offset1:1
.LBB406_14:                             ;   in Loop: Header=BB406_10 Depth=2
	s_wait_alu 0xfffe
	s_or_b32 exec_lo, exec_lo, s3
	v_add_nc_u32_e32 v1, s2, v35
	s_delay_alu instid0(VALU_DEP_1) | instskip(SKIP_3) | instid1(SALU_CYCLE_1)
	v_cmp_le_i32_e32 vcc_lo, s23, v1
	s_or_b32 s3, vcc_lo, s36
	s_wait_alu 0xfffe
	s_and_saveexec_b32 s30, s3
	s_xor_b32 s3, exec_lo, s30
; %bb.15:                               ;   in Loop: Header=BB406_10 Depth=2
	v_dual_mov_b32 v1, v0 :: v_dual_mov_b32 v2, v0
	v_mov_b32_e32 v3, v0
	ds_store_b128 v40, v[0:3]
; %bb.16:                               ;   in Loop: Header=BB406_10 Depth=2
	s_wait_alu 0xfffe
	s_and_not1_saveexec_b32 s3, s3
	s_cbranch_execz .LBB406_9
; %bb.17:                               ;   in Loop: Header=BB406_10 Depth=2
	flat_load_b128 v[1:4], v[17:18]
	s_wait_loadcnt_dscnt 0x0
	ds_store_2addr_b64 v40, v[1:2], v[3:4] offset1:1
	s_branch .LBB406_9
.LBB406_18:                             ;   in Loop: Header=BB406_7 Depth=1
	s_wait_loadcnt 0x0
	v_add_co_u32 v13, vcc_lo, v13, s0
	s_wait_alu 0xfffd
	v_add_co_ci_u32_e64 v14, null, s1, v14, vcc_lo
	s_delay_alu instid0(VALU_DEP_2) | instskip(SKIP_1) | instid1(VALU_DEP_2)
	v_add_co_u32 v15, vcc_lo, v13, v9
	s_wait_alu 0xfffd
	v_add_co_ci_u32_e64 v16, null, v14, v10, vcc_lo
	s_and_saveexec_b32 s2, s34
	s_cbranch_execz .LBB406_23
; %bb.19:                               ;   in Loop: Header=BB406_7 Depth=1
	v_mul_f64_e32 v[1:2], s[14:15], v[33:34]
	v_mul_f64_e32 v[3:4], s[12:13], v[33:34]
	s_and_b32 vcc_lo, exec_lo, s33
	s_mov_b32 s3, -1
	s_delay_alu instid0(VALU_DEP_2) | instskip(NEXT) | instid1(VALU_DEP_2)
	v_fma_f64 v[1:2], s[12:13], v[31:32], -v[1:2]
	v_fma_f64 v[3:4], s[14:15], v[31:32], v[3:4]
	s_wait_alu 0xfffe
	s_cbranch_vccz .LBB406_21
; %bb.20:                               ;   in Loop: Header=BB406_7 Depth=1
	v_lshlrev_b64_e32 v[17:18], 4, v[5:6]
	s_mov_b32 s3, 0
	s_delay_alu instid0(VALU_DEP_1) | instskip(SKIP_1) | instid1(VALU_DEP_2)
	v_add_co_u32 v17, vcc_lo, v15, v17
	s_wait_alu 0xfffd
	v_add_co_ci_u32_e64 v18, null, v16, v18, vcc_lo
	flat_load_b128 v[31:34], v[17:18]
	s_wait_loadcnt_dscnt 0x0
	v_mul_f64_e32 v[45:46], s[10:11], v[33:34]
	v_mul_f64_e32 v[33:34], s[8:9], v[33:34]
	s_delay_alu instid0(VALU_DEP_2) | instskip(NEXT) | instid1(VALU_DEP_2)
	v_fma_f64 v[45:46], s[8:9], v[31:32], -v[45:46]
	v_fma_f64 v[33:34], s[10:11], v[31:32], v[33:34]
	s_delay_alu instid0(VALU_DEP_2) | instskip(NEXT) | instid1(VALU_DEP_2)
	v_add_f64_e32 v[31:32], v[1:2], v[45:46]
	v_add_f64_e32 v[33:34], v[3:4], v[33:34]
	flat_store_b128 v[17:18], v[31:34]
.LBB406_21:                             ;   in Loop: Header=BB406_7 Depth=1
	s_wait_alu 0xfffe
	s_and_not1_b32 vcc_lo, exec_lo, s3
	s_wait_alu 0xfffe
	s_cbranch_vccnz .LBB406_23
; %bb.22:                               ;   in Loop: Header=BB406_7 Depth=1
	v_lshlrev_b64_e32 v[17:18], 4, v[5:6]
	s_delay_alu instid0(VALU_DEP_1) | instskip(SKIP_1) | instid1(VALU_DEP_2)
	v_add_co_u32 v17, vcc_lo, v15, v17
	s_wait_alu 0xfffd
	v_add_co_ci_u32_e64 v18, null, v16, v18, vcc_lo
	flat_store_b128 v[17:18], v[1:4]
.LBB406_23:                             ;   in Loop: Header=BB406_7 Depth=1
	s_wait_alu 0xfffe
	s_or_b32 exec_lo, exec_lo, s2
	s_and_saveexec_b32 s2, s22
	s_cbranch_execz .LBB406_28
; %bb.24:                               ;   in Loop: Header=BB406_7 Depth=1
	v_mul_f64_e32 v[1:2], s[14:15], v[29:30]
	v_mul_f64_e32 v[3:4], s[12:13], v[29:30]
	s_and_not1_b32 vcc_lo, exec_lo, s33
	s_mov_b32 s3, -1
	s_delay_alu instid0(VALU_DEP_2) | instskip(NEXT) | instid1(VALU_DEP_2)
	v_fma_f64 v[1:2], s[12:13], v[27:28], -v[1:2]
	v_fma_f64 v[3:4], s[14:15], v[27:28], v[3:4]
	s_wait_alu 0xfffe
	s_cbranch_vccnz .LBB406_26
; %bb.25:                               ;   in Loop: Header=BB406_7 Depth=1
	v_lshlrev_b64_e32 v[17:18], 4, v[7:8]
	s_mov_b32 s3, 0
	s_delay_alu instid0(VALU_DEP_1) | instskip(SKIP_1) | instid1(VALU_DEP_2)
	v_add_co_u32 v17, vcc_lo, v15, v17
	s_wait_alu 0xfffd
	v_add_co_ci_u32_e64 v18, null, v16, v18, vcc_lo
	flat_load_b128 v[27:30], v[17:18]
	s_wait_loadcnt_dscnt 0x0
	v_mul_f64_e32 v[31:32], s[10:11], v[29:30]
	v_mul_f64_e32 v[29:30], s[8:9], v[29:30]
	s_delay_alu instid0(VALU_DEP_2) | instskip(NEXT) | instid1(VALU_DEP_2)
	v_fma_f64 v[31:32], s[8:9], v[27:28], -v[31:32]
	v_fma_f64 v[29:30], s[10:11], v[27:28], v[29:30]
	s_delay_alu instid0(VALU_DEP_2) | instskip(NEXT) | instid1(VALU_DEP_2)
	v_add_f64_e32 v[27:28], v[1:2], v[31:32]
	v_add_f64_e32 v[29:30], v[3:4], v[29:30]
	flat_store_b128 v[17:18], v[27:30]
.LBB406_26:                             ;   in Loop: Header=BB406_7 Depth=1
	s_wait_alu 0xfffe
	s_and_not1_b32 vcc_lo, exec_lo, s3
	s_wait_alu 0xfffe
	s_cbranch_vccnz .LBB406_28
; %bb.27:                               ;   in Loop: Header=BB406_7 Depth=1
	v_lshlrev_b64_e32 v[17:18], 4, v[7:8]
	s_delay_alu instid0(VALU_DEP_1) | instskip(SKIP_1) | instid1(VALU_DEP_2)
	v_add_co_u32 v15, vcc_lo, v15, v17
	s_wait_alu 0xfffd
	v_add_co_ci_u32_e64 v16, null, v16, v18, vcc_lo
	flat_store_b128 v[15:16], v[1:4]
.LBB406_28:                             ;   in Loop: Header=BB406_7 Depth=1
	s_wait_alu 0xfffe
	s_or_b32 exec_lo, exec_lo, s2
	v_add_co_u32 v15, vcc_lo, v13, v11
	s_wait_alu 0xfffd
	v_add_co_ci_u32_e64 v16, null, v14, v12, vcc_lo
	s_and_saveexec_b32 s2, s26
	s_cbranch_execz .LBB406_33
; %bb.29:                               ;   in Loop: Header=BB406_7 Depth=1
	v_mul_f64_e32 v[1:2], s[14:15], v[25:26]
	v_mul_f64_e32 v[3:4], s[12:13], v[25:26]
	v_lshlrev_b64_e32 v[13:14], 4, v[5:6]
	s_and_not1_b32 vcc_lo, exec_lo, s33
	s_mov_b32 s3, -1
	s_delay_alu instid0(VALU_DEP_3) | instskip(NEXT) | instid1(VALU_DEP_3)
	v_fma_f64 v[1:2], s[12:13], v[23:24], -v[1:2]
	v_fma_f64 v[3:4], s[14:15], v[23:24], v[3:4]
	s_wait_alu 0xfffe
	s_cbranch_vccnz .LBB406_31
; %bb.30:                               ;   in Loop: Header=BB406_7 Depth=1
	v_add_co_u32 v17, vcc_lo, v15, v13
	s_wait_alu 0xfffd
	v_add_co_ci_u32_e64 v18, null, v16, v14, vcc_lo
	s_mov_b32 s3, 0
	flat_load_b128 v[23:26], v[17:18]
	s_wait_loadcnt_dscnt 0x0
	v_mul_f64_e32 v[27:28], s[10:11], v[25:26]
	v_mul_f64_e32 v[25:26], s[8:9], v[25:26]
	s_delay_alu instid0(VALU_DEP_2) | instskip(NEXT) | instid1(VALU_DEP_2)
	v_fma_f64 v[27:28], s[8:9], v[23:24], -v[27:28]
	v_fma_f64 v[25:26], s[10:11], v[23:24], v[25:26]
	s_delay_alu instid0(VALU_DEP_2) | instskip(NEXT) | instid1(VALU_DEP_2)
	v_add_f64_e32 v[23:24], v[1:2], v[27:28]
	v_add_f64_e32 v[25:26], v[3:4], v[25:26]
	flat_store_b128 v[17:18], v[23:26]
.LBB406_31:                             ;   in Loop: Header=BB406_7 Depth=1
	s_wait_alu 0xfffe
	s_and_not1_b32 vcc_lo, exec_lo, s3
	s_wait_alu 0xfffe
	s_cbranch_vccnz .LBB406_33
; %bb.32:                               ;   in Loop: Header=BB406_7 Depth=1
	v_add_co_u32 v13, vcc_lo, v15, v13
	s_wait_alu 0xfffd
	v_add_co_ci_u32_e64 v14, null, v16, v14, vcc_lo
	flat_store_b128 v[13:14], v[1:4]
.LBB406_33:                             ;   in Loop: Header=BB406_7 Depth=1
	s_wait_alu 0xfffe
	s_or_b32 exec_lo, exec_lo, s2
	s_and_saveexec_b32 s2, s35
	s_cbranch_execz .LBB406_6
; %bb.34:                               ;   in Loop: Header=BB406_7 Depth=1
	v_mul_f64_e32 v[1:2], s[14:15], v[19:20]
	v_mul_f64_e32 v[3:4], s[12:13], v[19:20]
	v_lshlrev_b64_e32 v[13:14], 4, v[7:8]
	s_and_not1_b32 vcc_lo, exec_lo, s33
	s_mov_b32 s3, -1
	s_delay_alu instid0(VALU_DEP_3) | instskip(NEXT) | instid1(VALU_DEP_3)
	v_fma_f64 v[1:2], s[12:13], v[21:22], -v[1:2]
	v_fma_f64 v[3:4], s[14:15], v[21:22], v[3:4]
	s_wait_alu 0xfffe
	s_cbranch_vccnz .LBB406_36
; %bb.35:                               ;   in Loop: Header=BB406_7 Depth=1
	v_add_co_u32 v21, vcc_lo, v15, v13
	s_wait_alu 0xfffd
	v_add_co_ci_u32_e64 v22, null, v16, v14, vcc_lo
	s_mov_b32 s3, 0
	flat_load_b128 v[17:20], v[21:22]
	s_wait_loadcnt_dscnt 0x0
	v_mul_f64_e32 v[23:24], s[10:11], v[19:20]
	v_mul_f64_e32 v[19:20], s[8:9], v[19:20]
	s_delay_alu instid0(VALU_DEP_2) | instskip(NEXT) | instid1(VALU_DEP_2)
	v_fma_f64 v[23:24], s[8:9], v[17:18], -v[23:24]
	v_fma_f64 v[19:20], s[10:11], v[17:18], v[19:20]
	s_delay_alu instid0(VALU_DEP_2) | instskip(NEXT) | instid1(VALU_DEP_2)
	v_add_f64_e32 v[17:18], v[1:2], v[23:24]
	v_add_f64_e32 v[19:20], v[3:4], v[19:20]
	flat_store_b128 v[21:22], v[17:20]
.LBB406_36:                             ;   in Loop: Header=BB406_7 Depth=1
	s_wait_alu 0xfffe
	s_and_not1_b32 vcc_lo, exec_lo, s3
	s_wait_alu 0xfffe
	s_cbranch_vccnz .LBB406_6
; %bb.37:                               ;   in Loop: Header=BB406_7 Depth=1
	v_add_co_u32 v13, vcc_lo, v15, v13
	s_wait_alu 0xfffd
	v_add_co_ci_u32_e64 v14, null, v16, v14, vcc_lo
	flat_store_b128 v[13:14], v[1:4]
	s_branch .LBB406_6
.LBB406_38:
.LBB406_39:
	s_nop 0
	s_sendmsg sendmsg(MSG_DEALLOC_VGPRS)
	s_endpgm
	.section	.rodata,"a",@progbits
	.p2align	6, 0x0
	.amdhsa_kernel _ZL29rocblas_internal_gemmt_kernelIiLi16ELi32ELi8ELc78ELc84ELc76ELb0ELb0E19rocblas_complex_numIdEPKS1_PKS3_PKPS1_EviT_T9_T10_S9_lSB_S9_lSA_T11_S9_li
		.amdhsa_group_segment_fixed_size 8192
		.amdhsa_private_segment_fixed_size 0
		.amdhsa_kernarg_size 100
		.amdhsa_user_sgpr_count 2
		.amdhsa_user_sgpr_dispatch_ptr 0
		.amdhsa_user_sgpr_queue_ptr 0
		.amdhsa_user_sgpr_kernarg_segment_ptr 1
		.amdhsa_user_sgpr_dispatch_id 0
		.amdhsa_user_sgpr_private_segment_size 0
		.amdhsa_wavefront_size32 1
		.amdhsa_uses_dynamic_stack 0
		.amdhsa_enable_private_segment 0
		.amdhsa_system_sgpr_workgroup_id_x 1
		.amdhsa_system_sgpr_workgroup_id_y 1
		.amdhsa_system_sgpr_workgroup_id_z 1
		.amdhsa_system_sgpr_workgroup_info 0
		.amdhsa_system_vgpr_workitem_id 1
		.amdhsa_next_free_vgpr 133
		.amdhsa_next_free_sgpr 42
		.amdhsa_reserve_vcc 1
		.amdhsa_float_round_mode_32 0
		.amdhsa_float_round_mode_16_64 0
		.amdhsa_float_denorm_mode_32 3
		.amdhsa_float_denorm_mode_16_64 3
		.amdhsa_fp16_overflow 0
		.amdhsa_workgroup_processor_mode 1
		.amdhsa_memory_ordered 1
		.amdhsa_forward_progress 1
		.amdhsa_inst_pref_size 28
		.amdhsa_round_robin_scheduling 0
		.amdhsa_exception_fp_ieee_invalid_op 0
		.amdhsa_exception_fp_denorm_src 0
		.amdhsa_exception_fp_ieee_div_zero 0
		.amdhsa_exception_fp_ieee_overflow 0
		.amdhsa_exception_fp_ieee_underflow 0
		.amdhsa_exception_fp_ieee_inexact 0
		.amdhsa_exception_int_div_zero 0
	.end_amdhsa_kernel
	.section	.text._ZL29rocblas_internal_gemmt_kernelIiLi16ELi32ELi8ELc78ELc84ELc76ELb0ELb0E19rocblas_complex_numIdEPKS1_PKS3_PKPS1_EviT_T9_T10_S9_lSB_S9_lSA_T11_S9_li,"axG",@progbits,_ZL29rocblas_internal_gemmt_kernelIiLi16ELi32ELi8ELc78ELc84ELc76ELb0ELb0E19rocblas_complex_numIdEPKS1_PKS3_PKPS1_EviT_T9_T10_S9_lSB_S9_lSA_T11_S9_li,comdat
.Lfunc_end406:
	.size	_ZL29rocblas_internal_gemmt_kernelIiLi16ELi32ELi8ELc78ELc84ELc76ELb0ELb0E19rocblas_complex_numIdEPKS1_PKS3_PKPS1_EviT_T9_T10_S9_lSB_S9_lSA_T11_S9_li, .Lfunc_end406-_ZL29rocblas_internal_gemmt_kernelIiLi16ELi32ELi8ELc78ELc84ELc76ELb0ELb0E19rocblas_complex_numIdEPKS1_PKS3_PKPS1_EviT_T9_T10_S9_lSB_S9_lSA_T11_S9_li
                                        ; -- End function
	.set _ZL29rocblas_internal_gemmt_kernelIiLi16ELi32ELi8ELc78ELc84ELc76ELb0ELb0E19rocblas_complex_numIdEPKS1_PKS3_PKPS1_EviT_T9_T10_S9_lSB_S9_lSA_T11_S9_li.num_vgpr, 133
	.set _ZL29rocblas_internal_gemmt_kernelIiLi16ELi32ELi8ELc78ELc84ELc76ELb0ELb0E19rocblas_complex_numIdEPKS1_PKS3_PKPS1_EviT_T9_T10_S9_lSB_S9_lSA_T11_S9_li.num_agpr, 0
	.set _ZL29rocblas_internal_gemmt_kernelIiLi16ELi32ELi8ELc78ELc84ELc76ELb0ELb0E19rocblas_complex_numIdEPKS1_PKS3_PKPS1_EviT_T9_T10_S9_lSB_S9_lSA_T11_S9_li.numbered_sgpr, 42
	.set _ZL29rocblas_internal_gemmt_kernelIiLi16ELi32ELi8ELc78ELc84ELc76ELb0ELb0E19rocblas_complex_numIdEPKS1_PKS3_PKPS1_EviT_T9_T10_S9_lSB_S9_lSA_T11_S9_li.num_named_barrier, 0
	.set _ZL29rocblas_internal_gemmt_kernelIiLi16ELi32ELi8ELc78ELc84ELc76ELb0ELb0E19rocblas_complex_numIdEPKS1_PKS3_PKPS1_EviT_T9_T10_S9_lSB_S9_lSA_T11_S9_li.private_seg_size, 0
	.set _ZL29rocblas_internal_gemmt_kernelIiLi16ELi32ELi8ELc78ELc84ELc76ELb0ELb0E19rocblas_complex_numIdEPKS1_PKS3_PKPS1_EviT_T9_T10_S9_lSB_S9_lSA_T11_S9_li.uses_vcc, 1
	.set _ZL29rocblas_internal_gemmt_kernelIiLi16ELi32ELi8ELc78ELc84ELc76ELb0ELb0E19rocblas_complex_numIdEPKS1_PKS3_PKPS1_EviT_T9_T10_S9_lSB_S9_lSA_T11_S9_li.uses_flat_scratch, 0
	.set _ZL29rocblas_internal_gemmt_kernelIiLi16ELi32ELi8ELc78ELc84ELc76ELb0ELb0E19rocblas_complex_numIdEPKS1_PKS3_PKPS1_EviT_T9_T10_S9_lSB_S9_lSA_T11_S9_li.has_dyn_sized_stack, 0
	.set _ZL29rocblas_internal_gemmt_kernelIiLi16ELi32ELi8ELc78ELc84ELc76ELb0ELb0E19rocblas_complex_numIdEPKS1_PKS3_PKPS1_EviT_T9_T10_S9_lSB_S9_lSA_T11_S9_li.has_recursion, 0
	.set _ZL29rocblas_internal_gemmt_kernelIiLi16ELi32ELi8ELc78ELc84ELc76ELb0ELb0E19rocblas_complex_numIdEPKS1_PKS3_PKPS1_EviT_T9_T10_S9_lSB_S9_lSA_T11_S9_li.has_indirect_call, 0
	.section	.AMDGPU.csdata,"",@progbits
; Kernel info:
; codeLenInByte = 3488
; TotalNumSgprs: 44
; NumVgprs: 133
; ScratchSize: 0
; MemoryBound: 0
; FloatMode: 240
; IeeeMode: 1
; LDSByteSize: 8192 bytes/workgroup (compile time only)
; SGPRBlocks: 0
; VGPRBlocks: 16
; NumSGPRsForWavesPerEU: 44
; NumVGPRsForWavesPerEU: 133
; Occupancy: 10
; WaveLimiterHint : 1
; COMPUTE_PGM_RSRC2:SCRATCH_EN: 0
; COMPUTE_PGM_RSRC2:USER_SGPR: 2
; COMPUTE_PGM_RSRC2:TRAP_HANDLER: 0
; COMPUTE_PGM_RSRC2:TGID_X_EN: 1
; COMPUTE_PGM_RSRC2:TGID_Y_EN: 1
; COMPUTE_PGM_RSRC2:TGID_Z_EN: 1
; COMPUTE_PGM_RSRC2:TIDIG_COMP_CNT: 1
	.section	.text._ZL29rocblas_internal_gemmt_kernelIiLi16ELi32ELi8ELc78ELc67ELc76ELb0ELb1E19rocblas_complex_numIdEPKS1_PKS3_PKPS1_EviT_T9_T10_S9_lSB_S9_lSA_T11_S9_li,"axG",@progbits,_ZL29rocblas_internal_gemmt_kernelIiLi16ELi32ELi8ELc78ELc67ELc76ELb0ELb1E19rocblas_complex_numIdEPKS1_PKS3_PKPS1_EviT_T9_T10_S9_lSB_S9_lSA_T11_S9_li,comdat
	.globl	_ZL29rocblas_internal_gemmt_kernelIiLi16ELi32ELi8ELc78ELc67ELc76ELb0ELb1E19rocblas_complex_numIdEPKS1_PKS3_PKPS1_EviT_T9_T10_S9_lSB_S9_lSA_T11_S9_li ; -- Begin function _ZL29rocblas_internal_gemmt_kernelIiLi16ELi32ELi8ELc78ELc67ELc76ELb0ELb1E19rocblas_complex_numIdEPKS1_PKS3_PKPS1_EviT_T9_T10_S9_lSB_S9_lSA_T11_S9_li
	.p2align	8
	.type	_ZL29rocblas_internal_gemmt_kernelIiLi16ELi32ELi8ELc78ELc67ELc76ELb0ELb1E19rocblas_complex_numIdEPKS1_PKS3_PKPS1_EviT_T9_T10_S9_lSB_S9_lSA_T11_S9_li,@function
_ZL29rocblas_internal_gemmt_kernelIiLi16ELi32ELi8ELc78ELc67ELc76ELb0ELb1E19rocblas_complex_numIdEPKS1_PKS3_PKPS1_EviT_T9_T10_S9_lSB_S9_lSA_T11_S9_li: ; @_ZL29rocblas_internal_gemmt_kernelIiLi16ELi32ELi8ELc78ELc67ELc76ELb0ELb1E19rocblas_complex_numIdEPKS1_PKS3_PKPS1_EviT_T9_T10_S9_lSB_S9_lSA_T11_S9_li
; %bb.0:
	s_load_b128 s[20:23], s[0:1], 0x38
	s_wait_kmcnt 0x0
	s_load_b128 s[8:11], s[22:23], 0x0
	s_clause 0x1
	s_load_b128 s[4:7], s[0:1], 0x8
	s_load_b64 s[22:23], s[0:1], 0x0
	s_wait_kmcnt 0x0
	s_load_b128 s[12:15], s[4:5], 0x0
	v_cmp_eq_f64_e64 s2, s[8:9], 1.0
	v_cmp_eq_f64_e64 s33, s[10:11], 0
	s_and_b32 s2, s2, s33
	s_delay_alu instid0(SALU_CYCLE_1)
	s_and_not1_b32 vcc_lo, exec_lo, s2
	s_mov_b32 s2, -1
	s_cbranch_vccnz .LBB407_3
; %bb.1:
	s_cmp_lg_u32 s23, 0
	s_cbranch_scc0 .LBB407_36
; %bb.2:
	s_wait_kmcnt 0x0
	v_cmp_neq_f64_e64 s2, s[12:13], 0
	v_cmp_neq_f64_e64 s3, s[14:15], 0
	s_or_b32 s2, s2, s3
.LBB407_3:
	s_delay_alu instid0(SALU_CYCLE_1)
	s_and_b32 vcc_lo, exec_lo, s2
	s_cbranch_vccz .LBB407_37
; %bb.4:
	s_load_b32 s27, s[0:1], 0x60
	s_lshr_b32 s28, ttmp7, 16
	s_wait_kmcnt 0x0
	s_cmp_ge_u32 s28, s27
	s_cbranch_scc1 .LBB407_37
; %bb.5:
	v_cmp_neq_f64_e64 s5, s[12:13], 0
	v_cmp_neq_f64_e64 s36, s[14:15], 0
	;; [unrolled: 1-line block ×3, first 2 shown]
	v_and_b32_e32 v1, 0x3ff, v0
	v_bfe_u32 v2, v0, 10, 10
	s_clause 0x4
	s_load_b32 s38, s[0:1], 0x18
	s_load_b128 s[16:19], s[0:1], 0x20
	s_load_b32 s30, s[0:1], 0x30
	s_load_b96 s[24:26], s[0:1], 0x48
	s_load_b64 s[34:35], s[0:1], 0x58
	v_and_b32_e32 v35, 7, v0
	s_lshl_b32 s1, ttmp7, 5
	s_lshl_b32 s0, ttmp9, 5
	v_lshl_add_u32 v0, v2, 4, v1
	s_and_b32 s2, s1, 0x1fffe0
	v_lshlrev_b32_e32 v3, 4, v35
	v_lshlrev_b32_e32 v36, 4, v1
	v_add_nc_u32_e32 v5, s0, v1
	v_add_nc_u32_e32 v1, s2, v2
	v_lshl_add_u32 v37, v2, 7, 0x1000
	v_and_b32_e32 v2, 31, v0
	v_lshrrev_b32_e32 v4, 3, v0
	v_lshrrev_b32_e32 v38, 5, v0
	v_add_nc_u32_e32 v7, 16, v5
	v_cmp_le_i32_e32 vcc_lo, v1, v5
	v_or_b32_e32 v0, s0, v2
	v_lshlrev_b32_e32 v2, 4, v2
	v_lshl_or_b32 v3, v4, 7, v3
	s_wait_kmcnt 0x0
	v_mad_co_i64_i32 v[9:10], null, v38, s38, 0
	v_add_nc_u32_e32 v15, s2, v4
	v_cmp_le_i32_e64 s2, v1, v7
	v_cmp_gt_i32_e64 s3, s22, v7
	v_lshl_or_b32 v39, v38, 9, v2
	v_add_nc_u32_e32 v40, 0x1000, v3
	v_mad_co_i64_i32 v[2:3], null, v1, s26, 0
	v_add_nc_u32_e32 v1, 16, v1
	v_cmp_gt_i32_e64 s1, s22, v5
	s_ashr_i32 s39, s38, 31
	s_ashr_i32 s31, s30, 31
	v_mad_co_i64_i32 v[11:12], null, s30, v35, 0
	s_or_b32 s5, s5, s36
	s_cmp_gt_i32 s23, 0
	v_lshlrev_b64_e32 v[9:10], 4, v[9:10]
	s_cselect_b32 s40, -1, 0
	s_and_b32 s36, s2, s3
	v_cmp_le_i32_e64 s2, v1, v7
	v_cmp_gt_i32_e64 s4, s22, v0
	v_cmp_gt_i32_e64 s0, s22, v15
	s_xor_b32 s22, s33, -1
	s_and_b32 s33, vcc_lo, s1
	v_cmp_le_i32_e32 vcc_lo, v1, v5
	v_mad_co_i64_i32 v[13:14], null, v1, s26, 0
	v_ashrrev_i32_e32 v1, 31, v0
	s_wait_alu 0xfffe
	s_or_b32 s22, s37, s22
	s_and_b32 s37, s2, s3
	s_lshl_b64 s[2:3], s[16:17], 4
	v_lshlrev_b64_e32 v[11:12], 4, v[11:12]
	s_and_b32 s26, vcc_lo, s1
	s_wait_alu 0xfffe
	v_add_co_u32 v4, vcc_lo, v9, s2
	v_lshlrev_b64_e32 v[0:1], 4, v[0:1]
	v_add_co_ci_u32_e64 v9, null, s3, v10, vcc_lo
	s_lshl_b64 s[2:3], s[20:21], 4
	v_ashrrev_i32_e32 v6, 31, v5
	s_wait_alu 0xfffe
	v_add_co_u32 v10, vcc_lo, v11, s2
	v_lshlrev_b32_e32 v11, 4, v15
	v_add_co_u32 v41, s1, v4, v0
	s_wait_alu 0xf1ff
	v_add_co_ci_u32_e64 v42, null, v9, v1, s1
	s_wait_alu 0xfffd
	v_add_co_ci_u32_e64 v1, null, s3, v12, vcc_lo
	v_add_co_u32 v4, vcc_lo, v10, v11
	v_lshlrev_b64_e32 v[9:10], 4, v[2:3]
	v_lshlrev_b64_e32 v[11:12], 4, v[13:14]
	v_ashrrev_i32_e32 v8, 31, v7
	v_mov_b32_e32 v0, 0
	s_wait_alu 0xfffd
	v_add_co_ci_u32_e64 v43, null, 0, v1, vcc_lo
	v_or_b32_e32 v44, 8, v4
	s_mov_b32 s29, 0
	s_lshl_b64 s[2:3], s[38:39], 7
	s_and_b32 s1, s5, s40
	s_lshl_b64 s[16:17], s[30:31], 7
	s_xor_b32 s30, s4, -1
	s_lshl_b64 s[4:5], s[34:35], 4
	s_branch .LBB407_7
.LBB407_6:                              ;   in Loop: Header=BB407_7 Depth=1
	s_wait_alu 0xfffe
	s_or_b32 exec_lo, exec_lo, s20
	s_add_co_i32 s28, s28, 0x10000
	s_delay_alu instid0(SALU_CYCLE_1)
	s_cmp_lt_u32 s28, s27
	s_cbranch_scc0 .LBB407_37
.LBB407_7:                              ; =>This Loop Header: Depth=1
                                        ;     Child Loop BB407_10 Depth 2
	s_lshl_b64 s[20:21], s[28:29], 3
	v_mov_b32_e32 v31, 0
	s_wait_alu 0xfffe
	s_add_nc_u64 s[34:35], s[24:25], s[20:21]
	v_mov_b32_e32 v27, 0
	global_load_b64 v[13:14], v0, s[34:35]
	v_mov_b32_e32 v23, 0
	v_dual_mov_b32 v21, 0 :: v_dual_mov_b32 v32, 0
	v_dual_mov_b32 v33, 0 :: v_dual_mov_b32 v28, 0
	;; [unrolled: 1-line block ×5, first 2 shown]
	v_mov_b32_e32 v30, 0
	v_mov_b32_e32 v26, 0
	;; [unrolled: 1-line block ×3, first 2 shown]
	s_and_not1_b32 vcc_lo, exec_lo, s1
	s_wait_alu 0xfffe
	s_cbranch_vccnz .LBB407_16
; %bb.8:                                ;   in Loop: Header=BB407_7 Depth=1
	s_add_nc_u64 s[34:35], s[6:7], s[20:21]
	s_add_nc_u64 s[20:21], s[18:19], s[20:21]
	s_clause 0x1
	global_load_b64 v[1:2], v0, s[34:35]
	global_load_b64 v[3:4], v0, s[20:21]
	v_mov_b32_e32 v19, 0
	v_mov_b32_e32 v25, 0
	;; [unrolled: 1-line block ×3, first 2 shown]
	v_dual_mov_b32 v33, 0 :: v_dual_mov_b32 v20, 0
	v_dual_mov_b32 v21, 0 :: v_dual_mov_b32 v26, 0
	;; [unrolled: 1-line block ×5, first 2 shown]
	v_mov_b32_e32 v24, 0
	v_mov_b32_e32 v28, 0
	;; [unrolled: 1-line block ×3, first 2 shown]
	s_mov_b32 s20, 0
	s_wait_loadcnt 0x1
	v_add_co_u32 v15, vcc_lo, v1, v41
	s_wait_alu 0xfffd
	v_add_co_ci_u32_e64 v16, null, v2, v42, vcc_lo
	s_wait_loadcnt 0x0
	v_add_co_u32 v17, vcc_lo, v3, v44
	s_wait_alu 0xfffd
	v_add_co_ci_u32_e64 v18, null, v4, v43, vcc_lo
	s_branch .LBB407_10
.LBB407_9:                              ;   in Loop: Header=BB407_10 Depth=2
	s_wait_alu 0xfffe
	s_or_b32 exec_lo, exec_lo, s21
	ds_store_b128 v40, v[1:4]
	s_wait_dscnt 0x0
	s_barrier_signal -1
	s_barrier_wait -1
	global_inv scope:SCOPE_SE
	ds_load_b128 v[1:4], v37
	ds_load_b128 v[45:48], v36
	ds_load_b128 v[49:52], v36 offset:256
	ds_load_b128 v[53:56], v37 offset:2048
	;; [unrolled: 1-line block ×10, first 2 shown]
	v_add_co_u32 v15, vcc_lo, v15, s2
	s_wait_alu 0xfffd
	v_add_co_ci_u32_e64 v16, null, s3, v16, vcc_lo
	v_add_co_u32 v17, vcc_lo, v17, s16
	s_wait_alu 0xfffd
	v_add_co_ci_u32_e64 v18, null, s17, v18, vcc_lo
	s_add_co_i32 s20, s20, 8
	s_wait_alu 0xfffe
	s_cmp_lt_i32 s20, s23
	s_wait_dscnt 0xa
	v_mul_f64_e32 v[89:90], v[3:4], v[47:48]
	v_mul_f64_e32 v[91:92], v[1:2], v[47:48]
	s_wait_dscnt 0x9
	v_mul_f64_e32 v[93:94], v[3:4], v[51:52]
	v_mul_f64_e32 v[95:96], v[1:2], v[51:52]
	;; [unrolled: 3-line block ×3, first 2 shown]
	v_mul_f64_e32 v[99:100], v[55:56], v[51:52]
	v_mul_f64_e32 v[51:52], v[53:54], v[51:52]
	s_wait_dscnt 0x5
	v_mul_f64_e32 v[101:102], v[59:60], v[67:68]
	v_mul_f64_e32 v[103:104], v[57:58], v[67:68]
	s_wait_dscnt 0x4
	v_mul_f64_e32 v[105:106], v[59:60], v[71:72]
	v_mul_f64_e32 v[107:108], v[57:58], v[71:72]
	;; [unrolled: 1-line block ×6, first 2 shown]
	s_wait_dscnt 0x2
	v_mul_f64_e32 v[117:118], v[75:76], v[79:80]
	v_mul_f64_e32 v[119:120], v[73:74], v[79:80]
	s_wait_dscnt 0x1
	v_mul_f64_e32 v[121:122], v[75:76], v[83:84]
	v_mul_f64_e32 v[123:124], v[73:74], v[83:84]
	;; [unrolled: 3-line block ×3, first 2 shown]
	v_mul_f64_e32 v[127:128], v[87:88], v[83:84]
	v_mul_f64_e32 v[83:84], v[85:86], v[83:84]
	v_fma_f64 v[89:90], v[1:2], v[45:46], -v[89:90]
	v_fma_f64 v[91:92], v[3:4], v[45:46], v[91:92]
	v_fma_f64 v[93:94], v[1:2], v[49:50], -v[93:94]
	v_fma_f64 v[95:96], v[3:4], v[49:50], v[95:96]
	v_fma_f64 v[97:98], v[53:54], v[45:46], -v[97:98]
	v_fma_f64 v[113:114], v[55:56], v[45:46], v[47:48]
	v_fma_f64 v[99:100], v[53:54], v[49:50], -v[99:100]
	v_fma_f64 v[115:116], v[55:56], v[49:50], v[51:52]
	v_fma_f64 v[101:102], v[57:58], v[65:66], -v[101:102]
	v_fma_f64 v[103:104], v[59:60], v[65:66], v[103:104]
	v_fma_f64 v[57:58], v[57:58], v[69:70], -v[105:106]
	v_fma_f64 v[59:60], v[59:60], v[69:70], v[107:108]
	v_fma_f64 v[105:106], v[61:62], v[65:66], -v[109:110]
	v_fma_f64 v[65:66], v[63:64], v[65:66], v[67:68]
	v_fma_f64 v[61:62], v[61:62], v[69:70], -v[111:112]
	v_fma_f64 v[63:64], v[63:64], v[69:70], v[71:72]
	ds_load_b128 v[1:4], v37 offset:48
	ds_load_b128 v[45:48], v37 offset:2096
	;; [unrolled: 1-line block ×4, first 2 shown]
	v_fma_f64 v[117:118], v[73:74], v[77:78], -v[117:118]
	v_fma_f64 v[119:120], v[75:76], v[77:78], v[119:120]
	v_fma_f64 v[73:74], v[73:74], v[81:82], -v[121:122]
	v_fma_f64 v[75:76], v[75:76], v[81:82], v[123:124]
	;; [unrolled: 2-line block ×4, first 2 shown]
	s_wait_dscnt 0x1
	v_mul_f64_e32 v[107:108], v[1:2], v[51:52]
	s_wait_dscnt 0x0
	v_mul_f64_e32 v[109:110], v[3:4], v[55:56]
	v_mul_f64_e32 v[111:112], v[1:2], v[55:56]
	v_add_f64_e32 v[67:68], v[31:32], v[89:90]
	v_add_f64_e32 v[69:70], v[91:92], v[33:34]
	;; [unrolled: 1-line block ×8, first 2 shown]
	v_mul_f64_e32 v[99:100], v[3:4], v[51:52]
	v_mul_f64_e32 v[113:114], v[47:48], v[51:52]
	;; [unrolled: 1-line block ×5, first 2 shown]
	ds_load_b128 v[19:22], v37 offset:64
	ds_load_b128 v[23:26], v36 offset:2048
	;; [unrolled: 1-line block ×4, first 2 shown]
	s_wait_dscnt 0x0
	v_mul_f64_e32 v[123:124], v[33:34], v[25:26]
	v_mul_f64_e32 v[125:126], v[33:34], v[29:30]
	v_fma_f64 v[107:108], v[3:4], v[49:50], v[107:108]
	v_fma_f64 v[109:110], v[1:2], v[53:54], -v[109:110]
	v_fma_f64 v[111:112], v[3:4], v[53:54], v[111:112]
	v_add_f64_e32 v[83:84], v[67:68], v[101:102]
	v_add_f64_e32 v[85:86], v[103:104], v[69:70]
	;; [unrolled: 1-line block ×8, first 2 shown]
	v_mul_f64_e32 v[97:98], v[21:22], v[25:26]
	v_mul_f64_e32 v[101:102], v[19:20], v[25:26]
	;; [unrolled: 1-line block ×6, first 2 shown]
	v_fma_f64 v[99:100], v[1:2], v[49:50], -v[99:100]
	v_fma_f64 v[113:114], v[45:46], v[49:50], -v[113:114]
	v_fma_f64 v[127:128], v[47:48], v[49:50], v[51:52]
	v_fma_f64 v[115:116], v[45:46], v[53:54], -v[115:116]
	v_fma_f64 v[53:54], v[47:48], v[53:54], v[129:130]
	ds_load_b128 v[55:58], v37 offset:80
	ds_load_b128 v[59:62], v37 offset:2128
	;; [unrolled: 1-line block ×4, first 2 shown]
	v_fma_f64 v[123:124], v[31:32], v[23:24], -v[123:124]
	v_fma_f64 v[125:126], v[31:32], v[27:28], -v[125:126]
	v_add_f64_e32 v[83:84], v[83:84], v[117:118]
	v_add_f64_e32 v[85:86], v[119:120], v[85:86]
	v_add_f64_e32 v[117:118], v[71:72], v[73:74]
	v_add_f64_e32 v[75:76], v[75:76], v[87:88]
	v_add_f64_e32 v[87:88], v[89:90], v[121:122]
	v_add_f64_e32 v[77:78], v[77:78], v[91:92]
	v_add_f64_e32 v[79:80], v[93:94], v[79:80]
	v_add_f64_e32 v[81:82], v[81:82], v[95:96]
	s_wait_dscnt 0x1
	v_mul_f64_e32 v[89:90], v[57:58], v[65:66]
	v_mul_f64_e32 v[91:92], v[55:56], v[65:66]
	s_wait_dscnt 0x0
	v_mul_f64_e32 v[93:94], v[57:58], v[69:70]
	v_mul_f64_e32 v[95:96], v[55:56], v[69:70]
	;; [unrolled: 1-line block ×6, first 2 shown]
	v_fma_f64 v[97:98], v[19:20], v[23:24], -v[97:98]
	v_fma_f64 v[101:102], v[21:22], v[23:24], v[101:102]
	v_fma_f64 v[103:104], v[19:20], v[27:28], -v[103:104]
	v_fma_f64 v[105:106], v[21:22], v[27:28], v[105:106]
	v_fma_f64 v[129:130], v[33:34], v[23:24], v[25:26]
	v_fma_f64 v[131:132], v[33:34], v[27:28], v[29:30]
	ds_load_b128 v[1:4], v37 offset:96
	ds_load_b128 v[45:48], v36 offset:3072
	ds_load_b128 v[49:52], v36 offset:3328
	ds_load_b128 v[71:74], v37 offset:2144
	ds_load_b128 v[19:22], v37 offset:112
	ds_load_b128 v[23:26], v37 offset:2160
	ds_load_b128 v[27:30], v36 offset:3584
	ds_load_b128 v[31:34], v36 offset:3840
	s_wait_loadcnt_dscnt 0x0
	s_barrier_signal -1
	s_barrier_wait -1
	global_inv scope:SCOPE_SE
	v_add_f64_e32 v[83:84], v[83:84], v[99:100]
	v_add_f64_e32 v[85:86], v[107:108], v[85:86]
	v_add_f64_e32 v[99:100], v[117:118], v[109:110]
	v_add_f64_e32 v[75:76], v[111:112], v[75:76]
	v_add_f64_e32 v[87:88], v[87:88], v[113:114]
	v_add_f64_e32 v[77:78], v[127:128], v[77:78]
	v_add_f64_e32 v[79:80], v[79:80], v[115:116]
	v_add_f64_e32 v[53:54], v[53:54], v[81:82]
	v_mul_f64_e32 v[81:82], v[3:4], v[47:48]
	v_mul_f64_e32 v[107:108], v[1:2], v[47:48]
	;; [unrolled: 1-line block ×8, first 2 shown]
	v_fma_f64 v[89:90], v[55:56], v[63:64], -v[89:90]
	v_fma_f64 v[91:92], v[57:58], v[63:64], v[91:92]
	v_fma_f64 v[55:56], v[55:56], v[67:68], -v[93:94]
	v_fma_f64 v[57:58], v[57:58], v[67:68], v[95:96]
	;; [unrolled: 2-line block ×4, first 2 shown]
	v_mul_f64_e32 v[95:96], v[21:22], v[33:34]
	v_add_f64_e32 v[65:66], v[83:84], v[97:98]
	v_add_f64_e32 v[67:68], v[101:102], v[85:86]
	;; [unrolled: 1-line block ×8, first 2 shown]
	v_mul_f64_e32 v[85:86], v[21:22], v[29:30]
	v_mul_f64_e32 v[87:88], v[19:20], v[29:30]
	;; [unrolled: 1-line block ×7, first 2 shown]
	v_fma_f64 v[81:82], v[1:2], v[45:46], -v[81:82]
	v_fma_f64 v[103:104], v[3:4], v[45:46], v[107:108]
	v_fma_f64 v[1:2], v[1:2], v[49:50], -v[109:110]
	v_fma_f64 v[3:4], v[3:4], v[49:50], v[111:112]
	;; [unrolled: 2-line block ×4, first 2 shown]
	v_add_f64_e32 v[51:52], v[65:66], v[89:90]
	v_add_f64_e32 v[65:66], v[91:92], v[67:68]
	;; [unrolled: 1-line block ×8, first 2 shown]
	v_fma_f64 v[61:62], v[19:20], v[27:28], -v[85:86]
	v_fma_f64 v[69:70], v[21:22], v[27:28], v[87:88]
	v_fma_f64 v[19:20], v[19:20], v[31:32], -v[95:96]
	v_fma_f64 v[21:22], v[21:22], v[31:32], v[97:98]
	;; [unrolled: 2-line block ×4, first 2 shown]
	v_add_f64_e32 v[23:24], v[51:52], v[81:82]
	v_add_f64_e32 v[25:26], v[103:104], v[65:66]
	;; [unrolled: 1-line block ×16, first 2 shown]
	s_cbranch_scc0 .LBB407_16
.LBB407_10:                             ;   Parent Loop BB407_7 Depth=1
                                        ; =>  This Inner Loop Header: Depth=2
	s_wait_alu 0xfffe
	v_add_nc_u32_e32 v1, s20, v38
	s_delay_alu instid0(VALU_DEP_1)
	v_cmp_le_i32_e32 vcc_lo, s23, v1
	s_or_b32 s21, s30, vcc_lo
	s_wait_alu 0xfffe
	s_and_saveexec_b32 s31, s21
	s_wait_alu 0xfffe
	s_xor_b32 s21, exec_lo, s31
; %bb.11:                               ;   in Loop: Header=BB407_10 Depth=2
	v_dual_mov_b32 v1, v0 :: v_dual_mov_b32 v2, v0
	v_mov_b32_e32 v3, v0
	ds_store_b128 v39, v[0:3]
; %bb.12:                               ;   in Loop: Header=BB407_10 Depth=2
	s_wait_alu 0xfffe
	s_and_not1_saveexec_b32 s21, s21
	s_cbranch_execz .LBB407_14
; %bb.13:                               ;   in Loop: Header=BB407_10 Depth=2
	flat_load_b128 v[1:4], v[15:16]
	s_wait_loadcnt_dscnt 0x0
	ds_store_2addr_b64 v39, v[1:2], v[3:4] offset1:1
.LBB407_14:                             ;   in Loop: Header=BB407_10 Depth=2
	s_wait_alu 0xfffe
	s_or_b32 exec_lo, exec_lo, s21
	v_add_nc_u32_e32 v1, s20, v35
	v_mov_b32_e32 v3, 0
	v_mov_b32_e32 v4, 0
	s_delay_alu instid0(VALU_DEP_3)
	v_cmp_gt_i32_e32 vcc_lo, s23, v1
	v_mov_b32_e32 v1, 0
	v_mov_b32_e32 v2, 0
	s_and_b32 s31, vcc_lo, s0
	s_wait_alu 0xfffe
	s_and_saveexec_b32 s21, s31
	s_cbranch_execz .LBB407_9
; %bb.15:                               ;   in Loop: Header=BB407_10 Depth=2
	flat_load_b128 v[1:4], v[17:18] offset:-8
	s_wait_loadcnt_dscnt 0x0
	v_xor_b32_e32 v4, 0x80000000, v4
	s_branch .LBB407_9
.LBB407_16:                             ;   in Loop: Header=BB407_7 Depth=1
	s_wait_loadcnt 0x0
	v_add_co_u32 v13, vcc_lo, v13, s4
	s_wait_alu 0xfffd
	v_add_co_ci_u32_e64 v14, null, s5, v14, vcc_lo
	s_delay_alu instid0(VALU_DEP_2) | instskip(SKIP_1) | instid1(VALU_DEP_2)
	v_add_co_u32 v15, vcc_lo, v13, v9
	s_wait_alu 0xfffd
	v_add_co_ci_u32_e64 v16, null, v14, v10, vcc_lo
	s_and_saveexec_b32 s20, s33
	s_cbranch_execz .LBB407_21
; %bb.17:                               ;   in Loop: Header=BB407_7 Depth=1
	v_mul_f64_e32 v[1:2], s[14:15], v[33:34]
	v_mul_f64_e32 v[3:4], s[12:13], v[33:34]
	s_and_b32 vcc_lo, exec_lo, s22
	s_mov_b32 s21, -1
	s_delay_alu instid0(VALU_DEP_2) | instskip(NEXT) | instid1(VALU_DEP_2)
	v_fma_f64 v[1:2], s[12:13], v[31:32], -v[1:2]
	v_fma_f64 v[3:4], s[14:15], v[31:32], v[3:4]
	s_wait_alu 0xfffe
	s_cbranch_vccz .LBB407_19
; %bb.18:                               ;   in Loop: Header=BB407_7 Depth=1
	v_lshlrev_b64_e32 v[17:18], 4, v[5:6]
	s_mov_b32 s21, 0
	s_delay_alu instid0(VALU_DEP_1) | instskip(SKIP_1) | instid1(VALU_DEP_2)
	v_add_co_u32 v17, vcc_lo, v15, v17
	s_wait_alu 0xfffd
	v_add_co_ci_u32_e64 v18, null, v16, v18, vcc_lo
	flat_load_b128 v[31:34], v[17:18]
	s_wait_loadcnt_dscnt 0x0
	v_mul_f64_e32 v[45:46], s[10:11], v[33:34]
	v_mul_f64_e32 v[33:34], s[8:9], v[33:34]
	s_delay_alu instid0(VALU_DEP_2) | instskip(NEXT) | instid1(VALU_DEP_2)
	v_fma_f64 v[45:46], s[8:9], v[31:32], -v[45:46]
	v_fma_f64 v[33:34], s[10:11], v[31:32], v[33:34]
	s_delay_alu instid0(VALU_DEP_2) | instskip(NEXT) | instid1(VALU_DEP_2)
	v_add_f64_e32 v[31:32], v[1:2], v[45:46]
	v_add_f64_e32 v[33:34], v[3:4], v[33:34]
	flat_store_b128 v[17:18], v[31:34]
.LBB407_19:                             ;   in Loop: Header=BB407_7 Depth=1
	s_wait_alu 0xfffe
	s_and_not1_b32 vcc_lo, exec_lo, s21
	s_wait_alu 0xfffe
	s_cbranch_vccnz .LBB407_21
; %bb.20:                               ;   in Loop: Header=BB407_7 Depth=1
	v_lshlrev_b64_e32 v[17:18], 4, v[5:6]
	s_delay_alu instid0(VALU_DEP_1) | instskip(SKIP_1) | instid1(VALU_DEP_2)
	v_add_co_u32 v17, vcc_lo, v15, v17
	s_wait_alu 0xfffd
	v_add_co_ci_u32_e64 v18, null, v16, v18, vcc_lo
	flat_store_b128 v[17:18], v[1:4]
.LBB407_21:                             ;   in Loop: Header=BB407_7 Depth=1
	s_wait_alu 0xfffe
	s_or_b32 exec_lo, exec_lo, s20
	s_and_saveexec_b32 s20, s36
	s_cbranch_execz .LBB407_26
; %bb.22:                               ;   in Loop: Header=BB407_7 Depth=1
	v_mul_f64_e32 v[1:2], s[14:15], v[29:30]
	v_mul_f64_e32 v[3:4], s[12:13], v[29:30]
	s_and_not1_b32 vcc_lo, exec_lo, s22
	s_mov_b32 s21, -1
	s_delay_alu instid0(VALU_DEP_2) | instskip(NEXT) | instid1(VALU_DEP_2)
	v_fma_f64 v[1:2], s[12:13], v[27:28], -v[1:2]
	v_fma_f64 v[3:4], s[14:15], v[27:28], v[3:4]
	s_wait_alu 0xfffe
	s_cbranch_vccnz .LBB407_24
; %bb.23:                               ;   in Loop: Header=BB407_7 Depth=1
	v_lshlrev_b64_e32 v[17:18], 4, v[7:8]
	s_mov_b32 s21, 0
	s_delay_alu instid0(VALU_DEP_1) | instskip(SKIP_1) | instid1(VALU_DEP_2)
	v_add_co_u32 v17, vcc_lo, v15, v17
	s_wait_alu 0xfffd
	v_add_co_ci_u32_e64 v18, null, v16, v18, vcc_lo
	flat_load_b128 v[27:30], v[17:18]
	s_wait_loadcnt_dscnt 0x0
	v_mul_f64_e32 v[31:32], s[10:11], v[29:30]
	v_mul_f64_e32 v[29:30], s[8:9], v[29:30]
	s_delay_alu instid0(VALU_DEP_2) | instskip(NEXT) | instid1(VALU_DEP_2)
	v_fma_f64 v[31:32], s[8:9], v[27:28], -v[31:32]
	v_fma_f64 v[29:30], s[10:11], v[27:28], v[29:30]
	s_delay_alu instid0(VALU_DEP_2) | instskip(NEXT) | instid1(VALU_DEP_2)
	v_add_f64_e32 v[27:28], v[1:2], v[31:32]
	v_add_f64_e32 v[29:30], v[3:4], v[29:30]
	flat_store_b128 v[17:18], v[27:30]
.LBB407_24:                             ;   in Loop: Header=BB407_7 Depth=1
	s_wait_alu 0xfffe
	s_and_not1_b32 vcc_lo, exec_lo, s21
	s_wait_alu 0xfffe
	s_cbranch_vccnz .LBB407_26
; %bb.25:                               ;   in Loop: Header=BB407_7 Depth=1
	v_lshlrev_b64_e32 v[17:18], 4, v[7:8]
	s_delay_alu instid0(VALU_DEP_1) | instskip(SKIP_1) | instid1(VALU_DEP_2)
	v_add_co_u32 v15, vcc_lo, v15, v17
	s_wait_alu 0xfffd
	v_add_co_ci_u32_e64 v16, null, v16, v18, vcc_lo
	flat_store_b128 v[15:16], v[1:4]
.LBB407_26:                             ;   in Loop: Header=BB407_7 Depth=1
	s_wait_alu 0xfffe
	s_or_b32 exec_lo, exec_lo, s20
	v_add_co_u32 v15, vcc_lo, v13, v11
	s_wait_alu 0xfffd
	v_add_co_ci_u32_e64 v16, null, v14, v12, vcc_lo
	s_and_saveexec_b32 s20, s26
	s_cbranch_execz .LBB407_31
; %bb.27:                               ;   in Loop: Header=BB407_7 Depth=1
	v_mul_f64_e32 v[1:2], s[14:15], v[25:26]
	v_mul_f64_e32 v[3:4], s[12:13], v[25:26]
	v_lshlrev_b64_e32 v[13:14], 4, v[5:6]
	s_and_not1_b32 vcc_lo, exec_lo, s22
	s_mov_b32 s21, -1
	s_delay_alu instid0(VALU_DEP_3) | instskip(NEXT) | instid1(VALU_DEP_3)
	v_fma_f64 v[1:2], s[12:13], v[23:24], -v[1:2]
	v_fma_f64 v[3:4], s[14:15], v[23:24], v[3:4]
	s_wait_alu 0xfffe
	s_cbranch_vccnz .LBB407_29
; %bb.28:                               ;   in Loop: Header=BB407_7 Depth=1
	v_add_co_u32 v17, vcc_lo, v15, v13
	s_wait_alu 0xfffd
	v_add_co_ci_u32_e64 v18, null, v16, v14, vcc_lo
	s_mov_b32 s21, 0
	flat_load_b128 v[23:26], v[17:18]
	s_wait_loadcnt_dscnt 0x0
	v_mul_f64_e32 v[27:28], s[10:11], v[25:26]
	v_mul_f64_e32 v[25:26], s[8:9], v[25:26]
	s_delay_alu instid0(VALU_DEP_2) | instskip(NEXT) | instid1(VALU_DEP_2)
	v_fma_f64 v[27:28], s[8:9], v[23:24], -v[27:28]
	v_fma_f64 v[25:26], s[10:11], v[23:24], v[25:26]
	s_delay_alu instid0(VALU_DEP_2) | instskip(NEXT) | instid1(VALU_DEP_2)
	v_add_f64_e32 v[23:24], v[1:2], v[27:28]
	v_add_f64_e32 v[25:26], v[3:4], v[25:26]
	flat_store_b128 v[17:18], v[23:26]
.LBB407_29:                             ;   in Loop: Header=BB407_7 Depth=1
	s_wait_alu 0xfffe
	s_and_not1_b32 vcc_lo, exec_lo, s21
	s_wait_alu 0xfffe
	s_cbranch_vccnz .LBB407_31
; %bb.30:                               ;   in Loop: Header=BB407_7 Depth=1
	v_add_co_u32 v13, vcc_lo, v15, v13
	s_wait_alu 0xfffd
	v_add_co_ci_u32_e64 v14, null, v16, v14, vcc_lo
	flat_store_b128 v[13:14], v[1:4]
.LBB407_31:                             ;   in Loop: Header=BB407_7 Depth=1
	s_wait_alu 0xfffe
	s_or_b32 exec_lo, exec_lo, s20
	s_and_saveexec_b32 s20, s37
	s_cbranch_execz .LBB407_6
; %bb.32:                               ;   in Loop: Header=BB407_7 Depth=1
	v_mul_f64_e32 v[1:2], s[14:15], v[19:20]
	v_mul_f64_e32 v[3:4], s[12:13], v[19:20]
	v_lshlrev_b64_e32 v[13:14], 4, v[7:8]
	s_and_not1_b32 vcc_lo, exec_lo, s22
	s_mov_b32 s21, -1
	s_delay_alu instid0(VALU_DEP_3) | instskip(NEXT) | instid1(VALU_DEP_3)
	v_fma_f64 v[1:2], s[12:13], v[21:22], -v[1:2]
	v_fma_f64 v[3:4], s[14:15], v[21:22], v[3:4]
	s_wait_alu 0xfffe
	s_cbranch_vccnz .LBB407_34
; %bb.33:                               ;   in Loop: Header=BB407_7 Depth=1
	v_add_co_u32 v21, vcc_lo, v15, v13
	s_wait_alu 0xfffd
	v_add_co_ci_u32_e64 v22, null, v16, v14, vcc_lo
	s_mov_b32 s21, 0
	flat_load_b128 v[17:20], v[21:22]
	s_wait_loadcnt_dscnt 0x0
	v_mul_f64_e32 v[23:24], s[10:11], v[19:20]
	v_mul_f64_e32 v[19:20], s[8:9], v[19:20]
	s_delay_alu instid0(VALU_DEP_2) | instskip(NEXT) | instid1(VALU_DEP_2)
	v_fma_f64 v[23:24], s[8:9], v[17:18], -v[23:24]
	v_fma_f64 v[19:20], s[10:11], v[17:18], v[19:20]
	s_delay_alu instid0(VALU_DEP_2) | instskip(NEXT) | instid1(VALU_DEP_2)
	v_add_f64_e32 v[17:18], v[1:2], v[23:24]
	v_add_f64_e32 v[19:20], v[3:4], v[19:20]
	flat_store_b128 v[21:22], v[17:20]
.LBB407_34:                             ;   in Loop: Header=BB407_7 Depth=1
	s_wait_alu 0xfffe
	s_and_not1_b32 vcc_lo, exec_lo, s21
	s_wait_alu 0xfffe
	s_cbranch_vccnz .LBB407_6
; %bb.35:                               ;   in Loop: Header=BB407_7 Depth=1
	v_add_co_u32 v13, vcc_lo, v15, v13
	s_wait_alu 0xfffd
	v_add_co_ci_u32_e64 v14, null, v16, v14, vcc_lo
	flat_store_b128 v[13:14], v[1:4]
	s_branch .LBB407_6
.LBB407_36:
.LBB407_37:
	s_nop 0
	s_sendmsg sendmsg(MSG_DEALLOC_VGPRS)
	s_endpgm
	.section	.rodata,"a",@progbits
	.p2align	6, 0x0
	.amdhsa_kernel _ZL29rocblas_internal_gemmt_kernelIiLi16ELi32ELi8ELc78ELc67ELc76ELb0ELb1E19rocblas_complex_numIdEPKS1_PKS3_PKPS1_EviT_T9_T10_S9_lSB_S9_lSA_T11_S9_li
		.amdhsa_group_segment_fixed_size 8192
		.amdhsa_private_segment_fixed_size 0
		.amdhsa_kernarg_size 100
		.amdhsa_user_sgpr_count 2
		.amdhsa_user_sgpr_dispatch_ptr 0
		.amdhsa_user_sgpr_queue_ptr 0
		.amdhsa_user_sgpr_kernarg_segment_ptr 1
		.amdhsa_user_sgpr_dispatch_id 0
		.amdhsa_user_sgpr_private_segment_size 0
		.amdhsa_wavefront_size32 1
		.amdhsa_uses_dynamic_stack 0
		.amdhsa_enable_private_segment 0
		.amdhsa_system_sgpr_workgroup_id_x 1
		.amdhsa_system_sgpr_workgroup_id_y 1
		.amdhsa_system_sgpr_workgroup_id_z 1
		.amdhsa_system_sgpr_workgroup_info 0
		.amdhsa_system_vgpr_workitem_id 1
		.amdhsa_next_free_vgpr 133
		.amdhsa_next_free_sgpr 41
		.amdhsa_reserve_vcc 1
		.amdhsa_float_round_mode_32 0
		.amdhsa_float_round_mode_16_64 0
		.amdhsa_float_denorm_mode_32 3
		.amdhsa_float_denorm_mode_16_64 3
		.amdhsa_fp16_overflow 0
		.amdhsa_workgroup_processor_mode 1
		.amdhsa_memory_ordered 1
		.amdhsa_forward_progress 1
		.amdhsa_inst_pref_size 28
		.amdhsa_round_robin_scheduling 0
		.amdhsa_exception_fp_ieee_invalid_op 0
		.amdhsa_exception_fp_denorm_src 0
		.amdhsa_exception_fp_ieee_div_zero 0
		.amdhsa_exception_fp_ieee_overflow 0
		.amdhsa_exception_fp_ieee_underflow 0
		.amdhsa_exception_fp_ieee_inexact 0
		.amdhsa_exception_int_div_zero 0
	.end_amdhsa_kernel
	.section	.text._ZL29rocblas_internal_gemmt_kernelIiLi16ELi32ELi8ELc78ELc67ELc76ELb0ELb1E19rocblas_complex_numIdEPKS1_PKS3_PKPS1_EviT_T9_T10_S9_lSB_S9_lSA_T11_S9_li,"axG",@progbits,_ZL29rocblas_internal_gemmt_kernelIiLi16ELi32ELi8ELc78ELc67ELc76ELb0ELb1E19rocblas_complex_numIdEPKS1_PKS3_PKPS1_EviT_T9_T10_S9_lSB_S9_lSA_T11_S9_li,comdat
.Lfunc_end407:
	.size	_ZL29rocblas_internal_gemmt_kernelIiLi16ELi32ELi8ELc78ELc67ELc76ELb0ELb1E19rocblas_complex_numIdEPKS1_PKS3_PKPS1_EviT_T9_T10_S9_lSB_S9_lSA_T11_S9_li, .Lfunc_end407-_ZL29rocblas_internal_gemmt_kernelIiLi16ELi32ELi8ELc78ELc67ELc76ELb0ELb1E19rocblas_complex_numIdEPKS1_PKS3_PKPS1_EviT_T9_T10_S9_lSB_S9_lSA_T11_S9_li
                                        ; -- End function
	.set _ZL29rocblas_internal_gemmt_kernelIiLi16ELi32ELi8ELc78ELc67ELc76ELb0ELb1E19rocblas_complex_numIdEPKS1_PKS3_PKPS1_EviT_T9_T10_S9_lSB_S9_lSA_T11_S9_li.num_vgpr, 133
	.set _ZL29rocblas_internal_gemmt_kernelIiLi16ELi32ELi8ELc78ELc67ELc76ELb0ELb1E19rocblas_complex_numIdEPKS1_PKS3_PKPS1_EviT_T9_T10_S9_lSB_S9_lSA_T11_S9_li.num_agpr, 0
	.set _ZL29rocblas_internal_gemmt_kernelIiLi16ELi32ELi8ELc78ELc67ELc76ELb0ELb1E19rocblas_complex_numIdEPKS1_PKS3_PKPS1_EviT_T9_T10_S9_lSB_S9_lSA_T11_S9_li.numbered_sgpr, 41
	.set _ZL29rocblas_internal_gemmt_kernelIiLi16ELi32ELi8ELc78ELc67ELc76ELb0ELb1E19rocblas_complex_numIdEPKS1_PKS3_PKPS1_EviT_T9_T10_S9_lSB_S9_lSA_T11_S9_li.num_named_barrier, 0
	.set _ZL29rocblas_internal_gemmt_kernelIiLi16ELi32ELi8ELc78ELc67ELc76ELb0ELb1E19rocblas_complex_numIdEPKS1_PKS3_PKPS1_EviT_T9_T10_S9_lSB_S9_lSA_T11_S9_li.private_seg_size, 0
	.set _ZL29rocblas_internal_gemmt_kernelIiLi16ELi32ELi8ELc78ELc67ELc76ELb0ELb1E19rocblas_complex_numIdEPKS1_PKS3_PKPS1_EviT_T9_T10_S9_lSB_S9_lSA_T11_S9_li.uses_vcc, 1
	.set _ZL29rocblas_internal_gemmt_kernelIiLi16ELi32ELi8ELc78ELc67ELc76ELb0ELb1E19rocblas_complex_numIdEPKS1_PKS3_PKPS1_EviT_T9_T10_S9_lSB_S9_lSA_T11_S9_li.uses_flat_scratch, 0
	.set _ZL29rocblas_internal_gemmt_kernelIiLi16ELi32ELi8ELc78ELc67ELc76ELb0ELb1E19rocblas_complex_numIdEPKS1_PKS3_PKPS1_EviT_T9_T10_S9_lSB_S9_lSA_T11_S9_li.has_dyn_sized_stack, 0
	.set _ZL29rocblas_internal_gemmt_kernelIiLi16ELi32ELi8ELc78ELc67ELc76ELb0ELb1E19rocblas_complex_numIdEPKS1_PKS3_PKPS1_EviT_T9_T10_S9_lSB_S9_lSA_T11_S9_li.has_recursion, 0
	.set _ZL29rocblas_internal_gemmt_kernelIiLi16ELi32ELi8ELc78ELc67ELc76ELb0ELb1E19rocblas_complex_numIdEPKS1_PKS3_PKPS1_EviT_T9_T10_S9_lSB_S9_lSA_T11_S9_li.has_indirect_call, 0
	.section	.AMDGPU.csdata,"",@progbits
; Kernel info:
; codeLenInByte = 3480
; TotalNumSgprs: 43
; NumVgprs: 133
; ScratchSize: 0
; MemoryBound: 1
; FloatMode: 240
; IeeeMode: 1
; LDSByteSize: 8192 bytes/workgroup (compile time only)
; SGPRBlocks: 0
; VGPRBlocks: 16
; NumSGPRsForWavesPerEU: 43
; NumVGPRsForWavesPerEU: 133
; Occupancy: 10
; WaveLimiterHint : 1
; COMPUTE_PGM_RSRC2:SCRATCH_EN: 0
; COMPUTE_PGM_RSRC2:USER_SGPR: 2
; COMPUTE_PGM_RSRC2:TRAP_HANDLER: 0
; COMPUTE_PGM_RSRC2:TGID_X_EN: 1
; COMPUTE_PGM_RSRC2:TGID_Y_EN: 1
; COMPUTE_PGM_RSRC2:TGID_Z_EN: 1
; COMPUTE_PGM_RSRC2:TIDIG_COMP_CNT: 1
	.section	.text._ZL29rocblas_internal_gemmt_kernelIiLi16ELi32ELi8ELc84ELc78ELc76ELb0ELb0E19rocblas_complex_numIdEPKS1_PKS3_PKPS1_EviT_T9_T10_S9_lSB_S9_lSA_T11_S9_li,"axG",@progbits,_ZL29rocblas_internal_gemmt_kernelIiLi16ELi32ELi8ELc84ELc78ELc76ELb0ELb0E19rocblas_complex_numIdEPKS1_PKS3_PKPS1_EviT_T9_T10_S9_lSB_S9_lSA_T11_S9_li,comdat
	.globl	_ZL29rocblas_internal_gemmt_kernelIiLi16ELi32ELi8ELc84ELc78ELc76ELb0ELb0E19rocblas_complex_numIdEPKS1_PKS3_PKPS1_EviT_T9_T10_S9_lSB_S9_lSA_T11_S9_li ; -- Begin function _ZL29rocblas_internal_gemmt_kernelIiLi16ELi32ELi8ELc84ELc78ELc76ELb0ELb0E19rocblas_complex_numIdEPKS1_PKS3_PKPS1_EviT_T9_T10_S9_lSB_S9_lSA_T11_S9_li
	.p2align	8
	.type	_ZL29rocblas_internal_gemmt_kernelIiLi16ELi32ELi8ELc84ELc78ELc76ELb0ELb0E19rocblas_complex_numIdEPKS1_PKS3_PKPS1_EviT_T9_T10_S9_lSB_S9_lSA_T11_S9_li,@function
_ZL29rocblas_internal_gemmt_kernelIiLi16ELi32ELi8ELc84ELc78ELc76ELb0ELb0E19rocblas_complex_numIdEPKS1_PKS3_PKPS1_EviT_T9_T10_S9_lSB_S9_lSA_T11_S9_li: ; @_ZL29rocblas_internal_gemmt_kernelIiLi16ELi32ELi8ELc84ELc78ELc76ELb0ELb0E19rocblas_complex_numIdEPKS1_PKS3_PKPS1_EviT_T9_T10_S9_lSB_S9_lSA_T11_S9_li
; %bb.0:
	s_load_b128 s[20:23], s[0:1], 0x38
	s_wait_kmcnt 0x0
	s_load_b128 s[8:11], s[22:23], 0x0
	s_clause 0x1
	s_load_b128 s[4:7], s[0:1], 0x8
	s_load_b64 s[22:23], s[0:1], 0x0
	s_wait_kmcnt 0x0
	s_load_b128 s[12:15], s[4:5], 0x0
	v_cmp_eq_f64_e64 s2, s[8:9], 1.0
	v_cmp_eq_f64_e64 s27, s[10:11], 0
	s_and_b32 s2, s2, s27
	s_delay_alu instid0(SALU_CYCLE_1)
	s_and_not1_b32 vcc_lo, exec_lo, s2
	s_mov_b32 s2, -1
	s_cbranch_vccnz .LBB408_3
; %bb.1:
	s_cmp_lg_u32 s23, 0
	s_cbranch_scc0 .LBB408_38
; %bb.2:
	s_wait_kmcnt 0x0
	v_cmp_neq_f64_e64 s2, s[12:13], 0
	v_cmp_neq_f64_e64 s3, s[14:15], 0
	s_or_b32 s2, s2, s3
.LBB408_3:
	s_delay_alu instid0(SALU_CYCLE_1)
	s_and_b32 vcc_lo, exec_lo, s2
	s_cbranch_vccz .LBB408_39
; %bb.4:
	s_load_b32 s5, s[0:1], 0x60
	s_lshr_b32 s28, ttmp7, 16
	s_wait_kmcnt 0x0
	s_cmp_ge_u32 s28, s5
	s_cbranch_scc1 .LBB408_39
; %bb.5:
	v_cmp_neq_f64_e64 s30, s[12:13], 0
	v_cmp_neq_f64_e64 s31, s[14:15], 0
	v_and_b32_e32 v1, 0x3ff, v0
	v_bfe_u32 v2, v0, 10, 10
	s_clause 0x4
	s_load_b32 s36, s[0:1], 0x18
	s_load_b128 s[16:19], s[0:1], 0x20
	s_load_b32 s37, s[0:1], 0x30
	s_load_b96 s[24:26], s[0:1], 0x48
	s_load_b64 s[34:35], s[0:1], 0x58
	v_and_b32_e32 v35, 7, v0
	s_lshl_b32 s1, ttmp9, 5
	v_lshlrev_b32_e32 v36, 4, v1
	v_lshl_add_u32 v0, v2, 4, v1
	v_add_nc_u32_e32 v5, s1, v1
	v_lshlrev_b32_e32 v13, 4, v35
	v_cmp_neq_f64_e64 s33, s[8:9], 0
	s_lshl_b32 s0, ttmp7, 5
	v_lshrrev_b32_e32 v38, 5, v0
	v_and_b32_e32 v1, 31, v0
	v_lshrrev_b32_e32 v0, 3, v0
	s_wait_alu 0xfffe
	s_and_b32 s2, s0, 0x1fffe0
	v_add_nc_u32_e32 v7, 16, v5
	v_add_nc_u32_e32 v3, s2, v2
	v_or_b32_e32 v4, s1, v1
	v_add_nc_u32_e32 v9, s2, v0
	v_lshlrev_b32_e32 v1, 4, v1
	v_lshl_or_b32 v0, v0, 7, v13
	v_lshl_add_u32 v37, v2, 7, 0x1000
	v_cmp_le_i32_e32 vcc_lo, v3, v5
	v_cmp_le_i32_e64 s1, v3, v7
	v_cmp_gt_i32_e64 s3, s22, v4
	v_lshl_or_b32 v39, v38, 9, v1
	v_add_nc_u32_e32 v40, 0x1000, v0
	s_wait_kmcnt 0x0
	v_mad_co_i64_i32 v[1:2], null, v3, s26, 0
	v_add_nc_u32_e32 v0, 16, v3
	v_mad_co_i64_i32 v[3:4], null, s36, v4, 0
	v_cmp_gt_i32_e64 s0, s22, v5
	v_cmp_gt_i32_e64 s2, s22, v7
	;; [unrolled: 1-line block ×3, first 2 shown]
	v_mad_co_i64_i32 v[9:10], null, s37, v9, 0
	s_or_b32 s38, s30, s31
	s_cmp_gt_i32 s23, 0
	v_lshlrev_b64_e32 v[3:4], 4, v[3:4]
	s_cselect_b32 s39, -1, 0
	s_xor_b32 s22, s27, -1
	s_and_b32 s27, vcc_lo, s0
	s_and_b32 s30, s1, s2
	v_cmp_le_i32_e32 vcc_lo, v0, v5
	v_cmp_le_i32_e64 s1, v0, v7
	v_mad_co_i64_i32 v[11:12], null, v0, s26, 0
	v_lshlrev_b64_e32 v[9:10], 4, v[9:10]
	s_and_b32 s26, vcc_lo, s0
	s_delay_alu instid0(VALU_DEP_3) | instskip(SKIP_4) | instid1(VALU_DEP_1)
	s_and_b32 s31, s1, s2
	s_lshl_b64 s[0:1], s[16:17], 4
	v_lshlrev_b32_e32 v14, 4, v38
	s_wait_alu 0xfffe
	v_add_co_u32 v3, vcc_lo, v3, s0
	v_add_co_ci_u32_e64 v4, null, s1, v4, vcc_lo
	s_lshl_b64 s[0:1], s[20:21], 4
	v_lshlrev_b64_e32 v[11:12], 4, v[11:12]
	s_wait_alu 0xfffe
	v_add_co_u32 v9, vcc_lo, v9, s0
	s_wait_alu 0xfffd
	v_add_co_ci_u32_e64 v10, null, s1, v10, vcc_lo
	v_add_co_u32 v41, vcc_lo, v3, v14
	s_wait_alu 0xfffd
	v_add_co_ci_u32_e64 v42, null, 0, v4, vcc_lo
	;; [unrolled: 3-line block ×3, first 2 shown]
	v_lshlrev_b64_e32 v[9:10], 4, v[1:2]
	v_ashrrev_i32_e32 v6, 31, v5
	v_ashrrev_i32_e32 v8, 31, v7
	v_mov_b32_e32 v0, 0
	s_mov_b32 s29, 0
	s_or_b32 s22, s33, s22
	s_and_b32 s16, s38, s39
	s_xor_b32 s17, s3, -1
	s_xor_b32 s4, s4, -1
	s_lshl_b64 s[0:1], s[34:35], 4
	s_branch .LBB408_7
.LBB408_6:                              ;   in Loop: Header=BB408_7 Depth=1
	s_wait_alu 0xfffe
	s_or_b32 exec_lo, exec_lo, s2
	s_add_co_i32 s28, s28, 0x10000
	s_delay_alu instid0(SALU_CYCLE_1)
	s_cmp_lt_u32 s28, s5
	s_cbranch_scc0 .LBB408_39
.LBB408_7:                              ; =>This Loop Header: Depth=1
                                        ;     Child Loop BB408_10 Depth 2
	s_lshl_b64 s[2:3], s[28:29], 3
	v_mov_b32_e32 v31, 0
	s_wait_alu 0xfffe
	s_add_nc_u64 s[20:21], s[24:25], s[2:3]
	v_mov_b32_e32 v27, 0
	global_load_b64 v[13:14], v0, s[20:21]
	v_mov_b32_e32 v23, 0
	v_dual_mov_b32 v21, 0 :: v_dual_mov_b32 v32, 0
	v_dual_mov_b32 v33, 0 :: v_dual_mov_b32 v28, 0
	;; [unrolled: 1-line block ×5, first 2 shown]
	v_mov_b32_e32 v30, 0
	v_mov_b32_e32 v26, 0
	;; [unrolled: 1-line block ×3, first 2 shown]
	s_and_not1_b32 vcc_lo, exec_lo, s16
	s_wait_alu 0xfffe
	s_cbranch_vccnz .LBB408_18
; %bb.8:                                ;   in Loop: Header=BB408_7 Depth=1
	s_add_nc_u64 s[20:21], s[6:7], s[2:3]
	s_add_nc_u64 s[2:3], s[18:19], s[2:3]
	s_clause 0x1
	global_load_b64 v[1:2], v0, s[20:21]
	global_load_b64 v[3:4], v0, s[2:3]
	v_mov_b32_e32 v19, 0
	v_mov_b32_e32 v25, 0
	;; [unrolled: 1-line block ×3, first 2 shown]
	v_dual_mov_b32 v33, 0 :: v_dual_mov_b32 v20, 0
	v_dual_mov_b32 v21, 0 :: v_dual_mov_b32 v26, 0
	;; [unrolled: 1-line block ×5, first 2 shown]
	v_mov_b32_e32 v24, 0
	v_mov_b32_e32 v28, 0
	;; [unrolled: 1-line block ×3, first 2 shown]
	s_mov_b32 s2, 0
	s_wait_loadcnt 0x1
	v_add_co_u32 v15, vcc_lo, v1, v41
	s_wait_alu 0xfffd
	v_add_co_ci_u32_e64 v16, null, v2, v42, vcc_lo
	s_wait_loadcnt 0x0
	v_add_co_u32 v17, vcc_lo, v3, v43
	s_wait_alu 0xfffd
	v_add_co_ci_u32_e64 v18, null, v4, v44, vcc_lo
	s_branch .LBB408_10
.LBB408_9:                              ;   in Loop: Header=BB408_10 Depth=2
	s_wait_alu 0xfffe
	s_or_b32 exec_lo, exec_lo, s3
	s_wait_dscnt 0x0
	s_barrier_signal -1
	s_barrier_wait -1
	global_inv scope:SCOPE_SE
	ds_load_b128 v[1:4], v37
	ds_load_b128 v[45:48], v36
	ds_load_b128 v[49:52], v36 offset:256
	ds_load_b128 v[53:56], v37 offset:2048
	;; [unrolled: 1-line block ×10, first 2 shown]
	v_add_co_u32 v15, vcc_lo, 0x80, v15
	s_wait_alu 0xfffd
	v_add_co_ci_u32_e64 v16, null, 0, v16, vcc_lo
	v_add_co_u32 v17, vcc_lo, 0x80, v17
	s_wait_alu 0xfffd
	v_add_co_ci_u32_e64 v18, null, 0, v18, vcc_lo
	s_add_co_i32 s2, s2, 8
	s_wait_alu 0xfffe
	s_cmp_lt_i32 s2, s23
	s_wait_dscnt 0xa
	v_mul_f64_e32 v[89:90], v[3:4], v[47:48]
	v_mul_f64_e32 v[91:92], v[1:2], v[47:48]
	s_wait_dscnt 0x9
	v_mul_f64_e32 v[93:94], v[3:4], v[51:52]
	v_mul_f64_e32 v[95:96], v[1:2], v[51:52]
	;; [unrolled: 3-line block ×3, first 2 shown]
	v_mul_f64_e32 v[99:100], v[55:56], v[51:52]
	v_mul_f64_e32 v[51:52], v[53:54], v[51:52]
	s_wait_dscnt 0x5
	v_mul_f64_e32 v[101:102], v[59:60], v[67:68]
	v_mul_f64_e32 v[103:104], v[57:58], v[67:68]
	s_wait_dscnt 0x4
	v_mul_f64_e32 v[105:106], v[59:60], v[71:72]
	v_mul_f64_e32 v[107:108], v[57:58], v[71:72]
	v_mul_f64_e32 v[109:110], v[63:64], v[67:68]
	v_mul_f64_e32 v[67:68], v[61:62], v[67:68]
	v_mul_f64_e32 v[111:112], v[63:64], v[71:72]
	v_mul_f64_e32 v[71:72], v[61:62], v[71:72]
	s_wait_dscnt 0x2
	v_mul_f64_e32 v[117:118], v[75:76], v[79:80]
	v_mul_f64_e32 v[119:120], v[73:74], v[79:80]
	s_wait_dscnt 0x1
	v_mul_f64_e32 v[121:122], v[75:76], v[83:84]
	v_mul_f64_e32 v[123:124], v[73:74], v[83:84]
	;; [unrolled: 3-line block ×3, first 2 shown]
	v_mul_f64_e32 v[127:128], v[87:88], v[83:84]
	v_mul_f64_e32 v[83:84], v[85:86], v[83:84]
	v_fma_f64 v[89:90], v[1:2], v[45:46], -v[89:90]
	v_fma_f64 v[91:92], v[3:4], v[45:46], v[91:92]
	v_fma_f64 v[93:94], v[1:2], v[49:50], -v[93:94]
	v_fma_f64 v[95:96], v[3:4], v[49:50], v[95:96]
	v_fma_f64 v[97:98], v[53:54], v[45:46], -v[97:98]
	v_fma_f64 v[113:114], v[55:56], v[45:46], v[47:48]
	v_fma_f64 v[99:100], v[53:54], v[49:50], -v[99:100]
	v_fma_f64 v[115:116], v[55:56], v[49:50], v[51:52]
	v_fma_f64 v[101:102], v[57:58], v[65:66], -v[101:102]
	v_fma_f64 v[103:104], v[59:60], v[65:66], v[103:104]
	v_fma_f64 v[57:58], v[57:58], v[69:70], -v[105:106]
	v_fma_f64 v[59:60], v[59:60], v[69:70], v[107:108]
	v_fma_f64 v[105:106], v[61:62], v[65:66], -v[109:110]
	v_fma_f64 v[65:66], v[63:64], v[65:66], v[67:68]
	v_fma_f64 v[61:62], v[61:62], v[69:70], -v[111:112]
	v_fma_f64 v[63:64], v[63:64], v[69:70], v[71:72]
	ds_load_b128 v[1:4], v37 offset:48
	ds_load_b128 v[45:48], v37 offset:2096
	;; [unrolled: 1-line block ×4, first 2 shown]
	v_fma_f64 v[117:118], v[73:74], v[77:78], -v[117:118]
	v_fma_f64 v[119:120], v[75:76], v[77:78], v[119:120]
	v_fma_f64 v[73:74], v[73:74], v[81:82], -v[121:122]
	v_fma_f64 v[75:76], v[75:76], v[81:82], v[123:124]
	;; [unrolled: 2-line block ×4, first 2 shown]
	s_wait_dscnt 0x1
	v_mul_f64_e32 v[107:108], v[1:2], v[51:52]
	s_wait_dscnt 0x0
	v_mul_f64_e32 v[109:110], v[3:4], v[55:56]
	v_mul_f64_e32 v[111:112], v[1:2], v[55:56]
	v_add_f64_e32 v[67:68], v[31:32], v[89:90]
	v_add_f64_e32 v[69:70], v[91:92], v[33:34]
	;; [unrolled: 1-line block ×8, first 2 shown]
	v_mul_f64_e32 v[99:100], v[3:4], v[51:52]
	v_mul_f64_e32 v[113:114], v[47:48], v[51:52]
	;; [unrolled: 1-line block ×5, first 2 shown]
	ds_load_b128 v[19:22], v37 offset:64
	ds_load_b128 v[23:26], v36 offset:2048
	;; [unrolled: 1-line block ×4, first 2 shown]
	s_wait_dscnt 0x0
	v_mul_f64_e32 v[123:124], v[33:34], v[25:26]
	v_mul_f64_e32 v[125:126], v[33:34], v[29:30]
	v_fma_f64 v[107:108], v[3:4], v[49:50], v[107:108]
	v_fma_f64 v[109:110], v[1:2], v[53:54], -v[109:110]
	v_fma_f64 v[111:112], v[3:4], v[53:54], v[111:112]
	v_add_f64_e32 v[83:84], v[67:68], v[101:102]
	v_add_f64_e32 v[85:86], v[103:104], v[69:70]
	;; [unrolled: 1-line block ×8, first 2 shown]
	v_mul_f64_e32 v[97:98], v[21:22], v[25:26]
	v_mul_f64_e32 v[101:102], v[19:20], v[25:26]
	;; [unrolled: 1-line block ×6, first 2 shown]
	v_fma_f64 v[99:100], v[1:2], v[49:50], -v[99:100]
	v_fma_f64 v[113:114], v[45:46], v[49:50], -v[113:114]
	v_fma_f64 v[127:128], v[47:48], v[49:50], v[51:52]
	v_fma_f64 v[115:116], v[45:46], v[53:54], -v[115:116]
	v_fma_f64 v[53:54], v[47:48], v[53:54], v[129:130]
	ds_load_b128 v[55:58], v37 offset:80
	ds_load_b128 v[59:62], v37 offset:2128
	;; [unrolled: 1-line block ×4, first 2 shown]
	v_fma_f64 v[123:124], v[31:32], v[23:24], -v[123:124]
	v_fma_f64 v[125:126], v[31:32], v[27:28], -v[125:126]
	v_add_f64_e32 v[83:84], v[83:84], v[117:118]
	v_add_f64_e32 v[85:86], v[119:120], v[85:86]
	;; [unrolled: 1-line block ×8, first 2 shown]
	s_wait_dscnt 0x1
	v_mul_f64_e32 v[89:90], v[57:58], v[65:66]
	v_mul_f64_e32 v[91:92], v[55:56], v[65:66]
	s_wait_dscnt 0x0
	v_mul_f64_e32 v[93:94], v[57:58], v[69:70]
	v_mul_f64_e32 v[95:96], v[55:56], v[69:70]
	v_mul_f64_e32 v[119:120], v[61:62], v[65:66]
	v_mul_f64_e32 v[65:66], v[59:60], v[65:66]
	v_mul_f64_e32 v[121:122], v[61:62], v[69:70]
	v_mul_f64_e32 v[69:70], v[59:60], v[69:70]
	v_fma_f64 v[97:98], v[19:20], v[23:24], -v[97:98]
	v_fma_f64 v[101:102], v[21:22], v[23:24], v[101:102]
	v_fma_f64 v[103:104], v[19:20], v[27:28], -v[103:104]
	v_fma_f64 v[105:106], v[21:22], v[27:28], v[105:106]
	v_fma_f64 v[129:130], v[33:34], v[23:24], v[25:26]
	;; [unrolled: 1-line block ×3, first 2 shown]
	ds_load_b128 v[1:4], v37 offset:96
	ds_load_b128 v[45:48], v36 offset:3072
	;; [unrolled: 1-line block ×8, first 2 shown]
	s_wait_loadcnt_dscnt 0x0
	s_barrier_signal -1
	s_barrier_wait -1
	global_inv scope:SCOPE_SE
	v_add_f64_e32 v[83:84], v[83:84], v[99:100]
	v_add_f64_e32 v[85:86], v[107:108], v[85:86]
	;; [unrolled: 1-line block ×8, first 2 shown]
	v_mul_f64_e32 v[81:82], v[3:4], v[47:48]
	v_mul_f64_e32 v[107:108], v[1:2], v[47:48]
	;; [unrolled: 1-line block ×8, first 2 shown]
	v_fma_f64 v[89:90], v[55:56], v[63:64], -v[89:90]
	v_fma_f64 v[91:92], v[57:58], v[63:64], v[91:92]
	v_fma_f64 v[55:56], v[55:56], v[67:68], -v[93:94]
	v_fma_f64 v[57:58], v[57:58], v[67:68], v[95:96]
	;; [unrolled: 2-line block ×4, first 2 shown]
	v_mul_f64_e32 v[95:96], v[21:22], v[33:34]
	v_add_f64_e32 v[65:66], v[83:84], v[97:98]
	v_add_f64_e32 v[67:68], v[101:102], v[85:86]
	;; [unrolled: 1-line block ×8, first 2 shown]
	v_mul_f64_e32 v[85:86], v[21:22], v[29:30]
	v_mul_f64_e32 v[87:88], v[19:20], v[29:30]
	;; [unrolled: 1-line block ×7, first 2 shown]
	v_fma_f64 v[81:82], v[1:2], v[45:46], -v[81:82]
	v_fma_f64 v[103:104], v[3:4], v[45:46], v[107:108]
	v_fma_f64 v[1:2], v[1:2], v[49:50], -v[109:110]
	v_fma_f64 v[3:4], v[3:4], v[49:50], v[111:112]
	;; [unrolled: 2-line block ×4, first 2 shown]
	v_add_f64_e32 v[51:52], v[65:66], v[89:90]
	v_add_f64_e32 v[65:66], v[91:92], v[67:68]
	;; [unrolled: 1-line block ×8, first 2 shown]
	v_fma_f64 v[61:62], v[19:20], v[27:28], -v[85:86]
	v_fma_f64 v[69:70], v[21:22], v[27:28], v[87:88]
	v_fma_f64 v[19:20], v[19:20], v[31:32], -v[95:96]
	v_fma_f64 v[21:22], v[21:22], v[31:32], v[97:98]
	;; [unrolled: 2-line block ×4, first 2 shown]
	v_add_f64_e32 v[23:24], v[51:52], v[81:82]
	v_add_f64_e32 v[25:26], v[103:104], v[65:66]
	;; [unrolled: 1-line block ×16, first 2 shown]
	s_cbranch_scc0 .LBB408_18
.LBB408_10:                             ;   Parent Loop BB408_7 Depth=1
                                        ; =>  This Inner Loop Header: Depth=2
	s_wait_alu 0xfffe
	v_add_nc_u32_e32 v1, s2, v38
	s_delay_alu instid0(VALU_DEP_1) | instskip(SKIP_3) | instid1(SALU_CYCLE_1)
	v_cmp_le_i32_e32 vcc_lo, s23, v1
	s_or_b32 s3, s17, vcc_lo
	s_wait_alu 0xfffe
	s_and_saveexec_b32 s20, s3
	s_xor_b32 s3, exec_lo, s20
; %bb.11:                               ;   in Loop: Header=BB408_10 Depth=2
	v_dual_mov_b32 v1, v0 :: v_dual_mov_b32 v2, v0
	v_mov_b32_e32 v3, v0
	ds_store_b128 v39, v[0:3]
; %bb.12:                               ;   in Loop: Header=BB408_10 Depth=2
	s_wait_alu 0xfffe
	s_and_not1_saveexec_b32 s3, s3
	s_cbranch_execz .LBB408_14
; %bb.13:                               ;   in Loop: Header=BB408_10 Depth=2
	flat_load_b128 v[1:4], v[15:16]
	s_wait_loadcnt_dscnt 0x0
	ds_store_2addr_b64 v39, v[1:2], v[3:4] offset1:1
.LBB408_14:                             ;   in Loop: Header=BB408_10 Depth=2
	s_wait_alu 0xfffe
	s_or_b32 exec_lo, exec_lo, s3
	v_add_nc_u32_e32 v1, s2, v35
	s_delay_alu instid0(VALU_DEP_1) | instskip(SKIP_3) | instid1(SALU_CYCLE_1)
	v_cmp_le_i32_e32 vcc_lo, s23, v1
	s_or_b32 s3, vcc_lo, s4
	s_wait_alu 0xfffe
	s_and_saveexec_b32 s20, s3
	s_xor_b32 s3, exec_lo, s20
; %bb.15:                               ;   in Loop: Header=BB408_10 Depth=2
	v_dual_mov_b32 v1, v0 :: v_dual_mov_b32 v2, v0
	v_mov_b32_e32 v3, v0
	ds_store_b128 v40, v[0:3]
; %bb.16:                               ;   in Loop: Header=BB408_10 Depth=2
	s_wait_alu 0xfffe
	s_and_not1_saveexec_b32 s3, s3
	s_cbranch_execz .LBB408_9
; %bb.17:                               ;   in Loop: Header=BB408_10 Depth=2
	flat_load_b128 v[1:4], v[17:18]
	s_wait_loadcnt_dscnt 0x0
	ds_store_2addr_b64 v40, v[1:2], v[3:4] offset1:1
	s_branch .LBB408_9
.LBB408_18:                             ;   in Loop: Header=BB408_7 Depth=1
	s_wait_loadcnt 0x0
	v_add_co_u32 v13, vcc_lo, v13, s0
	s_wait_alu 0xfffd
	v_add_co_ci_u32_e64 v14, null, s1, v14, vcc_lo
	s_delay_alu instid0(VALU_DEP_2) | instskip(SKIP_1) | instid1(VALU_DEP_2)
	v_add_co_u32 v15, vcc_lo, v13, v9
	s_wait_alu 0xfffd
	v_add_co_ci_u32_e64 v16, null, v14, v10, vcc_lo
	s_and_saveexec_b32 s2, s27
	s_cbranch_execz .LBB408_23
; %bb.19:                               ;   in Loop: Header=BB408_7 Depth=1
	v_mul_f64_e32 v[1:2], s[14:15], v[33:34]
	v_mul_f64_e32 v[3:4], s[12:13], v[33:34]
	s_and_b32 vcc_lo, exec_lo, s22
	s_mov_b32 s3, -1
	s_delay_alu instid0(VALU_DEP_2) | instskip(NEXT) | instid1(VALU_DEP_2)
	v_fma_f64 v[1:2], s[12:13], v[31:32], -v[1:2]
	v_fma_f64 v[3:4], s[14:15], v[31:32], v[3:4]
	s_wait_alu 0xfffe
	s_cbranch_vccz .LBB408_21
; %bb.20:                               ;   in Loop: Header=BB408_7 Depth=1
	v_lshlrev_b64_e32 v[17:18], 4, v[5:6]
	s_mov_b32 s3, 0
	s_delay_alu instid0(VALU_DEP_1) | instskip(SKIP_1) | instid1(VALU_DEP_2)
	v_add_co_u32 v17, vcc_lo, v15, v17
	s_wait_alu 0xfffd
	v_add_co_ci_u32_e64 v18, null, v16, v18, vcc_lo
	flat_load_b128 v[31:34], v[17:18]
	s_wait_loadcnt_dscnt 0x0
	v_mul_f64_e32 v[45:46], s[10:11], v[33:34]
	v_mul_f64_e32 v[33:34], s[8:9], v[33:34]
	s_delay_alu instid0(VALU_DEP_2) | instskip(NEXT) | instid1(VALU_DEP_2)
	v_fma_f64 v[45:46], s[8:9], v[31:32], -v[45:46]
	v_fma_f64 v[33:34], s[10:11], v[31:32], v[33:34]
	s_delay_alu instid0(VALU_DEP_2) | instskip(NEXT) | instid1(VALU_DEP_2)
	v_add_f64_e32 v[31:32], v[1:2], v[45:46]
	v_add_f64_e32 v[33:34], v[3:4], v[33:34]
	flat_store_b128 v[17:18], v[31:34]
.LBB408_21:                             ;   in Loop: Header=BB408_7 Depth=1
	s_wait_alu 0xfffe
	s_and_not1_b32 vcc_lo, exec_lo, s3
	s_wait_alu 0xfffe
	s_cbranch_vccnz .LBB408_23
; %bb.22:                               ;   in Loop: Header=BB408_7 Depth=1
	v_lshlrev_b64_e32 v[17:18], 4, v[5:6]
	s_delay_alu instid0(VALU_DEP_1) | instskip(SKIP_1) | instid1(VALU_DEP_2)
	v_add_co_u32 v17, vcc_lo, v15, v17
	s_wait_alu 0xfffd
	v_add_co_ci_u32_e64 v18, null, v16, v18, vcc_lo
	flat_store_b128 v[17:18], v[1:4]
.LBB408_23:                             ;   in Loop: Header=BB408_7 Depth=1
	s_wait_alu 0xfffe
	s_or_b32 exec_lo, exec_lo, s2
	s_and_saveexec_b32 s2, s30
	s_cbranch_execz .LBB408_28
; %bb.24:                               ;   in Loop: Header=BB408_7 Depth=1
	v_mul_f64_e32 v[1:2], s[14:15], v[29:30]
	v_mul_f64_e32 v[3:4], s[12:13], v[29:30]
	s_and_not1_b32 vcc_lo, exec_lo, s22
	s_mov_b32 s3, -1
	s_delay_alu instid0(VALU_DEP_2) | instskip(NEXT) | instid1(VALU_DEP_2)
	v_fma_f64 v[1:2], s[12:13], v[27:28], -v[1:2]
	v_fma_f64 v[3:4], s[14:15], v[27:28], v[3:4]
	s_wait_alu 0xfffe
	s_cbranch_vccnz .LBB408_26
; %bb.25:                               ;   in Loop: Header=BB408_7 Depth=1
	v_lshlrev_b64_e32 v[17:18], 4, v[7:8]
	s_mov_b32 s3, 0
	s_delay_alu instid0(VALU_DEP_1) | instskip(SKIP_1) | instid1(VALU_DEP_2)
	v_add_co_u32 v17, vcc_lo, v15, v17
	s_wait_alu 0xfffd
	v_add_co_ci_u32_e64 v18, null, v16, v18, vcc_lo
	flat_load_b128 v[27:30], v[17:18]
	s_wait_loadcnt_dscnt 0x0
	v_mul_f64_e32 v[31:32], s[10:11], v[29:30]
	v_mul_f64_e32 v[29:30], s[8:9], v[29:30]
	s_delay_alu instid0(VALU_DEP_2) | instskip(NEXT) | instid1(VALU_DEP_2)
	v_fma_f64 v[31:32], s[8:9], v[27:28], -v[31:32]
	v_fma_f64 v[29:30], s[10:11], v[27:28], v[29:30]
	s_delay_alu instid0(VALU_DEP_2) | instskip(NEXT) | instid1(VALU_DEP_2)
	v_add_f64_e32 v[27:28], v[1:2], v[31:32]
	v_add_f64_e32 v[29:30], v[3:4], v[29:30]
	flat_store_b128 v[17:18], v[27:30]
.LBB408_26:                             ;   in Loop: Header=BB408_7 Depth=1
	s_wait_alu 0xfffe
	s_and_not1_b32 vcc_lo, exec_lo, s3
	s_wait_alu 0xfffe
	s_cbranch_vccnz .LBB408_28
; %bb.27:                               ;   in Loop: Header=BB408_7 Depth=1
	v_lshlrev_b64_e32 v[17:18], 4, v[7:8]
	s_delay_alu instid0(VALU_DEP_1) | instskip(SKIP_1) | instid1(VALU_DEP_2)
	v_add_co_u32 v15, vcc_lo, v15, v17
	s_wait_alu 0xfffd
	v_add_co_ci_u32_e64 v16, null, v16, v18, vcc_lo
	flat_store_b128 v[15:16], v[1:4]
.LBB408_28:                             ;   in Loop: Header=BB408_7 Depth=1
	s_wait_alu 0xfffe
	s_or_b32 exec_lo, exec_lo, s2
	v_add_co_u32 v15, vcc_lo, v13, v11
	s_wait_alu 0xfffd
	v_add_co_ci_u32_e64 v16, null, v14, v12, vcc_lo
	s_and_saveexec_b32 s2, s26
	s_cbranch_execz .LBB408_33
; %bb.29:                               ;   in Loop: Header=BB408_7 Depth=1
	v_mul_f64_e32 v[1:2], s[14:15], v[25:26]
	v_mul_f64_e32 v[3:4], s[12:13], v[25:26]
	v_lshlrev_b64_e32 v[13:14], 4, v[5:6]
	s_and_not1_b32 vcc_lo, exec_lo, s22
	s_mov_b32 s3, -1
	s_delay_alu instid0(VALU_DEP_3) | instskip(NEXT) | instid1(VALU_DEP_3)
	v_fma_f64 v[1:2], s[12:13], v[23:24], -v[1:2]
	v_fma_f64 v[3:4], s[14:15], v[23:24], v[3:4]
	s_wait_alu 0xfffe
	s_cbranch_vccnz .LBB408_31
; %bb.30:                               ;   in Loop: Header=BB408_7 Depth=1
	v_add_co_u32 v17, vcc_lo, v15, v13
	s_wait_alu 0xfffd
	v_add_co_ci_u32_e64 v18, null, v16, v14, vcc_lo
	s_mov_b32 s3, 0
	flat_load_b128 v[23:26], v[17:18]
	s_wait_loadcnt_dscnt 0x0
	v_mul_f64_e32 v[27:28], s[10:11], v[25:26]
	v_mul_f64_e32 v[25:26], s[8:9], v[25:26]
	s_delay_alu instid0(VALU_DEP_2) | instskip(NEXT) | instid1(VALU_DEP_2)
	v_fma_f64 v[27:28], s[8:9], v[23:24], -v[27:28]
	v_fma_f64 v[25:26], s[10:11], v[23:24], v[25:26]
	s_delay_alu instid0(VALU_DEP_2) | instskip(NEXT) | instid1(VALU_DEP_2)
	v_add_f64_e32 v[23:24], v[1:2], v[27:28]
	v_add_f64_e32 v[25:26], v[3:4], v[25:26]
	flat_store_b128 v[17:18], v[23:26]
.LBB408_31:                             ;   in Loop: Header=BB408_7 Depth=1
	s_wait_alu 0xfffe
	s_and_not1_b32 vcc_lo, exec_lo, s3
	s_wait_alu 0xfffe
	s_cbranch_vccnz .LBB408_33
; %bb.32:                               ;   in Loop: Header=BB408_7 Depth=1
	v_add_co_u32 v13, vcc_lo, v15, v13
	s_wait_alu 0xfffd
	v_add_co_ci_u32_e64 v14, null, v16, v14, vcc_lo
	flat_store_b128 v[13:14], v[1:4]
.LBB408_33:                             ;   in Loop: Header=BB408_7 Depth=1
	s_wait_alu 0xfffe
	s_or_b32 exec_lo, exec_lo, s2
	s_and_saveexec_b32 s2, s31
	s_cbranch_execz .LBB408_6
; %bb.34:                               ;   in Loop: Header=BB408_7 Depth=1
	v_mul_f64_e32 v[1:2], s[14:15], v[19:20]
	v_mul_f64_e32 v[3:4], s[12:13], v[19:20]
	v_lshlrev_b64_e32 v[13:14], 4, v[7:8]
	s_and_not1_b32 vcc_lo, exec_lo, s22
	s_mov_b32 s3, -1
	s_delay_alu instid0(VALU_DEP_3) | instskip(NEXT) | instid1(VALU_DEP_3)
	v_fma_f64 v[1:2], s[12:13], v[21:22], -v[1:2]
	v_fma_f64 v[3:4], s[14:15], v[21:22], v[3:4]
	s_wait_alu 0xfffe
	s_cbranch_vccnz .LBB408_36
; %bb.35:                               ;   in Loop: Header=BB408_7 Depth=1
	v_add_co_u32 v21, vcc_lo, v15, v13
	s_wait_alu 0xfffd
	v_add_co_ci_u32_e64 v22, null, v16, v14, vcc_lo
	s_mov_b32 s3, 0
	flat_load_b128 v[17:20], v[21:22]
	s_wait_loadcnt_dscnt 0x0
	v_mul_f64_e32 v[23:24], s[10:11], v[19:20]
	v_mul_f64_e32 v[19:20], s[8:9], v[19:20]
	s_delay_alu instid0(VALU_DEP_2) | instskip(NEXT) | instid1(VALU_DEP_2)
	v_fma_f64 v[23:24], s[8:9], v[17:18], -v[23:24]
	v_fma_f64 v[19:20], s[10:11], v[17:18], v[19:20]
	s_delay_alu instid0(VALU_DEP_2) | instskip(NEXT) | instid1(VALU_DEP_2)
	v_add_f64_e32 v[17:18], v[1:2], v[23:24]
	v_add_f64_e32 v[19:20], v[3:4], v[19:20]
	flat_store_b128 v[21:22], v[17:20]
.LBB408_36:                             ;   in Loop: Header=BB408_7 Depth=1
	s_wait_alu 0xfffe
	s_and_not1_b32 vcc_lo, exec_lo, s3
	s_wait_alu 0xfffe
	s_cbranch_vccnz .LBB408_6
; %bb.37:                               ;   in Loop: Header=BB408_7 Depth=1
	v_add_co_u32 v13, vcc_lo, v15, v13
	s_wait_alu 0xfffd
	v_add_co_ci_u32_e64 v14, null, v16, v14, vcc_lo
	flat_store_b128 v[13:14], v[1:4]
	s_branch .LBB408_6
.LBB408_38:
.LBB408_39:
	s_nop 0
	s_sendmsg sendmsg(MSG_DEALLOC_VGPRS)
	s_endpgm
	.section	.rodata,"a",@progbits
	.p2align	6, 0x0
	.amdhsa_kernel _ZL29rocblas_internal_gemmt_kernelIiLi16ELi32ELi8ELc84ELc78ELc76ELb0ELb0E19rocblas_complex_numIdEPKS1_PKS3_PKPS1_EviT_T9_T10_S9_lSB_S9_lSA_T11_S9_li
		.amdhsa_group_segment_fixed_size 8192
		.amdhsa_private_segment_fixed_size 0
		.amdhsa_kernarg_size 100
		.amdhsa_user_sgpr_count 2
		.amdhsa_user_sgpr_dispatch_ptr 0
		.amdhsa_user_sgpr_queue_ptr 0
		.amdhsa_user_sgpr_kernarg_segment_ptr 1
		.amdhsa_user_sgpr_dispatch_id 0
		.amdhsa_user_sgpr_private_segment_size 0
		.amdhsa_wavefront_size32 1
		.amdhsa_uses_dynamic_stack 0
		.amdhsa_enable_private_segment 0
		.amdhsa_system_sgpr_workgroup_id_x 1
		.amdhsa_system_sgpr_workgroup_id_y 1
		.amdhsa_system_sgpr_workgroup_id_z 1
		.amdhsa_system_sgpr_workgroup_info 0
		.amdhsa_system_vgpr_workitem_id 1
		.amdhsa_next_free_vgpr 133
		.amdhsa_next_free_sgpr 40
		.amdhsa_reserve_vcc 1
		.amdhsa_float_round_mode_32 0
		.amdhsa_float_round_mode_16_64 0
		.amdhsa_float_denorm_mode_32 3
		.amdhsa_float_denorm_mode_16_64 3
		.amdhsa_fp16_overflow 0
		.amdhsa_workgroup_processor_mode 1
		.amdhsa_memory_ordered 1
		.amdhsa_forward_progress 1
		.amdhsa_inst_pref_size 28
		.amdhsa_round_robin_scheduling 0
		.amdhsa_exception_fp_ieee_invalid_op 0
		.amdhsa_exception_fp_denorm_src 0
		.amdhsa_exception_fp_ieee_div_zero 0
		.amdhsa_exception_fp_ieee_overflow 0
		.amdhsa_exception_fp_ieee_underflow 0
		.amdhsa_exception_fp_ieee_inexact 0
		.amdhsa_exception_int_div_zero 0
	.end_amdhsa_kernel
	.section	.text._ZL29rocblas_internal_gemmt_kernelIiLi16ELi32ELi8ELc84ELc78ELc76ELb0ELb0E19rocblas_complex_numIdEPKS1_PKS3_PKPS1_EviT_T9_T10_S9_lSB_S9_lSA_T11_S9_li,"axG",@progbits,_ZL29rocblas_internal_gemmt_kernelIiLi16ELi32ELi8ELc84ELc78ELc76ELb0ELb0E19rocblas_complex_numIdEPKS1_PKS3_PKPS1_EviT_T9_T10_S9_lSB_S9_lSA_T11_S9_li,comdat
.Lfunc_end408:
	.size	_ZL29rocblas_internal_gemmt_kernelIiLi16ELi32ELi8ELc84ELc78ELc76ELb0ELb0E19rocblas_complex_numIdEPKS1_PKS3_PKPS1_EviT_T9_T10_S9_lSB_S9_lSA_T11_S9_li, .Lfunc_end408-_ZL29rocblas_internal_gemmt_kernelIiLi16ELi32ELi8ELc84ELc78ELc76ELb0ELb0E19rocblas_complex_numIdEPKS1_PKS3_PKPS1_EviT_T9_T10_S9_lSB_S9_lSA_T11_S9_li
                                        ; -- End function
	.set _ZL29rocblas_internal_gemmt_kernelIiLi16ELi32ELi8ELc84ELc78ELc76ELb0ELb0E19rocblas_complex_numIdEPKS1_PKS3_PKPS1_EviT_T9_T10_S9_lSB_S9_lSA_T11_S9_li.num_vgpr, 133
	.set _ZL29rocblas_internal_gemmt_kernelIiLi16ELi32ELi8ELc84ELc78ELc76ELb0ELb0E19rocblas_complex_numIdEPKS1_PKS3_PKPS1_EviT_T9_T10_S9_lSB_S9_lSA_T11_S9_li.num_agpr, 0
	.set _ZL29rocblas_internal_gemmt_kernelIiLi16ELi32ELi8ELc84ELc78ELc76ELb0ELb0E19rocblas_complex_numIdEPKS1_PKS3_PKPS1_EviT_T9_T10_S9_lSB_S9_lSA_T11_S9_li.numbered_sgpr, 40
	.set _ZL29rocblas_internal_gemmt_kernelIiLi16ELi32ELi8ELc84ELc78ELc76ELb0ELb0E19rocblas_complex_numIdEPKS1_PKS3_PKPS1_EviT_T9_T10_S9_lSB_S9_lSA_T11_S9_li.num_named_barrier, 0
	.set _ZL29rocblas_internal_gemmt_kernelIiLi16ELi32ELi8ELc84ELc78ELc76ELb0ELb0E19rocblas_complex_numIdEPKS1_PKS3_PKPS1_EviT_T9_T10_S9_lSB_S9_lSA_T11_S9_li.private_seg_size, 0
	.set _ZL29rocblas_internal_gemmt_kernelIiLi16ELi32ELi8ELc84ELc78ELc76ELb0ELb0E19rocblas_complex_numIdEPKS1_PKS3_PKPS1_EviT_T9_T10_S9_lSB_S9_lSA_T11_S9_li.uses_vcc, 1
	.set _ZL29rocblas_internal_gemmt_kernelIiLi16ELi32ELi8ELc84ELc78ELc76ELb0ELb0E19rocblas_complex_numIdEPKS1_PKS3_PKPS1_EviT_T9_T10_S9_lSB_S9_lSA_T11_S9_li.uses_flat_scratch, 0
	.set _ZL29rocblas_internal_gemmt_kernelIiLi16ELi32ELi8ELc84ELc78ELc76ELb0ELb0E19rocblas_complex_numIdEPKS1_PKS3_PKPS1_EviT_T9_T10_S9_lSB_S9_lSA_T11_S9_li.has_dyn_sized_stack, 0
	.set _ZL29rocblas_internal_gemmt_kernelIiLi16ELi32ELi8ELc84ELc78ELc76ELb0ELb0E19rocblas_complex_numIdEPKS1_PKS3_PKPS1_EviT_T9_T10_S9_lSB_S9_lSA_T11_S9_li.has_recursion, 0
	.set _ZL29rocblas_internal_gemmt_kernelIiLi16ELi32ELi8ELc84ELc78ELc76ELb0ELb0E19rocblas_complex_numIdEPKS1_PKS3_PKPS1_EviT_T9_T10_S9_lSB_S9_lSA_T11_S9_li.has_indirect_call, 0
	.section	.AMDGPU.csdata,"",@progbits
; Kernel info:
; codeLenInByte = 3472
; TotalNumSgprs: 42
; NumVgprs: 133
; ScratchSize: 0
; MemoryBound: 0
; FloatMode: 240
; IeeeMode: 1
; LDSByteSize: 8192 bytes/workgroup (compile time only)
; SGPRBlocks: 0
; VGPRBlocks: 16
; NumSGPRsForWavesPerEU: 42
; NumVGPRsForWavesPerEU: 133
; Occupancy: 10
; WaveLimiterHint : 1
; COMPUTE_PGM_RSRC2:SCRATCH_EN: 0
; COMPUTE_PGM_RSRC2:USER_SGPR: 2
; COMPUTE_PGM_RSRC2:TRAP_HANDLER: 0
; COMPUTE_PGM_RSRC2:TGID_X_EN: 1
; COMPUTE_PGM_RSRC2:TGID_Y_EN: 1
; COMPUTE_PGM_RSRC2:TGID_Z_EN: 1
; COMPUTE_PGM_RSRC2:TIDIG_COMP_CNT: 1
	.section	.text._ZL29rocblas_internal_gemmt_kernelIiLi16ELi32ELi8ELc84ELc84ELc76ELb0ELb0E19rocblas_complex_numIdEPKS1_PKS3_PKPS1_EviT_T9_T10_S9_lSB_S9_lSA_T11_S9_li,"axG",@progbits,_ZL29rocblas_internal_gemmt_kernelIiLi16ELi32ELi8ELc84ELc84ELc76ELb0ELb0E19rocblas_complex_numIdEPKS1_PKS3_PKPS1_EviT_T9_T10_S9_lSB_S9_lSA_T11_S9_li,comdat
	.globl	_ZL29rocblas_internal_gemmt_kernelIiLi16ELi32ELi8ELc84ELc84ELc76ELb0ELb0E19rocblas_complex_numIdEPKS1_PKS3_PKPS1_EviT_T9_T10_S9_lSB_S9_lSA_T11_S9_li ; -- Begin function _ZL29rocblas_internal_gemmt_kernelIiLi16ELi32ELi8ELc84ELc84ELc76ELb0ELb0E19rocblas_complex_numIdEPKS1_PKS3_PKPS1_EviT_T9_T10_S9_lSB_S9_lSA_T11_S9_li
	.p2align	8
	.type	_ZL29rocblas_internal_gemmt_kernelIiLi16ELi32ELi8ELc84ELc84ELc76ELb0ELb0E19rocblas_complex_numIdEPKS1_PKS3_PKPS1_EviT_T9_T10_S9_lSB_S9_lSA_T11_S9_li,@function
_ZL29rocblas_internal_gemmt_kernelIiLi16ELi32ELi8ELc84ELc84ELc76ELb0ELb0E19rocblas_complex_numIdEPKS1_PKS3_PKPS1_EviT_T9_T10_S9_lSB_S9_lSA_T11_S9_li: ; @_ZL29rocblas_internal_gemmt_kernelIiLi16ELi32ELi8ELc84ELc84ELc76ELb0ELb0E19rocblas_complex_numIdEPKS1_PKS3_PKPS1_EviT_T9_T10_S9_lSB_S9_lSA_T11_S9_li
; %bb.0:
	s_load_b128 s[20:23], s[0:1], 0x38
	s_wait_kmcnt 0x0
	s_load_b128 s[8:11], s[22:23], 0x0
	s_clause 0x1
	s_load_b128 s[4:7], s[0:1], 0x8
	s_load_b64 s[22:23], s[0:1], 0x0
	s_wait_kmcnt 0x0
	s_load_b128 s[12:15], s[4:5], 0x0
	v_cmp_eq_f64_e64 s2, s[8:9], 1.0
	v_cmp_eq_f64_e64 s33, s[10:11], 0
	s_and_b32 s2, s2, s33
	s_delay_alu instid0(SALU_CYCLE_1)
	s_and_not1_b32 vcc_lo, exec_lo, s2
	s_mov_b32 s2, -1
	s_cbranch_vccnz .LBB409_3
; %bb.1:
	s_cmp_lg_u32 s23, 0
	s_cbranch_scc0 .LBB409_38
; %bb.2:
	s_wait_kmcnt 0x0
	v_cmp_neq_f64_e64 s2, s[12:13], 0
	v_cmp_neq_f64_e64 s3, s[14:15], 0
	s_or_b32 s2, s2, s3
.LBB409_3:
	s_delay_alu instid0(SALU_CYCLE_1)
	s_and_b32 vcc_lo, exec_lo, s2
	s_cbranch_vccz .LBB409_39
; %bb.4:
	s_load_b32 s27, s[0:1], 0x60
	s_lshr_b32 s28, ttmp7, 16
	s_wait_kmcnt 0x0
	s_cmp_ge_u32 s28, s27
	s_cbranch_scc1 .LBB409_39
; %bb.5:
	v_cmp_neq_f64_e64 s4, s[12:13], 0
	v_cmp_neq_f64_e64 s5, s[14:15], 0
	;; [unrolled: 1-line block ×3, first 2 shown]
	v_and_b32_e32 v1, 0x3ff, v0
	v_bfe_u32 v2, v0, 10, 10
	s_clause 0x4
	s_load_b32 s35, s[0:1], 0x18
	s_load_b128 s[16:19], s[0:1], 0x20
	s_load_b32 s36, s[0:1], 0x30
	s_load_b96 s[24:26], s[0:1], 0x48
	s_load_b64 s[30:31], s[0:1], 0x58
	v_and_b32_e32 v35, 7, v0
	s_lshl_b32 s1, ttmp9, 5
	v_lshlrev_b32_e32 v36, 4, v1
	v_lshl_add_u32 v0, v2, 4, v1
	v_add_nc_u32_e32 v5, s1, v1
	v_lshlrev_b32_e32 v3, 4, v35
	s_lshl_b32 s0, ttmp7, 5
	v_lshl_add_u32 v37, v2, 7, 0x1000
	v_lshrrev_b32_e32 v38, 5, v0
	v_and_b32_e32 v1, 31, v0
	v_lshrrev_b32_e32 v0, 3, v0
	s_wait_alu 0xfffe
	s_and_b32 s2, s0, 0x1fffe0
	v_add_nc_u32_e32 v7, 16, v5
	v_add_nc_u32_e32 v4, s2, v2
	v_or_b32_e32 v8, s1, v1
	v_add_nc_u32_e32 v13, s2, v0
	v_lshlrev_b32_e32 v1, 4, v1
	v_lshl_or_b32 v0, v0, 7, v3
	v_cmp_le_i32_e32 vcc_lo, v4, v5
	v_cmp_le_i32_e64 s1, v4, v7
	v_cmp_gt_i32_e64 s0, s22, v5
	v_lshl_or_b32 v39, v38, 9, v1
	v_add_nc_u32_e32 v40, 0x1000, v0
	s_wait_kmcnt 0x0
	v_mad_co_i64_i32 v[1:2], null, v4, s26, 0
	v_add_nc_u32_e32 v0, 16, v4
	v_mad_co_i64_i32 v[3:4], null, s35, v8, 0
	v_cmp_gt_i32_e64 s2, s22, v7
	s_ashr_i32 s37, s36, 31
	v_mad_co_i64_i32 v[9:10], null, s36, v35, 0
	v_cmp_gt_i32_e64 s3, s22, v8
	s_or_b32 s5, s4, s5
	s_cmp_gt_i32 s23, 0
	v_cmp_gt_i32_e64 s4, s22, v13
	s_cselect_b32 s38, -1, 0
	s_xor_b32 s22, s33, -1
	s_and_b32 s33, vcc_lo, s0
	s_wait_alu 0xfffe
	s_or_b32 s22, s34, s22
	s_and_b32 s34, s1, s2
	v_cmp_le_i32_e32 vcc_lo, v0, v5
	v_cmp_le_i32_e64 s1, v0, v7
	v_lshlrev_b64_e32 v[3:4], 4, v[3:4]
	v_mad_co_i64_i32 v[11:12], null, v0, s26, 0
	s_and_b32 s26, vcc_lo, s0
	s_and_b32 s35, s1, s2
	s_lshl_b64 s[0:1], s[16:17], 4
	v_lshlrev_b64_e32 v[9:10], 4, v[9:10]
	s_wait_alu 0xfffe
	v_add_co_u32 v3, vcc_lo, v3, s0
	s_delay_alu instid0(VALU_DEP_1)
	v_add_co_ci_u32_e64 v4, null, s1, v4, vcc_lo
	v_lshlrev_b32_e32 v14, 4, v38
	s_lshl_b64 s[0:1], s[20:21], 4
	v_lshlrev_b32_e32 v13, 4, v13
	s_wait_alu 0xfffe
	v_add_co_u32 v9, vcc_lo, v9, s0
	s_wait_alu 0xfffd
	v_add_co_ci_u32_e64 v10, null, s1, v10, vcc_lo
	v_add_co_u32 v41, vcc_lo, v3, v14
	s_wait_alu 0xfffd
	v_add_co_ci_u32_e64 v42, null, 0, v4, vcc_lo
	;; [unrolled: 3-line block ×3, first 2 shown]
	v_lshlrev_b64_e32 v[9:10], 4, v[1:2]
	v_lshlrev_b64_e32 v[11:12], 4, v[11:12]
	v_ashrrev_i32_e32 v6, 31, v5
	v_ashrrev_i32_e32 v8, 31, v7
	v_mov_b32_e32 v0, 0
	s_mov_b32 s29, 0
	s_lshl_b64 s[0:1], s[36:37], 7
	s_and_b32 s16, s5, s38
	s_xor_b32 s17, s3, -1
	s_xor_b32 s20, s4, -1
	s_lshl_b64 s[2:3], s[30:31], 4
	s_branch .LBB409_7
.LBB409_6:                              ;   in Loop: Header=BB409_7 Depth=1
	s_wait_alu 0xfffe
	s_or_b32 exec_lo, exec_lo, s4
	s_add_co_i32 s28, s28, 0x10000
	s_delay_alu instid0(SALU_CYCLE_1)
	s_cmp_lt_u32 s28, s27
	s_cbranch_scc0 .LBB409_39
.LBB409_7:                              ; =>This Loop Header: Depth=1
                                        ;     Child Loop BB409_10 Depth 2
	s_lshl_b64 s[4:5], s[28:29], 3
	v_mov_b32_e32 v31, 0
	s_wait_alu 0xfffe
	s_add_nc_u64 s[30:31], s[24:25], s[4:5]
	v_mov_b32_e32 v27, 0
	global_load_b64 v[13:14], v0, s[30:31]
	v_mov_b32_e32 v23, 0
	v_dual_mov_b32 v21, 0 :: v_dual_mov_b32 v32, 0
	v_dual_mov_b32 v33, 0 :: v_dual_mov_b32 v28, 0
	;; [unrolled: 1-line block ×5, first 2 shown]
	v_mov_b32_e32 v30, 0
	v_mov_b32_e32 v26, 0
	;; [unrolled: 1-line block ×3, first 2 shown]
	s_and_not1_b32 vcc_lo, exec_lo, s16
	s_wait_alu 0xfffe
	s_cbranch_vccnz .LBB409_18
; %bb.8:                                ;   in Loop: Header=BB409_7 Depth=1
	s_add_nc_u64 s[30:31], s[6:7], s[4:5]
	s_add_nc_u64 s[4:5], s[18:19], s[4:5]
	s_clause 0x1
	global_load_b64 v[1:2], v0, s[30:31]
	global_load_b64 v[3:4], v0, s[4:5]
	v_mov_b32_e32 v19, 0
	v_mov_b32_e32 v25, 0
	v_mov_b32_e32 v29, 0
	v_dual_mov_b32 v33, 0 :: v_dual_mov_b32 v20, 0
	v_dual_mov_b32 v21, 0 :: v_dual_mov_b32 v26, 0
	;; [unrolled: 1-line block ×5, first 2 shown]
	v_mov_b32_e32 v24, 0
	v_mov_b32_e32 v28, 0
	;; [unrolled: 1-line block ×3, first 2 shown]
	s_mov_b32 s4, 0
	s_wait_loadcnt 0x1
	v_add_co_u32 v15, vcc_lo, v1, v41
	s_wait_alu 0xfffd
	v_add_co_ci_u32_e64 v16, null, v2, v42, vcc_lo
	s_wait_loadcnt 0x0
	v_add_co_u32 v17, vcc_lo, v3, v43
	s_wait_alu 0xfffd
	v_add_co_ci_u32_e64 v18, null, v4, v44, vcc_lo
	s_branch .LBB409_10
.LBB409_9:                              ;   in Loop: Header=BB409_10 Depth=2
	s_wait_alu 0xfffe
	s_or_b32 exec_lo, exec_lo, s5
	s_wait_dscnt 0x0
	s_barrier_signal -1
	s_barrier_wait -1
	global_inv scope:SCOPE_SE
	ds_load_b128 v[1:4], v37
	ds_load_b128 v[45:48], v36
	ds_load_b128 v[49:52], v36 offset:256
	ds_load_b128 v[53:56], v37 offset:2048
	;; [unrolled: 1-line block ×10, first 2 shown]
	v_add_co_u32 v15, vcc_lo, 0x80, v15
	s_wait_alu 0xfffd
	v_add_co_ci_u32_e64 v16, null, 0, v16, vcc_lo
	v_add_co_u32 v17, vcc_lo, v17, s0
	s_wait_alu 0xfffd
	v_add_co_ci_u32_e64 v18, null, s1, v18, vcc_lo
	s_add_co_i32 s4, s4, 8
	s_wait_alu 0xfffe
	s_cmp_lt_i32 s4, s23
	s_wait_dscnt 0xa
	v_mul_f64_e32 v[89:90], v[3:4], v[47:48]
	v_mul_f64_e32 v[91:92], v[1:2], v[47:48]
	s_wait_dscnt 0x9
	v_mul_f64_e32 v[93:94], v[3:4], v[51:52]
	v_mul_f64_e32 v[95:96], v[1:2], v[51:52]
	;; [unrolled: 3-line block ×3, first 2 shown]
	v_mul_f64_e32 v[99:100], v[55:56], v[51:52]
	v_mul_f64_e32 v[51:52], v[53:54], v[51:52]
	s_wait_dscnt 0x5
	v_mul_f64_e32 v[101:102], v[59:60], v[67:68]
	v_mul_f64_e32 v[103:104], v[57:58], v[67:68]
	s_wait_dscnt 0x4
	v_mul_f64_e32 v[105:106], v[59:60], v[71:72]
	v_mul_f64_e32 v[107:108], v[57:58], v[71:72]
	v_mul_f64_e32 v[109:110], v[63:64], v[67:68]
	v_mul_f64_e32 v[67:68], v[61:62], v[67:68]
	v_mul_f64_e32 v[111:112], v[63:64], v[71:72]
	v_mul_f64_e32 v[71:72], v[61:62], v[71:72]
	s_wait_dscnt 0x2
	v_mul_f64_e32 v[117:118], v[75:76], v[79:80]
	v_mul_f64_e32 v[119:120], v[73:74], v[79:80]
	s_wait_dscnt 0x1
	v_mul_f64_e32 v[121:122], v[75:76], v[83:84]
	v_mul_f64_e32 v[123:124], v[73:74], v[83:84]
	s_wait_dscnt 0x0
	v_mul_f64_e32 v[125:126], v[87:88], v[79:80]
	v_mul_f64_e32 v[79:80], v[85:86], v[79:80]
	v_mul_f64_e32 v[127:128], v[87:88], v[83:84]
	v_mul_f64_e32 v[83:84], v[85:86], v[83:84]
	v_fma_f64 v[89:90], v[1:2], v[45:46], -v[89:90]
	v_fma_f64 v[91:92], v[3:4], v[45:46], v[91:92]
	v_fma_f64 v[93:94], v[1:2], v[49:50], -v[93:94]
	v_fma_f64 v[95:96], v[3:4], v[49:50], v[95:96]
	;; [unrolled: 2-line block ×8, first 2 shown]
	ds_load_b128 v[1:4], v37 offset:48
	ds_load_b128 v[45:48], v37 offset:2096
	;; [unrolled: 1-line block ×4, first 2 shown]
	v_fma_f64 v[117:118], v[73:74], v[77:78], -v[117:118]
	v_fma_f64 v[119:120], v[75:76], v[77:78], v[119:120]
	v_fma_f64 v[73:74], v[73:74], v[81:82], -v[121:122]
	v_fma_f64 v[75:76], v[75:76], v[81:82], v[123:124]
	;; [unrolled: 2-line block ×4, first 2 shown]
	s_wait_dscnt 0x1
	v_mul_f64_e32 v[107:108], v[1:2], v[51:52]
	s_wait_dscnt 0x0
	v_mul_f64_e32 v[109:110], v[3:4], v[55:56]
	v_mul_f64_e32 v[111:112], v[1:2], v[55:56]
	v_add_f64_e32 v[67:68], v[31:32], v[89:90]
	v_add_f64_e32 v[69:70], v[91:92], v[33:34]
	;; [unrolled: 1-line block ×8, first 2 shown]
	v_mul_f64_e32 v[99:100], v[3:4], v[51:52]
	v_mul_f64_e32 v[113:114], v[47:48], v[51:52]
	v_mul_f64_e32 v[51:52], v[45:46], v[51:52]
	v_mul_f64_e32 v[115:116], v[47:48], v[55:56]
	v_mul_f64_e32 v[129:130], v[45:46], v[55:56]
	ds_load_b128 v[19:22], v37 offset:64
	ds_load_b128 v[23:26], v36 offset:2048
	;; [unrolled: 1-line block ×4, first 2 shown]
	s_wait_dscnt 0x0
	v_mul_f64_e32 v[123:124], v[33:34], v[25:26]
	v_mul_f64_e32 v[125:126], v[33:34], v[29:30]
	v_fma_f64 v[107:108], v[3:4], v[49:50], v[107:108]
	v_fma_f64 v[109:110], v[1:2], v[53:54], -v[109:110]
	v_fma_f64 v[111:112], v[3:4], v[53:54], v[111:112]
	v_add_f64_e32 v[83:84], v[67:68], v[101:102]
	v_add_f64_e32 v[85:86], v[103:104], v[69:70]
	;; [unrolled: 1-line block ×8, first 2 shown]
	v_mul_f64_e32 v[97:98], v[21:22], v[25:26]
	v_mul_f64_e32 v[101:102], v[19:20], v[25:26]
	;; [unrolled: 1-line block ×6, first 2 shown]
	v_fma_f64 v[99:100], v[1:2], v[49:50], -v[99:100]
	v_fma_f64 v[113:114], v[45:46], v[49:50], -v[113:114]
	v_fma_f64 v[127:128], v[47:48], v[49:50], v[51:52]
	v_fma_f64 v[115:116], v[45:46], v[53:54], -v[115:116]
	v_fma_f64 v[53:54], v[47:48], v[53:54], v[129:130]
	ds_load_b128 v[55:58], v37 offset:80
	ds_load_b128 v[59:62], v37 offset:2128
	;; [unrolled: 1-line block ×4, first 2 shown]
	v_fma_f64 v[123:124], v[31:32], v[23:24], -v[123:124]
	v_fma_f64 v[125:126], v[31:32], v[27:28], -v[125:126]
	v_add_f64_e32 v[83:84], v[83:84], v[117:118]
	v_add_f64_e32 v[85:86], v[119:120], v[85:86]
	;; [unrolled: 1-line block ×8, first 2 shown]
	s_wait_dscnt 0x1
	v_mul_f64_e32 v[89:90], v[57:58], v[65:66]
	v_mul_f64_e32 v[91:92], v[55:56], v[65:66]
	s_wait_dscnt 0x0
	v_mul_f64_e32 v[93:94], v[57:58], v[69:70]
	v_mul_f64_e32 v[95:96], v[55:56], v[69:70]
	;; [unrolled: 1-line block ×6, first 2 shown]
	v_fma_f64 v[97:98], v[19:20], v[23:24], -v[97:98]
	v_fma_f64 v[101:102], v[21:22], v[23:24], v[101:102]
	v_fma_f64 v[103:104], v[19:20], v[27:28], -v[103:104]
	v_fma_f64 v[105:106], v[21:22], v[27:28], v[105:106]
	v_fma_f64 v[129:130], v[33:34], v[23:24], v[25:26]
	v_fma_f64 v[131:132], v[33:34], v[27:28], v[29:30]
	ds_load_b128 v[1:4], v37 offset:96
	ds_load_b128 v[45:48], v36 offset:3072
	;; [unrolled: 1-line block ×8, first 2 shown]
	s_wait_loadcnt_dscnt 0x0
	s_barrier_signal -1
	s_barrier_wait -1
	global_inv scope:SCOPE_SE
	v_add_f64_e32 v[83:84], v[83:84], v[99:100]
	v_add_f64_e32 v[85:86], v[107:108], v[85:86]
	;; [unrolled: 1-line block ×8, first 2 shown]
	v_mul_f64_e32 v[81:82], v[3:4], v[47:48]
	v_mul_f64_e32 v[107:108], v[1:2], v[47:48]
	;; [unrolled: 1-line block ×8, first 2 shown]
	v_fma_f64 v[89:90], v[55:56], v[63:64], -v[89:90]
	v_fma_f64 v[91:92], v[57:58], v[63:64], v[91:92]
	v_fma_f64 v[55:56], v[55:56], v[67:68], -v[93:94]
	v_fma_f64 v[57:58], v[57:58], v[67:68], v[95:96]
	;; [unrolled: 2-line block ×4, first 2 shown]
	v_mul_f64_e32 v[95:96], v[21:22], v[33:34]
	v_add_f64_e32 v[65:66], v[83:84], v[97:98]
	v_add_f64_e32 v[67:68], v[101:102], v[85:86]
	;; [unrolled: 1-line block ×8, first 2 shown]
	v_mul_f64_e32 v[85:86], v[21:22], v[29:30]
	v_mul_f64_e32 v[87:88], v[19:20], v[29:30]
	;; [unrolled: 1-line block ×7, first 2 shown]
	v_fma_f64 v[81:82], v[1:2], v[45:46], -v[81:82]
	v_fma_f64 v[103:104], v[3:4], v[45:46], v[107:108]
	v_fma_f64 v[1:2], v[1:2], v[49:50], -v[109:110]
	v_fma_f64 v[3:4], v[3:4], v[49:50], v[111:112]
	;; [unrolled: 2-line block ×4, first 2 shown]
	v_add_f64_e32 v[51:52], v[65:66], v[89:90]
	v_add_f64_e32 v[65:66], v[91:92], v[67:68]
	;; [unrolled: 1-line block ×8, first 2 shown]
	v_fma_f64 v[61:62], v[19:20], v[27:28], -v[85:86]
	v_fma_f64 v[69:70], v[21:22], v[27:28], v[87:88]
	v_fma_f64 v[19:20], v[19:20], v[31:32], -v[95:96]
	v_fma_f64 v[21:22], v[21:22], v[31:32], v[97:98]
	;; [unrolled: 2-line block ×4, first 2 shown]
	v_add_f64_e32 v[23:24], v[51:52], v[81:82]
	v_add_f64_e32 v[25:26], v[103:104], v[65:66]
	;; [unrolled: 1-line block ×16, first 2 shown]
	s_cbranch_scc0 .LBB409_18
.LBB409_10:                             ;   Parent Loop BB409_7 Depth=1
                                        ; =>  This Inner Loop Header: Depth=2
	s_wait_alu 0xfffe
	v_add_nc_u32_e32 v1, s4, v38
	s_delay_alu instid0(VALU_DEP_1) | instskip(SKIP_3) | instid1(SALU_CYCLE_1)
	v_cmp_le_i32_e32 vcc_lo, s23, v1
	s_or_b32 s5, s17, vcc_lo
	s_wait_alu 0xfffe
	s_and_saveexec_b32 s21, s5
	s_xor_b32 s5, exec_lo, s21
; %bb.11:                               ;   in Loop: Header=BB409_10 Depth=2
	v_dual_mov_b32 v1, v0 :: v_dual_mov_b32 v2, v0
	v_mov_b32_e32 v3, v0
	ds_store_b128 v39, v[0:3]
; %bb.12:                               ;   in Loop: Header=BB409_10 Depth=2
	s_wait_alu 0xfffe
	s_and_not1_saveexec_b32 s5, s5
	s_cbranch_execz .LBB409_14
; %bb.13:                               ;   in Loop: Header=BB409_10 Depth=2
	flat_load_b128 v[1:4], v[15:16]
	s_wait_loadcnt_dscnt 0x0
	ds_store_2addr_b64 v39, v[1:2], v[3:4] offset1:1
.LBB409_14:                             ;   in Loop: Header=BB409_10 Depth=2
	s_wait_alu 0xfffe
	s_or_b32 exec_lo, exec_lo, s5
	v_add_nc_u32_e32 v1, s4, v35
	s_delay_alu instid0(VALU_DEP_1) | instskip(SKIP_3) | instid1(SALU_CYCLE_1)
	v_cmp_le_i32_e32 vcc_lo, s23, v1
	s_or_b32 s5, vcc_lo, s20
	s_wait_alu 0xfffe
	s_and_saveexec_b32 s21, s5
	s_xor_b32 s5, exec_lo, s21
; %bb.15:                               ;   in Loop: Header=BB409_10 Depth=2
	v_dual_mov_b32 v1, v0 :: v_dual_mov_b32 v2, v0
	v_mov_b32_e32 v3, v0
	ds_store_b128 v40, v[0:3]
; %bb.16:                               ;   in Loop: Header=BB409_10 Depth=2
	s_wait_alu 0xfffe
	s_and_not1_saveexec_b32 s5, s5
	s_cbranch_execz .LBB409_9
; %bb.17:                               ;   in Loop: Header=BB409_10 Depth=2
	flat_load_b128 v[1:4], v[17:18]
	s_wait_loadcnt_dscnt 0x0
	ds_store_2addr_b64 v40, v[1:2], v[3:4] offset1:1
	s_branch .LBB409_9
.LBB409_18:                             ;   in Loop: Header=BB409_7 Depth=1
	s_wait_loadcnt 0x0
	v_add_co_u32 v13, vcc_lo, v13, s2
	s_wait_alu 0xfffd
	v_add_co_ci_u32_e64 v14, null, s3, v14, vcc_lo
	s_delay_alu instid0(VALU_DEP_2) | instskip(SKIP_1) | instid1(VALU_DEP_2)
	v_add_co_u32 v15, vcc_lo, v13, v9
	s_wait_alu 0xfffd
	v_add_co_ci_u32_e64 v16, null, v14, v10, vcc_lo
	s_and_saveexec_b32 s4, s33
	s_cbranch_execz .LBB409_23
; %bb.19:                               ;   in Loop: Header=BB409_7 Depth=1
	v_mul_f64_e32 v[1:2], s[14:15], v[33:34]
	v_mul_f64_e32 v[3:4], s[12:13], v[33:34]
	s_and_b32 vcc_lo, exec_lo, s22
	s_mov_b32 s5, -1
	s_delay_alu instid0(VALU_DEP_2) | instskip(NEXT) | instid1(VALU_DEP_2)
	v_fma_f64 v[1:2], s[12:13], v[31:32], -v[1:2]
	v_fma_f64 v[3:4], s[14:15], v[31:32], v[3:4]
	s_wait_alu 0xfffe
	s_cbranch_vccz .LBB409_21
; %bb.20:                               ;   in Loop: Header=BB409_7 Depth=1
	v_lshlrev_b64_e32 v[17:18], 4, v[5:6]
	s_mov_b32 s5, 0
	s_delay_alu instid0(VALU_DEP_1) | instskip(SKIP_1) | instid1(VALU_DEP_2)
	v_add_co_u32 v17, vcc_lo, v15, v17
	s_wait_alu 0xfffd
	v_add_co_ci_u32_e64 v18, null, v16, v18, vcc_lo
	flat_load_b128 v[31:34], v[17:18]
	s_wait_loadcnt_dscnt 0x0
	v_mul_f64_e32 v[45:46], s[10:11], v[33:34]
	v_mul_f64_e32 v[33:34], s[8:9], v[33:34]
	s_delay_alu instid0(VALU_DEP_2) | instskip(NEXT) | instid1(VALU_DEP_2)
	v_fma_f64 v[45:46], s[8:9], v[31:32], -v[45:46]
	v_fma_f64 v[33:34], s[10:11], v[31:32], v[33:34]
	s_delay_alu instid0(VALU_DEP_2) | instskip(NEXT) | instid1(VALU_DEP_2)
	v_add_f64_e32 v[31:32], v[1:2], v[45:46]
	v_add_f64_e32 v[33:34], v[3:4], v[33:34]
	flat_store_b128 v[17:18], v[31:34]
.LBB409_21:                             ;   in Loop: Header=BB409_7 Depth=1
	s_wait_alu 0xfffe
	s_and_not1_b32 vcc_lo, exec_lo, s5
	s_wait_alu 0xfffe
	s_cbranch_vccnz .LBB409_23
; %bb.22:                               ;   in Loop: Header=BB409_7 Depth=1
	v_lshlrev_b64_e32 v[17:18], 4, v[5:6]
	s_delay_alu instid0(VALU_DEP_1) | instskip(SKIP_1) | instid1(VALU_DEP_2)
	v_add_co_u32 v17, vcc_lo, v15, v17
	s_wait_alu 0xfffd
	v_add_co_ci_u32_e64 v18, null, v16, v18, vcc_lo
	flat_store_b128 v[17:18], v[1:4]
.LBB409_23:                             ;   in Loop: Header=BB409_7 Depth=1
	s_wait_alu 0xfffe
	s_or_b32 exec_lo, exec_lo, s4
	s_and_saveexec_b32 s4, s34
	s_cbranch_execz .LBB409_28
; %bb.24:                               ;   in Loop: Header=BB409_7 Depth=1
	v_mul_f64_e32 v[1:2], s[14:15], v[29:30]
	v_mul_f64_e32 v[3:4], s[12:13], v[29:30]
	s_and_not1_b32 vcc_lo, exec_lo, s22
	s_mov_b32 s5, -1
	s_delay_alu instid0(VALU_DEP_2) | instskip(NEXT) | instid1(VALU_DEP_2)
	v_fma_f64 v[1:2], s[12:13], v[27:28], -v[1:2]
	v_fma_f64 v[3:4], s[14:15], v[27:28], v[3:4]
	s_wait_alu 0xfffe
	s_cbranch_vccnz .LBB409_26
; %bb.25:                               ;   in Loop: Header=BB409_7 Depth=1
	v_lshlrev_b64_e32 v[17:18], 4, v[7:8]
	s_mov_b32 s5, 0
	s_delay_alu instid0(VALU_DEP_1) | instskip(SKIP_1) | instid1(VALU_DEP_2)
	v_add_co_u32 v17, vcc_lo, v15, v17
	s_wait_alu 0xfffd
	v_add_co_ci_u32_e64 v18, null, v16, v18, vcc_lo
	flat_load_b128 v[27:30], v[17:18]
	s_wait_loadcnt_dscnt 0x0
	v_mul_f64_e32 v[31:32], s[10:11], v[29:30]
	v_mul_f64_e32 v[29:30], s[8:9], v[29:30]
	s_delay_alu instid0(VALU_DEP_2) | instskip(NEXT) | instid1(VALU_DEP_2)
	v_fma_f64 v[31:32], s[8:9], v[27:28], -v[31:32]
	v_fma_f64 v[29:30], s[10:11], v[27:28], v[29:30]
	s_delay_alu instid0(VALU_DEP_2) | instskip(NEXT) | instid1(VALU_DEP_2)
	v_add_f64_e32 v[27:28], v[1:2], v[31:32]
	v_add_f64_e32 v[29:30], v[3:4], v[29:30]
	flat_store_b128 v[17:18], v[27:30]
.LBB409_26:                             ;   in Loop: Header=BB409_7 Depth=1
	s_wait_alu 0xfffe
	s_and_not1_b32 vcc_lo, exec_lo, s5
	s_wait_alu 0xfffe
	s_cbranch_vccnz .LBB409_28
; %bb.27:                               ;   in Loop: Header=BB409_7 Depth=1
	v_lshlrev_b64_e32 v[17:18], 4, v[7:8]
	s_delay_alu instid0(VALU_DEP_1) | instskip(SKIP_1) | instid1(VALU_DEP_2)
	v_add_co_u32 v15, vcc_lo, v15, v17
	s_wait_alu 0xfffd
	v_add_co_ci_u32_e64 v16, null, v16, v18, vcc_lo
	flat_store_b128 v[15:16], v[1:4]
.LBB409_28:                             ;   in Loop: Header=BB409_7 Depth=1
	s_wait_alu 0xfffe
	s_or_b32 exec_lo, exec_lo, s4
	v_add_co_u32 v15, vcc_lo, v13, v11
	s_wait_alu 0xfffd
	v_add_co_ci_u32_e64 v16, null, v14, v12, vcc_lo
	s_and_saveexec_b32 s4, s26
	s_cbranch_execz .LBB409_33
; %bb.29:                               ;   in Loop: Header=BB409_7 Depth=1
	v_mul_f64_e32 v[1:2], s[14:15], v[25:26]
	v_mul_f64_e32 v[3:4], s[12:13], v[25:26]
	v_lshlrev_b64_e32 v[13:14], 4, v[5:6]
	s_and_not1_b32 vcc_lo, exec_lo, s22
	s_mov_b32 s5, -1
	s_delay_alu instid0(VALU_DEP_3) | instskip(NEXT) | instid1(VALU_DEP_3)
	v_fma_f64 v[1:2], s[12:13], v[23:24], -v[1:2]
	v_fma_f64 v[3:4], s[14:15], v[23:24], v[3:4]
	s_wait_alu 0xfffe
	s_cbranch_vccnz .LBB409_31
; %bb.30:                               ;   in Loop: Header=BB409_7 Depth=1
	v_add_co_u32 v17, vcc_lo, v15, v13
	s_wait_alu 0xfffd
	v_add_co_ci_u32_e64 v18, null, v16, v14, vcc_lo
	s_mov_b32 s5, 0
	flat_load_b128 v[23:26], v[17:18]
	s_wait_loadcnt_dscnt 0x0
	v_mul_f64_e32 v[27:28], s[10:11], v[25:26]
	v_mul_f64_e32 v[25:26], s[8:9], v[25:26]
	s_delay_alu instid0(VALU_DEP_2) | instskip(NEXT) | instid1(VALU_DEP_2)
	v_fma_f64 v[27:28], s[8:9], v[23:24], -v[27:28]
	v_fma_f64 v[25:26], s[10:11], v[23:24], v[25:26]
	s_delay_alu instid0(VALU_DEP_2) | instskip(NEXT) | instid1(VALU_DEP_2)
	v_add_f64_e32 v[23:24], v[1:2], v[27:28]
	v_add_f64_e32 v[25:26], v[3:4], v[25:26]
	flat_store_b128 v[17:18], v[23:26]
.LBB409_31:                             ;   in Loop: Header=BB409_7 Depth=1
	s_wait_alu 0xfffe
	s_and_not1_b32 vcc_lo, exec_lo, s5
	s_wait_alu 0xfffe
	s_cbranch_vccnz .LBB409_33
; %bb.32:                               ;   in Loop: Header=BB409_7 Depth=1
	v_add_co_u32 v13, vcc_lo, v15, v13
	s_wait_alu 0xfffd
	v_add_co_ci_u32_e64 v14, null, v16, v14, vcc_lo
	flat_store_b128 v[13:14], v[1:4]
.LBB409_33:                             ;   in Loop: Header=BB409_7 Depth=1
	s_wait_alu 0xfffe
	s_or_b32 exec_lo, exec_lo, s4
	s_and_saveexec_b32 s4, s35
	s_cbranch_execz .LBB409_6
; %bb.34:                               ;   in Loop: Header=BB409_7 Depth=1
	v_mul_f64_e32 v[1:2], s[14:15], v[19:20]
	v_mul_f64_e32 v[3:4], s[12:13], v[19:20]
	v_lshlrev_b64_e32 v[13:14], 4, v[7:8]
	s_and_not1_b32 vcc_lo, exec_lo, s22
	s_mov_b32 s5, -1
	s_delay_alu instid0(VALU_DEP_3) | instskip(NEXT) | instid1(VALU_DEP_3)
	v_fma_f64 v[1:2], s[12:13], v[21:22], -v[1:2]
	v_fma_f64 v[3:4], s[14:15], v[21:22], v[3:4]
	s_wait_alu 0xfffe
	s_cbranch_vccnz .LBB409_36
; %bb.35:                               ;   in Loop: Header=BB409_7 Depth=1
	v_add_co_u32 v21, vcc_lo, v15, v13
	s_wait_alu 0xfffd
	v_add_co_ci_u32_e64 v22, null, v16, v14, vcc_lo
	s_mov_b32 s5, 0
	flat_load_b128 v[17:20], v[21:22]
	s_wait_loadcnt_dscnt 0x0
	v_mul_f64_e32 v[23:24], s[10:11], v[19:20]
	v_mul_f64_e32 v[19:20], s[8:9], v[19:20]
	s_delay_alu instid0(VALU_DEP_2) | instskip(NEXT) | instid1(VALU_DEP_2)
	v_fma_f64 v[23:24], s[8:9], v[17:18], -v[23:24]
	v_fma_f64 v[19:20], s[10:11], v[17:18], v[19:20]
	s_delay_alu instid0(VALU_DEP_2) | instskip(NEXT) | instid1(VALU_DEP_2)
	v_add_f64_e32 v[17:18], v[1:2], v[23:24]
	v_add_f64_e32 v[19:20], v[3:4], v[19:20]
	flat_store_b128 v[21:22], v[17:20]
.LBB409_36:                             ;   in Loop: Header=BB409_7 Depth=1
	s_wait_alu 0xfffe
	s_and_not1_b32 vcc_lo, exec_lo, s5
	s_wait_alu 0xfffe
	s_cbranch_vccnz .LBB409_6
; %bb.37:                               ;   in Loop: Header=BB409_7 Depth=1
	v_add_co_u32 v13, vcc_lo, v15, v13
	s_wait_alu 0xfffd
	v_add_co_ci_u32_e64 v14, null, v16, v14, vcc_lo
	flat_store_b128 v[13:14], v[1:4]
	s_branch .LBB409_6
.LBB409_38:
.LBB409_39:
	s_nop 0
	s_sendmsg sendmsg(MSG_DEALLOC_VGPRS)
	s_endpgm
	.section	.rodata,"a",@progbits
	.p2align	6, 0x0
	.amdhsa_kernel _ZL29rocblas_internal_gemmt_kernelIiLi16ELi32ELi8ELc84ELc84ELc76ELb0ELb0E19rocblas_complex_numIdEPKS1_PKS3_PKPS1_EviT_T9_T10_S9_lSB_S9_lSA_T11_S9_li
		.amdhsa_group_segment_fixed_size 8192
		.amdhsa_private_segment_fixed_size 0
		.amdhsa_kernarg_size 100
		.amdhsa_user_sgpr_count 2
		.amdhsa_user_sgpr_dispatch_ptr 0
		.amdhsa_user_sgpr_queue_ptr 0
		.amdhsa_user_sgpr_kernarg_segment_ptr 1
		.amdhsa_user_sgpr_dispatch_id 0
		.amdhsa_user_sgpr_private_segment_size 0
		.amdhsa_wavefront_size32 1
		.amdhsa_uses_dynamic_stack 0
		.amdhsa_enable_private_segment 0
		.amdhsa_system_sgpr_workgroup_id_x 1
		.amdhsa_system_sgpr_workgroup_id_y 1
		.amdhsa_system_sgpr_workgroup_id_z 1
		.amdhsa_system_sgpr_workgroup_info 0
		.amdhsa_system_vgpr_workitem_id 1
		.amdhsa_next_free_vgpr 133
		.amdhsa_next_free_sgpr 39
		.amdhsa_reserve_vcc 1
		.amdhsa_float_round_mode_32 0
		.amdhsa_float_round_mode_16_64 0
		.amdhsa_float_denorm_mode_32 3
		.amdhsa_float_denorm_mode_16_64 3
		.amdhsa_fp16_overflow 0
		.amdhsa_workgroup_processor_mode 1
		.amdhsa_memory_ordered 1
		.amdhsa_forward_progress 1
		.amdhsa_inst_pref_size 28
		.amdhsa_round_robin_scheduling 0
		.amdhsa_exception_fp_ieee_invalid_op 0
		.amdhsa_exception_fp_denorm_src 0
		.amdhsa_exception_fp_ieee_div_zero 0
		.amdhsa_exception_fp_ieee_overflow 0
		.amdhsa_exception_fp_ieee_underflow 0
		.amdhsa_exception_fp_ieee_inexact 0
		.amdhsa_exception_int_div_zero 0
	.end_amdhsa_kernel
	.section	.text._ZL29rocblas_internal_gemmt_kernelIiLi16ELi32ELi8ELc84ELc84ELc76ELb0ELb0E19rocblas_complex_numIdEPKS1_PKS3_PKPS1_EviT_T9_T10_S9_lSB_S9_lSA_T11_S9_li,"axG",@progbits,_ZL29rocblas_internal_gemmt_kernelIiLi16ELi32ELi8ELc84ELc84ELc76ELb0ELb0E19rocblas_complex_numIdEPKS1_PKS3_PKPS1_EviT_T9_T10_S9_lSB_S9_lSA_T11_S9_li,comdat
.Lfunc_end409:
	.size	_ZL29rocblas_internal_gemmt_kernelIiLi16ELi32ELi8ELc84ELc84ELc76ELb0ELb0E19rocblas_complex_numIdEPKS1_PKS3_PKPS1_EviT_T9_T10_S9_lSB_S9_lSA_T11_S9_li, .Lfunc_end409-_ZL29rocblas_internal_gemmt_kernelIiLi16ELi32ELi8ELc84ELc84ELc76ELb0ELb0E19rocblas_complex_numIdEPKS1_PKS3_PKPS1_EviT_T9_T10_S9_lSB_S9_lSA_T11_S9_li
                                        ; -- End function
	.set _ZL29rocblas_internal_gemmt_kernelIiLi16ELi32ELi8ELc84ELc84ELc76ELb0ELb0E19rocblas_complex_numIdEPKS1_PKS3_PKPS1_EviT_T9_T10_S9_lSB_S9_lSA_T11_S9_li.num_vgpr, 133
	.set _ZL29rocblas_internal_gemmt_kernelIiLi16ELi32ELi8ELc84ELc84ELc76ELb0ELb0E19rocblas_complex_numIdEPKS1_PKS3_PKPS1_EviT_T9_T10_S9_lSB_S9_lSA_T11_S9_li.num_agpr, 0
	.set _ZL29rocblas_internal_gemmt_kernelIiLi16ELi32ELi8ELc84ELc84ELc76ELb0ELb0E19rocblas_complex_numIdEPKS1_PKS3_PKPS1_EviT_T9_T10_S9_lSB_S9_lSA_T11_S9_li.numbered_sgpr, 39
	.set _ZL29rocblas_internal_gemmt_kernelIiLi16ELi32ELi8ELc84ELc84ELc76ELb0ELb0E19rocblas_complex_numIdEPKS1_PKS3_PKPS1_EviT_T9_T10_S9_lSB_S9_lSA_T11_S9_li.num_named_barrier, 0
	.set _ZL29rocblas_internal_gemmt_kernelIiLi16ELi32ELi8ELc84ELc84ELc76ELb0ELb0E19rocblas_complex_numIdEPKS1_PKS3_PKPS1_EviT_T9_T10_S9_lSB_S9_lSA_T11_S9_li.private_seg_size, 0
	.set _ZL29rocblas_internal_gemmt_kernelIiLi16ELi32ELi8ELc84ELc84ELc76ELb0ELb0E19rocblas_complex_numIdEPKS1_PKS3_PKPS1_EviT_T9_T10_S9_lSB_S9_lSA_T11_S9_li.uses_vcc, 1
	.set _ZL29rocblas_internal_gemmt_kernelIiLi16ELi32ELi8ELc84ELc84ELc76ELb0ELb0E19rocblas_complex_numIdEPKS1_PKS3_PKPS1_EviT_T9_T10_S9_lSB_S9_lSA_T11_S9_li.uses_flat_scratch, 0
	.set _ZL29rocblas_internal_gemmt_kernelIiLi16ELi32ELi8ELc84ELc84ELc76ELb0ELb0E19rocblas_complex_numIdEPKS1_PKS3_PKPS1_EviT_T9_T10_S9_lSB_S9_lSA_T11_S9_li.has_dyn_sized_stack, 0
	.set _ZL29rocblas_internal_gemmt_kernelIiLi16ELi32ELi8ELc84ELc84ELc76ELb0ELb0E19rocblas_complex_numIdEPKS1_PKS3_PKPS1_EviT_T9_T10_S9_lSB_S9_lSA_T11_S9_li.has_recursion, 0
	.set _ZL29rocblas_internal_gemmt_kernelIiLi16ELi32ELi8ELc84ELc84ELc76ELb0ELb0E19rocblas_complex_numIdEPKS1_PKS3_PKPS1_EviT_T9_T10_S9_lSB_S9_lSA_T11_S9_li.has_indirect_call, 0
	.section	.AMDGPU.csdata,"",@progbits
; Kernel info:
; codeLenInByte = 3484
; TotalNumSgprs: 41
; NumVgprs: 133
; ScratchSize: 0
; MemoryBound: 0
; FloatMode: 240
; IeeeMode: 1
; LDSByteSize: 8192 bytes/workgroup (compile time only)
; SGPRBlocks: 0
; VGPRBlocks: 16
; NumSGPRsForWavesPerEU: 41
; NumVGPRsForWavesPerEU: 133
; Occupancy: 10
; WaveLimiterHint : 1
; COMPUTE_PGM_RSRC2:SCRATCH_EN: 0
; COMPUTE_PGM_RSRC2:USER_SGPR: 2
; COMPUTE_PGM_RSRC2:TRAP_HANDLER: 0
; COMPUTE_PGM_RSRC2:TGID_X_EN: 1
; COMPUTE_PGM_RSRC2:TGID_Y_EN: 1
; COMPUTE_PGM_RSRC2:TGID_Z_EN: 1
; COMPUTE_PGM_RSRC2:TIDIG_COMP_CNT: 1
	.section	.text._ZL29rocblas_internal_gemmt_kernelIiLi16ELi32ELi8ELc84ELc67ELc76ELb0ELb1E19rocblas_complex_numIdEPKS1_PKS3_PKPS1_EviT_T9_T10_S9_lSB_S9_lSA_T11_S9_li,"axG",@progbits,_ZL29rocblas_internal_gemmt_kernelIiLi16ELi32ELi8ELc84ELc67ELc76ELb0ELb1E19rocblas_complex_numIdEPKS1_PKS3_PKPS1_EviT_T9_T10_S9_lSB_S9_lSA_T11_S9_li,comdat
	.globl	_ZL29rocblas_internal_gemmt_kernelIiLi16ELi32ELi8ELc84ELc67ELc76ELb0ELb1E19rocblas_complex_numIdEPKS1_PKS3_PKPS1_EviT_T9_T10_S9_lSB_S9_lSA_T11_S9_li ; -- Begin function _ZL29rocblas_internal_gemmt_kernelIiLi16ELi32ELi8ELc84ELc67ELc76ELb0ELb1E19rocblas_complex_numIdEPKS1_PKS3_PKPS1_EviT_T9_T10_S9_lSB_S9_lSA_T11_S9_li
	.p2align	8
	.type	_ZL29rocblas_internal_gemmt_kernelIiLi16ELi32ELi8ELc84ELc67ELc76ELb0ELb1E19rocblas_complex_numIdEPKS1_PKS3_PKPS1_EviT_T9_T10_S9_lSB_S9_lSA_T11_S9_li,@function
_ZL29rocblas_internal_gemmt_kernelIiLi16ELi32ELi8ELc84ELc67ELc76ELb0ELb1E19rocblas_complex_numIdEPKS1_PKS3_PKPS1_EviT_T9_T10_S9_lSB_S9_lSA_T11_S9_li: ; @_ZL29rocblas_internal_gemmt_kernelIiLi16ELi32ELi8ELc84ELc67ELc76ELb0ELb1E19rocblas_complex_numIdEPKS1_PKS3_PKPS1_EviT_T9_T10_S9_lSB_S9_lSA_T11_S9_li
; %bb.0:
	s_load_b128 s[20:23], s[0:1], 0x38
	s_wait_kmcnt 0x0
	s_load_b128 s[8:11], s[22:23], 0x0
	s_clause 0x1
	s_load_b128 s[4:7], s[0:1], 0x8
	s_load_b64 s[22:23], s[0:1], 0x0
	s_wait_kmcnt 0x0
	s_load_b128 s[12:15], s[4:5], 0x0
	v_cmp_eq_f64_e64 s2, s[8:9], 1.0
	v_cmp_eq_f64_e64 s33, s[10:11], 0
	s_and_b32 s2, s2, s33
	s_delay_alu instid0(SALU_CYCLE_1)
	s_and_not1_b32 vcc_lo, exec_lo, s2
	s_mov_b32 s2, -1
	s_cbranch_vccnz .LBB410_3
; %bb.1:
	s_cmp_lg_u32 s23, 0
	s_cbranch_scc0 .LBB410_36
; %bb.2:
	s_wait_kmcnt 0x0
	v_cmp_neq_f64_e64 s2, s[12:13], 0
	v_cmp_neq_f64_e64 s3, s[14:15], 0
	s_or_b32 s2, s2, s3
.LBB410_3:
	s_delay_alu instid0(SALU_CYCLE_1)
	s_and_b32 vcc_lo, exec_lo, s2
	s_cbranch_vccz .LBB410_37
; %bb.4:
	s_load_b32 s27, s[0:1], 0x60
	s_lshr_b32 s28, ttmp7, 16
	s_wait_kmcnt 0x0
	s_cmp_ge_u32 s28, s27
	s_cbranch_scc1 .LBB410_37
; %bb.5:
	v_cmp_neq_f64_e64 s5, s[12:13], 0
	v_cmp_neq_f64_e64 s36, s[14:15], 0
	;; [unrolled: 1-line block ×3, first 2 shown]
	v_and_b32_e32 v1, 0x3ff, v0
	v_bfe_u32 v2, v0, 10, 10
	s_clause 0x4
	s_load_b32 s38, s[0:1], 0x18
	s_load_b128 s[16:19], s[0:1], 0x20
	s_load_b32 s30, s[0:1], 0x30
	s_load_b96 s[24:26], s[0:1], 0x48
	s_load_b64 s[34:35], s[0:1], 0x58
	v_and_b32_e32 v35, 7, v0
	s_lshl_b32 s0, ttmp9, 5
	v_lshlrev_b32_e32 v36, 4, v1
	v_lshl_add_u32 v0, v2, 4, v1
	v_add_nc_u32_e32 v5, s0, v1
	v_lshlrev_b32_e32 v3, 4, v35
	s_lshl_b32 s1, ttmp7, 5
	v_lshl_add_u32 v37, v2, 7, 0x1000
	v_lshrrev_b32_e32 v38, 5, v0
	v_and_b32_e32 v1, 31, v0
	v_lshrrev_b32_e32 v0, 3, v0
	s_wait_alu 0xfffe
	s_and_b32 s2, s1, 0x1fffe0
	v_add_nc_u32_e32 v7, 16, v5
	v_add_nc_u32_e32 v4, s2, v2
	v_or_b32_e32 v8, s0, v1
	v_add_nc_u32_e32 v13, s2, v0
	v_lshlrev_b32_e32 v1, 4, v1
	v_lshl_or_b32 v0, v0, 7, v3
	v_cmp_le_i32_e32 vcc_lo, v4, v5
	v_cmp_le_i32_e64 s2, v4, v7
	v_cmp_gt_i32_e64 s3, s22, v7
	v_lshl_or_b32 v39, v38, 9, v1
	v_add_nc_u32_e32 v40, 0x1000, v0
	s_wait_kmcnt 0x0
	v_mad_co_i64_i32 v[1:2], null, v4, s26, 0
	v_add_nc_u32_e32 v0, 16, v4
	v_mad_co_i64_i32 v[3:4], null, s38, v8, 0
	v_cmp_gt_i32_e64 s1, s22, v5
	s_ashr_i32 s31, s30, 31
	v_mad_co_i64_i32 v[9:10], null, s30, v35, 0
	v_cmp_gt_i32_e64 s4, s22, v8
	s_or_b32 s5, s5, s36
	s_cmp_gt_i32 s23, 0
	v_lshlrev_b64_e32 v[3:4], 4, v[3:4]
	s_cselect_b32 s39, -1, 0
	s_and_b32 s36, s2, s3
	v_cmp_le_i32_e64 s2, v0, v7
	v_cmp_gt_i32_e64 s0, s22, v13
	s_xor_b32 s22, s33, -1
	s_and_b32 s33, vcc_lo, s1
	v_cmp_le_i32_e32 vcc_lo, v0, v5
	s_wait_alu 0xfffe
	s_or_b32 s22, s37, s22
	s_and_b32 s37, s2, s3
	s_lshl_b64 s[2:3], s[16:17], 4
	v_lshlrev_b64_e32 v[9:10], 4, v[9:10]
	v_mad_co_i64_i32 v[11:12], null, v0, s26, 0
	s_and_b32 s26, vcc_lo, s1
	s_wait_alu 0xfffe
	v_add_co_u32 v3, vcc_lo, v3, s2
	s_delay_alu instid0(VALU_DEP_1)
	v_add_co_ci_u32_e64 v4, null, s3, v4, vcc_lo
	s_lshl_b64 s[2:3], s[20:21], 4
	v_lshlrev_b32_e32 v13, 4, v13
	s_wait_alu 0xfffe
	v_add_co_u32 v9, vcc_lo, v9, s2
	v_lshlrev_b32_e32 v14, 4, v38
	s_wait_alu 0xfffd
	v_add_co_ci_u32_e64 v10, null, s3, v10, vcc_lo
	s_delay_alu instid0(VALU_DEP_3) | instskip(NEXT) | instid1(VALU_DEP_3)
	v_add_co_u32 v9, vcc_lo, v9, v13
	v_add_co_u32 v41, s1, v3, v14
	s_wait_alu 0xfffd
	s_delay_alu instid0(VALU_DEP_3) | instskip(NEXT) | instid1(VALU_DEP_3)
	v_add_co_ci_u32_e64 v43, null, 0, v10, vcc_lo
	v_or_b32_e32 v44, 8, v9
	v_lshlrev_b64_e32 v[9:10], 4, v[1:2]
	v_lshlrev_b64_e32 v[11:12], 4, v[11:12]
	v_ashrrev_i32_e32 v6, 31, v5
	v_ashrrev_i32_e32 v8, 31, v7
	v_mov_b32_e32 v0, 0
	s_wait_alu 0xf1ff
	v_add_co_ci_u32_e64 v42, null, 0, v4, s1
	s_mov_b32 s29, 0
	s_and_b32 s1, s5, s39
	s_lshl_b64 s[2:3], s[30:31], 7
	s_xor_b32 s20, s4, -1
	s_lshl_b64 s[4:5], s[34:35], 4
	s_branch .LBB410_7
.LBB410_6:                              ;   in Loop: Header=BB410_7 Depth=1
	s_wait_alu 0xfffe
	s_or_b32 exec_lo, exec_lo, s16
	s_add_co_i32 s28, s28, 0x10000
	s_delay_alu instid0(SALU_CYCLE_1)
	s_cmp_lt_u32 s28, s27
	s_cbranch_scc0 .LBB410_37
.LBB410_7:                              ; =>This Loop Header: Depth=1
                                        ;     Child Loop BB410_10 Depth 2
	s_lshl_b64 s[16:17], s[28:29], 3
	v_mov_b32_e32 v31, 0
	s_wait_alu 0xfffe
	s_add_nc_u64 s[30:31], s[24:25], s[16:17]
	v_mov_b32_e32 v27, 0
	global_load_b64 v[13:14], v0, s[30:31]
	v_mov_b32_e32 v23, 0
	v_dual_mov_b32 v21, 0 :: v_dual_mov_b32 v32, 0
	v_dual_mov_b32 v33, 0 :: v_dual_mov_b32 v28, 0
	;; [unrolled: 1-line block ×5, first 2 shown]
	v_mov_b32_e32 v30, 0
	v_mov_b32_e32 v26, 0
	v_mov_b32_e32 v20, 0
	s_and_not1_b32 vcc_lo, exec_lo, s1
	s_wait_alu 0xfffe
	s_cbranch_vccnz .LBB410_16
; %bb.8:                                ;   in Loop: Header=BB410_7 Depth=1
	s_add_nc_u64 s[30:31], s[6:7], s[16:17]
	s_add_nc_u64 s[16:17], s[18:19], s[16:17]
	s_clause 0x1
	global_load_b64 v[1:2], v0, s[30:31]
	global_load_b64 v[3:4], v0, s[16:17]
	v_mov_b32_e32 v19, 0
	v_mov_b32_e32 v25, 0
	;; [unrolled: 1-line block ×3, first 2 shown]
	v_dual_mov_b32 v33, 0 :: v_dual_mov_b32 v20, 0
	v_dual_mov_b32 v21, 0 :: v_dual_mov_b32 v26, 0
	;; [unrolled: 1-line block ×5, first 2 shown]
	v_mov_b32_e32 v24, 0
	v_mov_b32_e32 v28, 0
	;; [unrolled: 1-line block ×3, first 2 shown]
	s_mov_b32 s16, 0
	s_wait_loadcnt 0x1
	v_add_co_u32 v15, vcc_lo, v1, v41
	s_wait_alu 0xfffd
	v_add_co_ci_u32_e64 v16, null, v2, v42, vcc_lo
	s_wait_loadcnt 0x0
	v_add_co_u32 v17, vcc_lo, v3, v44
	s_wait_alu 0xfffd
	v_add_co_ci_u32_e64 v18, null, v4, v43, vcc_lo
	s_branch .LBB410_10
.LBB410_9:                              ;   in Loop: Header=BB410_10 Depth=2
	s_wait_alu 0xfffe
	s_or_b32 exec_lo, exec_lo, s17
	ds_store_b128 v40, v[1:4]
	s_wait_dscnt 0x0
	s_barrier_signal -1
	s_barrier_wait -1
	global_inv scope:SCOPE_SE
	ds_load_b128 v[1:4], v37
	ds_load_b128 v[45:48], v36
	ds_load_b128 v[49:52], v36 offset:256
	ds_load_b128 v[53:56], v37 offset:2048
	;; [unrolled: 1-line block ×10, first 2 shown]
	v_add_co_u32 v15, vcc_lo, 0x80, v15
	s_wait_alu 0xfffd
	v_add_co_ci_u32_e64 v16, null, 0, v16, vcc_lo
	v_add_co_u32 v17, vcc_lo, v17, s2
	s_wait_alu 0xfffd
	v_add_co_ci_u32_e64 v18, null, s3, v18, vcc_lo
	s_add_co_i32 s16, s16, 8
	s_wait_alu 0xfffe
	s_cmp_lt_i32 s16, s23
	s_wait_dscnt 0xa
	v_mul_f64_e32 v[89:90], v[3:4], v[47:48]
	v_mul_f64_e32 v[91:92], v[1:2], v[47:48]
	s_wait_dscnt 0x9
	v_mul_f64_e32 v[93:94], v[3:4], v[51:52]
	v_mul_f64_e32 v[95:96], v[1:2], v[51:52]
	;; [unrolled: 3-line block ×3, first 2 shown]
	v_mul_f64_e32 v[99:100], v[55:56], v[51:52]
	v_mul_f64_e32 v[51:52], v[53:54], v[51:52]
	s_wait_dscnt 0x5
	v_mul_f64_e32 v[101:102], v[59:60], v[67:68]
	v_mul_f64_e32 v[103:104], v[57:58], v[67:68]
	s_wait_dscnt 0x4
	v_mul_f64_e32 v[105:106], v[59:60], v[71:72]
	v_mul_f64_e32 v[107:108], v[57:58], v[71:72]
	;; [unrolled: 1-line block ×6, first 2 shown]
	s_wait_dscnt 0x2
	v_mul_f64_e32 v[117:118], v[75:76], v[79:80]
	v_mul_f64_e32 v[119:120], v[73:74], v[79:80]
	s_wait_dscnt 0x1
	v_mul_f64_e32 v[121:122], v[75:76], v[83:84]
	v_mul_f64_e32 v[123:124], v[73:74], v[83:84]
	;; [unrolled: 3-line block ×3, first 2 shown]
	v_mul_f64_e32 v[127:128], v[87:88], v[83:84]
	v_mul_f64_e32 v[83:84], v[85:86], v[83:84]
	v_fma_f64 v[89:90], v[1:2], v[45:46], -v[89:90]
	v_fma_f64 v[91:92], v[3:4], v[45:46], v[91:92]
	v_fma_f64 v[93:94], v[1:2], v[49:50], -v[93:94]
	v_fma_f64 v[95:96], v[3:4], v[49:50], v[95:96]
	;; [unrolled: 2-line block ×8, first 2 shown]
	ds_load_b128 v[1:4], v37 offset:48
	ds_load_b128 v[45:48], v37 offset:2096
	;; [unrolled: 1-line block ×4, first 2 shown]
	v_fma_f64 v[117:118], v[73:74], v[77:78], -v[117:118]
	v_fma_f64 v[119:120], v[75:76], v[77:78], v[119:120]
	v_fma_f64 v[73:74], v[73:74], v[81:82], -v[121:122]
	v_fma_f64 v[75:76], v[75:76], v[81:82], v[123:124]
	;; [unrolled: 2-line block ×4, first 2 shown]
	s_wait_dscnt 0x1
	v_mul_f64_e32 v[107:108], v[1:2], v[51:52]
	s_wait_dscnt 0x0
	v_mul_f64_e32 v[109:110], v[3:4], v[55:56]
	v_mul_f64_e32 v[111:112], v[1:2], v[55:56]
	v_add_f64_e32 v[67:68], v[31:32], v[89:90]
	v_add_f64_e32 v[69:70], v[91:92], v[33:34]
	;; [unrolled: 1-line block ×8, first 2 shown]
	v_mul_f64_e32 v[99:100], v[3:4], v[51:52]
	v_mul_f64_e32 v[113:114], v[47:48], v[51:52]
	v_mul_f64_e32 v[51:52], v[45:46], v[51:52]
	v_mul_f64_e32 v[115:116], v[47:48], v[55:56]
	v_mul_f64_e32 v[129:130], v[45:46], v[55:56]
	ds_load_b128 v[19:22], v37 offset:64
	ds_load_b128 v[23:26], v36 offset:2048
	;; [unrolled: 1-line block ×4, first 2 shown]
	s_wait_dscnt 0x0
	v_mul_f64_e32 v[123:124], v[33:34], v[25:26]
	v_mul_f64_e32 v[125:126], v[33:34], v[29:30]
	v_fma_f64 v[107:108], v[3:4], v[49:50], v[107:108]
	v_fma_f64 v[109:110], v[1:2], v[53:54], -v[109:110]
	v_fma_f64 v[111:112], v[3:4], v[53:54], v[111:112]
	v_add_f64_e32 v[83:84], v[67:68], v[101:102]
	v_add_f64_e32 v[85:86], v[103:104], v[69:70]
	;; [unrolled: 1-line block ×8, first 2 shown]
	v_mul_f64_e32 v[97:98], v[21:22], v[25:26]
	v_mul_f64_e32 v[101:102], v[19:20], v[25:26]
	v_mul_f64_e32 v[103:104], v[21:22], v[29:30]
	v_mul_f64_e32 v[105:106], v[19:20], v[29:30]
	v_mul_f64_e32 v[25:26], v[31:32], v[25:26]
	v_mul_f64_e32 v[29:30], v[31:32], v[29:30]
	v_fma_f64 v[99:100], v[1:2], v[49:50], -v[99:100]
	v_fma_f64 v[113:114], v[45:46], v[49:50], -v[113:114]
	v_fma_f64 v[127:128], v[47:48], v[49:50], v[51:52]
	v_fma_f64 v[115:116], v[45:46], v[53:54], -v[115:116]
	v_fma_f64 v[53:54], v[47:48], v[53:54], v[129:130]
	ds_load_b128 v[55:58], v37 offset:80
	ds_load_b128 v[59:62], v37 offset:2128
	;; [unrolled: 1-line block ×4, first 2 shown]
	v_fma_f64 v[123:124], v[31:32], v[23:24], -v[123:124]
	v_fma_f64 v[125:126], v[31:32], v[27:28], -v[125:126]
	v_add_f64_e32 v[83:84], v[83:84], v[117:118]
	v_add_f64_e32 v[85:86], v[119:120], v[85:86]
	;; [unrolled: 1-line block ×8, first 2 shown]
	s_wait_dscnt 0x1
	v_mul_f64_e32 v[89:90], v[57:58], v[65:66]
	v_mul_f64_e32 v[91:92], v[55:56], v[65:66]
	s_wait_dscnt 0x0
	v_mul_f64_e32 v[93:94], v[57:58], v[69:70]
	v_mul_f64_e32 v[95:96], v[55:56], v[69:70]
	v_mul_f64_e32 v[119:120], v[61:62], v[65:66]
	v_mul_f64_e32 v[65:66], v[59:60], v[65:66]
	v_mul_f64_e32 v[121:122], v[61:62], v[69:70]
	v_mul_f64_e32 v[69:70], v[59:60], v[69:70]
	v_fma_f64 v[97:98], v[19:20], v[23:24], -v[97:98]
	v_fma_f64 v[101:102], v[21:22], v[23:24], v[101:102]
	v_fma_f64 v[103:104], v[19:20], v[27:28], -v[103:104]
	v_fma_f64 v[105:106], v[21:22], v[27:28], v[105:106]
	v_fma_f64 v[129:130], v[33:34], v[23:24], v[25:26]
	v_fma_f64 v[131:132], v[33:34], v[27:28], v[29:30]
	ds_load_b128 v[1:4], v37 offset:96
	ds_load_b128 v[45:48], v36 offset:3072
	;; [unrolled: 1-line block ×8, first 2 shown]
	s_wait_loadcnt_dscnt 0x0
	s_barrier_signal -1
	s_barrier_wait -1
	global_inv scope:SCOPE_SE
	v_add_f64_e32 v[83:84], v[83:84], v[99:100]
	v_add_f64_e32 v[85:86], v[107:108], v[85:86]
	;; [unrolled: 1-line block ×8, first 2 shown]
	v_mul_f64_e32 v[81:82], v[3:4], v[47:48]
	v_mul_f64_e32 v[107:108], v[1:2], v[47:48]
	;; [unrolled: 1-line block ×8, first 2 shown]
	v_fma_f64 v[89:90], v[55:56], v[63:64], -v[89:90]
	v_fma_f64 v[91:92], v[57:58], v[63:64], v[91:92]
	v_fma_f64 v[55:56], v[55:56], v[67:68], -v[93:94]
	v_fma_f64 v[57:58], v[57:58], v[67:68], v[95:96]
	v_fma_f64 v[93:94], v[59:60], v[63:64], -v[119:120]
	v_fma_f64 v[63:64], v[61:62], v[63:64], v[65:66]
	v_fma_f64 v[59:60], v[59:60], v[67:68], -v[121:122]
	v_fma_f64 v[61:62], v[61:62], v[67:68], v[69:70]
	v_mul_f64_e32 v[95:96], v[21:22], v[33:34]
	v_add_f64_e32 v[65:66], v[83:84], v[97:98]
	v_add_f64_e32 v[67:68], v[101:102], v[85:86]
	;; [unrolled: 1-line block ×8, first 2 shown]
	v_mul_f64_e32 v[85:86], v[21:22], v[29:30]
	v_mul_f64_e32 v[87:88], v[19:20], v[29:30]
	;; [unrolled: 1-line block ×7, first 2 shown]
	v_fma_f64 v[81:82], v[1:2], v[45:46], -v[81:82]
	v_fma_f64 v[103:104], v[3:4], v[45:46], v[107:108]
	v_fma_f64 v[1:2], v[1:2], v[49:50], -v[109:110]
	v_fma_f64 v[3:4], v[3:4], v[49:50], v[111:112]
	v_fma_f64 v[105:106], v[71:72], v[45:46], -v[113:114]
	v_fma_f64 v[45:46], v[73:74], v[45:46], v[47:48]
	v_fma_f64 v[47:48], v[71:72], v[49:50], -v[115:116]
	v_fma_f64 v[49:50], v[73:74], v[49:50], v[51:52]
	v_add_f64_e32 v[51:52], v[65:66], v[89:90]
	v_add_f64_e32 v[65:66], v[91:92], v[67:68]
	;; [unrolled: 1-line block ×8, first 2 shown]
	v_fma_f64 v[61:62], v[19:20], v[27:28], -v[85:86]
	v_fma_f64 v[69:70], v[21:22], v[27:28], v[87:88]
	v_fma_f64 v[19:20], v[19:20], v[31:32], -v[95:96]
	v_fma_f64 v[21:22], v[21:22], v[31:32], v[97:98]
	v_fma_f64 v[71:72], v[23:24], v[27:28], -v[99:100]
	v_fma_f64 v[73:74], v[25:26], v[27:28], v[29:30]
	v_fma_f64 v[75:76], v[23:24], v[31:32], -v[101:102]
	v_fma_f64 v[77:78], v[25:26], v[31:32], v[33:34]
	v_add_f64_e32 v[23:24], v[51:52], v[81:82]
	v_add_f64_e32 v[25:26], v[103:104], v[65:66]
	;; [unrolled: 1-line block ×16, first 2 shown]
	s_cbranch_scc0 .LBB410_16
.LBB410_10:                             ;   Parent Loop BB410_7 Depth=1
                                        ; =>  This Inner Loop Header: Depth=2
	s_wait_alu 0xfffe
	v_add_nc_u32_e32 v1, s16, v38
	s_delay_alu instid0(VALU_DEP_1) | instskip(SKIP_3) | instid1(SALU_CYCLE_1)
	v_cmp_le_i32_e32 vcc_lo, s23, v1
	s_or_b32 s17, s20, vcc_lo
	s_wait_alu 0xfffe
	s_and_saveexec_b32 s21, s17
	s_xor_b32 s17, exec_lo, s21
; %bb.11:                               ;   in Loop: Header=BB410_10 Depth=2
	v_dual_mov_b32 v1, v0 :: v_dual_mov_b32 v2, v0
	v_mov_b32_e32 v3, v0
	ds_store_b128 v39, v[0:3]
; %bb.12:                               ;   in Loop: Header=BB410_10 Depth=2
	s_wait_alu 0xfffe
	s_and_not1_saveexec_b32 s17, s17
	s_cbranch_execz .LBB410_14
; %bb.13:                               ;   in Loop: Header=BB410_10 Depth=2
	flat_load_b128 v[1:4], v[15:16]
	s_wait_loadcnt_dscnt 0x0
	ds_store_2addr_b64 v39, v[1:2], v[3:4] offset1:1
.LBB410_14:                             ;   in Loop: Header=BB410_10 Depth=2
	s_wait_alu 0xfffe
	s_or_b32 exec_lo, exec_lo, s17
	v_add_nc_u32_e32 v1, s16, v35
	v_mov_b32_e32 v3, 0
	v_mov_b32_e32 v4, 0
	s_delay_alu instid0(VALU_DEP_3) | instskip(SKIP_3) | instid1(SALU_CYCLE_1)
	v_cmp_gt_i32_e32 vcc_lo, s23, v1
	v_mov_b32_e32 v1, 0
	v_mov_b32_e32 v2, 0
	s_and_b32 s21, vcc_lo, s0
	s_and_saveexec_b32 s17, s21
	s_cbranch_execz .LBB410_9
; %bb.15:                               ;   in Loop: Header=BB410_10 Depth=2
	flat_load_b128 v[1:4], v[17:18] offset:-8
	s_wait_loadcnt_dscnt 0x0
	v_xor_b32_e32 v4, 0x80000000, v4
	s_branch .LBB410_9
.LBB410_16:                             ;   in Loop: Header=BB410_7 Depth=1
	s_wait_loadcnt 0x0
	v_add_co_u32 v13, vcc_lo, v13, s4
	s_wait_alu 0xfffd
	v_add_co_ci_u32_e64 v14, null, s5, v14, vcc_lo
	s_delay_alu instid0(VALU_DEP_2) | instskip(SKIP_1) | instid1(VALU_DEP_2)
	v_add_co_u32 v15, vcc_lo, v13, v9
	s_wait_alu 0xfffd
	v_add_co_ci_u32_e64 v16, null, v14, v10, vcc_lo
	s_and_saveexec_b32 s16, s33
	s_cbranch_execz .LBB410_21
; %bb.17:                               ;   in Loop: Header=BB410_7 Depth=1
	v_mul_f64_e32 v[1:2], s[14:15], v[33:34]
	v_mul_f64_e32 v[3:4], s[12:13], v[33:34]
	s_and_b32 vcc_lo, exec_lo, s22
	s_mov_b32 s17, -1
	s_delay_alu instid0(VALU_DEP_2) | instskip(NEXT) | instid1(VALU_DEP_2)
	v_fma_f64 v[1:2], s[12:13], v[31:32], -v[1:2]
	v_fma_f64 v[3:4], s[14:15], v[31:32], v[3:4]
	s_wait_alu 0xfffe
	s_cbranch_vccz .LBB410_19
; %bb.18:                               ;   in Loop: Header=BB410_7 Depth=1
	v_lshlrev_b64_e32 v[17:18], 4, v[5:6]
	s_mov_b32 s17, 0
	s_delay_alu instid0(VALU_DEP_1) | instskip(SKIP_1) | instid1(VALU_DEP_2)
	v_add_co_u32 v17, vcc_lo, v15, v17
	s_wait_alu 0xfffd
	v_add_co_ci_u32_e64 v18, null, v16, v18, vcc_lo
	flat_load_b128 v[31:34], v[17:18]
	s_wait_loadcnt_dscnt 0x0
	v_mul_f64_e32 v[45:46], s[10:11], v[33:34]
	v_mul_f64_e32 v[33:34], s[8:9], v[33:34]
	s_delay_alu instid0(VALU_DEP_2) | instskip(NEXT) | instid1(VALU_DEP_2)
	v_fma_f64 v[45:46], s[8:9], v[31:32], -v[45:46]
	v_fma_f64 v[33:34], s[10:11], v[31:32], v[33:34]
	s_delay_alu instid0(VALU_DEP_2) | instskip(NEXT) | instid1(VALU_DEP_2)
	v_add_f64_e32 v[31:32], v[1:2], v[45:46]
	v_add_f64_e32 v[33:34], v[3:4], v[33:34]
	flat_store_b128 v[17:18], v[31:34]
.LBB410_19:                             ;   in Loop: Header=BB410_7 Depth=1
	s_wait_alu 0xfffe
	s_and_not1_b32 vcc_lo, exec_lo, s17
	s_wait_alu 0xfffe
	s_cbranch_vccnz .LBB410_21
; %bb.20:                               ;   in Loop: Header=BB410_7 Depth=1
	v_lshlrev_b64_e32 v[17:18], 4, v[5:6]
	s_delay_alu instid0(VALU_DEP_1) | instskip(SKIP_1) | instid1(VALU_DEP_2)
	v_add_co_u32 v17, vcc_lo, v15, v17
	s_wait_alu 0xfffd
	v_add_co_ci_u32_e64 v18, null, v16, v18, vcc_lo
	flat_store_b128 v[17:18], v[1:4]
.LBB410_21:                             ;   in Loop: Header=BB410_7 Depth=1
	s_wait_alu 0xfffe
	s_or_b32 exec_lo, exec_lo, s16
	s_and_saveexec_b32 s16, s36
	s_cbranch_execz .LBB410_26
; %bb.22:                               ;   in Loop: Header=BB410_7 Depth=1
	v_mul_f64_e32 v[1:2], s[14:15], v[29:30]
	v_mul_f64_e32 v[3:4], s[12:13], v[29:30]
	s_and_not1_b32 vcc_lo, exec_lo, s22
	s_mov_b32 s17, -1
	s_delay_alu instid0(VALU_DEP_2) | instskip(NEXT) | instid1(VALU_DEP_2)
	v_fma_f64 v[1:2], s[12:13], v[27:28], -v[1:2]
	v_fma_f64 v[3:4], s[14:15], v[27:28], v[3:4]
	s_wait_alu 0xfffe
	s_cbranch_vccnz .LBB410_24
; %bb.23:                               ;   in Loop: Header=BB410_7 Depth=1
	v_lshlrev_b64_e32 v[17:18], 4, v[7:8]
	s_mov_b32 s17, 0
	s_delay_alu instid0(VALU_DEP_1) | instskip(SKIP_1) | instid1(VALU_DEP_2)
	v_add_co_u32 v17, vcc_lo, v15, v17
	s_wait_alu 0xfffd
	v_add_co_ci_u32_e64 v18, null, v16, v18, vcc_lo
	flat_load_b128 v[27:30], v[17:18]
	s_wait_loadcnt_dscnt 0x0
	v_mul_f64_e32 v[31:32], s[10:11], v[29:30]
	v_mul_f64_e32 v[29:30], s[8:9], v[29:30]
	s_delay_alu instid0(VALU_DEP_2) | instskip(NEXT) | instid1(VALU_DEP_2)
	v_fma_f64 v[31:32], s[8:9], v[27:28], -v[31:32]
	v_fma_f64 v[29:30], s[10:11], v[27:28], v[29:30]
	s_delay_alu instid0(VALU_DEP_2) | instskip(NEXT) | instid1(VALU_DEP_2)
	v_add_f64_e32 v[27:28], v[1:2], v[31:32]
	v_add_f64_e32 v[29:30], v[3:4], v[29:30]
	flat_store_b128 v[17:18], v[27:30]
.LBB410_24:                             ;   in Loop: Header=BB410_7 Depth=1
	s_wait_alu 0xfffe
	s_and_not1_b32 vcc_lo, exec_lo, s17
	s_wait_alu 0xfffe
	s_cbranch_vccnz .LBB410_26
; %bb.25:                               ;   in Loop: Header=BB410_7 Depth=1
	v_lshlrev_b64_e32 v[17:18], 4, v[7:8]
	s_delay_alu instid0(VALU_DEP_1) | instskip(SKIP_1) | instid1(VALU_DEP_2)
	v_add_co_u32 v15, vcc_lo, v15, v17
	s_wait_alu 0xfffd
	v_add_co_ci_u32_e64 v16, null, v16, v18, vcc_lo
	flat_store_b128 v[15:16], v[1:4]
.LBB410_26:                             ;   in Loop: Header=BB410_7 Depth=1
	s_wait_alu 0xfffe
	s_or_b32 exec_lo, exec_lo, s16
	v_add_co_u32 v15, vcc_lo, v13, v11
	s_wait_alu 0xfffd
	v_add_co_ci_u32_e64 v16, null, v14, v12, vcc_lo
	s_and_saveexec_b32 s16, s26
	s_cbranch_execz .LBB410_31
; %bb.27:                               ;   in Loop: Header=BB410_7 Depth=1
	v_mul_f64_e32 v[1:2], s[14:15], v[25:26]
	v_mul_f64_e32 v[3:4], s[12:13], v[25:26]
	v_lshlrev_b64_e32 v[13:14], 4, v[5:6]
	s_and_not1_b32 vcc_lo, exec_lo, s22
	s_mov_b32 s17, -1
	s_delay_alu instid0(VALU_DEP_3) | instskip(NEXT) | instid1(VALU_DEP_3)
	v_fma_f64 v[1:2], s[12:13], v[23:24], -v[1:2]
	v_fma_f64 v[3:4], s[14:15], v[23:24], v[3:4]
	s_wait_alu 0xfffe
	s_cbranch_vccnz .LBB410_29
; %bb.28:                               ;   in Loop: Header=BB410_7 Depth=1
	v_add_co_u32 v17, vcc_lo, v15, v13
	s_wait_alu 0xfffd
	v_add_co_ci_u32_e64 v18, null, v16, v14, vcc_lo
	s_mov_b32 s17, 0
	flat_load_b128 v[23:26], v[17:18]
	s_wait_loadcnt_dscnt 0x0
	v_mul_f64_e32 v[27:28], s[10:11], v[25:26]
	v_mul_f64_e32 v[25:26], s[8:9], v[25:26]
	s_delay_alu instid0(VALU_DEP_2) | instskip(NEXT) | instid1(VALU_DEP_2)
	v_fma_f64 v[27:28], s[8:9], v[23:24], -v[27:28]
	v_fma_f64 v[25:26], s[10:11], v[23:24], v[25:26]
	s_delay_alu instid0(VALU_DEP_2) | instskip(NEXT) | instid1(VALU_DEP_2)
	v_add_f64_e32 v[23:24], v[1:2], v[27:28]
	v_add_f64_e32 v[25:26], v[3:4], v[25:26]
	flat_store_b128 v[17:18], v[23:26]
.LBB410_29:                             ;   in Loop: Header=BB410_7 Depth=1
	s_wait_alu 0xfffe
	s_and_not1_b32 vcc_lo, exec_lo, s17
	s_wait_alu 0xfffe
	s_cbranch_vccnz .LBB410_31
; %bb.30:                               ;   in Loop: Header=BB410_7 Depth=1
	v_add_co_u32 v13, vcc_lo, v15, v13
	s_wait_alu 0xfffd
	v_add_co_ci_u32_e64 v14, null, v16, v14, vcc_lo
	flat_store_b128 v[13:14], v[1:4]
.LBB410_31:                             ;   in Loop: Header=BB410_7 Depth=1
	s_wait_alu 0xfffe
	s_or_b32 exec_lo, exec_lo, s16
	s_and_saveexec_b32 s16, s37
	s_cbranch_execz .LBB410_6
; %bb.32:                               ;   in Loop: Header=BB410_7 Depth=1
	v_mul_f64_e32 v[1:2], s[14:15], v[19:20]
	v_mul_f64_e32 v[3:4], s[12:13], v[19:20]
	v_lshlrev_b64_e32 v[13:14], 4, v[7:8]
	s_and_not1_b32 vcc_lo, exec_lo, s22
	s_mov_b32 s17, -1
	s_delay_alu instid0(VALU_DEP_3) | instskip(NEXT) | instid1(VALU_DEP_3)
	v_fma_f64 v[1:2], s[12:13], v[21:22], -v[1:2]
	v_fma_f64 v[3:4], s[14:15], v[21:22], v[3:4]
	s_wait_alu 0xfffe
	s_cbranch_vccnz .LBB410_34
; %bb.33:                               ;   in Loop: Header=BB410_7 Depth=1
	v_add_co_u32 v21, vcc_lo, v15, v13
	s_wait_alu 0xfffd
	v_add_co_ci_u32_e64 v22, null, v16, v14, vcc_lo
	s_mov_b32 s17, 0
	flat_load_b128 v[17:20], v[21:22]
	s_wait_loadcnt_dscnt 0x0
	v_mul_f64_e32 v[23:24], s[10:11], v[19:20]
	v_mul_f64_e32 v[19:20], s[8:9], v[19:20]
	s_delay_alu instid0(VALU_DEP_2) | instskip(NEXT) | instid1(VALU_DEP_2)
	v_fma_f64 v[23:24], s[8:9], v[17:18], -v[23:24]
	v_fma_f64 v[19:20], s[10:11], v[17:18], v[19:20]
	s_delay_alu instid0(VALU_DEP_2) | instskip(NEXT) | instid1(VALU_DEP_2)
	v_add_f64_e32 v[17:18], v[1:2], v[23:24]
	v_add_f64_e32 v[19:20], v[3:4], v[19:20]
	flat_store_b128 v[21:22], v[17:20]
.LBB410_34:                             ;   in Loop: Header=BB410_7 Depth=1
	s_wait_alu 0xfffe
	s_and_not1_b32 vcc_lo, exec_lo, s17
	s_wait_alu 0xfffe
	s_cbranch_vccnz .LBB410_6
; %bb.35:                               ;   in Loop: Header=BB410_7 Depth=1
	v_add_co_u32 v13, vcc_lo, v15, v13
	s_wait_alu 0xfffd
	v_add_co_ci_u32_e64 v14, null, v16, v14, vcc_lo
	flat_store_b128 v[13:14], v[1:4]
	s_branch .LBB410_6
.LBB410_36:
.LBB410_37:
	s_nop 0
	s_sendmsg sendmsg(MSG_DEALLOC_VGPRS)
	s_endpgm
	.section	.rodata,"a",@progbits
	.p2align	6, 0x0
	.amdhsa_kernel _ZL29rocblas_internal_gemmt_kernelIiLi16ELi32ELi8ELc84ELc67ELc76ELb0ELb1E19rocblas_complex_numIdEPKS1_PKS3_PKPS1_EviT_T9_T10_S9_lSB_S9_lSA_T11_S9_li
		.amdhsa_group_segment_fixed_size 8192
		.amdhsa_private_segment_fixed_size 0
		.amdhsa_kernarg_size 100
		.amdhsa_user_sgpr_count 2
		.amdhsa_user_sgpr_dispatch_ptr 0
		.amdhsa_user_sgpr_queue_ptr 0
		.amdhsa_user_sgpr_kernarg_segment_ptr 1
		.amdhsa_user_sgpr_dispatch_id 0
		.amdhsa_user_sgpr_private_segment_size 0
		.amdhsa_wavefront_size32 1
		.amdhsa_uses_dynamic_stack 0
		.amdhsa_enable_private_segment 0
		.amdhsa_system_sgpr_workgroup_id_x 1
		.amdhsa_system_sgpr_workgroup_id_y 1
		.amdhsa_system_sgpr_workgroup_id_z 1
		.amdhsa_system_sgpr_workgroup_info 0
		.amdhsa_system_vgpr_workitem_id 1
		.amdhsa_next_free_vgpr 133
		.amdhsa_next_free_sgpr 40
		.amdhsa_reserve_vcc 1
		.amdhsa_float_round_mode_32 0
		.amdhsa_float_round_mode_16_64 0
		.amdhsa_float_denorm_mode_32 3
		.amdhsa_float_denorm_mode_16_64 3
		.amdhsa_fp16_overflow 0
		.amdhsa_workgroup_processor_mode 1
		.amdhsa_memory_ordered 1
		.amdhsa_forward_progress 1
		.amdhsa_inst_pref_size 28
		.amdhsa_round_robin_scheduling 0
		.amdhsa_exception_fp_ieee_invalid_op 0
		.amdhsa_exception_fp_denorm_src 0
		.amdhsa_exception_fp_ieee_div_zero 0
		.amdhsa_exception_fp_ieee_overflow 0
		.amdhsa_exception_fp_ieee_underflow 0
		.amdhsa_exception_fp_ieee_inexact 0
		.amdhsa_exception_int_div_zero 0
	.end_amdhsa_kernel
	.section	.text._ZL29rocblas_internal_gemmt_kernelIiLi16ELi32ELi8ELc84ELc67ELc76ELb0ELb1E19rocblas_complex_numIdEPKS1_PKS3_PKPS1_EviT_T9_T10_S9_lSB_S9_lSA_T11_S9_li,"axG",@progbits,_ZL29rocblas_internal_gemmt_kernelIiLi16ELi32ELi8ELc84ELc67ELc76ELb0ELb1E19rocblas_complex_numIdEPKS1_PKS3_PKPS1_EviT_T9_T10_S9_lSB_S9_lSA_T11_S9_li,comdat
.Lfunc_end410:
	.size	_ZL29rocblas_internal_gemmt_kernelIiLi16ELi32ELi8ELc84ELc67ELc76ELb0ELb1E19rocblas_complex_numIdEPKS1_PKS3_PKPS1_EviT_T9_T10_S9_lSB_S9_lSA_T11_S9_li, .Lfunc_end410-_ZL29rocblas_internal_gemmt_kernelIiLi16ELi32ELi8ELc84ELc67ELc76ELb0ELb1E19rocblas_complex_numIdEPKS1_PKS3_PKPS1_EviT_T9_T10_S9_lSB_S9_lSA_T11_S9_li
                                        ; -- End function
	.set _ZL29rocblas_internal_gemmt_kernelIiLi16ELi32ELi8ELc84ELc67ELc76ELb0ELb1E19rocblas_complex_numIdEPKS1_PKS3_PKPS1_EviT_T9_T10_S9_lSB_S9_lSA_T11_S9_li.num_vgpr, 133
	.set _ZL29rocblas_internal_gemmt_kernelIiLi16ELi32ELi8ELc84ELc67ELc76ELb0ELb1E19rocblas_complex_numIdEPKS1_PKS3_PKPS1_EviT_T9_T10_S9_lSB_S9_lSA_T11_S9_li.num_agpr, 0
	.set _ZL29rocblas_internal_gemmt_kernelIiLi16ELi32ELi8ELc84ELc67ELc76ELb0ELb1E19rocblas_complex_numIdEPKS1_PKS3_PKPS1_EviT_T9_T10_S9_lSB_S9_lSA_T11_S9_li.numbered_sgpr, 40
	.set _ZL29rocblas_internal_gemmt_kernelIiLi16ELi32ELi8ELc84ELc67ELc76ELb0ELb1E19rocblas_complex_numIdEPKS1_PKS3_PKPS1_EviT_T9_T10_S9_lSB_S9_lSA_T11_S9_li.num_named_barrier, 0
	.set _ZL29rocblas_internal_gemmt_kernelIiLi16ELi32ELi8ELc84ELc67ELc76ELb0ELb1E19rocblas_complex_numIdEPKS1_PKS3_PKPS1_EviT_T9_T10_S9_lSB_S9_lSA_T11_S9_li.private_seg_size, 0
	.set _ZL29rocblas_internal_gemmt_kernelIiLi16ELi32ELi8ELc84ELc67ELc76ELb0ELb1E19rocblas_complex_numIdEPKS1_PKS3_PKPS1_EviT_T9_T10_S9_lSB_S9_lSA_T11_S9_li.uses_vcc, 1
	.set _ZL29rocblas_internal_gemmt_kernelIiLi16ELi32ELi8ELc84ELc67ELc76ELb0ELb1E19rocblas_complex_numIdEPKS1_PKS3_PKPS1_EviT_T9_T10_S9_lSB_S9_lSA_T11_S9_li.uses_flat_scratch, 0
	.set _ZL29rocblas_internal_gemmt_kernelIiLi16ELi32ELi8ELc84ELc67ELc76ELb0ELb1E19rocblas_complex_numIdEPKS1_PKS3_PKPS1_EviT_T9_T10_S9_lSB_S9_lSA_T11_S9_li.has_dyn_sized_stack, 0
	.set _ZL29rocblas_internal_gemmt_kernelIiLi16ELi32ELi8ELc84ELc67ELc76ELb0ELb1E19rocblas_complex_numIdEPKS1_PKS3_PKPS1_EviT_T9_T10_S9_lSB_S9_lSA_T11_S9_li.has_recursion, 0
	.set _ZL29rocblas_internal_gemmt_kernelIiLi16ELi32ELi8ELc84ELc67ELc76ELb0ELb1E19rocblas_complex_numIdEPKS1_PKS3_PKPS1_EviT_T9_T10_S9_lSB_S9_lSA_T11_S9_li.has_indirect_call, 0
	.section	.AMDGPU.csdata,"",@progbits
; Kernel info:
; codeLenInByte = 3480
; TotalNumSgprs: 42
; NumVgprs: 133
; ScratchSize: 0
; MemoryBound: 1
; FloatMode: 240
; IeeeMode: 1
; LDSByteSize: 8192 bytes/workgroup (compile time only)
; SGPRBlocks: 0
; VGPRBlocks: 16
; NumSGPRsForWavesPerEU: 42
; NumVGPRsForWavesPerEU: 133
; Occupancy: 10
; WaveLimiterHint : 1
; COMPUTE_PGM_RSRC2:SCRATCH_EN: 0
; COMPUTE_PGM_RSRC2:USER_SGPR: 2
; COMPUTE_PGM_RSRC2:TRAP_HANDLER: 0
; COMPUTE_PGM_RSRC2:TGID_X_EN: 1
; COMPUTE_PGM_RSRC2:TGID_Y_EN: 1
; COMPUTE_PGM_RSRC2:TGID_Z_EN: 1
; COMPUTE_PGM_RSRC2:TIDIG_COMP_CNT: 1
	.section	.text._ZL29rocblas_internal_gemmt_kernelIiLi16ELi32ELi8ELc67ELc78ELc76ELb1ELb0E19rocblas_complex_numIdEPKS1_PKS3_PKPS1_EviT_T9_T10_S9_lSB_S9_lSA_T11_S9_li,"axG",@progbits,_ZL29rocblas_internal_gemmt_kernelIiLi16ELi32ELi8ELc67ELc78ELc76ELb1ELb0E19rocblas_complex_numIdEPKS1_PKS3_PKPS1_EviT_T9_T10_S9_lSB_S9_lSA_T11_S9_li,comdat
	.globl	_ZL29rocblas_internal_gemmt_kernelIiLi16ELi32ELi8ELc67ELc78ELc76ELb1ELb0E19rocblas_complex_numIdEPKS1_PKS3_PKPS1_EviT_T9_T10_S9_lSB_S9_lSA_T11_S9_li ; -- Begin function _ZL29rocblas_internal_gemmt_kernelIiLi16ELi32ELi8ELc67ELc78ELc76ELb1ELb0E19rocblas_complex_numIdEPKS1_PKS3_PKPS1_EviT_T9_T10_S9_lSB_S9_lSA_T11_S9_li
	.p2align	8
	.type	_ZL29rocblas_internal_gemmt_kernelIiLi16ELi32ELi8ELc67ELc78ELc76ELb1ELb0E19rocblas_complex_numIdEPKS1_PKS3_PKPS1_EviT_T9_T10_S9_lSB_S9_lSA_T11_S9_li,@function
_ZL29rocblas_internal_gemmt_kernelIiLi16ELi32ELi8ELc67ELc78ELc76ELb1ELb0E19rocblas_complex_numIdEPKS1_PKS3_PKPS1_EviT_T9_T10_S9_lSB_S9_lSA_T11_S9_li: ; @_ZL29rocblas_internal_gemmt_kernelIiLi16ELi32ELi8ELc67ELc78ELc76ELb1ELb0E19rocblas_complex_numIdEPKS1_PKS3_PKPS1_EviT_T9_T10_S9_lSB_S9_lSA_T11_S9_li
; %bb.0:
	s_load_b128 s[20:23], s[0:1], 0x38
	s_wait_kmcnt 0x0
	s_load_b128 s[8:11], s[22:23], 0x0
	s_clause 0x1
	s_load_b128 s[4:7], s[0:1], 0x8
	s_load_b64 s[22:23], s[0:1], 0x0
	s_wait_kmcnt 0x0
	s_load_b128 s[12:15], s[4:5], 0x0
	v_cmp_eq_f64_e64 s2, s[8:9], 1.0
	v_cmp_eq_f64_e64 s30, s[10:11], 0
	s_and_b32 s2, s2, s30
	s_delay_alu instid0(SALU_CYCLE_1)
	s_and_not1_b32 vcc_lo, exec_lo, s2
	s_mov_b32 s2, -1
	s_cbranch_vccnz .LBB411_3
; %bb.1:
	s_cmp_lg_u32 s23, 0
	s_cbranch_scc0 .LBB411_36
; %bb.2:
	s_wait_kmcnt 0x0
	v_cmp_neq_f64_e64 s2, s[12:13], 0
	v_cmp_neq_f64_e64 s3, s[14:15], 0
	s_or_b32 s2, s2, s3
.LBB411_3:
	s_delay_alu instid0(SALU_CYCLE_1)
	s_and_b32 vcc_lo, exec_lo, s2
	s_cbranch_vccz .LBB411_37
; %bb.4:
	s_load_b32 s27, s[0:1], 0x60
	s_lshr_b32 s28, ttmp7, 16
	s_wait_kmcnt 0x0
	s_cmp_ge_u32 s28, s27
	s_cbranch_scc1 .LBB411_37
; %bb.5:
	v_cmp_neq_f64_e64 s4, s[12:13], 0
	v_cmp_neq_f64_e64 s5, s[14:15], 0
	;; [unrolled: 1-line block ×3, first 2 shown]
	v_and_b32_e32 v1, 0x3ff, v0
	v_bfe_u32 v2, v0, 10, 10
	s_clause 0x4
	s_load_b32 s33, s[0:1], 0x18
	s_load_b128 s[16:19], s[0:1], 0x20
	s_load_b32 s36, s[0:1], 0x30
	s_load_b96 s[24:26], s[0:1], 0x48
	s_load_b64 s[34:35], s[0:1], 0x58
	v_and_b32_e32 v35, 7, v0
	s_lshl_b32 s0, ttmp9, 5
	v_lshlrev_b32_e32 v36, 4, v1
	v_lshl_add_u32 v0, v2, 4, v1
	v_add_nc_u32_e32 v5, s0, v1
	v_lshlrev_b32_e32 v13, 4, v35
	s_lshl_b32 s1, ttmp7, 5
	v_lshl_add_u32 v37, v2, 7, 0x1000
	v_lshrrev_b32_e32 v38, 5, v0
	v_and_b32_e32 v1, 31, v0
	v_lshrrev_b32_e32 v0, 3, v0
	s_wait_alu 0xfffe
	s_and_b32 s2, s1, 0x1fffe0
	v_add_nc_u32_e32 v7, 16, v5
	v_add_nc_u32_e32 v3, s2, v2
	v_or_b32_e32 v4, s0, v1
	v_lshlrev_b32_e32 v1, 4, v1
	v_add_nc_u32_e32 v9, s2, v0
	v_lshl_or_b32 v0, v0, 7, v13
	v_cmp_le_i32_e32 vcc_lo, v3, v5
	v_cmp_le_i32_e64 s2, v3, v7
	v_cmp_gt_i32_e64 s0, s22, v4
	v_lshl_or_b32 v39, v38, 9, v1
	v_add_nc_u32_e32 v40, 0x1000, v0
	s_wait_kmcnt 0x0
	v_mad_co_i64_i32 v[1:2], null, v3, s26, 0
	v_add_nc_u32_e32 v0, 16, v3
	v_mad_co_i64_i32 v[3:4], null, s33, v4, 0
	v_cmp_gt_i32_e64 s1, s22, v5
	v_cmp_gt_i32_e64 s3, s22, v9
	v_mad_co_i64_i32 v[9:10], null, s36, v9, 0
	v_mad_co_i64_i32 v[11:12], null, v0, s26, 0
	s_or_b32 s37, s4, s5
	s_cmp_gt_i32 s23, 0
	v_lshlrev_b64_e32 v[3:4], 4, v[3:4]
	s_cselect_b32 s38, -1, 0
	s_xor_b32 s4, s30, -1
	s_and_b32 s30, vcc_lo, s1
	s_or_b32 s31, s31, s4
	v_cmp_le_i32_e64 s4, v0, v5
	v_cmp_gt_i32_e32 vcc_lo, s22, v7
	v_lshlrev_b32_e32 v14, 4, v38
	v_lshlrev_b64_e32 v[11:12], 4, v[11:12]
	v_ashrrev_i32_e32 v6, 31, v5
	s_and_b32 s26, s4, s1
	s_lshl_b64 s[4:5], s[16:17], 4
	s_and_b32 s22, s2, vcc_lo
	v_add_co_u32 v15, s2, v3, s4
	s_wait_alu 0xf1ff
	v_add_co_ci_u32_e64 v16, null, s5, v4, s2
	v_lshlrev_b64_e32 v[3:4], 4, v[9:10]
	s_delay_alu instid0(VALU_DEP_3)
	v_add_co_u32 v9, s2, v15, v14
	s_lshl_b64 s[4:5], s[20:21], 4
	s_wait_alu 0xf1ff
	v_add_co_ci_u32_e64 v41, null, 0, v16, s2
	s_wait_alu 0xfffe
	v_add_co_u32 v3, s2, v3, s4
	s_wait_alu 0xf1ff
	v_add_co_ci_u32_e64 v4, null, s5, v4, s2
	v_cmp_le_i32_e64 s1, v0, v7
	s_delay_alu instid0(VALU_DEP_3)
	v_add_co_u32 v43, s2, v3, v13
	v_or_b32_e32 v42, 8, v9
	v_lshlrev_b64_e32 v[9:10], 4, v[1:2]
	v_ashrrev_i32_e32 v8, 31, v7
	v_mov_b32_e32 v0, 0
	s_wait_alu 0xf1ff
	v_add_co_ci_u32_e64 v44, null, 0, v4, s2
	s_mov_b32 s29, 0
	s_and_b32 s16, s37, s38
	s_and_b32 s1, s1, vcc_lo
	s_xor_b32 s17, s3, -1
	s_lshl_b64 s[2:3], s[34:35], 4
	s_branch .LBB411_7
.LBB411_6:                              ;   in Loop: Header=BB411_7 Depth=1
	s_wait_alu 0xfffe
	s_or_b32 exec_lo, exec_lo, s4
	s_add_co_i32 s28, s28, 0x10000
	s_delay_alu instid0(SALU_CYCLE_1)
	s_cmp_lt_u32 s28, s27
	s_cbranch_scc0 .LBB411_37
.LBB411_7:                              ; =>This Loop Header: Depth=1
                                        ;     Child Loop BB411_10 Depth 2
	s_lshl_b64 s[4:5], s[28:29], 3
	v_mov_b32_e32 v31, 0
	s_wait_alu 0xfffe
	s_add_nc_u64 s[20:21], s[24:25], s[4:5]
	v_mov_b32_e32 v27, 0
	global_load_b64 v[13:14], v0, s[20:21]
	v_mov_b32_e32 v23, 0
	v_dual_mov_b32 v21, 0 :: v_dual_mov_b32 v32, 0
	v_dual_mov_b32 v33, 0 :: v_dual_mov_b32 v28, 0
	;; [unrolled: 1-line block ×5, first 2 shown]
	v_mov_b32_e32 v30, 0
	v_mov_b32_e32 v26, 0
	;; [unrolled: 1-line block ×3, first 2 shown]
	s_and_not1_b32 vcc_lo, exec_lo, s16
	s_wait_alu 0xfffe
	s_cbranch_vccnz .LBB411_16
; %bb.8:                                ;   in Loop: Header=BB411_7 Depth=1
	s_add_nc_u64 s[20:21], s[6:7], s[4:5]
	s_add_nc_u64 s[4:5], s[18:19], s[4:5]
	s_clause 0x1
	global_load_b64 v[1:2], v0, s[20:21]
	global_load_b64 v[3:4], v0, s[4:5]
	v_mov_b32_e32 v19, 0
	v_mov_b32_e32 v25, 0
	;; [unrolled: 1-line block ×3, first 2 shown]
	v_dual_mov_b32 v33, 0 :: v_dual_mov_b32 v20, 0
	v_dual_mov_b32 v21, 0 :: v_dual_mov_b32 v26, 0
	v_dual_mov_b32 v23, 0 :: v_dual_mov_b32 v30, 0
	v_dual_mov_b32 v27, 0 :: v_dual_mov_b32 v34, 0
	v_dual_mov_b32 v31, 0 :: v_dual_mov_b32 v22, 0
	v_mov_b32_e32 v24, 0
	v_mov_b32_e32 v28, 0
	;; [unrolled: 1-line block ×3, first 2 shown]
	s_mov_b32 s4, 0
	s_wait_loadcnt 0x1
	v_add_co_u32 v15, vcc_lo, v1, v42
	s_wait_alu 0xfffd
	v_add_co_ci_u32_e64 v16, null, v2, v41, vcc_lo
	s_wait_loadcnt 0x0
	v_add_co_u32 v17, vcc_lo, v3, v43
	s_wait_alu 0xfffd
	v_add_co_ci_u32_e64 v18, null, v4, v44, vcc_lo
	s_branch .LBB411_10
.LBB411_9:                              ;   in Loop: Header=BB411_10 Depth=2
	s_wait_alu 0xfffe
	s_or_b32 exec_lo, exec_lo, s5
	s_wait_dscnt 0x0
	s_barrier_signal -1
	s_barrier_wait -1
	global_inv scope:SCOPE_SE
	ds_load_b128 v[1:4], v37
	ds_load_b128 v[45:48], v36
	ds_load_b128 v[49:52], v36 offset:256
	ds_load_b128 v[53:56], v37 offset:2048
	;; [unrolled: 1-line block ×10, first 2 shown]
	v_add_co_u32 v15, vcc_lo, 0x80, v15
	s_wait_alu 0xfffd
	v_add_co_ci_u32_e64 v16, null, 0, v16, vcc_lo
	v_add_co_u32 v17, vcc_lo, 0x80, v17
	s_wait_alu 0xfffd
	v_add_co_ci_u32_e64 v18, null, 0, v18, vcc_lo
	s_add_co_i32 s4, s4, 8
	s_wait_alu 0xfffe
	s_cmp_lt_i32 s4, s23
	s_wait_dscnt 0xa
	v_mul_f64_e32 v[89:90], v[3:4], v[47:48]
	v_mul_f64_e32 v[91:92], v[1:2], v[47:48]
	s_wait_dscnt 0x9
	v_mul_f64_e32 v[93:94], v[3:4], v[51:52]
	v_mul_f64_e32 v[95:96], v[1:2], v[51:52]
	;; [unrolled: 3-line block ×3, first 2 shown]
	v_mul_f64_e32 v[99:100], v[55:56], v[51:52]
	v_mul_f64_e32 v[51:52], v[53:54], v[51:52]
	s_wait_dscnt 0x5
	v_mul_f64_e32 v[101:102], v[59:60], v[67:68]
	v_mul_f64_e32 v[103:104], v[57:58], v[67:68]
	s_wait_dscnt 0x4
	v_mul_f64_e32 v[105:106], v[59:60], v[71:72]
	v_mul_f64_e32 v[107:108], v[57:58], v[71:72]
	;; [unrolled: 1-line block ×6, first 2 shown]
	s_wait_dscnt 0x2
	v_mul_f64_e32 v[117:118], v[75:76], v[79:80]
	v_mul_f64_e32 v[119:120], v[73:74], v[79:80]
	s_wait_dscnt 0x1
	v_mul_f64_e32 v[121:122], v[75:76], v[83:84]
	v_mul_f64_e32 v[123:124], v[73:74], v[83:84]
	;; [unrolled: 3-line block ×3, first 2 shown]
	v_mul_f64_e32 v[127:128], v[87:88], v[83:84]
	v_mul_f64_e32 v[83:84], v[85:86], v[83:84]
	v_fma_f64 v[89:90], v[1:2], v[45:46], -v[89:90]
	v_fma_f64 v[91:92], v[3:4], v[45:46], v[91:92]
	v_fma_f64 v[93:94], v[1:2], v[49:50], -v[93:94]
	v_fma_f64 v[95:96], v[3:4], v[49:50], v[95:96]
	;; [unrolled: 2-line block ×8, first 2 shown]
	ds_load_b128 v[1:4], v37 offset:48
	ds_load_b128 v[45:48], v37 offset:2096
	;; [unrolled: 1-line block ×4, first 2 shown]
	v_fma_f64 v[117:118], v[73:74], v[77:78], -v[117:118]
	v_fma_f64 v[119:120], v[75:76], v[77:78], v[119:120]
	v_fma_f64 v[73:74], v[73:74], v[81:82], -v[121:122]
	v_fma_f64 v[75:76], v[75:76], v[81:82], v[123:124]
	v_fma_f64 v[121:122], v[85:86], v[77:78], -v[125:126]
	v_fma_f64 v[77:78], v[87:88], v[77:78], v[79:80]
	v_fma_f64 v[79:80], v[85:86], v[81:82], -v[127:128]
	v_fma_f64 v[81:82], v[87:88], v[81:82], v[83:84]
	s_wait_dscnt 0x1
	v_mul_f64_e32 v[107:108], v[1:2], v[51:52]
	s_wait_dscnt 0x0
	v_mul_f64_e32 v[109:110], v[3:4], v[55:56]
	v_mul_f64_e32 v[111:112], v[1:2], v[55:56]
	v_add_f64_e32 v[67:68], v[31:32], v[89:90]
	v_add_f64_e32 v[69:70], v[91:92], v[33:34]
	;; [unrolled: 1-line block ×8, first 2 shown]
	v_mul_f64_e32 v[99:100], v[3:4], v[51:52]
	v_mul_f64_e32 v[113:114], v[47:48], v[51:52]
	;; [unrolled: 1-line block ×5, first 2 shown]
	ds_load_b128 v[19:22], v37 offset:64
	ds_load_b128 v[23:26], v36 offset:2048
	;; [unrolled: 1-line block ×4, first 2 shown]
	s_wait_dscnt 0x0
	v_mul_f64_e32 v[123:124], v[33:34], v[25:26]
	v_mul_f64_e32 v[125:126], v[33:34], v[29:30]
	v_fma_f64 v[107:108], v[3:4], v[49:50], v[107:108]
	v_fma_f64 v[109:110], v[1:2], v[53:54], -v[109:110]
	v_fma_f64 v[111:112], v[3:4], v[53:54], v[111:112]
	v_add_f64_e32 v[83:84], v[67:68], v[101:102]
	v_add_f64_e32 v[85:86], v[103:104], v[69:70]
	;; [unrolled: 1-line block ×8, first 2 shown]
	v_mul_f64_e32 v[97:98], v[21:22], v[25:26]
	v_mul_f64_e32 v[101:102], v[19:20], v[25:26]
	;; [unrolled: 1-line block ×6, first 2 shown]
	v_fma_f64 v[99:100], v[1:2], v[49:50], -v[99:100]
	v_fma_f64 v[113:114], v[45:46], v[49:50], -v[113:114]
	v_fma_f64 v[127:128], v[47:48], v[49:50], v[51:52]
	v_fma_f64 v[115:116], v[45:46], v[53:54], -v[115:116]
	v_fma_f64 v[53:54], v[47:48], v[53:54], v[129:130]
	ds_load_b128 v[55:58], v37 offset:80
	ds_load_b128 v[59:62], v37 offset:2128
	;; [unrolled: 1-line block ×4, first 2 shown]
	v_fma_f64 v[123:124], v[31:32], v[23:24], -v[123:124]
	v_fma_f64 v[125:126], v[31:32], v[27:28], -v[125:126]
	v_add_f64_e32 v[83:84], v[83:84], v[117:118]
	v_add_f64_e32 v[85:86], v[119:120], v[85:86]
	;; [unrolled: 1-line block ×8, first 2 shown]
	s_wait_dscnt 0x1
	v_mul_f64_e32 v[89:90], v[57:58], v[65:66]
	v_mul_f64_e32 v[91:92], v[55:56], v[65:66]
	s_wait_dscnt 0x0
	v_mul_f64_e32 v[93:94], v[57:58], v[69:70]
	v_mul_f64_e32 v[95:96], v[55:56], v[69:70]
	;; [unrolled: 1-line block ×6, first 2 shown]
	v_fma_f64 v[97:98], v[19:20], v[23:24], -v[97:98]
	v_fma_f64 v[101:102], v[21:22], v[23:24], v[101:102]
	v_fma_f64 v[103:104], v[19:20], v[27:28], -v[103:104]
	v_fma_f64 v[105:106], v[21:22], v[27:28], v[105:106]
	v_fma_f64 v[129:130], v[33:34], v[23:24], v[25:26]
	v_fma_f64 v[131:132], v[33:34], v[27:28], v[29:30]
	ds_load_b128 v[1:4], v37 offset:96
	ds_load_b128 v[45:48], v36 offset:3072
	;; [unrolled: 1-line block ×8, first 2 shown]
	s_wait_loadcnt_dscnt 0x0
	s_barrier_signal -1
	s_barrier_wait -1
	global_inv scope:SCOPE_SE
	v_add_f64_e32 v[83:84], v[83:84], v[99:100]
	v_add_f64_e32 v[85:86], v[107:108], v[85:86]
	;; [unrolled: 1-line block ×8, first 2 shown]
	v_mul_f64_e32 v[81:82], v[3:4], v[47:48]
	v_mul_f64_e32 v[107:108], v[1:2], v[47:48]
	;; [unrolled: 1-line block ×8, first 2 shown]
	v_fma_f64 v[89:90], v[55:56], v[63:64], -v[89:90]
	v_fma_f64 v[91:92], v[57:58], v[63:64], v[91:92]
	v_fma_f64 v[55:56], v[55:56], v[67:68], -v[93:94]
	v_fma_f64 v[57:58], v[57:58], v[67:68], v[95:96]
	;; [unrolled: 2-line block ×4, first 2 shown]
	v_mul_f64_e32 v[95:96], v[21:22], v[33:34]
	v_add_f64_e32 v[65:66], v[83:84], v[97:98]
	v_add_f64_e32 v[67:68], v[101:102], v[85:86]
	;; [unrolled: 1-line block ×8, first 2 shown]
	v_mul_f64_e32 v[85:86], v[21:22], v[29:30]
	v_mul_f64_e32 v[87:88], v[19:20], v[29:30]
	v_mul_f64_e32 v[97:98], v[19:20], v[33:34]
	v_mul_f64_e32 v[99:100], v[25:26], v[29:30]
	v_mul_f64_e32 v[29:30], v[23:24], v[29:30]
	v_mul_f64_e32 v[101:102], v[25:26], v[33:34]
	v_mul_f64_e32 v[33:34], v[23:24], v[33:34]
	v_fma_f64 v[81:82], v[1:2], v[45:46], -v[81:82]
	v_fma_f64 v[103:104], v[3:4], v[45:46], v[107:108]
	v_fma_f64 v[1:2], v[1:2], v[49:50], -v[109:110]
	v_fma_f64 v[3:4], v[3:4], v[49:50], v[111:112]
	;; [unrolled: 2-line block ×4, first 2 shown]
	v_add_f64_e32 v[51:52], v[65:66], v[89:90]
	v_add_f64_e32 v[65:66], v[91:92], v[67:68]
	;; [unrolled: 1-line block ×8, first 2 shown]
	v_fma_f64 v[61:62], v[19:20], v[27:28], -v[85:86]
	v_fma_f64 v[69:70], v[21:22], v[27:28], v[87:88]
	v_fma_f64 v[19:20], v[19:20], v[31:32], -v[95:96]
	v_fma_f64 v[21:22], v[21:22], v[31:32], v[97:98]
	;; [unrolled: 2-line block ×4, first 2 shown]
	v_add_f64_e32 v[23:24], v[51:52], v[81:82]
	v_add_f64_e32 v[25:26], v[103:104], v[65:66]
	;; [unrolled: 1-line block ×16, first 2 shown]
	s_cbranch_scc0 .LBB411_16
.LBB411_10:                             ;   Parent Loop BB411_7 Depth=1
                                        ; =>  This Inner Loop Header: Depth=2
	s_wait_alu 0xfffe
	v_add_nc_u32_e32 v1, s4, v38
	v_mov_b32_e32 v3, 0
	v_mov_b32_e32 v4, 0
	s_delay_alu instid0(VALU_DEP_3) | instskip(SKIP_3) | instid1(SALU_CYCLE_1)
	v_cmp_gt_i32_e32 vcc_lo, s23, v1
	v_mov_b32_e32 v1, 0
	v_mov_b32_e32 v2, 0
	s_and_b32 s20, s0, vcc_lo
	s_and_saveexec_b32 s5, s20
	s_cbranch_execz .LBB411_12
; %bb.11:                               ;   in Loop: Header=BB411_10 Depth=2
	flat_load_b128 v[1:4], v[15:16] offset:-8
	s_wait_loadcnt_dscnt 0x0
	v_xor_b32_e32 v4, 0x80000000, v4
.LBB411_12:                             ;   in Loop: Header=BB411_10 Depth=2
	s_wait_alu 0xfffe
	s_or_b32 exec_lo, exec_lo, s5
	v_add_nc_u32_e32 v45, s4, v35
	ds_store_b128 v39, v[1:4]
	v_cmp_le_i32_e32 vcc_lo, s23, v45
	s_or_b32 s5, vcc_lo, s17
	s_wait_alu 0xfffe
	s_and_saveexec_b32 s20, s5
	s_delay_alu instid0(SALU_CYCLE_1)
	s_xor_b32 s5, exec_lo, s20
; %bb.13:                               ;   in Loop: Header=BB411_10 Depth=2
	v_dual_mov_b32 v1, v0 :: v_dual_mov_b32 v2, v0
	v_mov_b32_e32 v3, v0
	ds_store_b128 v40, v[0:3]
; %bb.14:                               ;   in Loop: Header=BB411_10 Depth=2
	s_wait_alu 0xfffe
	s_and_not1_saveexec_b32 s5, s5
	s_cbranch_execz .LBB411_9
; %bb.15:                               ;   in Loop: Header=BB411_10 Depth=2
	flat_load_b128 v[1:4], v[17:18]
	s_wait_loadcnt_dscnt 0x0
	ds_store_2addr_b64 v40, v[1:2], v[3:4] offset1:1
	s_branch .LBB411_9
.LBB411_16:                             ;   in Loop: Header=BB411_7 Depth=1
	s_wait_loadcnt 0x0
	v_add_co_u32 v13, vcc_lo, v13, s2
	s_wait_alu 0xfffd
	v_add_co_ci_u32_e64 v14, null, s3, v14, vcc_lo
	s_delay_alu instid0(VALU_DEP_2) | instskip(SKIP_1) | instid1(VALU_DEP_2)
	v_add_co_u32 v15, vcc_lo, v13, v9
	s_wait_alu 0xfffd
	v_add_co_ci_u32_e64 v16, null, v14, v10, vcc_lo
	s_and_saveexec_b32 s4, s30
	s_cbranch_execz .LBB411_21
; %bb.17:                               ;   in Loop: Header=BB411_7 Depth=1
	v_mul_f64_e32 v[1:2], s[14:15], v[33:34]
	v_mul_f64_e32 v[3:4], s[12:13], v[33:34]
	s_and_b32 vcc_lo, exec_lo, s31
	s_mov_b32 s5, -1
	s_delay_alu instid0(VALU_DEP_2) | instskip(NEXT) | instid1(VALU_DEP_2)
	v_fma_f64 v[1:2], s[12:13], v[31:32], -v[1:2]
	v_fma_f64 v[3:4], s[14:15], v[31:32], v[3:4]
	s_wait_alu 0xfffe
	s_cbranch_vccz .LBB411_19
; %bb.18:                               ;   in Loop: Header=BB411_7 Depth=1
	v_lshlrev_b64_e32 v[17:18], 4, v[5:6]
	s_mov_b32 s5, 0
	s_delay_alu instid0(VALU_DEP_1) | instskip(SKIP_1) | instid1(VALU_DEP_2)
	v_add_co_u32 v17, vcc_lo, v15, v17
	s_wait_alu 0xfffd
	v_add_co_ci_u32_e64 v18, null, v16, v18, vcc_lo
	flat_load_b128 v[31:34], v[17:18]
	s_wait_loadcnt_dscnt 0x0
	v_mul_f64_e32 v[45:46], s[10:11], v[33:34]
	v_mul_f64_e32 v[33:34], s[8:9], v[33:34]
	s_delay_alu instid0(VALU_DEP_2) | instskip(NEXT) | instid1(VALU_DEP_2)
	v_fma_f64 v[45:46], s[8:9], v[31:32], -v[45:46]
	v_fma_f64 v[33:34], s[10:11], v[31:32], v[33:34]
	s_delay_alu instid0(VALU_DEP_2) | instskip(NEXT) | instid1(VALU_DEP_2)
	v_add_f64_e32 v[31:32], v[1:2], v[45:46]
	v_add_f64_e32 v[33:34], v[3:4], v[33:34]
	flat_store_b128 v[17:18], v[31:34]
.LBB411_19:                             ;   in Loop: Header=BB411_7 Depth=1
	s_wait_alu 0xfffe
	s_and_not1_b32 vcc_lo, exec_lo, s5
	s_wait_alu 0xfffe
	s_cbranch_vccnz .LBB411_21
; %bb.20:                               ;   in Loop: Header=BB411_7 Depth=1
	v_lshlrev_b64_e32 v[17:18], 4, v[5:6]
	s_delay_alu instid0(VALU_DEP_1) | instskip(SKIP_1) | instid1(VALU_DEP_2)
	v_add_co_u32 v17, vcc_lo, v15, v17
	s_wait_alu 0xfffd
	v_add_co_ci_u32_e64 v18, null, v16, v18, vcc_lo
	flat_store_b128 v[17:18], v[1:4]
.LBB411_21:                             ;   in Loop: Header=BB411_7 Depth=1
	s_wait_alu 0xfffe
	s_or_b32 exec_lo, exec_lo, s4
	s_and_saveexec_b32 s4, s22
	s_cbranch_execz .LBB411_26
; %bb.22:                               ;   in Loop: Header=BB411_7 Depth=1
	v_mul_f64_e32 v[1:2], s[14:15], v[29:30]
	v_mul_f64_e32 v[3:4], s[12:13], v[29:30]
	s_and_not1_b32 vcc_lo, exec_lo, s31
	s_mov_b32 s5, -1
	s_delay_alu instid0(VALU_DEP_2) | instskip(NEXT) | instid1(VALU_DEP_2)
	v_fma_f64 v[1:2], s[12:13], v[27:28], -v[1:2]
	v_fma_f64 v[3:4], s[14:15], v[27:28], v[3:4]
	s_wait_alu 0xfffe
	s_cbranch_vccnz .LBB411_24
; %bb.23:                               ;   in Loop: Header=BB411_7 Depth=1
	v_lshlrev_b64_e32 v[17:18], 4, v[7:8]
	s_mov_b32 s5, 0
	s_delay_alu instid0(VALU_DEP_1) | instskip(SKIP_1) | instid1(VALU_DEP_2)
	v_add_co_u32 v17, vcc_lo, v15, v17
	s_wait_alu 0xfffd
	v_add_co_ci_u32_e64 v18, null, v16, v18, vcc_lo
	flat_load_b128 v[27:30], v[17:18]
	s_wait_loadcnt_dscnt 0x0
	v_mul_f64_e32 v[31:32], s[10:11], v[29:30]
	v_mul_f64_e32 v[29:30], s[8:9], v[29:30]
	s_delay_alu instid0(VALU_DEP_2) | instskip(NEXT) | instid1(VALU_DEP_2)
	v_fma_f64 v[31:32], s[8:9], v[27:28], -v[31:32]
	v_fma_f64 v[29:30], s[10:11], v[27:28], v[29:30]
	s_delay_alu instid0(VALU_DEP_2) | instskip(NEXT) | instid1(VALU_DEP_2)
	v_add_f64_e32 v[27:28], v[1:2], v[31:32]
	v_add_f64_e32 v[29:30], v[3:4], v[29:30]
	flat_store_b128 v[17:18], v[27:30]
.LBB411_24:                             ;   in Loop: Header=BB411_7 Depth=1
	s_wait_alu 0xfffe
	s_and_not1_b32 vcc_lo, exec_lo, s5
	s_wait_alu 0xfffe
	s_cbranch_vccnz .LBB411_26
; %bb.25:                               ;   in Loop: Header=BB411_7 Depth=1
	v_lshlrev_b64_e32 v[17:18], 4, v[7:8]
	s_delay_alu instid0(VALU_DEP_1) | instskip(SKIP_1) | instid1(VALU_DEP_2)
	v_add_co_u32 v15, vcc_lo, v15, v17
	s_wait_alu 0xfffd
	v_add_co_ci_u32_e64 v16, null, v16, v18, vcc_lo
	flat_store_b128 v[15:16], v[1:4]
.LBB411_26:                             ;   in Loop: Header=BB411_7 Depth=1
	s_wait_alu 0xfffe
	s_or_b32 exec_lo, exec_lo, s4
	v_add_co_u32 v15, vcc_lo, v13, v11
	s_wait_alu 0xfffd
	v_add_co_ci_u32_e64 v16, null, v14, v12, vcc_lo
	s_and_saveexec_b32 s4, s26
	s_cbranch_execz .LBB411_31
; %bb.27:                               ;   in Loop: Header=BB411_7 Depth=1
	v_mul_f64_e32 v[1:2], s[14:15], v[25:26]
	v_mul_f64_e32 v[3:4], s[12:13], v[25:26]
	v_lshlrev_b64_e32 v[13:14], 4, v[5:6]
	s_and_not1_b32 vcc_lo, exec_lo, s31
	s_mov_b32 s5, -1
	s_delay_alu instid0(VALU_DEP_3) | instskip(NEXT) | instid1(VALU_DEP_3)
	v_fma_f64 v[1:2], s[12:13], v[23:24], -v[1:2]
	v_fma_f64 v[3:4], s[14:15], v[23:24], v[3:4]
	s_wait_alu 0xfffe
	s_cbranch_vccnz .LBB411_29
; %bb.28:                               ;   in Loop: Header=BB411_7 Depth=1
	v_add_co_u32 v17, vcc_lo, v15, v13
	s_wait_alu 0xfffd
	v_add_co_ci_u32_e64 v18, null, v16, v14, vcc_lo
	s_mov_b32 s5, 0
	flat_load_b128 v[23:26], v[17:18]
	s_wait_loadcnt_dscnt 0x0
	v_mul_f64_e32 v[27:28], s[10:11], v[25:26]
	v_mul_f64_e32 v[25:26], s[8:9], v[25:26]
	s_delay_alu instid0(VALU_DEP_2) | instskip(NEXT) | instid1(VALU_DEP_2)
	v_fma_f64 v[27:28], s[8:9], v[23:24], -v[27:28]
	v_fma_f64 v[25:26], s[10:11], v[23:24], v[25:26]
	s_delay_alu instid0(VALU_DEP_2) | instskip(NEXT) | instid1(VALU_DEP_2)
	v_add_f64_e32 v[23:24], v[1:2], v[27:28]
	v_add_f64_e32 v[25:26], v[3:4], v[25:26]
	flat_store_b128 v[17:18], v[23:26]
.LBB411_29:                             ;   in Loop: Header=BB411_7 Depth=1
	s_wait_alu 0xfffe
	s_and_not1_b32 vcc_lo, exec_lo, s5
	s_wait_alu 0xfffe
	s_cbranch_vccnz .LBB411_31
; %bb.30:                               ;   in Loop: Header=BB411_7 Depth=1
	v_add_co_u32 v13, vcc_lo, v15, v13
	s_wait_alu 0xfffd
	v_add_co_ci_u32_e64 v14, null, v16, v14, vcc_lo
	flat_store_b128 v[13:14], v[1:4]
.LBB411_31:                             ;   in Loop: Header=BB411_7 Depth=1
	s_wait_alu 0xfffe
	s_or_b32 exec_lo, exec_lo, s4
	s_and_saveexec_b32 s4, s1
	s_cbranch_execz .LBB411_6
; %bb.32:                               ;   in Loop: Header=BB411_7 Depth=1
	v_mul_f64_e32 v[1:2], s[14:15], v[19:20]
	v_mul_f64_e32 v[3:4], s[12:13], v[19:20]
	v_lshlrev_b64_e32 v[13:14], 4, v[7:8]
	s_and_not1_b32 vcc_lo, exec_lo, s31
	s_mov_b32 s5, -1
	s_delay_alu instid0(VALU_DEP_3) | instskip(NEXT) | instid1(VALU_DEP_3)
	v_fma_f64 v[1:2], s[12:13], v[21:22], -v[1:2]
	v_fma_f64 v[3:4], s[14:15], v[21:22], v[3:4]
	s_wait_alu 0xfffe
	s_cbranch_vccnz .LBB411_34
; %bb.33:                               ;   in Loop: Header=BB411_7 Depth=1
	v_add_co_u32 v21, vcc_lo, v15, v13
	s_wait_alu 0xfffd
	v_add_co_ci_u32_e64 v22, null, v16, v14, vcc_lo
	s_mov_b32 s5, 0
	flat_load_b128 v[17:20], v[21:22]
	s_wait_loadcnt_dscnt 0x0
	v_mul_f64_e32 v[23:24], s[10:11], v[19:20]
	v_mul_f64_e32 v[19:20], s[8:9], v[19:20]
	s_delay_alu instid0(VALU_DEP_2) | instskip(NEXT) | instid1(VALU_DEP_2)
	v_fma_f64 v[23:24], s[8:9], v[17:18], -v[23:24]
	v_fma_f64 v[19:20], s[10:11], v[17:18], v[19:20]
	s_delay_alu instid0(VALU_DEP_2) | instskip(NEXT) | instid1(VALU_DEP_2)
	v_add_f64_e32 v[17:18], v[1:2], v[23:24]
	v_add_f64_e32 v[19:20], v[3:4], v[19:20]
	flat_store_b128 v[21:22], v[17:20]
.LBB411_34:                             ;   in Loop: Header=BB411_7 Depth=1
	s_wait_alu 0xfffe
	s_and_not1_b32 vcc_lo, exec_lo, s5
	s_wait_alu 0xfffe
	s_cbranch_vccnz .LBB411_6
; %bb.35:                               ;   in Loop: Header=BB411_7 Depth=1
	v_add_co_u32 v13, vcc_lo, v15, v13
	s_wait_alu 0xfffd
	v_add_co_ci_u32_e64 v14, null, v16, v14, vcc_lo
	flat_store_b128 v[13:14], v[1:4]
	s_branch .LBB411_6
.LBB411_36:
.LBB411_37:
	s_nop 0
	s_sendmsg sendmsg(MSG_DEALLOC_VGPRS)
	s_endpgm
	.section	.rodata,"a",@progbits
	.p2align	6, 0x0
	.amdhsa_kernel _ZL29rocblas_internal_gemmt_kernelIiLi16ELi32ELi8ELc67ELc78ELc76ELb1ELb0E19rocblas_complex_numIdEPKS1_PKS3_PKPS1_EviT_T9_T10_S9_lSB_S9_lSA_T11_S9_li
		.amdhsa_group_segment_fixed_size 8192
		.amdhsa_private_segment_fixed_size 0
		.amdhsa_kernarg_size 100
		.amdhsa_user_sgpr_count 2
		.amdhsa_user_sgpr_dispatch_ptr 0
		.amdhsa_user_sgpr_queue_ptr 0
		.amdhsa_user_sgpr_kernarg_segment_ptr 1
		.amdhsa_user_sgpr_dispatch_id 0
		.amdhsa_user_sgpr_private_segment_size 0
		.amdhsa_wavefront_size32 1
		.amdhsa_uses_dynamic_stack 0
		.amdhsa_enable_private_segment 0
		.amdhsa_system_sgpr_workgroup_id_x 1
		.amdhsa_system_sgpr_workgroup_id_y 1
		.amdhsa_system_sgpr_workgroup_id_z 1
		.amdhsa_system_sgpr_workgroup_info 0
		.amdhsa_system_vgpr_workitem_id 1
		.amdhsa_next_free_vgpr 133
		.amdhsa_next_free_sgpr 39
		.amdhsa_reserve_vcc 1
		.amdhsa_float_round_mode_32 0
		.amdhsa_float_round_mode_16_64 0
		.amdhsa_float_denorm_mode_32 3
		.amdhsa_float_denorm_mode_16_64 3
		.amdhsa_fp16_overflow 0
		.amdhsa_workgroup_processor_mode 1
		.amdhsa_memory_ordered 1
		.amdhsa_forward_progress 1
		.amdhsa_inst_pref_size 28
		.amdhsa_round_robin_scheduling 0
		.amdhsa_exception_fp_ieee_invalid_op 0
		.amdhsa_exception_fp_denorm_src 0
		.amdhsa_exception_fp_ieee_div_zero 0
		.amdhsa_exception_fp_ieee_overflow 0
		.amdhsa_exception_fp_ieee_underflow 0
		.amdhsa_exception_fp_ieee_inexact 0
		.amdhsa_exception_int_div_zero 0
	.end_amdhsa_kernel
	.section	.text._ZL29rocblas_internal_gemmt_kernelIiLi16ELi32ELi8ELc67ELc78ELc76ELb1ELb0E19rocblas_complex_numIdEPKS1_PKS3_PKPS1_EviT_T9_T10_S9_lSB_S9_lSA_T11_S9_li,"axG",@progbits,_ZL29rocblas_internal_gemmt_kernelIiLi16ELi32ELi8ELc67ELc78ELc76ELb1ELb0E19rocblas_complex_numIdEPKS1_PKS3_PKPS1_EviT_T9_T10_S9_lSB_S9_lSA_T11_S9_li,comdat
.Lfunc_end411:
	.size	_ZL29rocblas_internal_gemmt_kernelIiLi16ELi32ELi8ELc67ELc78ELc76ELb1ELb0E19rocblas_complex_numIdEPKS1_PKS3_PKPS1_EviT_T9_T10_S9_lSB_S9_lSA_T11_S9_li, .Lfunc_end411-_ZL29rocblas_internal_gemmt_kernelIiLi16ELi32ELi8ELc67ELc78ELc76ELb1ELb0E19rocblas_complex_numIdEPKS1_PKS3_PKPS1_EviT_T9_T10_S9_lSB_S9_lSA_T11_S9_li
                                        ; -- End function
	.set _ZL29rocblas_internal_gemmt_kernelIiLi16ELi32ELi8ELc67ELc78ELc76ELb1ELb0E19rocblas_complex_numIdEPKS1_PKS3_PKPS1_EviT_T9_T10_S9_lSB_S9_lSA_T11_S9_li.num_vgpr, 133
	.set _ZL29rocblas_internal_gemmt_kernelIiLi16ELi32ELi8ELc67ELc78ELc76ELb1ELb0E19rocblas_complex_numIdEPKS1_PKS3_PKPS1_EviT_T9_T10_S9_lSB_S9_lSA_T11_S9_li.num_agpr, 0
	.set _ZL29rocblas_internal_gemmt_kernelIiLi16ELi32ELi8ELc67ELc78ELc76ELb1ELb0E19rocblas_complex_numIdEPKS1_PKS3_PKPS1_EviT_T9_T10_S9_lSB_S9_lSA_T11_S9_li.numbered_sgpr, 39
	.set _ZL29rocblas_internal_gemmt_kernelIiLi16ELi32ELi8ELc67ELc78ELc76ELb1ELb0E19rocblas_complex_numIdEPKS1_PKS3_PKPS1_EviT_T9_T10_S9_lSB_S9_lSA_T11_S9_li.num_named_barrier, 0
	.set _ZL29rocblas_internal_gemmt_kernelIiLi16ELi32ELi8ELc67ELc78ELc76ELb1ELb0E19rocblas_complex_numIdEPKS1_PKS3_PKPS1_EviT_T9_T10_S9_lSB_S9_lSA_T11_S9_li.private_seg_size, 0
	.set _ZL29rocblas_internal_gemmt_kernelIiLi16ELi32ELi8ELc67ELc78ELc76ELb1ELb0E19rocblas_complex_numIdEPKS1_PKS3_PKPS1_EviT_T9_T10_S9_lSB_S9_lSA_T11_S9_li.uses_vcc, 1
	.set _ZL29rocblas_internal_gemmt_kernelIiLi16ELi32ELi8ELc67ELc78ELc76ELb1ELb0E19rocblas_complex_numIdEPKS1_PKS3_PKPS1_EviT_T9_T10_S9_lSB_S9_lSA_T11_S9_li.uses_flat_scratch, 0
	.set _ZL29rocblas_internal_gemmt_kernelIiLi16ELi32ELi8ELc67ELc78ELc76ELb1ELb0E19rocblas_complex_numIdEPKS1_PKS3_PKPS1_EviT_T9_T10_S9_lSB_S9_lSA_T11_S9_li.has_dyn_sized_stack, 0
	.set _ZL29rocblas_internal_gemmt_kernelIiLi16ELi32ELi8ELc67ELc78ELc76ELb1ELb0E19rocblas_complex_numIdEPKS1_PKS3_PKPS1_EviT_T9_T10_S9_lSB_S9_lSA_T11_S9_li.has_recursion, 0
	.set _ZL29rocblas_internal_gemmt_kernelIiLi16ELi32ELi8ELc67ELc78ELc76ELb1ELb0E19rocblas_complex_numIdEPKS1_PKS3_PKPS1_EviT_T9_T10_S9_lSB_S9_lSA_T11_S9_li.has_indirect_call, 0
	.section	.AMDGPU.csdata,"",@progbits
; Kernel info:
; codeLenInByte = 3464
; TotalNumSgprs: 41
; NumVgprs: 133
; ScratchSize: 0
; MemoryBound: 1
; FloatMode: 240
; IeeeMode: 1
; LDSByteSize: 8192 bytes/workgroup (compile time only)
; SGPRBlocks: 0
; VGPRBlocks: 16
; NumSGPRsForWavesPerEU: 41
; NumVGPRsForWavesPerEU: 133
; Occupancy: 10
; WaveLimiterHint : 1
; COMPUTE_PGM_RSRC2:SCRATCH_EN: 0
; COMPUTE_PGM_RSRC2:USER_SGPR: 2
; COMPUTE_PGM_RSRC2:TRAP_HANDLER: 0
; COMPUTE_PGM_RSRC2:TGID_X_EN: 1
; COMPUTE_PGM_RSRC2:TGID_Y_EN: 1
; COMPUTE_PGM_RSRC2:TGID_Z_EN: 1
; COMPUTE_PGM_RSRC2:TIDIG_COMP_CNT: 1
	.section	.text._ZL29rocblas_internal_gemmt_kernelIiLi16ELi32ELi8ELc67ELc84ELc76ELb1ELb0E19rocblas_complex_numIdEPKS1_PKS3_PKPS1_EviT_T9_T10_S9_lSB_S9_lSA_T11_S9_li,"axG",@progbits,_ZL29rocblas_internal_gemmt_kernelIiLi16ELi32ELi8ELc67ELc84ELc76ELb1ELb0E19rocblas_complex_numIdEPKS1_PKS3_PKPS1_EviT_T9_T10_S9_lSB_S9_lSA_T11_S9_li,comdat
	.globl	_ZL29rocblas_internal_gemmt_kernelIiLi16ELi32ELi8ELc67ELc84ELc76ELb1ELb0E19rocblas_complex_numIdEPKS1_PKS3_PKPS1_EviT_T9_T10_S9_lSB_S9_lSA_T11_S9_li ; -- Begin function _ZL29rocblas_internal_gemmt_kernelIiLi16ELi32ELi8ELc67ELc84ELc76ELb1ELb0E19rocblas_complex_numIdEPKS1_PKS3_PKPS1_EviT_T9_T10_S9_lSB_S9_lSA_T11_S9_li
	.p2align	8
	.type	_ZL29rocblas_internal_gemmt_kernelIiLi16ELi32ELi8ELc67ELc84ELc76ELb1ELb0E19rocblas_complex_numIdEPKS1_PKS3_PKPS1_EviT_T9_T10_S9_lSB_S9_lSA_T11_S9_li,@function
_ZL29rocblas_internal_gemmt_kernelIiLi16ELi32ELi8ELc67ELc84ELc76ELb1ELb0E19rocblas_complex_numIdEPKS1_PKS3_PKPS1_EviT_T9_T10_S9_lSB_S9_lSA_T11_S9_li: ; @_ZL29rocblas_internal_gemmt_kernelIiLi16ELi32ELi8ELc67ELc84ELc76ELb1ELb0E19rocblas_complex_numIdEPKS1_PKS3_PKPS1_EviT_T9_T10_S9_lSB_S9_lSA_T11_S9_li
; %bb.0:
	s_load_b128 s[20:23], s[0:1], 0x38
	s_wait_kmcnt 0x0
	s_load_b128 s[8:11], s[22:23], 0x0
	s_clause 0x1
	s_load_b128 s[4:7], s[0:1], 0x8
	s_load_b64 s[22:23], s[0:1], 0x0
	s_wait_kmcnt 0x0
	s_load_b128 s[12:15], s[4:5], 0x0
	v_cmp_eq_f64_e64 s2, s[8:9], 1.0
	v_cmp_eq_f64_e64 s33, s[10:11], 0
	s_and_b32 s2, s2, s33
	s_delay_alu instid0(SALU_CYCLE_1)
	s_and_not1_b32 vcc_lo, exec_lo, s2
	s_mov_b32 s2, -1
	s_cbranch_vccnz .LBB412_3
; %bb.1:
	s_cmp_lg_u32 s23, 0
	s_cbranch_scc0 .LBB412_36
; %bb.2:
	s_wait_kmcnt 0x0
	v_cmp_neq_f64_e64 s2, s[12:13], 0
	v_cmp_neq_f64_e64 s3, s[14:15], 0
	s_or_b32 s2, s2, s3
.LBB412_3:
	s_delay_alu instid0(SALU_CYCLE_1)
	s_and_b32 vcc_lo, exec_lo, s2
	s_cbranch_vccz .LBB412_37
; %bb.4:
	s_load_b32 s27, s[0:1], 0x60
	s_lshr_b32 s28, ttmp7, 16
	s_wait_kmcnt 0x0
	s_cmp_ge_u32 s28, s27
	s_cbranch_scc1 .LBB412_37
; %bb.5:
	v_cmp_neq_f64_e64 s4, s[12:13], 0
	v_cmp_neq_f64_e64 s5, s[14:15], 0
	;; [unrolled: 1-line block ×3, first 2 shown]
	v_and_b32_e32 v1, 0x3ff, v0
	v_bfe_u32 v2, v0, 10, 10
	s_clause 0x4
	s_load_b32 s37, s[0:1], 0x18
	s_load_b128 s[16:19], s[0:1], 0x20
	s_load_b32 s30, s[0:1], 0x30
	s_load_b96 s[24:26], s[0:1], 0x48
	s_load_b64 s[34:35], s[0:1], 0x58
	v_and_b32_e32 v35, 7, v0
	s_lshl_b32 s0, ttmp9, 5
	v_lshlrev_b32_e32 v36, 4, v1
	v_lshl_add_u32 v0, v2, 4, v1
	v_add_nc_u32_e32 v5, s0, v1
	v_lshlrev_b32_e32 v3, 4, v35
	s_lshl_b32 s1, ttmp7, 5
	v_lshl_add_u32 v37, v2, 7, 0x1000
	v_lshrrev_b32_e32 v38, 5, v0
	v_and_b32_e32 v1, 31, v0
	v_lshrrev_b32_e32 v0, 3, v0
	s_wait_alu 0xfffe
	s_and_b32 s2, s1, 0x1fffe0
	v_add_nc_u32_e32 v7, 16, v5
	v_add_nc_u32_e32 v4, s2, v2
	v_or_b32_e32 v8, s0, v1
	v_add_nc_u32_e32 v13, s2, v0
	v_lshlrev_b32_e32 v1, 4, v1
	v_lshl_or_b32 v0, v0, 7, v3
	v_cmp_le_i32_e32 vcc_lo, v4, v5
	v_cmp_le_i32_e64 s2, v4, v7
	v_cmp_gt_i32_e64 s3, s22, v7
	v_lshl_or_b32 v39, v38, 9, v1
	v_add_nc_u32_e32 v40, 0x1000, v0
	s_wait_kmcnt 0x0
	v_mad_co_i64_i32 v[1:2], null, v4, s26, 0
	v_add_nc_u32_e32 v0, 16, v4
	v_mad_co_i64_i32 v[3:4], null, s37, v8, 0
	s_ashr_i32 s31, s30, 31
	v_cmp_gt_i32_e64 s1, s22, v5
	v_cmp_gt_i32_e64 s0, s22, v8
	v_mad_co_i64_i32 v[9:10], null, s30, v35, 0
	s_or_b32 s5, s4, s5
	s_cmp_gt_i32 s23, 0
	v_cmp_gt_i32_e64 s4, s22, v13
	s_cselect_b32 s38, -1, 0
	s_xor_b32 s22, s33, -1
	v_lshlrev_b64_e32 v[3:4], 4, v[3:4]
	s_wait_alu 0xfffe
	s_or_b32 s22, s36, s22
	s_and_b32 s36, s2, s3
	v_cmp_le_i32_e64 s2, v0, v7
	s_and_b32 s33, vcc_lo, s1
	v_cmp_le_i32_e32 vcc_lo, v0, v5
	v_mad_co_i64_i32 v[11:12], null, v0, s26, 0
	s_and_b32 s26, s2, s3
	s_lshl_b64 s[2:3], s[16:17], 4
	s_and_b32 s1, vcc_lo, s1
	s_wait_alu 0xfffe
	v_add_co_u32 v15, vcc_lo, v3, s2
	v_lshlrev_b32_e32 v14, 4, v38
	v_add_co_ci_u32_e64 v16, null, s3, v4, vcc_lo
	v_lshlrev_b64_e32 v[3:4], 4, v[9:10]
	s_lshl_b64 s[2:3], s[20:21], 4
	s_delay_alu instid0(VALU_DEP_3)
	v_add_co_u32 v9, vcc_lo, v15, v14
	s_wait_alu 0xfffd
	v_add_co_ci_u32_e64 v41, null, 0, v16, vcc_lo
	v_lshlrev_b32_e32 v10, 4, v13
	s_wait_alu 0xfffe
	v_add_co_u32 v3, vcc_lo, v3, s2
	s_wait_alu 0xfffd
	v_add_co_ci_u32_e64 v4, null, s3, v4, vcc_lo
	v_or_b32_e32 v42, 8, v9
	s_delay_alu instid0(VALU_DEP_3)
	v_add_co_u32 v43, vcc_lo, v3, v10
	v_lshlrev_b64_e32 v[9:10], 4, v[1:2]
	v_lshlrev_b64_e32 v[11:12], 4, v[11:12]
	v_ashrrev_i32_e32 v6, 31, v5
	v_ashrrev_i32_e32 v8, 31, v7
	v_mov_b32_e32 v0, 0
	s_wait_alu 0xfffd
	v_add_co_ci_u32_e64 v44, null, 0, v4, vcc_lo
	s_mov_b32 s29, 0
	s_and_b32 s20, s5, s38
	s_lshl_b64 s[2:3], s[30:31], 7
	s_xor_b32 s21, s4, -1
	s_lshl_b64 s[4:5], s[34:35], 4
	s_branch .LBB412_7
.LBB412_6:                              ;   in Loop: Header=BB412_7 Depth=1
	s_wait_alu 0xfffe
	s_or_b32 exec_lo, exec_lo, s16
	s_add_co_i32 s28, s28, 0x10000
	s_delay_alu instid0(SALU_CYCLE_1)
	s_cmp_lt_u32 s28, s27
	s_cbranch_scc0 .LBB412_37
.LBB412_7:                              ; =>This Loop Header: Depth=1
                                        ;     Child Loop BB412_10 Depth 2
	s_lshl_b64 s[16:17], s[28:29], 3
	v_mov_b32_e32 v31, 0
	s_wait_alu 0xfffe
	s_add_nc_u64 s[30:31], s[24:25], s[16:17]
	v_mov_b32_e32 v27, 0
	global_load_b64 v[13:14], v0, s[30:31]
	v_mov_b32_e32 v23, 0
	v_dual_mov_b32 v21, 0 :: v_dual_mov_b32 v32, 0
	v_dual_mov_b32 v33, 0 :: v_dual_mov_b32 v28, 0
	;; [unrolled: 1-line block ×5, first 2 shown]
	v_mov_b32_e32 v30, 0
	v_mov_b32_e32 v26, 0
	;; [unrolled: 1-line block ×3, first 2 shown]
	s_and_not1_b32 vcc_lo, exec_lo, s20
	s_wait_alu 0xfffe
	s_cbranch_vccnz .LBB412_16
; %bb.8:                                ;   in Loop: Header=BB412_7 Depth=1
	s_add_nc_u64 s[30:31], s[6:7], s[16:17]
	s_add_nc_u64 s[16:17], s[18:19], s[16:17]
	s_clause 0x1
	global_load_b64 v[1:2], v0, s[30:31]
	global_load_b64 v[3:4], v0, s[16:17]
	v_mov_b32_e32 v19, 0
	v_mov_b32_e32 v25, 0
	;; [unrolled: 1-line block ×3, first 2 shown]
	v_dual_mov_b32 v33, 0 :: v_dual_mov_b32 v20, 0
	v_dual_mov_b32 v21, 0 :: v_dual_mov_b32 v26, 0
	;; [unrolled: 1-line block ×5, first 2 shown]
	v_mov_b32_e32 v24, 0
	v_mov_b32_e32 v28, 0
	;; [unrolled: 1-line block ×3, first 2 shown]
	s_mov_b32 s16, 0
	s_wait_loadcnt 0x1
	v_add_co_u32 v15, vcc_lo, v1, v42
	s_wait_alu 0xfffd
	v_add_co_ci_u32_e64 v16, null, v2, v41, vcc_lo
	s_wait_loadcnt 0x0
	v_add_co_u32 v17, vcc_lo, v3, v43
	s_wait_alu 0xfffd
	v_add_co_ci_u32_e64 v18, null, v4, v44, vcc_lo
	s_branch .LBB412_10
.LBB412_9:                              ;   in Loop: Header=BB412_10 Depth=2
	s_wait_alu 0xfffe
	s_or_b32 exec_lo, exec_lo, s17
	s_wait_dscnt 0x0
	s_barrier_signal -1
	s_barrier_wait -1
	global_inv scope:SCOPE_SE
	ds_load_b128 v[1:4], v37
	ds_load_b128 v[45:48], v36
	ds_load_b128 v[49:52], v36 offset:256
	ds_load_b128 v[53:56], v37 offset:2048
	;; [unrolled: 1-line block ×10, first 2 shown]
	v_add_co_u32 v15, vcc_lo, 0x80, v15
	s_wait_alu 0xfffd
	v_add_co_ci_u32_e64 v16, null, 0, v16, vcc_lo
	v_add_co_u32 v17, vcc_lo, v17, s2
	s_wait_alu 0xfffd
	v_add_co_ci_u32_e64 v18, null, s3, v18, vcc_lo
	s_add_co_i32 s16, s16, 8
	s_wait_alu 0xfffe
	s_cmp_lt_i32 s16, s23
	s_wait_dscnt 0xa
	v_mul_f64_e32 v[89:90], v[3:4], v[47:48]
	v_mul_f64_e32 v[91:92], v[1:2], v[47:48]
	s_wait_dscnt 0x9
	v_mul_f64_e32 v[93:94], v[3:4], v[51:52]
	v_mul_f64_e32 v[95:96], v[1:2], v[51:52]
	;; [unrolled: 3-line block ×3, first 2 shown]
	v_mul_f64_e32 v[99:100], v[55:56], v[51:52]
	v_mul_f64_e32 v[51:52], v[53:54], v[51:52]
	s_wait_dscnt 0x5
	v_mul_f64_e32 v[101:102], v[59:60], v[67:68]
	v_mul_f64_e32 v[103:104], v[57:58], v[67:68]
	s_wait_dscnt 0x4
	v_mul_f64_e32 v[105:106], v[59:60], v[71:72]
	v_mul_f64_e32 v[107:108], v[57:58], v[71:72]
	;; [unrolled: 1-line block ×6, first 2 shown]
	s_wait_dscnt 0x2
	v_mul_f64_e32 v[117:118], v[75:76], v[79:80]
	v_mul_f64_e32 v[119:120], v[73:74], v[79:80]
	s_wait_dscnt 0x1
	v_mul_f64_e32 v[121:122], v[75:76], v[83:84]
	v_mul_f64_e32 v[123:124], v[73:74], v[83:84]
	;; [unrolled: 3-line block ×3, first 2 shown]
	v_mul_f64_e32 v[127:128], v[87:88], v[83:84]
	v_mul_f64_e32 v[83:84], v[85:86], v[83:84]
	v_fma_f64 v[89:90], v[1:2], v[45:46], -v[89:90]
	v_fma_f64 v[91:92], v[3:4], v[45:46], v[91:92]
	v_fma_f64 v[93:94], v[1:2], v[49:50], -v[93:94]
	v_fma_f64 v[95:96], v[3:4], v[49:50], v[95:96]
	;; [unrolled: 2-line block ×8, first 2 shown]
	ds_load_b128 v[1:4], v37 offset:48
	ds_load_b128 v[45:48], v37 offset:2096
	;; [unrolled: 1-line block ×4, first 2 shown]
	v_fma_f64 v[117:118], v[73:74], v[77:78], -v[117:118]
	v_fma_f64 v[119:120], v[75:76], v[77:78], v[119:120]
	v_fma_f64 v[73:74], v[73:74], v[81:82], -v[121:122]
	v_fma_f64 v[75:76], v[75:76], v[81:82], v[123:124]
	v_fma_f64 v[121:122], v[85:86], v[77:78], -v[125:126]
	v_fma_f64 v[77:78], v[87:88], v[77:78], v[79:80]
	v_fma_f64 v[79:80], v[85:86], v[81:82], -v[127:128]
	v_fma_f64 v[81:82], v[87:88], v[81:82], v[83:84]
	s_wait_dscnt 0x1
	v_mul_f64_e32 v[107:108], v[1:2], v[51:52]
	s_wait_dscnt 0x0
	v_mul_f64_e32 v[109:110], v[3:4], v[55:56]
	v_mul_f64_e32 v[111:112], v[1:2], v[55:56]
	v_add_f64_e32 v[67:68], v[31:32], v[89:90]
	v_add_f64_e32 v[69:70], v[91:92], v[33:34]
	;; [unrolled: 1-line block ×8, first 2 shown]
	v_mul_f64_e32 v[99:100], v[3:4], v[51:52]
	v_mul_f64_e32 v[113:114], v[47:48], v[51:52]
	;; [unrolled: 1-line block ×5, first 2 shown]
	ds_load_b128 v[19:22], v37 offset:64
	ds_load_b128 v[23:26], v36 offset:2048
	;; [unrolled: 1-line block ×4, first 2 shown]
	s_wait_dscnt 0x0
	v_mul_f64_e32 v[123:124], v[33:34], v[25:26]
	v_mul_f64_e32 v[125:126], v[33:34], v[29:30]
	v_fma_f64 v[107:108], v[3:4], v[49:50], v[107:108]
	v_fma_f64 v[109:110], v[1:2], v[53:54], -v[109:110]
	v_fma_f64 v[111:112], v[3:4], v[53:54], v[111:112]
	v_add_f64_e32 v[83:84], v[67:68], v[101:102]
	v_add_f64_e32 v[85:86], v[103:104], v[69:70]
	;; [unrolled: 1-line block ×8, first 2 shown]
	v_mul_f64_e32 v[97:98], v[21:22], v[25:26]
	v_mul_f64_e32 v[101:102], v[19:20], v[25:26]
	;; [unrolled: 1-line block ×6, first 2 shown]
	v_fma_f64 v[99:100], v[1:2], v[49:50], -v[99:100]
	v_fma_f64 v[113:114], v[45:46], v[49:50], -v[113:114]
	v_fma_f64 v[127:128], v[47:48], v[49:50], v[51:52]
	v_fma_f64 v[115:116], v[45:46], v[53:54], -v[115:116]
	v_fma_f64 v[53:54], v[47:48], v[53:54], v[129:130]
	ds_load_b128 v[55:58], v37 offset:80
	ds_load_b128 v[59:62], v37 offset:2128
	;; [unrolled: 1-line block ×4, first 2 shown]
	v_fma_f64 v[123:124], v[31:32], v[23:24], -v[123:124]
	v_fma_f64 v[125:126], v[31:32], v[27:28], -v[125:126]
	v_add_f64_e32 v[83:84], v[83:84], v[117:118]
	v_add_f64_e32 v[85:86], v[119:120], v[85:86]
	;; [unrolled: 1-line block ×8, first 2 shown]
	s_wait_dscnt 0x1
	v_mul_f64_e32 v[89:90], v[57:58], v[65:66]
	v_mul_f64_e32 v[91:92], v[55:56], v[65:66]
	s_wait_dscnt 0x0
	v_mul_f64_e32 v[93:94], v[57:58], v[69:70]
	v_mul_f64_e32 v[95:96], v[55:56], v[69:70]
	;; [unrolled: 1-line block ×6, first 2 shown]
	v_fma_f64 v[97:98], v[19:20], v[23:24], -v[97:98]
	v_fma_f64 v[101:102], v[21:22], v[23:24], v[101:102]
	v_fma_f64 v[103:104], v[19:20], v[27:28], -v[103:104]
	v_fma_f64 v[105:106], v[21:22], v[27:28], v[105:106]
	v_fma_f64 v[129:130], v[33:34], v[23:24], v[25:26]
	v_fma_f64 v[131:132], v[33:34], v[27:28], v[29:30]
	ds_load_b128 v[1:4], v37 offset:96
	ds_load_b128 v[45:48], v36 offset:3072
	;; [unrolled: 1-line block ×8, first 2 shown]
	s_wait_loadcnt_dscnt 0x0
	s_barrier_signal -1
	s_barrier_wait -1
	global_inv scope:SCOPE_SE
	v_add_f64_e32 v[83:84], v[83:84], v[99:100]
	v_add_f64_e32 v[85:86], v[107:108], v[85:86]
	;; [unrolled: 1-line block ×8, first 2 shown]
	v_mul_f64_e32 v[81:82], v[3:4], v[47:48]
	v_mul_f64_e32 v[107:108], v[1:2], v[47:48]
	;; [unrolled: 1-line block ×8, first 2 shown]
	v_fma_f64 v[89:90], v[55:56], v[63:64], -v[89:90]
	v_fma_f64 v[91:92], v[57:58], v[63:64], v[91:92]
	v_fma_f64 v[55:56], v[55:56], v[67:68], -v[93:94]
	v_fma_f64 v[57:58], v[57:58], v[67:68], v[95:96]
	;; [unrolled: 2-line block ×4, first 2 shown]
	v_mul_f64_e32 v[95:96], v[21:22], v[33:34]
	v_add_f64_e32 v[65:66], v[83:84], v[97:98]
	v_add_f64_e32 v[67:68], v[101:102], v[85:86]
	;; [unrolled: 1-line block ×8, first 2 shown]
	v_mul_f64_e32 v[85:86], v[21:22], v[29:30]
	v_mul_f64_e32 v[87:88], v[19:20], v[29:30]
	;; [unrolled: 1-line block ×7, first 2 shown]
	v_fma_f64 v[81:82], v[1:2], v[45:46], -v[81:82]
	v_fma_f64 v[103:104], v[3:4], v[45:46], v[107:108]
	v_fma_f64 v[1:2], v[1:2], v[49:50], -v[109:110]
	v_fma_f64 v[3:4], v[3:4], v[49:50], v[111:112]
	;; [unrolled: 2-line block ×4, first 2 shown]
	v_add_f64_e32 v[51:52], v[65:66], v[89:90]
	v_add_f64_e32 v[65:66], v[91:92], v[67:68]
	;; [unrolled: 1-line block ×8, first 2 shown]
	v_fma_f64 v[61:62], v[19:20], v[27:28], -v[85:86]
	v_fma_f64 v[69:70], v[21:22], v[27:28], v[87:88]
	v_fma_f64 v[19:20], v[19:20], v[31:32], -v[95:96]
	v_fma_f64 v[21:22], v[21:22], v[31:32], v[97:98]
	;; [unrolled: 2-line block ×4, first 2 shown]
	v_add_f64_e32 v[23:24], v[51:52], v[81:82]
	v_add_f64_e32 v[25:26], v[103:104], v[65:66]
	;; [unrolled: 1-line block ×16, first 2 shown]
	s_cbranch_scc0 .LBB412_16
.LBB412_10:                             ;   Parent Loop BB412_7 Depth=1
                                        ; =>  This Inner Loop Header: Depth=2
	s_wait_alu 0xfffe
	v_add_nc_u32_e32 v1, s16, v38
	v_mov_b32_e32 v3, 0
	v_mov_b32_e32 v4, 0
	s_delay_alu instid0(VALU_DEP_3)
	v_cmp_gt_i32_e32 vcc_lo, s23, v1
	v_mov_b32_e32 v1, 0
	v_mov_b32_e32 v2, 0
	s_and_b32 s30, s0, vcc_lo
	s_wait_alu 0xfffe
	s_and_saveexec_b32 s17, s30
	s_cbranch_execz .LBB412_12
; %bb.11:                               ;   in Loop: Header=BB412_10 Depth=2
	flat_load_b128 v[1:4], v[15:16] offset:-8
	s_wait_loadcnt_dscnt 0x0
	v_xor_b32_e32 v4, 0x80000000, v4
.LBB412_12:                             ;   in Loop: Header=BB412_10 Depth=2
	s_wait_alu 0xfffe
	s_or_b32 exec_lo, exec_lo, s17
	v_add_nc_u32_e32 v45, s16, v35
	ds_store_b128 v39, v[1:4]
	v_cmp_le_i32_e32 vcc_lo, s23, v45
	s_or_b32 s17, vcc_lo, s21
	s_wait_alu 0xfffe
	s_and_saveexec_b32 s30, s17
	s_wait_alu 0xfffe
	s_xor_b32 s17, exec_lo, s30
; %bb.13:                               ;   in Loop: Header=BB412_10 Depth=2
	v_dual_mov_b32 v1, v0 :: v_dual_mov_b32 v2, v0
	v_mov_b32_e32 v3, v0
	ds_store_b128 v40, v[0:3]
; %bb.14:                               ;   in Loop: Header=BB412_10 Depth=2
	s_wait_alu 0xfffe
	s_and_not1_saveexec_b32 s17, s17
	s_cbranch_execz .LBB412_9
; %bb.15:                               ;   in Loop: Header=BB412_10 Depth=2
	flat_load_b128 v[1:4], v[17:18]
	s_wait_loadcnt_dscnt 0x0
	ds_store_2addr_b64 v40, v[1:2], v[3:4] offset1:1
	s_branch .LBB412_9
.LBB412_16:                             ;   in Loop: Header=BB412_7 Depth=1
	s_wait_loadcnt 0x0
	v_add_co_u32 v13, vcc_lo, v13, s4
	s_wait_alu 0xfffd
	v_add_co_ci_u32_e64 v14, null, s5, v14, vcc_lo
	s_delay_alu instid0(VALU_DEP_2) | instskip(SKIP_1) | instid1(VALU_DEP_2)
	v_add_co_u32 v15, vcc_lo, v13, v9
	s_wait_alu 0xfffd
	v_add_co_ci_u32_e64 v16, null, v14, v10, vcc_lo
	s_and_saveexec_b32 s16, s33
	s_cbranch_execz .LBB412_21
; %bb.17:                               ;   in Loop: Header=BB412_7 Depth=1
	v_mul_f64_e32 v[1:2], s[14:15], v[33:34]
	v_mul_f64_e32 v[3:4], s[12:13], v[33:34]
	s_and_b32 vcc_lo, exec_lo, s22
	s_mov_b32 s17, -1
	s_delay_alu instid0(VALU_DEP_2) | instskip(NEXT) | instid1(VALU_DEP_2)
	v_fma_f64 v[1:2], s[12:13], v[31:32], -v[1:2]
	v_fma_f64 v[3:4], s[14:15], v[31:32], v[3:4]
	s_wait_alu 0xfffe
	s_cbranch_vccz .LBB412_19
; %bb.18:                               ;   in Loop: Header=BB412_7 Depth=1
	v_lshlrev_b64_e32 v[17:18], 4, v[5:6]
	s_mov_b32 s17, 0
	s_delay_alu instid0(VALU_DEP_1) | instskip(SKIP_1) | instid1(VALU_DEP_2)
	v_add_co_u32 v17, vcc_lo, v15, v17
	s_wait_alu 0xfffd
	v_add_co_ci_u32_e64 v18, null, v16, v18, vcc_lo
	flat_load_b128 v[31:34], v[17:18]
	s_wait_loadcnt_dscnt 0x0
	v_mul_f64_e32 v[45:46], s[10:11], v[33:34]
	v_mul_f64_e32 v[33:34], s[8:9], v[33:34]
	s_delay_alu instid0(VALU_DEP_2) | instskip(NEXT) | instid1(VALU_DEP_2)
	v_fma_f64 v[45:46], s[8:9], v[31:32], -v[45:46]
	v_fma_f64 v[33:34], s[10:11], v[31:32], v[33:34]
	s_delay_alu instid0(VALU_DEP_2) | instskip(NEXT) | instid1(VALU_DEP_2)
	v_add_f64_e32 v[31:32], v[1:2], v[45:46]
	v_add_f64_e32 v[33:34], v[3:4], v[33:34]
	flat_store_b128 v[17:18], v[31:34]
.LBB412_19:                             ;   in Loop: Header=BB412_7 Depth=1
	s_wait_alu 0xfffe
	s_and_not1_b32 vcc_lo, exec_lo, s17
	s_wait_alu 0xfffe
	s_cbranch_vccnz .LBB412_21
; %bb.20:                               ;   in Loop: Header=BB412_7 Depth=1
	v_lshlrev_b64_e32 v[17:18], 4, v[5:6]
	s_delay_alu instid0(VALU_DEP_1) | instskip(SKIP_1) | instid1(VALU_DEP_2)
	v_add_co_u32 v17, vcc_lo, v15, v17
	s_wait_alu 0xfffd
	v_add_co_ci_u32_e64 v18, null, v16, v18, vcc_lo
	flat_store_b128 v[17:18], v[1:4]
.LBB412_21:                             ;   in Loop: Header=BB412_7 Depth=1
	s_wait_alu 0xfffe
	s_or_b32 exec_lo, exec_lo, s16
	s_and_saveexec_b32 s16, s36
	s_cbranch_execz .LBB412_26
; %bb.22:                               ;   in Loop: Header=BB412_7 Depth=1
	v_mul_f64_e32 v[1:2], s[14:15], v[29:30]
	v_mul_f64_e32 v[3:4], s[12:13], v[29:30]
	s_and_not1_b32 vcc_lo, exec_lo, s22
	s_mov_b32 s17, -1
	s_delay_alu instid0(VALU_DEP_2) | instskip(NEXT) | instid1(VALU_DEP_2)
	v_fma_f64 v[1:2], s[12:13], v[27:28], -v[1:2]
	v_fma_f64 v[3:4], s[14:15], v[27:28], v[3:4]
	s_wait_alu 0xfffe
	s_cbranch_vccnz .LBB412_24
; %bb.23:                               ;   in Loop: Header=BB412_7 Depth=1
	v_lshlrev_b64_e32 v[17:18], 4, v[7:8]
	s_mov_b32 s17, 0
	s_delay_alu instid0(VALU_DEP_1) | instskip(SKIP_1) | instid1(VALU_DEP_2)
	v_add_co_u32 v17, vcc_lo, v15, v17
	s_wait_alu 0xfffd
	v_add_co_ci_u32_e64 v18, null, v16, v18, vcc_lo
	flat_load_b128 v[27:30], v[17:18]
	s_wait_loadcnt_dscnt 0x0
	v_mul_f64_e32 v[31:32], s[10:11], v[29:30]
	v_mul_f64_e32 v[29:30], s[8:9], v[29:30]
	s_delay_alu instid0(VALU_DEP_2) | instskip(NEXT) | instid1(VALU_DEP_2)
	v_fma_f64 v[31:32], s[8:9], v[27:28], -v[31:32]
	v_fma_f64 v[29:30], s[10:11], v[27:28], v[29:30]
	s_delay_alu instid0(VALU_DEP_2) | instskip(NEXT) | instid1(VALU_DEP_2)
	v_add_f64_e32 v[27:28], v[1:2], v[31:32]
	v_add_f64_e32 v[29:30], v[3:4], v[29:30]
	flat_store_b128 v[17:18], v[27:30]
.LBB412_24:                             ;   in Loop: Header=BB412_7 Depth=1
	s_wait_alu 0xfffe
	s_and_not1_b32 vcc_lo, exec_lo, s17
	s_wait_alu 0xfffe
	s_cbranch_vccnz .LBB412_26
; %bb.25:                               ;   in Loop: Header=BB412_7 Depth=1
	v_lshlrev_b64_e32 v[17:18], 4, v[7:8]
	s_delay_alu instid0(VALU_DEP_1) | instskip(SKIP_1) | instid1(VALU_DEP_2)
	v_add_co_u32 v15, vcc_lo, v15, v17
	s_wait_alu 0xfffd
	v_add_co_ci_u32_e64 v16, null, v16, v18, vcc_lo
	flat_store_b128 v[15:16], v[1:4]
.LBB412_26:                             ;   in Loop: Header=BB412_7 Depth=1
	s_wait_alu 0xfffe
	s_or_b32 exec_lo, exec_lo, s16
	v_add_co_u32 v15, vcc_lo, v13, v11
	s_wait_alu 0xfffd
	v_add_co_ci_u32_e64 v16, null, v14, v12, vcc_lo
	s_and_saveexec_b32 s16, s1
	s_cbranch_execz .LBB412_31
; %bb.27:                               ;   in Loop: Header=BB412_7 Depth=1
	v_mul_f64_e32 v[1:2], s[14:15], v[25:26]
	v_mul_f64_e32 v[3:4], s[12:13], v[25:26]
	v_lshlrev_b64_e32 v[13:14], 4, v[5:6]
	s_and_not1_b32 vcc_lo, exec_lo, s22
	s_mov_b32 s17, -1
	s_delay_alu instid0(VALU_DEP_3) | instskip(NEXT) | instid1(VALU_DEP_3)
	v_fma_f64 v[1:2], s[12:13], v[23:24], -v[1:2]
	v_fma_f64 v[3:4], s[14:15], v[23:24], v[3:4]
	s_wait_alu 0xfffe
	s_cbranch_vccnz .LBB412_29
; %bb.28:                               ;   in Loop: Header=BB412_7 Depth=1
	v_add_co_u32 v17, vcc_lo, v15, v13
	s_wait_alu 0xfffd
	v_add_co_ci_u32_e64 v18, null, v16, v14, vcc_lo
	s_mov_b32 s17, 0
	flat_load_b128 v[23:26], v[17:18]
	s_wait_loadcnt_dscnt 0x0
	v_mul_f64_e32 v[27:28], s[10:11], v[25:26]
	v_mul_f64_e32 v[25:26], s[8:9], v[25:26]
	s_delay_alu instid0(VALU_DEP_2) | instskip(NEXT) | instid1(VALU_DEP_2)
	v_fma_f64 v[27:28], s[8:9], v[23:24], -v[27:28]
	v_fma_f64 v[25:26], s[10:11], v[23:24], v[25:26]
	s_delay_alu instid0(VALU_DEP_2) | instskip(NEXT) | instid1(VALU_DEP_2)
	v_add_f64_e32 v[23:24], v[1:2], v[27:28]
	v_add_f64_e32 v[25:26], v[3:4], v[25:26]
	flat_store_b128 v[17:18], v[23:26]
.LBB412_29:                             ;   in Loop: Header=BB412_7 Depth=1
	s_wait_alu 0xfffe
	s_and_not1_b32 vcc_lo, exec_lo, s17
	s_wait_alu 0xfffe
	s_cbranch_vccnz .LBB412_31
; %bb.30:                               ;   in Loop: Header=BB412_7 Depth=1
	v_add_co_u32 v13, vcc_lo, v15, v13
	s_wait_alu 0xfffd
	v_add_co_ci_u32_e64 v14, null, v16, v14, vcc_lo
	flat_store_b128 v[13:14], v[1:4]
.LBB412_31:                             ;   in Loop: Header=BB412_7 Depth=1
	s_wait_alu 0xfffe
	s_or_b32 exec_lo, exec_lo, s16
	s_and_saveexec_b32 s16, s26
	s_cbranch_execz .LBB412_6
; %bb.32:                               ;   in Loop: Header=BB412_7 Depth=1
	v_mul_f64_e32 v[1:2], s[14:15], v[19:20]
	v_mul_f64_e32 v[3:4], s[12:13], v[19:20]
	v_lshlrev_b64_e32 v[13:14], 4, v[7:8]
	s_and_not1_b32 vcc_lo, exec_lo, s22
	s_mov_b32 s17, -1
	s_delay_alu instid0(VALU_DEP_3) | instskip(NEXT) | instid1(VALU_DEP_3)
	v_fma_f64 v[1:2], s[12:13], v[21:22], -v[1:2]
	v_fma_f64 v[3:4], s[14:15], v[21:22], v[3:4]
	s_wait_alu 0xfffe
	s_cbranch_vccnz .LBB412_34
; %bb.33:                               ;   in Loop: Header=BB412_7 Depth=1
	v_add_co_u32 v21, vcc_lo, v15, v13
	s_wait_alu 0xfffd
	v_add_co_ci_u32_e64 v22, null, v16, v14, vcc_lo
	s_mov_b32 s17, 0
	flat_load_b128 v[17:20], v[21:22]
	s_wait_loadcnt_dscnt 0x0
	v_mul_f64_e32 v[23:24], s[10:11], v[19:20]
	v_mul_f64_e32 v[19:20], s[8:9], v[19:20]
	s_delay_alu instid0(VALU_DEP_2) | instskip(NEXT) | instid1(VALU_DEP_2)
	v_fma_f64 v[23:24], s[8:9], v[17:18], -v[23:24]
	v_fma_f64 v[19:20], s[10:11], v[17:18], v[19:20]
	s_delay_alu instid0(VALU_DEP_2) | instskip(NEXT) | instid1(VALU_DEP_2)
	v_add_f64_e32 v[17:18], v[1:2], v[23:24]
	v_add_f64_e32 v[19:20], v[3:4], v[19:20]
	flat_store_b128 v[21:22], v[17:20]
.LBB412_34:                             ;   in Loop: Header=BB412_7 Depth=1
	s_wait_alu 0xfffe
	s_and_not1_b32 vcc_lo, exec_lo, s17
	s_wait_alu 0xfffe
	s_cbranch_vccnz .LBB412_6
; %bb.35:                               ;   in Loop: Header=BB412_7 Depth=1
	v_add_co_u32 v13, vcc_lo, v15, v13
	s_wait_alu 0xfffd
	v_add_co_ci_u32_e64 v14, null, v16, v14, vcc_lo
	flat_store_b128 v[13:14], v[1:4]
	s_branch .LBB412_6
.LBB412_36:
.LBB412_37:
	s_nop 0
	s_sendmsg sendmsg(MSG_DEALLOC_VGPRS)
	s_endpgm
	.section	.rodata,"a",@progbits
	.p2align	6, 0x0
	.amdhsa_kernel _ZL29rocblas_internal_gemmt_kernelIiLi16ELi32ELi8ELc67ELc84ELc76ELb1ELb0E19rocblas_complex_numIdEPKS1_PKS3_PKPS1_EviT_T9_T10_S9_lSB_S9_lSA_T11_S9_li
		.amdhsa_group_segment_fixed_size 8192
		.amdhsa_private_segment_fixed_size 0
		.amdhsa_kernarg_size 100
		.amdhsa_user_sgpr_count 2
		.amdhsa_user_sgpr_dispatch_ptr 0
		.amdhsa_user_sgpr_queue_ptr 0
		.amdhsa_user_sgpr_kernarg_segment_ptr 1
		.amdhsa_user_sgpr_dispatch_id 0
		.amdhsa_user_sgpr_private_segment_size 0
		.amdhsa_wavefront_size32 1
		.amdhsa_uses_dynamic_stack 0
		.amdhsa_enable_private_segment 0
		.amdhsa_system_sgpr_workgroup_id_x 1
		.amdhsa_system_sgpr_workgroup_id_y 1
		.amdhsa_system_sgpr_workgroup_id_z 1
		.amdhsa_system_sgpr_workgroup_info 0
		.amdhsa_system_vgpr_workitem_id 1
		.amdhsa_next_free_vgpr 133
		.amdhsa_next_free_sgpr 39
		.amdhsa_reserve_vcc 1
		.amdhsa_float_round_mode_32 0
		.amdhsa_float_round_mode_16_64 0
		.amdhsa_float_denorm_mode_32 3
		.amdhsa_float_denorm_mode_16_64 3
		.amdhsa_fp16_overflow 0
		.amdhsa_workgroup_processor_mode 1
		.amdhsa_memory_ordered 1
		.amdhsa_forward_progress 1
		.amdhsa_inst_pref_size 28
		.amdhsa_round_robin_scheduling 0
		.amdhsa_exception_fp_ieee_invalid_op 0
		.amdhsa_exception_fp_denorm_src 0
		.amdhsa_exception_fp_ieee_div_zero 0
		.amdhsa_exception_fp_ieee_overflow 0
		.amdhsa_exception_fp_ieee_underflow 0
		.amdhsa_exception_fp_ieee_inexact 0
		.amdhsa_exception_int_div_zero 0
	.end_amdhsa_kernel
	.section	.text._ZL29rocblas_internal_gemmt_kernelIiLi16ELi32ELi8ELc67ELc84ELc76ELb1ELb0E19rocblas_complex_numIdEPKS1_PKS3_PKPS1_EviT_T9_T10_S9_lSB_S9_lSA_T11_S9_li,"axG",@progbits,_ZL29rocblas_internal_gemmt_kernelIiLi16ELi32ELi8ELc67ELc84ELc76ELb1ELb0E19rocblas_complex_numIdEPKS1_PKS3_PKPS1_EviT_T9_T10_S9_lSB_S9_lSA_T11_S9_li,comdat
.Lfunc_end412:
	.size	_ZL29rocblas_internal_gemmt_kernelIiLi16ELi32ELi8ELc67ELc84ELc76ELb1ELb0E19rocblas_complex_numIdEPKS1_PKS3_PKPS1_EviT_T9_T10_S9_lSB_S9_lSA_T11_S9_li, .Lfunc_end412-_ZL29rocblas_internal_gemmt_kernelIiLi16ELi32ELi8ELc67ELc84ELc76ELb1ELb0E19rocblas_complex_numIdEPKS1_PKS3_PKPS1_EviT_T9_T10_S9_lSB_S9_lSA_T11_S9_li
                                        ; -- End function
	.set _ZL29rocblas_internal_gemmt_kernelIiLi16ELi32ELi8ELc67ELc84ELc76ELb1ELb0E19rocblas_complex_numIdEPKS1_PKS3_PKPS1_EviT_T9_T10_S9_lSB_S9_lSA_T11_S9_li.num_vgpr, 133
	.set _ZL29rocblas_internal_gemmt_kernelIiLi16ELi32ELi8ELc67ELc84ELc76ELb1ELb0E19rocblas_complex_numIdEPKS1_PKS3_PKPS1_EviT_T9_T10_S9_lSB_S9_lSA_T11_S9_li.num_agpr, 0
	.set _ZL29rocblas_internal_gemmt_kernelIiLi16ELi32ELi8ELc67ELc84ELc76ELb1ELb0E19rocblas_complex_numIdEPKS1_PKS3_PKPS1_EviT_T9_T10_S9_lSB_S9_lSA_T11_S9_li.numbered_sgpr, 39
	.set _ZL29rocblas_internal_gemmt_kernelIiLi16ELi32ELi8ELc67ELc84ELc76ELb1ELb0E19rocblas_complex_numIdEPKS1_PKS3_PKPS1_EviT_T9_T10_S9_lSB_S9_lSA_T11_S9_li.num_named_barrier, 0
	.set _ZL29rocblas_internal_gemmt_kernelIiLi16ELi32ELi8ELc67ELc84ELc76ELb1ELb0E19rocblas_complex_numIdEPKS1_PKS3_PKPS1_EviT_T9_T10_S9_lSB_S9_lSA_T11_S9_li.private_seg_size, 0
	.set _ZL29rocblas_internal_gemmt_kernelIiLi16ELi32ELi8ELc67ELc84ELc76ELb1ELb0E19rocblas_complex_numIdEPKS1_PKS3_PKPS1_EviT_T9_T10_S9_lSB_S9_lSA_T11_S9_li.uses_vcc, 1
	.set _ZL29rocblas_internal_gemmt_kernelIiLi16ELi32ELi8ELc67ELc84ELc76ELb1ELb0E19rocblas_complex_numIdEPKS1_PKS3_PKPS1_EviT_T9_T10_S9_lSB_S9_lSA_T11_S9_li.uses_flat_scratch, 0
	.set _ZL29rocblas_internal_gemmt_kernelIiLi16ELi32ELi8ELc67ELc84ELc76ELb1ELb0E19rocblas_complex_numIdEPKS1_PKS3_PKPS1_EviT_T9_T10_S9_lSB_S9_lSA_T11_S9_li.has_dyn_sized_stack, 0
	.set _ZL29rocblas_internal_gemmt_kernelIiLi16ELi32ELi8ELc67ELc84ELc76ELb1ELb0E19rocblas_complex_numIdEPKS1_PKS3_PKPS1_EviT_T9_T10_S9_lSB_S9_lSA_T11_S9_li.has_recursion, 0
	.set _ZL29rocblas_internal_gemmt_kernelIiLi16ELi32ELi8ELc67ELc84ELc76ELb1ELb0E19rocblas_complex_numIdEPKS1_PKS3_PKPS1_EviT_T9_T10_S9_lSB_S9_lSA_T11_S9_li.has_indirect_call, 0
	.section	.AMDGPU.csdata,"",@progbits
; Kernel info:
; codeLenInByte = 3480
; TotalNumSgprs: 41
; NumVgprs: 133
; ScratchSize: 0
; MemoryBound: 1
; FloatMode: 240
; IeeeMode: 1
; LDSByteSize: 8192 bytes/workgroup (compile time only)
; SGPRBlocks: 0
; VGPRBlocks: 16
; NumSGPRsForWavesPerEU: 41
; NumVGPRsForWavesPerEU: 133
; Occupancy: 10
; WaveLimiterHint : 1
; COMPUTE_PGM_RSRC2:SCRATCH_EN: 0
; COMPUTE_PGM_RSRC2:USER_SGPR: 2
; COMPUTE_PGM_RSRC2:TRAP_HANDLER: 0
; COMPUTE_PGM_RSRC2:TGID_X_EN: 1
; COMPUTE_PGM_RSRC2:TGID_Y_EN: 1
; COMPUTE_PGM_RSRC2:TGID_Z_EN: 1
; COMPUTE_PGM_RSRC2:TIDIG_COMP_CNT: 1
	.section	.text._ZL29rocblas_internal_gemmt_kernelIiLi16ELi32ELi8ELc67ELc67ELc76ELb1ELb1E19rocblas_complex_numIdEPKS1_PKS3_PKPS1_EviT_T9_T10_S9_lSB_S9_lSA_T11_S9_li,"axG",@progbits,_ZL29rocblas_internal_gemmt_kernelIiLi16ELi32ELi8ELc67ELc67ELc76ELb1ELb1E19rocblas_complex_numIdEPKS1_PKS3_PKPS1_EviT_T9_T10_S9_lSB_S9_lSA_T11_S9_li,comdat
	.globl	_ZL29rocblas_internal_gemmt_kernelIiLi16ELi32ELi8ELc67ELc67ELc76ELb1ELb1E19rocblas_complex_numIdEPKS1_PKS3_PKPS1_EviT_T9_T10_S9_lSB_S9_lSA_T11_S9_li ; -- Begin function _ZL29rocblas_internal_gemmt_kernelIiLi16ELi32ELi8ELc67ELc67ELc76ELb1ELb1E19rocblas_complex_numIdEPKS1_PKS3_PKPS1_EviT_T9_T10_S9_lSB_S9_lSA_T11_S9_li
	.p2align	8
	.type	_ZL29rocblas_internal_gemmt_kernelIiLi16ELi32ELi8ELc67ELc67ELc76ELb1ELb1E19rocblas_complex_numIdEPKS1_PKS3_PKPS1_EviT_T9_T10_S9_lSB_S9_lSA_T11_S9_li,@function
_ZL29rocblas_internal_gemmt_kernelIiLi16ELi32ELi8ELc67ELc67ELc76ELb1ELb1E19rocblas_complex_numIdEPKS1_PKS3_PKPS1_EviT_T9_T10_S9_lSB_S9_lSA_T11_S9_li: ; @_ZL29rocblas_internal_gemmt_kernelIiLi16ELi32ELi8ELc67ELc67ELc76ELb1ELb1E19rocblas_complex_numIdEPKS1_PKS3_PKPS1_EviT_T9_T10_S9_lSB_S9_lSA_T11_S9_li
; %bb.0:
	s_load_b128 s[20:23], s[0:1], 0x38
	s_wait_kmcnt 0x0
	s_load_b128 s[8:11], s[22:23], 0x0
	s_clause 0x1
	s_load_b128 s[4:7], s[0:1], 0x8
	s_load_b64 s[22:23], s[0:1], 0x0
	s_wait_kmcnt 0x0
	s_load_b128 s[12:15], s[4:5], 0x0
	v_cmp_eq_f64_e64 s2, s[8:9], 1.0
	v_cmp_eq_f64_e64 s3, s[10:11], 0
	s_and_b32 s2, s2, s3
	s_delay_alu instid0(SALU_CYCLE_1)
	s_and_not1_b32 vcc_lo, exec_lo, s2
	s_mov_b32 s2, -1
	s_cbranch_vccnz .LBB413_3
; %bb.1:
	s_cmp_lg_u32 s23, 0
	s_cbranch_scc0 .LBB413_34
; %bb.2:
	s_wait_kmcnt 0x0
	v_cmp_neq_f64_e64 s2, s[12:13], 0
	v_cmp_neq_f64_e64 s4, s[14:15], 0
	s_or_b32 s2, s2, s4
.LBB413_3:
	s_delay_alu instid0(SALU_CYCLE_1)
	s_and_b32 vcc_lo, exec_lo, s2
	s_cbranch_vccz .LBB413_35
; %bb.4:
	s_load_b32 s27, s[0:1], 0x60
	s_lshr_b32 s28, ttmp7, 16
	s_wait_kmcnt 0x0
	s_cmp_ge_u32 s28, s27
	s_cbranch_scc1 .LBB413_35
; %bb.5:
	v_cmp_neq_f64_e64 s4, s[12:13], 0
	v_cmp_neq_f64_e64 s5, s[14:15], 0
	;; [unrolled: 1-line block ×3, first 2 shown]
	v_dual_mov_b32 v44, 0 :: v_dual_and_b32 v1, 0x3ff, v0
	v_bfe_u32 v2, v0, 10, 10
	s_clause 0x4
	s_load_b32 s37, s[0:1], 0x18
	s_load_b128 s[16:19], s[0:1], 0x20
	s_load_b32 s30, s[0:1], 0x30
	s_load_b96 s[24:26], s[0:1], 0x48
	s_load_b64 s[34:35], s[0:1], 0x58
	v_and_b32_e32 v38, 7, v0
	s_lshl_b32 s0, ttmp9, 5
	s_lshl_b32 s1, ttmp7, 5
	v_lshl_add_u32 v0, v2, 4, v1
	v_lshlrev_b32_e32 v39, 4, v1
	v_add_nc_u32_e32 v8, s0, v1
	s_and_b32 s1, s1, 0x1fffe0
	v_lshlrev_b32_e32 v3, 4, v38
	v_and_b32_e32 v1, 31, v0
	s_wait_alu 0xfffe
	v_add_nc_u32_e32 v4, s1, v2
	v_lshrrev_b32_e32 v41, 5, v0
	v_lshrrev_b32_e32 v0, 3, v0
	v_lshl_add_u32 v40, v2, 7, 0x1000
	v_or_b32_e32 v2, s0, v1
	v_cmp_le_i32_e32 vcc_lo, v4, v8
	v_cmp_gt_i32_e64 s2, s22, v8
	v_add_nc_u32_e32 v10, 16, v8
	v_lshlrev_b32_e32 v1, 4, v1
	v_add_nc_u32_e32 v12, s1, v0
	v_lshl_or_b32 v0, v0, 7, v3
	s_wait_kmcnt 0x0
	s_ashr_i32 s31, s30, 31
	v_cmp_gt_i32_e64 s0, s22, v2
	v_mad_co_i64_i32 v[2:3], null, s37, v2, 0
	v_lshl_or_b32 v42, v41, 9, v1
	v_add_nc_u32_e32 v43, 0x1000, v0
	v_mad_co_i64_i32 v[0:1], null, v4, s26, 0
	v_add_nc_u32_e32 v13, 16, v4
	v_cmp_gt_i32_e64 s1, s22, v12
	v_lshlrev_b64_e32 v[2:3], 4, v[2:3]
	v_lshlrev_b32_e32 v12, 4, v12
	s_or_b32 s38, s4, s5
	s_cmp_gt_i32 s23, 0
	v_mad_co_i64_i32 v[6:7], null, v13, s26, 0
	s_cselect_b32 s39, -1, 0
	s_xor_b32 s3, s3, -1
	s_and_b32 s33, vcc_lo, s2
	s_or_b32 s36, s36, s3
	v_cmp_le_i32_e32 vcc_lo, v4, v10
	v_cmp_gt_i32_e64 s3, s22, v10
	v_mad_co_i64_i32 v[4:5], null, s30, v38, 0
	s_lshl_b64 s[4:5], s[16:17], 4
	v_lshlrev_b64_e32 v[14:15], 4, v[6:7]
	s_and_b32 s22, vcc_lo, s3
	v_cmp_le_i32_e32 vcc_lo, v13, v8
	v_ashrrev_i32_e32 v9, 31, v8
	v_ashrrev_i32_e32 v11, 31, v10
	v_lshlrev_b64_e32 v[4:5], 4, v[4:5]
	s_mov_b32 s29, 0
	s_and_b32 s26, vcc_lo, s2
	v_add_co_u32 v2, s2, v2, s4
	s_delay_alu instid0(VALU_DEP_1)
	v_add_co_ci_u32_e64 v3, null, s5, v3, s2
	s_lshl_b64 s[4:5], s[20:21], 4
	v_cmp_le_i32_e32 vcc_lo, v13, v10
	v_lshlrev_b32_e32 v13, 4, v41
	s_wait_alu 0xfffe
	v_add_co_u32 v4, s2, v4, s4
	s_wait_alu 0xf1ff
	v_add_co_ci_u32_e64 v5, null, s5, v5, s2
	v_add_co_u32 v2, s4, v2, v13
	s_delay_alu instid0(VALU_DEP_3)
	v_add_co_u32 v4, s2, v4, v12
	v_lshlrev_b64_e32 v[12:13], 4, v[0:1]
	s_wait_alu 0xf1ff
	v_add_co_ci_u32_e64 v45, null, 0, v3, s4
	v_or_b32_e32 v46, 8, v2
	v_add_co_ci_u32_e64 v47, null, 0, v5, s2
	v_or_b32_e32 v48, 8, v4
	s_and_b32 s20, s38, s39
	s_and_b32 s21, vcc_lo, s3
	s_lshl_b64 s[2:3], s[30:31], 7
	s_lshl_b64 s[4:5], s[34:35], 4
	s_branch .LBB413_7
.LBB413_6:                              ;   in Loop: Header=BB413_7 Depth=1
	s_wait_alu 0xfffe
	s_or_b32 exec_lo, exec_lo, s16
	s_add_co_i32 s28, s28, 0x10000
	s_delay_alu instid0(SALU_CYCLE_1)
	s_cmp_lt_u32 s28, s27
	s_cbranch_scc0 .LBB413_35
.LBB413_7:                              ; =>This Loop Header: Depth=1
                                        ;     Child Loop BB413_10 Depth 2
	s_lshl_b64 s[16:17], s[28:29], 3
	v_mov_b32_e32 v34, 0
	s_wait_alu 0xfffe
	s_add_nc_u64 s[30:31], s[24:25], s[16:17]
	v_mov_b32_e32 v30, 0
	global_load_b64 v[16:17], v44, s[30:31]
	v_mov_b32_e32 v26, 0
	v_dual_mov_b32 v24, 0 :: v_dual_mov_b32 v35, 0
	v_dual_mov_b32 v36, 0 :: v_dual_mov_b32 v31, 0
	;; [unrolled: 1-line block ×5, first 2 shown]
	v_mov_b32_e32 v33, 0
	v_mov_b32_e32 v29, 0
	;; [unrolled: 1-line block ×3, first 2 shown]
	s_and_not1_b32 vcc_lo, exec_lo, s20
	s_wait_alu 0xfffe
	s_cbranch_vccnz .LBB413_14
; %bb.8:                                ;   in Loop: Header=BB413_7 Depth=1
	s_add_nc_u64 s[30:31], s[6:7], s[16:17]
	s_add_nc_u64 s[16:17], s[18:19], s[16:17]
	s_clause 0x1
	global_load_b64 v[0:1], v44, s[30:31]
	global_load_b64 v[2:3], v44, s[16:17]
	v_mov_b32_e32 v22, 0
	v_mov_b32_e32 v28, 0
	;; [unrolled: 1-line block ×3, first 2 shown]
	v_dual_mov_b32 v36, 0 :: v_dual_mov_b32 v23, 0
	v_dual_mov_b32 v24, 0 :: v_dual_mov_b32 v29, 0
	;; [unrolled: 1-line block ×5, first 2 shown]
	v_mov_b32_e32 v27, 0
	v_mov_b32_e32 v31, 0
	;; [unrolled: 1-line block ×3, first 2 shown]
	s_mov_b32 s16, 0
	s_wait_loadcnt 0x1
	v_add_co_u32 v18, vcc_lo, v0, v46
	s_wait_alu 0xfffd
	v_add_co_ci_u32_e64 v19, null, v1, v45, vcc_lo
	s_wait_loadcnt 0x0
	v_add_co_u32 v20, vcc_lo, v2, v48
	s_wait_alu 0xfffd
	v_add_co_ci_u32_e64 v21, null, v3, v47, vcc_lo
	s_branch .LBB413_10
.LBB413_9:                              ;   in Loop: Header=BB413_10 Depth=2
	s_wait_alu 0xfffe
	s_or_b32 exec_lo, exec_lo, s17
	ds_store_b128 v43, v[4:7]
	s_wait_dscnt 0x0
	s_barrier_signal -1
	s_barrier_wait -1
	global_inv scope:SCOPE_SE
	ds_load_b128 v[0:3], v40
	ds_load_b128 v[4:7], v39
	ds_load_b128 v[49:52], v39 offset:256
	ds_load_b128 v[53:56], v40 offset:2048
	;; [unrolled: 1-line block ×10, first 2 shown]
	v_add_co_u32 v18, vcc_lo, 0x80, v18
	s_wait_alu 0xfffd
	v_add_co_ci_u32_e64 v19, null, 0, v19, vcc_lo
	v_add_co_u32 v20, vcc_lo, v20, s2
	s_wait_alu 0xfffd
	v_add_co_ci_u32_e64 v21, null, s3, v21, vcc_lo
	s_add_co_i32 s16, s16, 8
	s_wait_alu 0xfffe
	s_cmp_lt_i32 s16, s23
	s_wait_dscnt 0xa
	v_mul_f64_e32 v[89:90], v[2:3], v[6:7]
	v_mul_f64_e32 v[91:92], v[0:1], v[6:7]
	s_wait_dscnt 0x9
	v_mul_f64_e32 v[93:94], v[2:3], v[51:52]
	v_mul_f64_e32 v[95:96], v[0:1], v[51:52]
	;; [unrolled: 3-line block ×3, first 2 shown]
	v_mul_f64_e32 v[99:100], v[55:56], v[51:52]
	v_mul_f64_e32 v[51:52], v[53:54], v[51:52]
	s_wait_dscnt 0x5
	v_mul_f64_e32 v[101:102], v[59:60], v[67:68]
	v_mul_f64_e32 v[103:104], v[57:58], v[67:68]
	s_wait_dscnt 0x4
	v_mul_f64_e32 v[105:106], v[59:60], v[71:72]
	v_mul_f64_e32 v[107:108], v[57:58], v[71:72]
	;; [unrolled: 1-line block ×6, first 2 shown]
	s_wait_dscnt 0x2
	v_mul_f64_e32 v[117:118], v[75:76], v[79:80]
	v_mul_f64_e32 v[119:120], v[73:74], v[79:80]
	s_wait_dscnt 0x1
	v_mul_f64_e32 v[121:122], v[75:76], v[83:84]
	v_mul_f64_e32 v[123:124], v[73:74], v[83:84]
	s_wait_dscnt 0x0
	v_mul_f64_e32 v[125:126], v[87:88], v[79:80]
	v_mul_f64_e32 v[79:80], v[85:86], v[79:80]
	v_mul_f64_e32 v[127:128], v[87:88], v[83:84]
	v_mul_f64_e32 v[83:84], v[85:86], v[83:84]
	v_fma_f64 v[89:90], v[0:1], v[4:5], -v[89:90]
	v_fma_f64 v[91:92], v[2:3], v[4:5], v[91:92]
	v_fma_f64 v[93:94], v[0:1], v[49:50], -v[93:94]
	v_fma_f64 v[95:96], v[2:3], v[49:50], v[95:96]
	v_fma_f64 v[97:98], v[53:54], v[4:5], -v[97:98]
	v_fma_f64 v[113:114], v[55:56], v[4:5], v[6:7]
	v_fma_f64 v[99:100], v[53:54], v[49:50], -v[99:100]
	v_fma_f64 v[115:116], v[55:56], v[49:50], v[51:52]
	v_fma_f64 v[101:102], v[57:58], v[65:66], -v[101:102]
	v_fma_f64 v[103:104], v[59:60], v[65:66], v[103:104]
	v_fma_f64 v[57:58], v[57:58], v[69:70], -v[105:106]
	v_fma_f64 v[59:60], v[59:60], v[69:70], v[107:108]
	v_fma_f64 v[105:106], v[61:62], v[65:66], -v[109:110]
	v_fma_f64 v[65:66], v[63:64], v[65:66], v[67:68]
	v_fma_f64 v[61:62], v[61:62], v[69:70], -v[111:112]
	v_fma_f64 v[63:64], v[63:64], v[69:70], v[71:72]
	ds_load_b128 v[0:3], v40 offset:48
	ds_load_b128 v[4:7], v40 offset:2096
	;; [unrolled: 1-line block ×4, first 2 shown]
	v_fma_f64 v[117:118], v[73:74], v[77:78], -v[117:118]
	v_fma_f64 v[119:120], v[75:76], v[77:78], v[119:120]
	v_fma_f64 v[73:74], v[73:74], v[81:82], -v[121:122]
	v_fma_f64 v[75:76], v[75:76], v[81:82], v[123:124]
	;; [unrolled: 2-line block ×4, first 2 shown]
	s_wait_dscnt 0x1
	v_mul_f64_e32 v[107:108], v[0:1], v[51:52]
	s_wait_dscnt 0x0
	v_mul_f64_e32 v[109:110], v[2:3], v[55:56]
	v_mul_f64_e32 v[111:112], v[0:1], v[55:56]
	v_add_f64_e32 v[67:68], v[34:35], v[89:90]
	v_add_f64_e32 v[69:70], v[91:92], v[36:37]
	;; [unrolled: 1-line block ×8, first 2 shown]
	v_mul_f64_e32 v[99:100], v[2:3], v[51:52]
	v_mul_f64_e32 v[113:114], v[6:7], v[51:52]
	;; [unrolled: 1-line block ×5, first 2 shown]
	ds_load_b128 v[22:25], v40 offset:64
	ds_load_b128 v[26:29], v39 offset:2048
	ds_load_b128 v[30:33], v39 offset:2304
	ds_load_b128 v[34:37], v40 offset:2112
	s_wait_dscnt 0x0
	v_mul_f64_e32 v[123:124], v[36:37], v[28:29]
	v_mul_f64_e32 v[125:126], v[36:37], v[32:33]
	v_fma_f64 v[107:108], v[2:3], v[49:50], v[107:108]
	v_fma_f64 v[109:110], v[0:1], v[53:54], -v[109:110]
	v_fma_f64 v[111:112], v[2:3], v[53:54], v[111:112]
	v_add_f64_e32 v[83:84], v[67:68], v[101:102]
	v_add_f64_e32 v[85:86], v[103:104], v[69:70]
	;; [unrolled: 1-line block ×8, first 2 shown]
	v_mul_f64_e32 v[97:98], v[24:25], v[28:29]
	v_mul_f64_e32 v[101:102], v[22:23], v[28:29]
	;; [unrolled: 1-line block ×6, first 2 shown]
	v_fma_f64 v[99:100], v[0:1], v[49:50], -v[99:100]
	v_fma_f64 v[113:114], v[4:5], v[49:50], -v[113:114]
	v_fma_f64 v[127:128], v[6:7], v[49:50], v[51:52]
	v_fma_f64 v[115:116], v[4:5], v[53:54], -v[115:116]
	v_fma_f64 v[53:54], v[6:7], v[53:54], v[129:130]
	ds_load_b128 v[55:58], v40 offset:80
	ds_load_b128 v[59:62], v40 offset:2128
	;; [unrolled: 1-line block ×4, first 2 shown]
	v_fma_f64 v[123:124], v[34:35], v[26:27], -v[123:124]
	v_fma_f64 v[125:126], v[34:35], v[30:31], -v[125:126]
	v_add_f64_e32 v[83:84], v[83:84], v[117:118]
	v_add_f64_e32 v[85:86], v[119:120], v[85:86]
	;; [unrolled: 1-line block ×8, first 2 shown]
	s_wait_dscnt 0x1
	v_mul_f64_e32 v[89:90], v[57:58], v[65:66]
	v_mul_f64_e32 v[91:92], v[55:56], v[65:66]
	s_wait_dscnt 0x0
	v_mul_f64_e32 v[93:94], v[57:58], v[69:70]
	v_mul_f64_e32 v[95:96], v[55:56], v[69:70]
	;; [unrolled: 1-line block ×6, first 2 shown]
	v_fma_f64 v[97:98], v[22:23], v[26:27], -v[97:98]
	v_fma_f64 v[101:102], v[24:25], v[26:27], v[101:102]
	v_fma_f64 v[103:104], v[22:23], v[30:31], -v[103:104]
	v_fma_f64 v[105:106], v[24:25], v[30:31], v[105:106]
	v_fma_f64 v[129:130], v[36:37], v[26:27], v[28:29]
	;; [unrolled: 1-line block ×3, first 2 shown]
	ds_load_b128 v[0:3], v40 offset:96
	ds_load_b128 v[4:7], v39 offset:3072
	;; [unrolled: 1-line block ×8, first 2 shown]
	s_wait_loadcnt_dscnt 0x0
	s_barrier_signal -1
	s_barrier_wait -1
	global_inv scope:SCOPE_SE
	v_add_f64_e32 v[83:84], v[83:84], v[99:100]
	v_add_f64_e32 v[85:86], v[107:108], v[85:86]
	;; [unrolled: 1-line block ×8, first 2 shown]
	v_mul_f64_e32 v[81:82], v[2:3], v[6:7]
	v_mul_f64_e32 v[107:108], v[0:1], v[6:7]
	;; [unrolled: 1-line block ×8, first 2 shown]
	v_fma_f64 v[89:90], v[55:56], v[63:64], -v[89:90]
	v_fma_f64 v[91:92], v[57:58], v[63:64], v[91:92]
	v_fma_f64 v[55:56], v[55:56], v[67:68], -v[93:94]
	v_fma_f64 v[57:58], v[57:58], v[67:68], v[95:96]
	;; [unrolled: 2-line block ×4, first 2 shown]
	v_mul_f64_e32 v[95:96], v[24:25], v[36:37]
	v_add_f64_e32 v[65:66], v[83:84], v[97:98]
	v_add_f64_e32 v[67:68], v[101:102], v[85:86]
	;; [unrolled: 1-line block ×8, first 2 shown]
	v_mul_f64_e32 v[85:86], v[24:25], v[32:33]
	v_mul_f64_e32 v[87:88], v[22:23], v[32:33]
	;; [unrolled: 1-line block ×7, first 2 shown]
	v_fma_f64 v[81:82], v[0:1], v[4:5], -v[81:82]
	v_fma_f64 v[103:104], v[2:3], v[4:5], v[107:108]
	v_fma_f64 v[0:1], v[0:1], v[49:50], -v[109:110]
	v_fma_f64 v[2:3], v[2:3], v[49:50], v[111:112]
	;; [unrolled: 2-line block ×4, first 2 shown]
	v_add_f64_e32 v[51:52], v[65:66], v[89:90]
	v_add_f64_e32 v[65:66], v[91:92], v[67:68]
	;; [unrolled: 1-line block ×8, first 2 shown]
	v_fma_f64 v[61:62], v[22:23], v[30:31], -v[85:86]
	v_fma_f64 v[69:70], v[24:25], v[30:31], v[87:88]
	v_fma_f64 v[22:23], v[22:23], v[34:35], -v[95:96]
	v_fma_f64 v[24:25], v[24:25], v[34:35], v[97:98]
	;; [unrolled: 2-line block ×4, first 2 shown]
	v_add_f64_e32 v[26:27], v[51:52], v[81:82]
	v_add_f64_e32 v[28:29], v[103:104], v[65:66]
	;; [unrolled: 1-line block ×16, first 2 shown]
	s_cbranch_scc0 .LBB413_14
.LBB413_10:                             ;   Parent Loop BB413_7 Depth=1
                                        ; =>  This Inner Loop Header: Depth=2
	s_wait_alu 0xfffe
	v_add_nc_u32_e32 v0, s16, v41
	v_mov_b32_e32 v2, 0
	v_mov_b32_e32 v3, 0
	s_delay_alu instid0(VALU_DEP_3)
	v_cmp_gt_i32_e32 vcc_lo, s23, v0
	v_mov_b32_e32 v0, 0
	v_mov_b32_e32 v1, 0
	s_and_b32 s30, s0, vcc_lo
	s_wait_alu 0xfffe
	s_and_saveexec_b32 s17, s30
	s_cbranch_execz .LBB413_12
; %bb.11:                               ;   in Loop: Header=BB413_10 Depth=2
	flat_load_b128 v[0:3], v[18:19] offset:-8
	s_wait_loadcnt_dscnt 0x0
	v_xor_b32_e32 v3, 0x80000000, v3
.LBB413_12:                             ;   in Loop: Header=BB413_10 Depth=2
	s_wait_alu 0xfffe
	s_or_b32 exec_lo, exec_lo, s17
	v_add_nc_u32_e32 v4, s16, v38
	v_mov_b32_e32 v6, 0
	v_mov_b32_e32 v7, 0
	ds_store_b128 v42, v[0:3]
	v_cmp_gt_i32_e32 vcc_lo, s23, v4
	v_mov_b32_e32 v4, 0
	v_mov_b32_e32 v5, 0
	s_and_b32 s30, vcc_lo, s1
	s_wait_alu 0xfffe
	s_and_saveexec_b32 s17, s30
	s_cbranch_execz .LBB413_9
; %bb.13:                               ;   in Loop: Header=BB413_10 Depth=2
	flat_load_b128 v[4:7], v[20:21] offset:-8
	s_wait_loadcnt_dscnt 0x0
	v_xor_b32_e32 v7, 0x80000000, v7
	s_branch .LBB413_9
.LBB413_14:                             ;   in Loop: Header=BB413_7 Depth=1
	s_wait_loadcnt 0x0
	s_wait_alu 0xfffe
	v_add_co_u32 v4, vcc_lo, v16, s4
	s_wait_alu 0xfffd
	v_add_co_ci_u32_e64 v5, null, s5, v17, vcc_lo
	s_delay_alu instid0(VALU_DEP_2) | instskip(SKIP_1) | instid1(VALU_DEP_2)
	v_add_co_u32 v6, vcc_lo, v4, v12
	s_wait_alu 0xfffd
	v_add_co_ci_u32_e64 v7, null, v5, v13, vcc_lo
	s_and_saveexec_b32 s16, s33
	s_cbranch_execz .LBB413_19
; %bb.15:                               ;   in Loop: Header=BB413_7 Depth=1
	v_mul_f64_e32 v[0:1], s[14:15], v[36:37]
	v_mul_f64_e32 v[2:3], s[12:13], v[36:37]
	s_and_b32 vcc_lo, exec_lo, s36
	s_mov_b32 s17, -1
	s_delay_alu instid0(VALU_DEP_2) | instskip(NEXT) | instid1(VALU_DEP_2)
	v_fma_f64 v[0:1], s[12:13], v[34:35], -v[0:1]
	v_fma_f64 v[2:3], s[14:15], v[34:35], v[2:3]
	s_wait_alu 0xfffe
	s_cbranch_vccz .LBB413_17
; %bb.16:                               ;   in Loop: Header=BB413_7 Depth=1
	v_lshlrev_b64_e32 v[16:17], 4, v[8:9]
	s_mov_b32 s17, 0
	s_delay_alu instid0(VALU_DEP_1) | instskip(SKIP_1) | instid1(VALU_DEP_2)
	v_add_co_u32 v20, vcc_lo, v6, v16
	s_wait_alu 0xfffd
	v_add_co_ci_u32_e64 v21, null, v7, v17, vcc_lo
	flat_load_b128 v[16:19], v[20:21]
	s_wait_loadcnt_dscnt 0x0
	v_mul_f64_e32 v[34:35], s[10:11], v[18:19]
	v_mul_f64_e32 v[18:19], s[8:9], v[18:19]
	s_delay_alu instid0(VALU_DEP_2) | instskip(NEXT) | instid1(VALU_DEP_2)
	v_fma_f64 v[34:35], s[8:9], v[16:17], -v[34:35]
	v_fma_f64 v[18:19], s[10:11], v[16:17], v[18:19]
	s_delay_alu instid0(VALU_DEP_2) | instskip(NEXT) | instid1(VALU_DEP_2)
	v_add_f64_e32 v[16:17], v[0:1], v[34:35]
	v_add_f64_e32 v[18:19], v[2:3], v[18:19]
	flat_store_b128 v[20:21], v[16:19]
.LBB413_17:                             ;   in Loop: Header=BB413_7 Depth=1
	s_wait_alu 0xfffe
	s_and_not1_b32 vcc_lo, exec_lo, s17
	s_wait_alu 0xfffe
	s_cbranch_vccnz .LBB413_19
; %bb.18:                               ;   in Loop: Header=BB413_7 Depth=1
	v_lshlrev_b64_e32 v[16:17], 4, v[8:9]
	s_delay_alu instid0(VALU_DEP_1) | instskip(SKIP_1) | instid1(VALU_DEP_2)
	v_add_co_u32 v16, vcc_lo, v6, v16
	s_wait_alu 0xfffd
	v_add_co_ci_u32_e64 v17, null, v7, v17, vcc_lo
	flat_store_b128 v[16:17], v[0:3]
.LBB413_19:                             ;   in Loop: Header=BB413_7 Depth=1
	s_wait_alu 0xfffe
	s_or_b32 exec_lo, exec_lo, s16
	s_and_saveexec_b32 s16, s22
	s_cbranch_execz .LBB413_24
; %bb.20:                               ;   in Loop: Header=BB413_7 Depth=1
	v_mul_f64_e32 v[0:1], s[14:15], v[32:33]
	v_mul_f64_e32 v[2:3], s[12:13], v[32:33]
	s_and_not1_b32 vcc_lo, exec_lo, s36
	s_mov_b32 s17, -1
	s_delay_alu instid0(VALU_DEP_2) | instskip(NEXT) | instid1(VALU_DEP_2)
	v_fma_f64 v[0:1], s[12:13], v[30:31], -v[0:1]
	v_fma_f64 v[2:3], s[14:15], v[30:31], v[2:3]
	s_wait_alu 0xfffe
	s_cbranch_vccnz .LBB413_22
; %bb.21:                               ;   in Loop: Header=BB413_7 Depth=1
	v_lshlrev_b64_e32 v[16:17], 4, v[10:11]
	s_mov_b32 s17, 0
	s_delay_alu instid0(VALU_DEP_1) | instskip(SKIP_1) | instid1(VALU_DEP_2)
	v_add_co_u32 v20, vcc_lo, v6, v16
	s_wait_alu 0xfffd
	v_add_co_ci_u32_e64 v21, null, v7, v17, vcc_lo
	flat_load_b128 v[16:19], v[20:21]
	s_wait_loadcnt_dscnt 0x0
	v_mul_f64_e32 v[30:31], s[10:11], v[18:19]
	v_mul_f64_e32 v[18:19], s[8:9], v[18:19]
	s_delay_alu instid0(VALU_DEP_2) | instskip(NEXT) | instid1(VALU_DEP_2)
	v_fma_f64 v[30:31], s[8:9], v[16:17], -v[30:31]
	v_fma_f64 v[18:19], s[10:11], v[16:17], v[18:19]
	s_delay_alu instid0(VALU_DEP_2) | instskip(NEXT) | instid1(VALU_DEP_2)
	v_add_f64_e32 v[16:17], v[0:1], v[30:31]
	v_add_f64_e32 v[18:19], v[2:3], v[18:19]
	flat_store_b128 v[20:21], v[16:19]
.LBB413_22:                             ;   in Loop: Header=BB413_7 Depth=1
	s_wait_alu 0xfffe
	s_and_not1_b32 vcc_lo, exec_lo, s17
	s_wait_alu 0xfffe
	s_cbranch_vccnz .LBB413_24
; %bb.23:                               ;   in Loop: Header=BB413_7 Depth=1
	v_lshlrev_b64_e32 v[16:17], 4, v[10:11]
	s_delay_alu instid0(VALU_DEP_1) | instskip(SKIP_1) | instid1(VALU_DEP_2)
	v_add_co_u32 v6, vcc_lo, v6, v16
	s_wait_alu 0xfffd
	v_add_co_ci_u32_e64 v7, null, v7, v17, vcc_lo
	flat_store_b128 v[6:7], v[0:3]
.LBB413_24:                             ;   in Loop: Header=BB413_7 Depth=1
	s_wait_alu 0xfffe
	s_or_b32 exec_lo, exec_lo, s16
	v_add_co_u32 v6, vcc_lo, v4, v14
	s_wait_alu 0xfffd
	v_add_co_ci_u32_e64 v7, null, v5, v15, vcc_lo
	s_and_saveexec_b32 s16, s26
	s_cbranch_execz .LBB413_29
; %bb.25:                               ;   in Loop: Header=BB413_7 Depth=1
	v_mul_f64_e32 v[0:1], s[14:15], v[28:29]
	v_mul_f64_e32 v[2:3], s[12:13], v[28:29]
	v_lshlrev_b64_e32 v[4:5], 4, v[8:9]
	s_and_not1_b32 vcc_lo, exec_lo, s36
	s_mov_b32 s17, -1
	s_delay_alu instid0(VALU_DEP_3) | instskip(NEXT) | instid1(VALU_DEP_3)
	v_fma_f64 v[0:1], s[12:13], v[26:27], -v[0:1]
	v_fma_f64 v[2:3], s[14:15], v[26:27], v[2:3]
	s_wait_alu 0xfffe
	s_cbranch_vccnz .LBB413_27
; %bb.26:                               ;   in Loop: Header=BB413_7 Depth=1
	v_add_co_u32 v20, vcc_lo, v6, v4
	s_wait_alu 0xfffd
	v_add_co_ci_u32_e64 v21, null, v7, v5, vcc_lo
	s_mov_b32 s17, 0
	flat_load_b128 v[16:19], v[20:21]
	s_wait_loadcnt_dscnt 0x0
	v_mul_f64_e32 v[26:27], s[10:11], v[18:19]
	v_mul_f64_e32 v[18:19], s[8:9], v[18:19]
	s_delay_alu instid0(VALU_DEP_2) | instskip(NEXT) | instid1(VALU_DEP_2)
	v_fma_f64 v[26:27], s[8:9], v[16:17], -v[26:27]
	v_fma_f64 v[18:19], s[10:11], v[16:17], v[18:19]
	s_delay_alu instid0(VALU_DEP_2) | instskip(NEXT) | instid1(VALU_DEP_2)
	v_add_f64_e32 v[16:17], v[0:1], v[26:27]
	v_add_f64_e32 v[18:19], v[2:3], v[18:19]
	flat_store_b128 v[20:21], v[16:19]
.LBB413_27:                             ;   in Loop: Header=BB413_7 Depth=1
	s_wait_alu 0xfffe
	s_and_not1_b32 vcc_lo, exec_lo, s17
	s_wait_alu 0xfffe
	s_cbranch_vccnz .LBB413_29
; %bb.28:                               ;   in Loop: Header=BB413_7 Depth=1
	v_add_co_u32 v4, vcc_lo, v6, v4
	s_wait_alu 0xfffd
	v_add_co_ci_u32_e64 v5, null, v7, v5, vcc_lo
	flat_store_b128 v[4:5], v[0:3]
.LBB413_29:                             ;   in Loop: Header=BB413_7 Depth=1
	s_wait_alu 0xfffe
	s_or_b32 exec_lo, exec_lo, s16
	s_and_saveexec_b32 s16, s21
	s_cbranch_execz .LBB413_6
; %bb.30:                               ;   in Loop: Header=BB413_7 Depth=1
	v_mul_f64_e32 v[0:1], s[14:15], v[22:23]
	v_mul_f64_e32 v[2:3], s[12:13], v[22:23]
	v_lshlrev_b64_e32 v[4:5], 4, v[10:11]
	s_and_not1_b32 vcc_lo, exec_lo, s36
	s_mov_b32 s17, -1
	s_delay_alu instid0(VALU_DEP_3) | instskip(NEXT) | instid1(VALU_DEP_3)
	v_fma_f64 v[0:1], s[12:13], v[24:25], -v[0:1]
	v_fma_f64 v[2:3], s[14:15], v[24:25], v[2:3]
	s_wait_alu 0xfffe
	s_cbranch_vccnz .LBB413_32
; %bb.31:                               ;   in Loop: Header=BB413_7 Depth=1
	v_add_co_u32 v20, vcc_lo, v6, v4
	s_wait_alu 0xfffd
	v_add_co_ci_u32_e64 v21, null, v7, v5, vcc_lo
	s_mov_b32 s17, 0
	flat_load_b128 v[16:19], v[20:21]
	s_wait_loadcnt_dscnt 0x0
	v_mul_f64_e32 v[22:23], s[10:11], v[18:19]
	v_mul_f64_e32 v[18:19], s[8:9], v[18:19]
	s_delay_alu instid0(VALU_DEP_2) | instskip(NEXT) | instid1(VALU_DEP_2)
	v_fma_f64 v[22:23], s[8:9], v[16:17], -v[22:23]
	v_fma_f64 v[18:19], s[10:11], v[16:17], v[18:19]
	s_delay_alu instid0(VALU_DEP_2) | instskip(NEXT) | instid1(VALU_DEP_2)
	v_add_f64_e32 v[16:17], v[0:1], v[22:23]
	v_add_f64_e32 v[18:19], v[2:3], v[18:19]
	flat_store_b128 v[20:21], v[16:19]
.LBB413_32:                             ;   in Loop: Header=BB413_7 Depth=1
	s_wait_alu 0xfffe
	s_and_not1_b32 vcc_lo, exec_lo, s17
	s_wait_alu 0xfffe
	s_cbranch_vccnz .LBB413_6
; %bb.33:                               ;   in Loop: Header=BB413_7 Depth=1
	v_add_co_u32 v4, vcc_lo, v6, v4
	s_wait_alu 0xfffd
	v_add_co_ci_u32_e64 v5, null, v7, v5, vcc_lo
	flat_store_b128 v[4:5], v[0:3]
	s_branch .LBB413_6
.LBB413_34:
.LBB413_35:
	s_nop 0
	s_sendmsg sendmsg(MSG_DEALLOC_VGPRS)
	s_endpgm
	.section	.rodata,"a",@progbits
	.p2align	6, 0x0
	.amdhsa_kernel _ZL29rocblas_internal_gemmt_kernelIiLi16ELi32ELi8ELc67ELc67ELc76ELb1ELb1E19rocblas_complex_numIdEPKS1_PKS3_PKPS1_EviT_T9_T10_S9_lSB_S9_lSA_T11_S9_li
		.amdhsa_group_segment_fixed_size 8192
		.amdhsa_private_segment_fixed_size 0
		.amdhsa_kernarg_size 100
		.amdhsa_user_sgpr_count 2
		.amdhsa_user_sgpr_dispatch_ptr 0
		.amdhsa_user_sgpr_queue_ptr 0
		.amdhsa_user_sgpr_kernarg_segment_ptr 1
		.amdhsa_user_sgpr_dispatch_id 0
		.amdhsa_user_sgpr_private_segment_size 0
		.amdhsa_wavefront_size32 1
		.amdhsa_uses_dynamic_stack 0
		.amdhsa_enable_private_segment 0
		.amdhsa_system_sgpr_workgroup_id_x 1
		.amdhsa_system_sgpr_workgroup_id_y 1
		.amdhsa_system_sgpr_workgroup_id_z 1
		.amdhsa_system_sgpr_workgroup_info 0
		.amdhsa_system_vgpr_workitem_id 1
		.amdhsa_next_free_vgpr 133
		.amdhsa_next_free_sgpr 40
		.amdhsa_reserve_vcc 1
		.amdhsa_float_round_mode_32 0
		.amdhsa_float_round_mode_16_64 0
		.amdhsa_float_denorm_mode_32 3
		.amdhsa_float_denorm_mode_16_64 3
		.amdhsa_fp16_overflow 0
		.amdhsa_workgroup_processor_mode 1
		.amdhsa_memory_ordered 1
		.amdhsa_forward_progress 1
		.amdhsa_inst_pref_size 27
		.amdhsa_round_robin_scheduling 0
		.amdhsa_exception_fp_ieee_invalid_op 0
		.amdhsa_exception_fp_denorm_src 0
		.amdhsa_exception_fp_ieee_div_zero 0
		.amdhsa_exception_fp_ieee_overflow 0
		.amdhsa_exception_fp_ieee_underflow 0
		.amdhsa_exception_fp_ieee_inexact 0
		.amdhsa_exception_int_div_zero 0
	.end_amdhsa_kernel
	.section	.text._ZL29rocblas_internal_gemmt_kernelIiLi16ELi32ELi8ELc67ELc67ELc76ELb1ELb1E19rocblas_complex_numIdEPKS1_PKS3_PKPS1_EviT_T9_T10_S9_lSB_S9_lSA_T11_S9_li,"axG",@progbits,_ZL29rocblas_internal_gemmt_kernelIiLi16ELi32ELi8ELc67ELc67ELc76ELb1ELb1E19rocblas_complex_numIdEPKS1_PKS3_PKPS1_EviT_T9_T10_S9_lSB_S9_lSA_T11_S9_li,comdat
.Lfunc_end413:
	.size	_ZL29rocblas_internal_gemmt_kernelIiLi16ELi32ELi8ELc67ELc67ELc76ELb1ELb1E19rocblas_complex_numIdEPKS1_PKS3_PKPS1_EviT_T9_T10_S9_lSB_S9_lSA_T11_S9_li, .Lfunc_end413-_ZL29rocblas_internal_gemmt_kernelIiLi16ELi32ELi8ELc67ELc67ELc76ELb1ELb1E19rocblas_complex_numIdEPKS1_PKS3_PKPS1_EviT_T9_T10_S9_lSB_S9_lSA_T11_S9_li
                                        ; -- End function
	.set _ZL29rocblas_internal_gemmt_kernelIiLi16ELi32ELi8ELc67ELc67ELc76ELb1ELb1E19rocblas_complex_numIdEPKS1_PKS3_PKPS1_EviT_T9_T10_S9_lSB_S9_lSA_T11_S9_li.num_vgpr, 133
	.set _ZL29rocblas_internal_gemmt_kernelIiLi16ELi32ELi8ELc67ELc67ELc76ELb1ELb1E19rocblas_complex_numIdEPKS1_PKS3_PKPS1_EviT_T9_T10_S9_lSB_S9_lSA_T11_S9_li.num_agpr, 0
	.set _ZL29rocblas_internal_gemmt_kernelIiLi16ELi32ELi8ELc67ELc67ELc76ELb1ELb1E19rocblas_complex_numIdEPKS1_PKS3_PKPS1_EviT_T9_T10_S9_lSB_S9_lSA_T11_S9_li.numbered_sgpr, 40
	.set _ZL29rocblas_internal_gemmt_kernelIiLi16ELi32ELi8ELc67ELc67ELc76ELb1ELb1E19rocblas_complex_numIdEPKS1_PKS3_PKPS1_EviT_T9_T10_S9_lSB_S9_lSA_T11_S9_li.num_named_barrier, 0
	.set _ZL29rocblas_internal_gemmt_kernelIiLi16ELi32ELi8ELc67ELc67ELc76ELb1ELb1E19rocblas_complex_numIdEPKS1_PKS3_PKPS1_EviT_T9_T10_S9_lSB_S9_lSA_T11_S9_li.private_seg_size, 0
	.set _ZL29rocblas_internal_gemmt_kernelIiLi16ELi32ELi8ELc67ELc67ELc76ELb1ELb1E19rocblas_complex_numIdEPKS1_PKS3_PKPS1_EviT_T9_T10_S9_lSB_S9_lSA_T11_S9_li.uses_vcc, 1
	.set _ZL29rocblas_internal_gemmt_kernelIiLi16ELi32ELi8ELc67ELc67ELc76ELb1ELb1E19rocblas_complex_numIdEPKS1_PKS3_PKPS1_EviT_T9_T10_S9_lSB_S9_lSA_T11_S9_li.uses_flat_scratch, 0
	.set _ZL29rocblas_internal_gemmt_kernelIiLi16ELi32ELi8ELc67ELc67ELc76ELb1ELb1E19rocblas_complex_numIdEPKS1_PKS3_PKPS1_EviT_T9_T10_S9_lSB_S9_lSA_T11_S9_li.has_dyn_sized_stack, 0
	.set _ZL29rocblas_internal_gemmt_kernelIiLi16ELi32ELi8ELc67ELc67ELc76ELb1ELb1E19rocblas_complex_numIdEPKS1_PKS3_PKPS1_EviT_T9_T10_S9_lSB_S9_lSA_T11_S9_li.has_recursion, 0
	.set _ZL29rocblas_internal_gemmt_kernelIiLi16ELi32ELi8ELc67ELc67ELc76ELb1ELb1E19rocblas_complex_numIdEPKS1_PKS3_PKPS1_EviT_T9_T10_S9_lSB_S9_lSA_T11_S9_li.has_indirect_call, 0
	.section	.AMDGPU.csdata,"",@progbits
; Kernel info:
; codeLenInByte = 3452
; TotalNumSgprs: 42
; NumVgprs: 133
; ScratchSize: 0
; MemoryBound: 1
; FloatMode: 240
; IeeeMode: 1
; LDSByteSize: 8192 bytes/workgroup (compile time only)
; SGPRBlocks: 0
; VGPRBlocks: 16
; NumSGPRsForWavesPerEU: 42
; NumVGPRsForWavesPerEU: 133
; Occupancy: 10
; WaveLimiterHint : 1
; COMPUTE_PGM_RSRC2:SCRATCH_EN: 0
; COMPUTE_PGM_RSRC2:USER_SGPR: 2
; COMPUTE_PGM_RSRC2:TRAP_HANDLER: 0
; COMPUTE_PGM_RSRC2:TGID_X_EN: 1
; COMPUTE_PGM_RSRC2:TGID_Y_EN: 1
; COMPUTE_PGM_RSRC2:TGID_Z_EN: 1
; COMPUTE_PGM_RSRC2:TIDIG_COMP_CNT: 1
	.section	.text._ZL29rocblas_internal_gemmt_kernelIiLi16ELi32ELi8ELc78ELc78ELc85ELb0ELb0E19rocblas_complex_numIdES1_PKPKS1_PKPS1_EviT_T9_T10_S9_lSB_S9_lSA_T11_S9_li,"axG",@progbits,_ZL29rocblas_internal_gemmt_kernelIiLi16ELi32ELi8ELc78ELc78ELc85ELb0ELb0E19rocblas_complex_numIdES1_PKPKS1_PKPS1_EviT_T9_T10_S9_lSB_S9_lSA_T11_S9_li,comdat
	.globl	_ZL29rocblas_internal_gemmt_kernelIiLi16ELi32ELi8ELc78ELc78ELc85ELb0ELb0E19rocblas_complex_numIdES1_PKPKS1_PKPS1_EviT_T9_T10_S9_lSB_S9_lSA_T11_S9_li ; -- Begin function _ZL29rocblas_internal_gemmt_kernelIiLi16ELi32ELi8ELc78ELc78ELc85ELb0ELb0E19rocblas_complex_numIdES1_PKPKS1_PKPS1_EviT_T9_T10_S9_lSB_S9_lSA_T11_S9_li
	.p2align	8
	.type	_ZL29rocblas_internal_gemmt_kernelIiLi16ELi32ELi8ELc78ELc78ELc85ELb0ELb0E19rocblas_complex_numIdES1_PKPKS1_PKPS1_EviT_T9_T10_S9_lSB_S9_lSA_T11_S9_li,@function
_ZL29rocblas_internal_gemmt_kernelIiLi16ELi32ELi8ELc78ELc78ELc85ELb0ELb0E19rocblas_complex_numIdES1_PKPKS1_PKPS1_EviT_T9_T10_S9_lSB_S9_lSA_T11_S9_li: ; @_ZL29rocblas_internal_gemmt_kernelIiLi16ELi32ELi8ELc78ELc78ELc85ELb0ELb0E19rocblas_complex_numIdES1_PKPKS1_PKPS1_EviT_T9_T10_S9_lSB_S9_lSA_T11_S9_li
; %bb.0:
	s_clause 0x2
	s_load_b256 s[8:15], s[0:1], 0x40
	s_load_b64 s[4:5], s[0:1], 0x0
	s_load_b128 s[16:19], s[0:1], 0x8
	s_wait_kmcnt 0x0
	v_cmp_eq_f64_e64 s2, s[10:11], 1.0
	v_cmp_eq_f64_e64 s3, s[12:13], 0
	s_and_b32 s2, s2, s3
	s_delay_alu instid0(SALU_CYCLE_1)
	s_and_not1_b32 vcc_lo, exec_lo, s2
	s_mov_b32 s2, -1
	s_cbranch_vccnz .LBB414_3
; %bb.1:
	s_cmp_lg_u32 s5, 0
	s_cbranch_scc0 .LBB414_38
; %bb.2:
	v_cmp_neq_f64_e64 s2, s[16:17], 0
	v_cmp_neq_f64_e64 s6, s[18:19], 0
	s_or_b32 s2, s2, s6
.LBB414_3:
	s_delay_alu instid0(SALU_CYCLE_1)
	s_and_b32 vcc_lo, exec_lo, s2
	s_cbranch_vccz .LBB414_39
; %bb.4:
	s_load_b32 s27, s[0:1], 0x70
	s_lshr_b32 s6, ttmp7, 16
	s_wait_kmcnt 0x0
	s_cmp_ge_u32 s6, s27
	s_cbranch_scc1 .LBB414_39
; %bb.5:
	v_cmp_neq_f64_e64 s2, s[16:17], 0
	v_cmp_neq_f64_e64 s30, s[18:19], 0
	;; [unrolled: 1-line block ×3, first 2 shown]
	s_clause 0x4
	s_load_b96 s[24:26], s[0:1], 0x18
	s_load_b128 s[20:23], s[0:1], 0x28
	s_load_b32 s33, s[0:1], 0x38
	s_load_b32 s36, s[0:1], 0x60
	s_load_b64 s[28:29], s[0:1], 0x68
	v_and_b32_e32 v1, 0x3ff, v0
	v_bfe_u32 v2, v0, 10, 10
	s_lshl_b32 s0, ttmp7, 5
	v_and_b32_e32 v35, 7, v0
	s_lshl_b32 s1, ttmp9, 5
	s_and_b32 s34, s0, 0x1fffe0
	v_lshl_add_u32 v0, v2, 4, v1
	v_add_nc_u32_e32 v8, s34, v2
	v_add_nc_u32_e32 v5, s1, v1
	v_lshlrev_b32_e32 v36, 4, v1
	v_lshl_add_u32 v37, v2, 7, 0x1000
	v_lshrrev_b32_e32 v38, 5, v0
	v_lshrrev_b32_e32 v1, 3, v0
	v_and_b32_e32 v2, 31, v0
	v_cmp_gt_i32_e32 vcc_lo, s4, v8
	v_cmp_le_i32_e64 s0, v5, v8
	v_add_nc_u32_e32 v7, 16, v5
	s_wait_kmcnt 0x0
	s_ashr_i32 s35, s26, 31
	v_lshlrev_b32_e32 v4, 4, v35
	v_mad_co_i64_i32 v[9:10], null, v38, s26, 0
	v_add_nc_u32_e32 v13, 16, v8
	v_or_b32_e32 v0, s1, v2
	v_add_nc_u32_e32 v14, s34, v1
	v_lshl_or_b32 v1, v1, 7, v4
	s_mov_b32 s34, s26
	v_mad_co_i64_i32 v[11:12], null, v13, s36, 0
	v_cmp_gt_i32_e64 s1, s4, v0
	v_lshlrev_b64_e32 v[9:10], 4, v[9:10]
	v_add_nc_u32_e32 v40, 0x1000, v1
	v_ashrrev_i32_e32 v1, 31, v0
	v_lshlrev_b32_e32 v2, 4, v2
	v_ashrrev_i32_e32 v6, 31, v5
	v_lshlrev_b64_e32 v[11:12], 4, v[11:12]
	s_or_b32 s37, s2, s30
	s_cmp_gt_i32 s5, 0
	v_cmp_gt_i32_e64 s2, s4, v14
	s_cselect_b32 s38, -1, 0
	s_xor_b32 s3, s3, -1
	s_lshl_b64 s[20:21], s[20:21], 4
	s_or_b32 s30, s31, s3
	s_and_b32 s31, vcc_lo, s0
	v_cmp_le_i32_e64 s0, v7, v8
	v_cmp_gt_i32_e64 s3, s4, v13
	v_cmp_le_i32_e64 s4, v5, v13
	v_lshlrev_b64_e32 v[0:1], 4, v[0:1]
	s_lshl_b64 s[8:9], s[8:9], 4
	s_and_b32 s26, vcc_lo, s0
	v_cmp_le_i32_e32 vcc_lo, v7, v13
	v_mad_co_i64_i32 v[13:14], null, s33, v14, 0
	v_lshl_or_b32 v39, v38, 9, v2
	v_mad_co_i64_i32 v[2:3], null, v8, s36, 0
	s_and_b32 s33, s3, vcc_lo
	v_add_co_u32 v15, vcc_lo, v9, s20
	s_delay_alu instid0(VALU_DEP_1) | instskip(SKIP_1) | instid1(VALU_DEP_3)
	v_add_co_ci_u32_e64 v16, null, s21, v10, vcc_lo
	v_lshlrev_b64_e32 v[9:10], 4, v[13:14]
	v_add_co_u32 v41, vcc_lo, v15, v0
	s_wait_alu 0xfffd
	s_delay_alu instid0(VALU_DEP_3) | instskip(SKIP_1) | instid1(VALU_DEP_4)
	v_add_co_ci_u32_e64 v42, null, v16, v1, vcc_lo
	v_ashrrev_i32_e32 v8, 31, v7
	v_add_co_u32 v1, vcc_lo, v9, s8
	s_wait_alu 0xfffd
	v_add_co_ci_u32_e64 v9, null, s9, v10, vcc_lo
	v_mov_b32_e32 v0, 0
	s_delay_alu instid0(VALU_DEP_3) | instskip(SKIP_1) | instid1(VALU_DEP_3)
	v_add_co_u32 v43, vcc_lo, v1, v4
	s_wait_alu 0xfffd
	v_add_co_ci_u32_e64 v44, null, 0, v9, vcc_lo
	v_lshlrev_b64_e32 v[9:10], 4, v[2:3]
	s_mov_b32 s7, 0
	s_and_b32 s4, s3, s4
	s_wait_alu 0xfffe
	s_lshl_b64 s[20:21], s[34:35], 7
	s_and_b32 s8, s37, s38
	s_xor_b32 s9, s1, -1
	s_xor_b32 s34, s2, -1
	s_lshl_b64 s[0:1], s[28:29], 4
	s_branch .LBB414_7
.LBB414_6:                              ;   in Loop: Header=BB414_7 Depth=1
	s_wait_alu 0xfffe
	s_or_b32 exec_lo, exec_lo, s2
	s_add_co_i32 s6, s6, 0x10000
	s_delay_alu instid0(SALU_CYCLE_1)
	s_cmp_lt_u32 s6, s27
	s_cbranch_scc0 .LBB414_39
.LBB414_7:                              ; =>This Loop Header: Depth=1
                                        ;     Child Loop BB414_10 Depth 2
	s_lshl_b64 s[2:3], s[6:7], 3
	v_mov_b32_e32 v31, 0
	s_wait_alu 0xfffe
	s_add_nc_u64 s[28:29], s[14:15], s[2:3]
	v_mov_b32_e32 v27, 0
	global_load_b64 v[13:14], v0, s[28:29]
	v_mov_b32_e32 v23, 0
	v_dual_mov_b32 v21, 0 :: v_dual_mov_b32 v32, 0
	v_dual_mov_b32 v33, 0 :: v_dual_mov_b32 v28, 0
	;; [unrolled: 1-line block ×5, first 2 shown]
	v_mov_b32_e32 v30, 0
	v_mov_b32_e32 v26, 0
	;; [unrolled: 1-line block ×3, first 2 shown]
	s_and_not1_b32 vcc_lo, exec_lo, s8
	s_wait_alu 0xfffe
	s_cbranch_vccnz .LBB414_18
; %bb.8:                                ;   in Loop: Header=BB414_7 Depth=1
	s_add_nc_u64 s[28:29], s[24:25], s[2:3]
	s_add_nc_u64 s[2:3], s[22:23], s[2:3]
	s_clause 0x1
	global_load_b64 v[1:2], v0, s[28:29]
	global_load_b64 v[3:4], v0, s[2:3]
	v_mov_b32_e32 v19, 0
	v_mov_b32_e32 v25, 0
	;; [unrolled: 1-line block ×3, first 2 shown]
	v_dual_mov_b32 v33, 0 :: v_dual_mov_b32 v20, 0
	v_dual_mov_b32 v21, 0 :: v_dual_mov_b32 v26, 0
	v_dual_mov_b32 v23, 0 :: v_dual_mov_b32 v30, 0
	v_dual_mov_b32 v27, 0 :: v_dual_mov_b32 v34, 0
	v_dual_mov_b32 v31, 0 :: v_dual_mov_b32 v22, 0
	v_mov_b32_e32 v24, 0
	v_mov_b32_e32 v28, 0
	;; [unrolled: 1-line block ×3, first 2 shown]
	s_mov_b32 s2, 0
	s_wait_loadcnt 0x1
	v_add_co_u32 v15, vcc_lo, v1, v41
	s_wait_alu 0xfffd
	v_add_co_ci_u32_e64 v16, null, v2, v42, vcc_lo
	s_wait_loadcnt 0x0
	v_add_co_u32 v17, vcc_lo, v3, v43
	s_wait_alu 0xfffd
	v_add_co_ci_u32_e64 v18, null, v4, v44, vcc_lo
	s_branch .LBB414_10
.LBB414_9:                              ;   in Loop: Header=BB414_10 Depth=2
	s_wait_alu 0xfffe
	s_or_b32 exec_lo, exec_lo, s3
	s_wait_dscnt 0x0
	s_barrier_signal -1
	s_barrier_wait -1
	global_inv scope:SCOPE_SE
	ds_load_b128 v[1:4], v37
	ds_load_b128 v[45:48], v36
	ds_load_b128 v[49:52], v36 offset:256
	ds_load_b128 v[53:56], v37 offset:2048
	ds_load_b128 v[57:60], v37 offset:16
	ds_load_b128 v[61:64], v37 offset:2064
	ds_load_b128 v[65:68], v36 offset:512
	ds_load_b128 v[69:72], v36 offset:768
	ds_load_b128 v[73:76], v37 offset:32
	ds_load_b128 v[77:80], v36 offset:1024
	ds_load_b128 v[81:84], v36 offset:1280
	ds_load_b128 v[85:88], v37 offset:2080
	v_add_co_u32 v15, vcc_lo, v15, s20
	s_wait_alu 0xfffd
	v_add_co_ci_u32_e64 v16, null, s21, v16, vcc_lo
	v_add_co_u32 v17, vcc_lo, 0x80, v17
	s_wait_alu 0xfffd
	v_add_co_ci_u32_e64 v18, null, 0, v18, vcc_lo
	s_add_co_i32 s2, s2, 8
	s_wait_alu 0xfffe
	s_cmp_lt_i32 s2, s5
	s_wait_dscnt 0xa
	v_mul_f64_e32 v[89:90], v[3:4], v[47:48]
	v_mul_f64_e32 v[91:92], v[1:2], v[47:48]
	s_wait_dscnt 0x9
	v_mul_f64_e32 v[93:94], v[3:4], v[51:52]
	v_mul_f64_e32 v[95:96], v[1:2], v[51:52]
	;; [unrolled: 3-line block ×3, first 2 shown]
	v_mul_f64_e32 v[99:100], v[55:56], v[51:52]
	v_mul_f64_e32 v[51:52], v[53:54], v[51:52]
	s_wait_dscnt 0x5
	v_mul_f64_e32 v[101:102], v[59:60], v[67:68]
	v_mul_f64_e32 v[103:104], v[57:58], v[67:68]
	s_wait_dscnt 0x4
	v_mul_f64_e32 v[105:106], v[59:60], v[71:72]
	v_mul_f64_e32 v[107:108], v[57:58], v[71:72]
	;; [unrolled: 1-line block ×6, first 2 shown]
	s_wait_dscnt 0x2
	v_mul_f64_e32 v[117:118], v[75:76], v[79:80]
	v_mul_f64_e32 v[119:120], v[73:74], v[79:80]
	s_wait_dscnt 0x1
	v_mul_f64_e32 v[121:122], v[75:76], v[83:84]
	v_mul_f64_e32 v[123:124], v[73:74], v[83:84]
	;; [unrolled: 3-line block ×3, first 2 shown]
	v_mul_f64_e32 v[127:128], v[87:88], v[83:84]
	v_mul_f64_e32 v[83:84], v[85:86], v[83:84]
	v_fma_f64 v[89:90], v[1:2], v[45:46], -v[89:90]
	v_fma_f64 v[91:92], v[3:4], v[45:46], v[91:92]
	v_fma_f64 v[93:94], v[1:2], v[49:50], -v[93:94]
	v_fma_f64 v[95:96], v[3:4], v[49:50], v[95:96]
	;; [unrolled: 2-line block ×8, first 2 shown]
	ds_load_b128 v[1:4], v37 offset:48
	ds_load_b128 v[45:48], v37 offset:2096
	;; [unrolled: 1-line block ×4, first 2 shown]
	v_fma_f64 v[117:118], v[73:74], v[77:78], -v[117:118]
	v_fma_f64 v[119:120], v[75:76], v[77:78], v[119:120]
	v_fma_f64 v[73:74], v[73:74], v[81:82], -v[121:122]
	v_fma_f64 v[75:76], v[75:76], v[81:82], v[123:124]
	;; [unrolled: 2-line block ×4, first 2 shown]
	s_wait_dscnt 0x1
	v_mul_f64_e32 v[107:108], v[1:2], v[51:52]
	s_wait_dscnt 0x0
	v_mul_f64_e32 v[109:110], v[3:4], v[55:56]
	v_mul_f64_e32 v[111:112], v[1:2], v[55:56]
	v_add_f64_e32 v[67:68], v[31:32], v[89:90]
	v_add_f64_e32 v[69:70], v[91:92], v[33:34]
	;; [unrolled: 1-line block ×8, first 2 shown]
	v_mul_f64_e32 v[99:100], v[3:4], v[51:52]
	v_mul_f64_e32 v[113:114], v[47:48], v[51:52]
	;; [unrolled: 1-line block ×5, first 2 shown]
	ds_load_b128 v[19:22], v37 offset:64
	ds_load_b128 v[23:26], v36 offset:2048
	;; [unrolled: 1-line block ×4, first 2 shown]
	s_wait_dscnt 0x0
	v_mul_f64_e32 v[123:124], v[33:34], v[25:26]
	v_mul_f64_e32 v[125:126], v[33:34], v[29:30]
	v_fma_f64 v[107:108], v[3:4], v[49:50], v[107:108]
	v_fma_f64 v[109:110], v[1:2], v[53:54], -v[109:110]
	v_fma_f64 v[111:112], v[3:4], v[53:54], v[111:112]
	v_add_f64_e32 v[83:84], v[67:68], v[101:102]
	v_add_f64_e32 v[85:86], v[103:104], v[69:70]
	;; [unrolled: 1-line block ×8, first 2 shown]
	v_mul_f64_e32 v[97:98], v[21:22], v[25:26]
	v_mul_f64_e32 v[101:102], v[19:20], v[25:26]
	;; [unrolled: 1-line block ×6, first 2 shown]
	v_fma_f64 v[99:100], v[1:2], v[49:50], -v[99:100]
	v_fma_f64 v[113:114], v[45:46], v[49:50], -v[113:114]
	v_fma_f64 v[127:128], v[47:48], v[49:50], v[51:52]
	v_fma_f64 v[115:116], v[45:46], v[53:54], -v[115:116]
	v_fma_f64 v[53:54], v[47:48], v[53:54], v[129:130]
	ds_load_b128 v[55:58], v37 offset:80
	ds_load_b128 v[59:62], v37 offset:2128
	;; [unrolled: 1-line block ×4, first 2 shown]
	v_fma_f64 v[123:124], v[31:32], v[23:24], -v[123:124]
	v_fma_f64 v[125:126], v[31:32], v[27:28], -v[125:126]
	v_add_f64_e32 v[83:84], v[83:84], v[117:118]
	v_add_f64_e32 v[85:86], v[119:120], v[85:86]
	;; [unrolled: 1-line block ×8, first 2 shown]
	s_wait_dscnt 0x1
	v_mul_f64_e32 v[89:90], v[57:58], v[65:66]
	v_mul_f64_e32 v[91:92], v[55:56], v[65:66]
	s_wait_dscnt 0x0
	v_mul_f64_e32 v[93:94], v[57:58], v[69:70]
	v_mul_f64_e32 v[95:96], v[55:56], v[69:70]
	;; [unrolled: 1-line block ×6, first 2 shown]
	v_fma_f64 v[97:98], v[19:20], v[23:24], -v[97:98]
	v_fma_f64 v[101:102], v[21:22], v[23:24], v[101:102]
	v_fma_f64 v[103:104], v[19:20], v[27:28], -v[103:104]
	v_fma_f64 v[105:106], v[21:22], v[27:28], v[105:106]
	v_fma_f64 v[129:130], v[33:34], v[23:24], v[25:26]
	;; [unrolled: 1-line block ×3, first 2 shown]
	ds_load_b128 v[1:4], v37 offset:96
	ds_load_b128 v[45:48], v36 offset:3072
	;; [unrolled: 1-line block ×8, first 2 shown]
	s_wait_loadcnt_dscnt 0x0
	s_barrier_signal -1
	s_barrier_wait -1
	global_inv scope:SCOPE_SE
	v_add_f64_e32 v[83:84], v[83:84], v[99:100]
	v_add_f64_e32 v[85:86], v[107:108], v[85:86]
	;; [unrolled: 1-line block ×8, first 2 shown]
	v_mul_f64_e32 v[81:82], v[3:4], v[47:48]
	v_mul_f64_e32 v[107:108], v[1:2], v[47:48]
	;; [unrolled: 1-line block ×8, first 2 shown]
	v_fma_f64 v[89:90], v[55:56], v[63:64], -v[89:90]
	v_fma_f64 v[91:92], v[57:58], v[63:64], v[91:92]
	v_fma_f64 v[55:56], v[55:56], v[67:68], -v[93:94]
	v_fma_f64 v[57:58], v[57:58], v[67:68], v[95:96]
	;; [unrolled: 2-line block ×4, first 2 shown]
	v_mul_f64_e32 v[95:96], v[21:22], v[33:34]
	v_add_f64_e32 v[65:66], v[83:84], v[97:98]
	v_add_f64_e32 v[67:68], v[101:102], v[85:86]
	;; [unrolled: 1-line block ×8, first 2 shown]
	v_mul_f64_e32 v[85:86], v[21:22], v[29:30]
	v_mul_f64_e32 v[87:88], v[19:20], v[29:30]
	;; [unrolled: 1-line block ×7, first 2 shown]
	v_fma_f64 v[81:82], v[1:2], v[45:46], -v[81:82]
	v_fma_f64 v[103:104], v[3:4], v[45:46], v[107:108]
	v_fma_f64 v[1:2], v[1:2], v[49:50], -v[109:110]
	v_fma_f64 v[3:4], v[3:4], v[49:50], v[111:112]
	v_fma_f64 v[105:106], v[71:72], v[45:46], -v[113:114]
	v_fma_f64 v[45:46], v[73:74], v[45:46], v[47:48]
	v_fma_f64 v[47:48], v[71:72], v[49:50], -v[115:116]
	v_fma_f64 v[49:50], v[73:74], v[49:50], v[51:52]
	v_add_f64_e32 v[51:52], v[65:66], v[89:90]
	v_add_f64_e32 v[65:66], v[91:92], v[67:68]
	;; [unrolled: 1-line block ×8, first 2 shown]
	v_fma_f64 v[61:62], v[19:20], v[27:28], -v[85:86]
	v_fma_f64 v[69:70], v[21:22], v[27:28], v[87:88]
	v_fma_f64 v[19:20], v[19:20], v[31:32], -v[95:96]
	v_fma_f64 v[21:22], v[21:22], v[31:32], v[97:98]
	;; [unrolled: 2-line block ×4, first 2 shown]
	v_add_f64_e32 v[23:24], v[51:52], v[81:82]
	v_add_f64_e32 v[25:26], v[103:104], v[65:66]
	;; [unrolled: 1-line block ×16, first 2 shown]
	s_cbranch_scc0 .LBB414_18
.LBB414_10:                             ;   Parent Loop BB414_7 Depth=1
                                        ; =>  This Inner Loop Header: Depth=2
	s_wait_alu 0xfffe
	v_add_nc_u32_e32 v1, s2, v38
	s_delay_alu instid0(VALU_DEP_1) | instskip(SKIP_3) | instid1(SALU_CYCLE_1)
	v_cmp_le_i32_e32 vcc_lo, s5, v1
	s_or_b32 s3, s9, vcc_lo
	s_wait_alu 0xfffe
	s_and_saveexec_b32 s28, s3
	s_xor_b32 s3, exec_lo, s28
; %bb.11:                               ;   in Loop: Header=BB414_10 Depth=2
	v_dual_mov_b32 v1, v0 :: v_dual_mov_b32 v2, v0
	v_mov_b32_e32 v3, v0
	ds_store_b128 v39, v[0:3]
; %bb.12:                               ;   in Loop: Header=BB414_10 Depth=2
	s_wait_alu 0xfffe
	s_and_not1_saveexec_b32 s3, s3
	s_cbranch_execz .LBB414_14
; %bb.13:                               ;   in Loop: Header=BB414_10 Depth=2
	flat_load_b128 v[1:4], v[15:16]
	s_wait_loadcnt_dscnt 0x0
	ds_store_2addr_b64 v39, v[1:2], v[3:4] offset1:1
.LBB414_14:                             ;   in Loop: Header=BB414_10 Depth=2
	s_wait_alu 0xfffe
	s_or_b32 exec_lo, exec_lo, s3
	v_add_nc_u32_e32 v1, s2, v35
	s_delay_alu instid0(VALU_DEP_1) | instskip(SKIP_3) | instid1(SALU_CYCLE_1)
	v_cmp_le_i32_e32 vcc_lo, s5, v1
	s_or_b32 s3, vcc_lo, s34
	s_wait_alu 0xfffe
	s_and_saveexec_b32 s28, s3
	s_xor_b32 s3, exec_lo, s28
; %bb.15:                               ;   in Loop: Header=BB414_10 Depth=2
	v_dual_mov_b32 v1, v0 :: v_dual_mov_b32 v2, v0
	v_mov_b32_e32 v3, v0
	ds_store_b128 v40, v[0:3]
; %bb.16:                               ;   in Loop: Header=BB414_10 Depth=2
	s_wait_alu 0xfffe
	s_and_not1_saveexec_b32 s3, s3
	s_cbranch_execz .LBB414_9
; %bb.17:                               ;   in Loop: Header=BB414_10 Depth=2
	flat_load_b128 v[1:4], v[17:18]
	s_wait_loadcnt_dscnt 0x0
	ds_store_2addr_b64 v40, v[1:2], v[3:4] offset1:1
	s_branch .LBB414_9
.LBB414_18:                             ;   in Loop: Header=BB414_7 Depth=1
	s_wait_loadcnt 0x0
	v_add_co_u32 v13, vcc_lo, v13, s0
	s_wait_alu 0xfffd
	v_add_co_ci_u32_e64 v14, null, s1, v14, vcc_lo
	s_delay_alu instid0(VALU_DEP_2) | instskip(SKIP_1) | instid1(VALU_DEP_2)
	v_add_co_u32 v15, vcc_lo, v13, v9
	s_wait_alu 0xfffd
	v_add_co_ci_u32_e64 v16, null, v14, v10, vcc_lo
	s_and_saveexec_b32 s2, s31
	s_cbranch_execz .LBB414_23
; %bb.19:                               ;   in Loop: Header=BB414_7 Depth=1
	v_mul_f64_e32 v[1:2], s[18:19], v[33:34]
	v_mul_f64_e32 v[3:4], s[16:17], v[33:34]
	s_and_b32 vcc_lo, exec_lo, s30
	s_mov_b32 s3, -1
	s_delay_alu instid0(VALU_DEP_2) | instskip(NEXT) | instid1(VALU_DEP_2)
	v_fma_f64 v[1:2], s[16:17], v[31:32], -v[1:2]
	v_fma_f64 v[3:4], s[18:19], v[31:32], v[3:4]
	s_wait_alu 0xfffe
	s_cbranch_vccz .LBB414_21
; %bb.20:                               ;   in Loop: Header=BB414_7 Depth=1
	v_lshlrev_b64_e32 v[17:18], 4, v[5:6]
	s_mov_b32 s3, 0
	s_delay_alu instid0(VALU_DEP_1) | instskip(SKIP_1) | instid1(VALU_DEP_2)
	v_add_co_u32 v17, vcc_lo, v15, v17
	s_wait_alu 0xfffd
	v_add_co_ci_u32_e64 v18, null, v16, v18, vcc_lo
	flat_load_b128 v[31:34], v[17:18]
	s_wait_loadcnt_dscnt 0x0
	v_mul_f64_e32 v[45:46], s[12:13], v[33:34]
	v_mul_f64_e32 v[33:34], s[10:11], v[33:34]
	s_delay_alu instid0(VALU_DEP_2) | instskip(NEXT) | instid1(VALU_DEP_2)
	v_fma_f64 v[45:46], s[10:11], v[31:32], -v[45:46]
	v_fma_f64 v[33:34], s[12:13], v[31:32], v[33:34]
	s_delay_alu instid0(VALU_DEP_2) | instskip(NEXT) | instid1(VALU_DEP_2)
	v_add_f64_e32 v[31:32], v[1:2], v[45:46]
	v_add_f64_e32 v[33:34], v[3:4], v[33:34]
	flat_store_b128 v[17:18], v[31:34]
.LBB414_21:                             ;   in Loop: Header=BB414_7 Depth=1
	s_wait_alu 0xfffe
	s_and_not1_b32 vcc_lo, exec_lo, s3
	s_wait_alu 0xfffe
	s_cbranch_vccnz .LBB414_23
; %bb.22:                               ;   in Loop: Header=BB414_7 Depth=1
	v_lshlrev_b64_e32 v[17:18], 4, v[5:6]
	s_delay_alu instid0(VALU_DEP_1) | instskip(SKIP_1) | instid1(VALU_DEP_2)
	v_add_co_u32 v17, vcc_lo, v15, v17
	s_wait_alu 0xfffd
	v_add_co_ci_u32_e64 v18, null, v16, v18, vcc_lo
	flat_store_b128 v[17:18], v[1:4]
.LBB414_23:                             ;   in Loop: Header=BB414_7 Depth=1
	s_wait_alu 0xfffe
	s_or_b32 exec_lo, exec_lo, s2
	s_and_saveexec_b32 s2, s26
	s_cbranch_execz .LBB414_28
; %bb.24:                               ;   in Loop: Header=BB414_7 Depth=1
	v_mul_f64_e32 v[1:2], s[18:19], v[29:30]
	v_mul_f64_e32 v[3:4], s[16:17], v[29:30]
	s_and_not1_b32 vcc_lo, exec_lo, s30
	s_mov_b32 s3, -1
	s_delay_alu instid0(VALU_DEP_2) | instskip(NEXT) | instid1(VALU_DEP_2)
	v_fma_f64 v[1:2], s[16:17], v[27:28], -v[1:2]
	v_fma_f64 v[3:4], s[18:19], v[27:28], v[3:4]
	s_wait_alu 0xfffe
	s_cbranch_vccnz .LBB414_26
; %bb.25:                               ;   in Loop: Header=BB414_7 Depth=1
	v_lshlrev_b64_e32 v[17:18], 4, v[7:8]
	s_mov_b32 s3, 0
	s_delay_alu instid0(VALU_DEP_1) | instskip(SKIP_1) | instid1(VALU_DEP_2)
	v_add_co_u32 v17, vcc_lo, v15, v17
	s_wait_alu 0xfffd
	v_add_co_ci_u32_e64 v18, null, v16, v18, vcc_lo
	flat_load_b128 v[27:30], v[17:18]
	s_wait_loadcnt_dscnt 0x0
	v_mul_f64_e32 v[31:32], s[12:13], v[29:30]
	v_mul_f64_e32 v[29:30], s[10:11], v[29:30]
	s_delay_alu instid0(VALU_DEP_2) | instskip(NEXT) | instid1(VALU_DEP_2)
	v_fma_f64 v[31:32], s[10:11], v[27:28], -v[31:32]
	v_fma_f64 v[29:30], s[12:13], v[27:28], v[29:30]
	s_delay_alu instid0(VALU_DEP_2) | instskip(NEXT) | instid1(VALU_DEP_2)
	v_add_f64_e32 v[27:28], v[1:2], v[31:32]
	v_add_f64_e32 v[29:30], v[3:4], v[29:30]
	flat_store_b128 v[17:18], v[27:30]
.LBB414_26:                             ;   in Loop: Header=BB414_7 Depth=1
	s_wait_alu 0xfffe
	s_and_not1_b32 vcc_lo, exec_lo, s3
	s_wait_alu 0xfffe
	s_cbranch_vccnz .LBB414_28
; %bb.27:                               ;   in Loop: Header=BB414_7 Depth=1
	v_lshlrev_b64_e32 v[17:18], 4, v[7:8]
	s_delay_alu instid0(VALU_DEP_1) | instskip(SKIP_1) | instid1(VALU_DEP_2)
	v_add_co_u32 v15, vcc_lo, v15, v17
	s_wait_alu 0xfffd
	v_add_co_ci_u32_e64 v16, null, v16, v18, vcc_lo
	flat_store_b128 v[15:16], v[1:4]
.LBB414_28:                             ;   in Loop: Header=BB414_7 Depth=1
	s_wait_alu 0xfffe
	s_or_b32 exec_lo, exec_lo, s2
	v_add_co_u32 v15, vcc_lo, v13, v11
	s_wait_alu 0xfffd
	v_add_co_ci_u32_e64 v16, null, v14, v12, vcc_lo
	s_and_saveexec_b32 s2, s4
	s_cbranch_execz .LBB414_33
; %bb.29:                               ;   in Loop: Header=BB414_7 Depth=1
	v_mul_f64_e32 v[1:2], s[18:19], v[25:26]
	v_mul_f64_e32 v[3:4], s[16:17], v[25:26]
	v_lshlrev_b64_e32 v[13:14], 4, v[5:6]
	s_and_not1_b32 vcc_lo, exec_lo, s30
	s_mov_b32 s3, -1
	s_delay_alu instid0(VALU_DEP_3) | instskip(NEXT) | instid1(VALU_DEP_3)
	v_fma_f64 v[1:2], s[16:17], v[23:24], -v[1:2]
	v_fma_f64 v[3:4], s[18:19], v[23:24], v[3:4]
	s_wait_alu 0xfffe
	s_cbranch_vccnz .LBB414_31
; %bb.30:                               ;   in Loop: Header=BB414_7 Depth=1
	v_add_co_u32 v17, vcc_lo, v15, v13
	s_wait_alu 0xfffd
	v_add_co_ci_u32_e64 v18, null, v16, v14, vcc_lo
	s_mov_b32 s3, 0
	flat_load_b128 v[23:26], v[17:18]
	s_wait_loadcnt_dscnt 0x0
	v_mul_f64_e32 v[27:28], s[12:13], v[25:26]
	v_mul_f64_e32 v[25:26], s[10:11], v[25:26]
	s_delay_alu instid0(VALU_DEP_2) | instskip(NEXT) | instid1(VALU_DEP_2)
	v_fma_f64 v[27:28], s[10:11], v[23:24], -v[27:28]
	v_fma_f64 v[25:26], s[12:13], v[23:24], v[25:26]
	s_delay_alu instid0(VALU_DEP_2) | instskip(NEXT) | instid1(VALU_DEP_2)
	v_add_f64_e32 v[23:24], v[1:2], v[27:28]
	v_add_f64_e32 v[25:26], v[3:4], v[25:26]
	flat_store_b128 v[17:18], v[23:26]
.LBB414_31:                             ;   in Loop: Header=BB414_7 Depth=1
	s_wait_alu 0xfffe
	s_and_not1_b32 vcc_lo, exec_lo, s3
	s_wait_alu 0xfffe
	s_cbranch_vccnz .LBB414_33
; %bb.32:                               ;   in Loop: Header=BB414_7 Depth=1
	v_add_co_u32 v13, vcc_lo, v15, v13
	s_wait_alu 0xfffd
	v_add_co_ci_u32_e64 v14, null, v16, v14, vcc_lo
	flat_store_b128 v[13:14], v[1:4]
.LBB414_33:                             ;   in Loop: Header=BB414_7 Depth=1
	s_wait_alu 0xfffe
	s_or_b32 exec_lo, exec_lo, s2
	s_and_saveexec_b32 s2, s33
	s_cbranch_execz .LBB414_6
; %bb.34:                               ;   in Loop: Header=BB414_7 Depth=1
	v_mul_f64_e32 v[1:2], s[18:19], v[19:20]
	v_mul_f64_e32 v[3:4], s[16:17], v[19:20]
	v_lshlrev_b64_e32 v[13:14], 4, v[7:8]
	s_and_not1_b32 vcc_lo, exec_lo, s30
	s_mov_b32 s3, -1
	s_delay_alu instid0(VALU_DEP_3) | instskip(NEXT) | instid1(VALU_DEP_3)
	v_fma_f64 v[1:2], s[16:17], v[21:22], -v[1:2]
	v_fma_f64 v[3:4], s[18:19], v[21:22], v[3:4]
	s_wait_alu 0xfffe
	s_cbranch_vccnz .LBB414_36
; %bb.35:                               ;   in Loop: Header=BB414_7 Depth=1
	v_add_co_u32 v21, vcc_lo, v15, v13
	s_wait_alu 0xfffd
	v_add_co_ci_u32_e64 v22, null, v16, v14, vcc_lo
	s_mov_b32 s3, 0
	flat_load_b128 v[17:20], v[21:22]
	s_wait_loadcnt_dscnt 0x0
	v_mul_f64_e32 v[23:24], s[12:13], v[19:20]
	v_mul_f64_e32 v[19:20], s[10:11], v[19:20]
	s_delay_alu instid0(VALU_DEP_2) | instskip(NEXT) | instid1(VALU_DEP_2)
	v_fma_f64 v[23:24], s[10:11], v[17:18], -v[23:24]
	v_fma_f64 v[19:20], s[12:13], v[17:18], v[19:20]
	s_delay_alu instid0(VALU_DEP_2) | instskip(NEXT) | instid1(VALU_DEP_2)
	v_add_f64_e32 v[17:18], v[1:2], v[23:24]
	v_add_f64_e32 v[19:20], v[3:4], v[19:20]
	flat_store_b128 v[21:22], v[17:20]
.LBB414_36:                             ;   in Loop: Header=BB414_7 Depth=1
	s_wait_alu 0xfffe
	s_and_not1_b32 vcc_lo, exec_lo, s3
	s_wait_alu 0xfffe
	s_cbranch_vccnz .LBB414_6
; %bb.37:                               ;   in Loop: Header=BB414_7 Depth=1
	v_add_co_u32 v13, vcc_lo, v15, v13
	s_wait_alu 0xfffd
	v_add_co_ci_u32_e64 v14, null, v16, v14, vcc_lo
	flat_store_b128 v[13:14], v[1:4]
	s_branch .LBB414_6
.LBB414_38:
.LBB414_39:
	s_nop 0
	s_sendmsg sendmsg(MSG_DEALLOC_VGPRS)
	s_endpgm
	.section	.rodata,"a",@progbits
	.p2align	6, 0x0
	.amdhsa_kernel _ZL29rocblas_internal_gemmt_kernelIiLi16ELi32ELi8ELc78ELc78ELc85ELb0ELb0E19rocblas_complex_numIdES1_PKPKS1_PKPS1_EviT_T9_T10_S9_lSB_S9_lSA_T11_S9_li
		.amdhsa_group_segment_fixed_size 8192
		.amdhsa_private_segment_fixed_size 0
		.amdhsa_kernarg_size 116
		.amdhsa_user_sgpr_count 2
		.amdhsa_user_sgpr_dispatch_ptr 0
		.amdhsa_user_sgpr_queue_ptr 0
		.amdhsa_user_sgpr_kernarg_segment_ptr 1
		.amdhsa_user_sgpr_dispatch_id 0
		.amdhsa_user_sgpr_private_segment_size 0
		.amdhsa_wavefront_size32 1
		.amdhsa_uses_dynamic_stack 0
		.amdhsa_enable_private_segment 0
		.amdhsa_system_sgpr_workgroup_id_x 1
		.amdhsa_system_sgpr_workgroup_id_y 1
		.amdhsa_system_sgpr_workgroup_id_z 1
		.amdhsa_system_sgpr_workgroup_info 0
		.amdhsa_system_vgpr_workitem_id 1
		.amdhsa_next_free_vgpr 133
		.amdhsa_next_free_sgpr 39
		.amdhsa_reserve_vcc 1
		.amdhsa_float_round_mode_32 0
		.amdhsa_float_round_mode_16_64 0
		.amdhsa_float_denorm_mode_32 3
		.amdhsa_float_denorm_mode_16_64 3
		.amdhsa_fp16_overflow 0
		.amdhsa_workgroup_processor_mode 1
		.amdhsa_memory_ordered 1
		.amdhsa_forward_progress 1
		.amdhsa_inst_pref_size 28
		.amdhsa_round_robin_scheduling 0
		.amdhsa_exception_fp_ieee_invalid_op 0
		.amdhsa_exception_fp_denorm_src 0
		.amdhsa_exception_fp_ieee_div_zero 0
		.amdhsa_exception_fp_ieee_overflow 0
		.amdhsa_exception_fp_ieee_underflow 0
		.amdhsa_exception_fp_ieee_inexact 0
		.amdhsa_exception_int_div_zero 0
	.end_amdhsa_kernel
	.section	.text._ZL29rocblas_internal_gemmt_kernelIiLi16ELi32ELi8ELc78ELc78ELc85ELb0ELb0E19rocblas_complex_numIdES1_PKPKS1_PKPS1_EviT_T9_T10_S9_lSB_S9_lSA_T11_S9_li,"axG",@progbits,_ZL29rocblas_internal_gemmt_kernelIiLi16ELi32ELi8ELc78ELc78ELc85ELb0ELb0E19rocblas_complex_numIdES1_PKPKS1_PKPS1_EviT_T9_T10_S9_lSB_S9_lSA_T11_S9_li,comdat
.Lfunc_end414:
	.size	_ZL29rocblas_internal_gemmt_kernelIiLi16ELi32ELi8ELc78ELc78ELc85ELb0ELb0E19rocblas_complex_numIdES1_PKPKS1_PKPS1_EviT_T9_T10_S9_lSB_S9_lSA_T11_S9_li, .Lfunc_end414-_ZL29rocblas_internal_gemmt_kernelIiLi16ELi32ELi8ELc78ELc78ELc85ELb0ELb0E19rocblas_complex_numIdES1_PKPKS1_PKPS1_EviT_T9_T10_S9_lSB_S9_lSA_T11_S9_li
                                        ; -- End function
	.set _ZL29rocblas_internal_gemmt_kernelIiLi16ELi32ELi8ELc78ELc78ELc85ELb0ELb0E19rocblas_complex_numIdES1_PKPKS1_PKPS1_EviT_T9_T10_S9_lSB_S9_lSA_T11_S9_li.num_vgpr, 133
	.set _ZL29rocblas_internal_gemmt_kernelIiLi16ELi32ELi8ELc78ELc78ELc85ELb0ELb0E19rocblas_complex_numIdES1_PKPKS1_PKPS1_EviT_T9_T10_S9_lSB_S9_lSA_T11_S9_li.num_agpr, 0
	.set _ZL29rocblas_internal_gemmt_kernelIiLi16ELi32ELi8ELc78ELc78ELc85ELb0ELb0E19rocblas_complex_numIdES1_PKPKS1_PKPS1_EviT_T9_T10_S9_lSB_S9_lSA_T11_S9_li.numbered_sgpr, 39
	.set _ZL29rocblas_internal_gemmt_kernelIiLi16ELi32ELi8ELc78ELc78ELc85ELb0ELb0E19rocblas_complex_numIdES1_PKPKS1_PKPS1_EviT_T9_T10_S9_lSB_S9_lSA_T11_S9_li.num_named_barrier, 0
	.set _ZL29rocblas_internal_gemmt_kernelIiLi16ELi32ELi8ELc78ELc78ELc85ELb0ELb0E19rocblas_complex_numIdES1_PKPKS1_PKPS1_EviT_T9_T10_S9_lSB_S9_lSA_T11_S9_li.private_seg_size, 0
	.set _ZL29rocblas_internal_gemmt_kernelIiLi16ELi32ELi8ELc78ELc78ELc85ELb0ELb0E19rocblas_complex_numIdES1_PKPKS1_PKPS1_EviT_T9_T10_S9_lSB_S9_lSA_T11_S9_li.uses_vcc, 1
	.set _ZL29rocblas_internal_gemmt_kernelIiLi16ELi32ELi8ELc78ELc78ELc85ELb0ELb0E19rocblas_complex_numIdES1_PKPKS1_PKPS1_EviT_T9_T10_S9_lSB_S9_lSA_T11_S9_li.uses_flat_scratch, 0
	.set _ZL29rocblas_internal_gemmt_kernelIiLi16ELi32ELi8ELc78ELc78ELc85ELb0ELb0E19rocblas_complex_numIdES1_PKPKS1_PKPS1_EviT_T9_T10_S9_lSB_S9_lSA_T11_S9_li.has_dyn_sized_stack, 0
	.set _ZL29rocblas_internal_gemmt_kernelIiLi16ELi32ELi8ELc78ELc78ELc85ELb0ELb0E19rocblas_complex_numIdES1_PKPKS1_PKPS1_EviT_T9_T10_S9_lSB_S9_lSA_T11_S9_li.has_recursion, 0
	.set _ZL29rocblas_internal_gemmt_kernelIiLi16ELi32ELi8ELc78ELc78ELc85ELb0ELb0E19rocblas_complex_numIdES1_PKPKS1_PKPS1_EviT_T9_T10_S9_lSB_S9_lSA_T11_S9_li.has_indirect_call, 0
	.section	.AMDGPU.csdata,"",@progbits
; Kernel info:
; codeLenInByte = 3460
; TotalNumSgprs: 41
; NumVgprs: 133
; ScratchSize: 0
; MemoryBound: 0
; FloatMode: 240
; IeeeMode: 1
; LDSByteSize: 8192 bytes/workgroup (compile time only)
; SGPRBlocks: 0
; VGPRBlocks: 16
; NumSGPRsForWavesPerEU: 41
; NumVGPRsForWavesPerEU: 133
; Occupancy: 10
; WaveLimiterHint : 1
; COMPUTE_PGM_RSRC2:SCRATCH_EN: 0
; COMPUTE_PGM_RSRC2:USER_SGPR: 2
; COMPUTE_PGM_RSRC2:TRAP_HANDLER: 0
; COMPUTE_PGM_RSRC2:TGID_X_EN: 1
; COMPUTE_PGM_RSRC2:TGID_Y_EN: 1
; COMPUTE_PGM_RSRC2:TGID_Z_EN: 1
; COMPUTE_PGM_RSRC2:TIDIG_COMP_CNT: 1
	.section	.text._ZL29rocblas_internal_gemmt_kernelIiLi16ELi32ELi8ELc78ELc84ELc85ELb0ELb0E19rocblas_complex_numIdES1_PKPKS1_PKPS1_EviT_T9_T10_S9_lSB_S9_lSA_T11_S9_li,"axG",@progbits,_ZL29rocblas_internal_gemmt_kernelIiLi16ELi32ELi8ELc78ELc84ELc85ELb0ELb0E19rocblas_complex_numIdES1_PKPKS1_PKPS1_EviT_T9_T10_S9_lSB_S9_lSA_T11_S9_li,comdat
	.globl	_ZL29rocblas_internal_gemmt_kernelIiLi16ELi32ELi8ELc78ELc84ELc85ELb0ELb0E19rocblas_complex_numIdES1_PKPKS1_PKPS1_EviT_T9_T10_S9_lSB_S9_lSA_T11_S9_li ; -- Begin function _ZL29rocblas_internal_gemmt_kernelIiLi16ELi32ELi8ELc78ELc84ELc85ELb0ELb0E19rocblas_complex_numIdES1_PKPKS1_PKPS1_EviT_T9_T10_S9_lSB_S9_lSA_T11_S9_li
	.p2align	8
	.type	_ZL29rocblas_internal_gemmt_kernelIiLi16ELi32ELi8ELc78ELc84ELc85ELb0ELb0E19rocblas_complex_numIdES1_PKPKS1_PKPS1_EviT_T9_T10_S9_lSB_S9_lSA_T11_S9_li,@function
_ZL29rocblas_internal_gemmt_kernelIiLi16ELi32ELi8ELc78ELc84ELc85ELb0ELb0E19rocblas_complex_numIdES1_PKPKS1_PKPS1_EviT_T9_T10_S9_lSB_S9_lSA_T11_S9_li: ; @_ZL29rocblas_internal_gemmt_kernelIiLi16ELi32ELi8ELc78ELc84ELc85ELb0ELb0E19rocblas_complex_numIdES1_PKPKS1_PKPS1_EviT_T9_T10_S9_lSB_S9_lSA_T11_S9_li
; %bb.0:
	s_clause 0x2
	s_load_b256 s[8:15], s[0:1], 0x40
	s_load_b64 s[4:5], s[0:1], 0x0
	s_load_b128 s[16:19], s[0:1], 0x8
	s_wait_kmcnt 0x0
	v_cmp_eq_f64_e64 s2, s[10:11], 1.0
	v_cmp_eq_f64_e64 s3, s[12:13], 0
	s_and_b32 s2, s2, s3
	s_delay_alu instid0(SALU_CYCLE_1)
	s_and_not1_b32 vcc_lo, exec_lo, s2
	s_mov_b32 s2, -1
	s_cbranch_vccnz .LBB415_3
; %bb.1:
	s_cmp_lg_u32 s5, 0
	s_cbranch_scc0 .LBB415_38
; %bb.2:
	v_cmp_neq_f64_e64 s2, s[16:17], 0
	v_cmp_neq_f64_e64 s6, s[18:19], 0
	s_or_b32 s2, s2, s6
.LBB415_3:
	s_delay_alu instid0(SALU_CYCLE_1)
	s_and_b32 vcc_lo, exec_lo, s2
	s_cbranch_vccz .LBB415_39
; %bb.4:
	s_load_b32 s27, s[0:1], 0x70
	s_lshr_b32 s6, ttmp7, 16
	s_wait_kmcnt 0x0
	s_cmp_ge_u32 s6, s27
	s_cbranch_scc1 .LBB415_39
; %bb.5:
	v_cmp_neq_f64_e64 s2, s[16:17], 0
	v_cmp_neq_f64_e64 s30, s[18:19], 0
	;; [unrolled: 1-line block ×3, first 2 shown]
	s_clause 0x4
	s_load_b96 s[24:26], s[0:1], 0x18
	s_load_b128 s[20:23], s[0:1], 0x28
	s_load_b32 s34, s[0:1], 0x38
	s_load_b32 s33, s[0:1], 0x60
	s_load_b64 s[28:29], s[0:1], 0x68
	v_and_b32_e32 v1, 0x3ff, v0
	v_bfe_u32 v2, v0, 10, 10
	v_and_b32_e32 v35, 7, v0
	s_lshl_b32 s0, ttmp7, 5
	s_lshl_b32 s1, ttmp9, 5
	s_and_b32 s35, s0, 0x1fffe0
	v_lshl_add_u32 v0, v2, 4, v1
	v_lshlrev_b32_e32 v36, 4, v1
	v_add_nc_u32_e32 v4, s35, v2
	v_add_nc_u32_e32 v5, s1, v1
	v_lshl_add_u32 v37, v2, 7, 0x1000
	v_lshrrev_b32_e32 v1, 3, v0
	v_lshrrev_b32_e32 v38, 5, v0
	v_and_b32_e32 v2, 31, v0
	v_cmp_gt_i32_e32 vcc_lo, s4, v4
	v_cmp_le_i32_e64 s0, v5, v4
	v_add_nc_u32_e32 v7, 16, v5
	v_add_nc_u32_e32 v15, s35, v1
	s_wait_kmcnt 0x0
	s_ashr_i32 s37, s26, 31
	s_ashr_i32 s35, s34, 31
	v_lshlrev_b32_e32 v3, 4, v35
	v_mad_co_i64_i32 v[9:10], null, v38, s26, 0
	v_add_nc_u32_e32 v13, 16, v4
	v_or_b32_e32 v0, s1, v2
	s_delay_alu instid0(VALU_DEP_4)
	v_lshl_or_b32 v1, v1, 7, v3
	s_mov_b32 s36, s26
	v_lshlrev_b32_e32 v2, 4, v2
	v_mad_co_i64_i32 v[11:12], null, v13, s33, 0
	v_cmp_gt_i32_e64 s1, s4, v0
	v_lshlrev_b64_e32 v[9:10], 4, v[9:10]
	v_add_nc_u32_e32 v40, 0x1000, v1
	v_ashrrev_i32_e32 v1, 31, v0
	v_lshl_or_b32 v39, v38, 9, v2
	s_or_b32 s38, s2, s30
	s_cmp_gt_i32 s5, 0
	v_cmp_gt_i32_e64 s2, s4, v15
	s_cselect_b32 s39, -1, 0
	s_xor_b32 s3, s3, -1
	s_lshl_b64 s[20:21], s[20:21], 4
	s_or_b32 s30, s31, s3
	s_and_b32 s31, vcc_lo, s0
	v_cmp_le_i32_e64 s0, v7, v4
	v_cmp_gt_i32_e64 s3, s4, v13
	v_cmp_le_i32_e64 s4, v5, v13
	v_mad_co_i64_i32 v[2:3], null, v4, s33, 0
	s_and_b32 s26, vcc_lo, s0
	v_cmp_le_i32_e32 vcc_lo, v7, v13
	v_mad_co_i64_i32 v[13:14], null, s34, v35, 0
	v_lshlrev_b64_e32 v[0:1], 4, v[0:1]
	s_lshl_b64 s[8:9], s[8:9], 4
	s_and_b32 s33, s3, vcc_lo
	v_add_co_u32 v4, vcc_lo, v9, s20
	s_delay_alu instid0(VALU_DEP_1) | instskip(NEXT) | instid1(VALU_DEP_4)
	v_add_co_ci_u32_e64 v16, null, s21, v10, vcc_lo
	v_lshlrev_b64_e32 v[9:10], 4, v[13:14]
	s_delay_alu instid0(VALU_DEP_3) | instskip(SKIP_1) | instid1(VALU_DEP_3)
	v_add_co_u32 v41, vcc_lo, v4, v0
	s_wait_alu 0xfffd
	v_add_co_ci_u32_e64 v42, null, v16, v1, vcc_lo
	v_lshlrev_b32_e32 v1, 4, v15
	s_delay_alu instid0(VALU_DEP_4) | instskip(SKIP_3) | instid1(VALU_DEP_3)
	v_add_co_u32 v4, vcc_lo, v9, s8
	s_wait_alu 0xfffd
	v_add_co_ci_u32_e64 v9, null, s9, v10, vcc_lo
	v_lshlrev_b64_e32 v[11:12], 4, v[11:12]
	v_add_co_u32 v43, vcc_lo, v4, v1
	s_wait_alu 0xfffd
	s_delay_alu instid0(VALU_DEP_3)
	v_add_co_ci_u32_e64 v44, null, 0, v9, vcc_lo
	v_lshlrev_b64_e32 v[9:10], 4, v[2:3]
	v_ashrrev_i32_e32 v6, 31, v5
	v_ashrrev_i32_e32 v8, 31, v7
	v_mov_b32_e32 v0, 0
	s_mov_b32 s7, 0
	s_and_b32 s4, s3, s4
	s_lshl_b64 s[20:21], s[36:37], 7
	s_wait_alu 0xfffe
	s_lshl_b64 s[8:9], s[34:35], 7
	s_and_b32 s34, s38, s39
	s_xor_b32 s35, s1, -1
	s_xor_b32 s36, s2, -1
	s_lshl_b64 s[0:1], s[28:29], 4
	s_branch .LBB415_7
.LBB415_6:                              ;   in Loop: Header=BB415_7 Depth=1
	s_wait_alu 0xfffe
	s_or_b32 exec_lo, exec_lo, s2
	s_add_co_i32 s6, s6, 0x10000
	s_delay_alu instid0(SALU_CYCLE_1)
	s_cmp_lt_u32 s6, s27
	s_cbranch_scc0 .LBB415_39
.LBB415_7:                              ; =>This Loop Header: Depth=1
                                        ;     Child Loop BB415_10 Depth 2
	s_lshl_b64 s[2:3], s[6:7], 3
	v_mov_b32_e32 v31, 0
	s_wait_alu 0xfffe
	s_add_nc_u64 s[28:29], s[14:15], s[2:3]
	v_mov_b32_e32 v27, 0
	global_load_b64 v[13:14], v0, s[28:29]
	v_mov_b32_e32 v23, 0
	v_dual_mov_b32 v21, 0 :: v_dual_mov_b32 v32, 0
	v_dual_mov_b32 v33, 0 :: v_dual_mov_b32 v28, 0
	;; [unrolled: 1-line block ×5, first 2 shown]
	v_mov_b32_e32 v30, 0
	v_mov_b32_e32 v26, 0
	;; [unrolled: 1-line block ×3, first 2 shown]
	s_and_not1_b32 vcc_lo, exec_lo, s34
	s_wait_alu 0xfffe
	s_cbranch_vccnz .LBB415_18
; %bb.8:                                ;   in Loop: Header=BB415_7 Depth=1
	s_add_nc_u64 s[28:29], s[24:25], s[2:3]
	s_add_nc_u64 s[2:3], s[22:23], s[2:3]
	s_clause 0x1
	global_load_b64 v[1:2], v0, s[28:29]
	global_load_b64 v[3:4], v0, s[2:3]
	v_mov_b32_e32 v19, 0
	v_mov_b32_e32 v25, 0
	;; [unrolled: 1-line block ×3, first 2 shown]
	v_dual_mov_b32 v33, 0 :: v_dual_mov_b32 v20, 0
	v_dual_mov_b32 v21, 0 :: v_dual_mov_b32 v26, 0
	;; [unrolled: 1-line block ×5, first 2 shown]
	v_mov_b32_e32 v24, 0
	v_mov_b32_e32 v28, 0
	;; [unrolled: 1-line block ×3, first 2 shown]
	s_mov_b32 s2, 0
	s_wait_loadcnt 0x1
	v_add_co_u32 v15, vcc_lo, v1, v41
	s_wait_alu 0xfffd
	v_add_co_ci_u32_e64 v16, null, v2, v42, vcc_lo
	s_wait_loadcnt 0x0
	v_add_co_u32 v17, vcc_lo, v3, v43
	s_wait_alu 0xfffd
	v_add_co_ci_u32_e64 v18, null, v4, v44, vcc_lo
	s_branch .LBB415_10
.LBB415_9:                              ;   in Loop: Header=BB415_10 Depth=2
	s_wait_alu 0xfffe
	s_or_b32 exec_lo, exec_lo, s3
	s_wait_dscnt 0x0
	s_barrier_signal -1
	s_barrier_wait -1
	global_inv scope:SCOPE_SE
	ds_load_b128 v[1:4], v37
	ds_load_b128 v[45:48], v36
	ds_load_b128 v[49:52], v36 offset:256
	ds_load_b128 v[53:56], v37 offset:2048
	;; [unrolled: 1-line block ×10, first 2 shown]
	v_add_co_u32 v15, vcc_lo, v15, s20
	s_wait_alu 0xfffd
	v_add_co_ci_u32_e64 v16, null, s21, v16, vcc_lo
	v_add_co_u32 v17, vcc_lo, v17, s8
	s_wait_alu 0xfffd
	v_add_co_ci_u32_e64 v18, null, s9, v18, vcc_lo
	s_add_co_i32 s2, s2, 8
	s_wait_alu 0xfffe
	s_cmp_lt_i32 s2, s5
	s_wait_dscnt 0xa
	v_mul_f64_e32 v[89:90], v[3:4], v[47:48]
	v_mul_f64_e32 v[91:92], v[1:2], v[47:48]
	s_wait_dscnt 0x9
	v_mul_f64_e32 v[93:94], v[3:4], v[51:52]
	v_mul_f64_e32 v[95:96], v[1:2], v[51:52]
	;; [unrolled: 3-line block ×3, first 2 shown]
	v_mul_f64_e32 v[99:100], v[55:56], v[51:52]
	v_mul_f64_e32 v[51:52], v[53:54], v[51:52]
	s_wait_dscnt 0x5
	v_mul_f64_e32 v[101:102], v[59:60], v[67:68]
	v_mul_f64_e32 v[103:104], v[57:58], v[67:68]
	s_wait_dscnt 0x4
	v_mul_f64_e32 v[105:106], v[59:60], v[71:72]
	v_mul_f64_e32 v[107:108], v[57:58], v[71:72]
	;; [unrolled: 1-line block ×6, first 2 shown]
	s_wait_dscnt 0x2
	v_mul_f64_e32 v[117:118], v[75:76], v[79:80]
	v_mul_f64_e32 v[119:120], v[73:74], v[79:80]
	s_wait_dscnt 0x1
	v_mul_f64_e32 v[121:122], v[75:76], v[83:84]
	v_mul_f64_e32 v[123:124], v[73:74], v[83:84]
	;; [unrolled: 3-line block ×3, first 2 shown]
	v_mul_f64_e32 v[127:128], v[87:88], v[83:84]
	v_mul_f64_e32 v[83:84], v[85:86], v[83:84]
	v_fma_f64 v[89:90], v[1:2], v[45:46], -v[89:90]
	v_fma_f64 v[91:92], v[3:4], v[45:46], v[91:92]
	v_fma_f64 v[93:94], v[1:2], v[49:50], -v[93:94]
	v_fma_f64 v[95:96], v[3:4], v[49:50], v[95:96]
	;; [unrolled: 2-line block ×8, first 2 shown]
	ds_load_b128 v[1:4], v37 offset:48
	ds_load_b128 v[45:48], v37 offset:2096
	;; [unrolled: 1-line block ×4, first 2 shown]
	v_fma_f64 v[117:118], v[73:74], v[77:78], -v[117:118]
	v_fma_f64 v[119:120], v[75:76], v[77:78], v[119:120]
	v_fma_f64 v[73:74], v[73:74], v[81:82], -v[121:122]
	v_fma_f64 v[75:76], v[75:76], v[81:82], v[123:124]
	;; [unrolled: 2-line block ×4, first 2 shown]
	s_wait_dscnt 0x1
	v_mul_f64_e32 v[107:108], v[1:2], v[51:52]
	s_wait_dscnt 0x0
	v_mul_f64_e32 v[109:110], v[3:4], v[55:56]
	v_mul_f64_e32 v[111:112], v[1:2], v[55:56]
	v_add_f64_e32 v[67:68], v[31:32], v[89:90]
	v_add_f64_e32 v[69:70], v[91:92], v[33:34]
	;; [unrolled: 1-line block ×8, first 2 shown]
	v_mul_f64_e32 v[99:100], v[3:4], v[51:52]
	v_mul_f64_e32 v[113:114], v[47:48], v[51:52]
	;; [unrolled: 1-line block ×5, first 2 shown]
	ds_load_b128 v[19:22], v37 offset:64
	ds_load_b128 v[23:26], v36 offset:2048
	;; [unrolled: 1-line block ×4, first 2 shown]
	s_wait_dscnt 0x0
	v_mul_f64_e32 v[123:124], v[33:34], v[25:26]
	v_mul_f64_e32 v[125:126], v[33:34], v[29:30]
	v_fma_f64 v[107:108], v[3:4], v[49:50], v[107:108]
	v_fma_f64 v[109:110], v[1:2], v[53:54], -v[109:110]
	v_fma_f64 v[111:112], v[3:4], v[53:54], v[111:112]
	v_add_f64_e32 v[83:84], v[67:68], v[101:102]
	v_add_f64_e32 v[85:86], v[103:104], v[69:70]
	;; [unrolled: 1-line block ×8, first 2 shown]
	v_mul_f64_e32 v[97:98], v[21:22], v[25:26]
	v_mul_f64_e32 v[101:102], v[19:20], v[25:26]
	v_mul_f64_e32 v[103:104], v[21:22], v[29:30]
	v_mul_f64_e32 v[105:106], v[19:20], v[29:30]
	v_mul_f64_e32 v[25:26], v[31:32], v[25:26]
	v_mul_f64_e32 v[29:30], v[31:32], v[29:30]
	v_fma_f64 v[99:100], v[1:2], v[49:50], -v[99:100]
	v_fma_f64 v[113:114], v[45:46], v[49:50], -v[113:114]
	v_fma_f64 v[127:128], v[47:48], v[49:50], v[51:52]
	v_fma_f64 v[115:116], v[45:46], v[53:54], -v[115:116]
	v_fma_f64 v[53:54], v[47:48], v[53:54], v[129:130]
	ds_load_b128 v[55:58], v37 offset:80
	ds_load_b128 v[59:62], v37 offset:2128
	ds_load_b128 v[63:66], v36 offset:2560
	ds_load_b128 v[67:70], v36 offset:2816
	v_fma_f64 v[123:124], v[31:32], v[23:24], -v[123:124]
	v_fma_f64 v[125:126], v[31:32], v[27:28], -v[125:126]
	v_add_f64_e32 v[83:84], v[83:84], v[117:118]
	v_add_f64_e32 v[85:86], v[119:120], v[85:86]
	;; [unrolled: 1-line block ×8, first 2 shown]
	s_wait_dscnt 0x1
	v_mul_f64_e32 v[89:90], v[57:58], v[65:66]
	v_mul_f64_e32 v[91:92], v[55:56], v[65:66]
	s_wait_dscnt 0x0
	v_mul_f64_e32 v[93:94], v[57:58], v[69:70]
	v_mul_f64_e32 v[95:96], v[55:56], v[69:70]
	;; [unrolled: 1-line block ×6, first 2 shown]
	v_fma_f64 v[97:98], v[19:20], v[23:24], -v[97:98]
	v_fma_f64 v[101:102], v[21:22], v[23:24], v[101:102]
	v_fma_f64 v[103:104], v[19:20], v[27:28], -v[103:104]
	v_fma_f64 v[105:106], v[21:22], v[27:28], v[105:106]
	v_fma_f64 v[129:130], v[33:34], v[23:24], v[25:26]
	;; [unrolled: 1-line block ×3, first 2 shown]
	ds_load_b128 v[1:4], v37 offset:96
	ds_load_b128 v[45:48], v36 offset:3072
	;; [unrolled: 1-line block ×8, first 2 shown]
	s_wait_loadcnt_dscnt 0x0
	s_barrier_signal -1
	s_barrier_wait -1
	global_inv scope:SCOPE_SE
	v_add_f64_e32 v[83:84], v[83:84], v[99:100]
	v_add_f64_e32 v[85:86], v[107:108], v[85:86]
	;; [unrolled: 1-line block ×8, first 2 shown]
	v_mul_f64_e32 v[81:82], v[3:4], v[47:48]
	v_mul_f64_e32 v[107:108], v[1:2], v[47:48]
	;; [unrolled: 1-line block ×8, first 2 shown]
	v_fma_f64 v[89:90], v[55:56], v[63:64], -v[89:90]
	v_fma_f64 v[91:92], v[57:58], v[63:64], v[91:92]
	v_fma_f64 v[55:56], v[55:56], v[67:68], -v[93:94]
	v_fma_f64 v[57:58], v[57:58], v[67:68], v[95:96]
	;; [unrolled: 2-line block ×4, first 2 shown]
	v_mul_f64_e32 v[95:96], v[21:22], v[33:34]
	v_add_f64_e32 v[65:66], v[83:84], v[97:98]
	v_add_f64_e32 v[67:68], v[101:102], v[85:86]
	;; [unrolled: 1-line block ×8, first 2 shown]
	v_mul_f64_e32 v[85:86], v[21:22], v[29:30]
	v_mul_f64_e32 v[87:88], v[19:20], v[29:30]
	;; [unrolled: 1-line block ×7, first 2 shown]
	v_fma_f64 v[81:82], v[1:2], v[45:46], -v[81:82]
	v_fma_f64 v[103:104], v[3:4], v[45:46], v[107:108]
	v_fma_f64 v[1:2], v[1:2], v[49:50], -v[109:110]
	v_fma_f64 v[3:4], v[3:4], v[49:50], v[111:112]
	;; [unrolled: 2-line block ×4, first 2 shown]
	v_add_f64_e32 v[51:52], v[65:66], v[89:90]
	v_add_f64_e32 v[65:66], v[91:92], v[67:68]
	;; [unrolled: 1-line block ×8, first 2 shown]
	v_fma_f64 v[61:62], v[19:20], v[27:28], -v[85:86]
	v_fma_f64 v[69:70], v[21:22], v[27:28], v[87:88]
	v_fma_f64 v[19:20], v[19:20], v[31:32], -v[95:96]
	v_fma_f64 v[21:22], v[21:22], v[31:32], v[97:98]
	;; [unrolled: 2-line block ×4, first 2 shown]
	v_add_f64_e32 v[23:24], v[51:52], v[81:82]
	v_add_f64_e32 v[25:26], v[103:104], v[65:66]
	;; [unrolled: 1-line block ×16, first 2 shown]
	s_cbranch_scc0 .LBB415_18
.LBB415_10:                             ;   Parent Loop BB415_7 Depth=1
                                        ; =>  This Inner Loop Header: Depth=2
	s_wait_alu 0xfffe
	v_add_nc_u32_e32 v1, s2, v38
	s_delay_alu instid0(VALU_DEP_1) | instskip(SKIP_3) | instid1(SALU_CYCLE_1)
	v_cmp_le_i32_e32 vcc_lo, s5, v1
	s_or_b32 s3, s35, vcc_lo
	s_wait_alu 0xfffe
	s_and_saveexec_b32 s28, s3
	s_xor_b32 s3, exec_lo, s28
; %bb.11:                               ;   in Loop: Header=BB415_10 Depth=2
	v_dual_mov_b32 v1, v0 :: v_dual_mov_b32 v2, v0
	v_mov_b32_e32 v3, v0
	ds_store_b128 v39, v[0:3]
; %bb.12:                               ;   in Loop: Header=BB415_10 Depth=2
	s_wait_alu 0xfffe
	s_and_not1_saveexec_b32 s3, s3
	s_cbranch_execz .LBB415_14
; %bb.13:                               ;   in Loop: Header=BB415_10 Depth=2
	flat_load_b128 v[1:4], v[15:16]
	s_wait_loadcnt_dscnt 0x0
	ds_store_2addr_b64 v39, v[1:2], v[3:4] offset1:1
.LBB415_14:                             ;   in Loop: Header=BB415_10 Depth=2
	s_wait_alu 0xfffe
	s_or_b32 exec_lo, exec_lo, s3
	v_add_nc_u32_e32 v1, s2, v35
	s_delay_alu instid0(VALU_DEP_1) | instskip(SKIP_3) | instid1(SALU_CYCLE_1)
	v_cmp_le_i32_e32 vcc_lo, s5, v1
	s_or_b32 s3, vcc_lo, s36
	s_wait_alu 0xfffe
	s_and_saveexec_b32 s28, s3
	s_xor_b32 s3, exec_lo, s28
; %bb.15:                               ;   in Loop: Header=BB415_10 Depth=2
	v_dual_mov_b32 v1, v0 :: v_dual_mov_b32 v2, v0
	v_mov_b32_e32 v3, v0
	ds_store_b128 v40, v[0:3]
; %bb.16:                               ;   in Loop: Header=BB415_10 Depth=2
	s_wait_alu 0xfffe
	s_and_not1_saveexec_b32 s3, s3
	s_cbranch_execz .LBB415_9
; %bb.17:                               ;   in Loop: Header=BB415_10 Depth=2
	flat_load_b128 v[1:4], v[17:18]
	s_wait_loadcnt_dscnt 0x0
	ds_store_2addr_b64 v40, v[1:2], v[3:4] offset1:1
	s_branch .LBB415_9
.LBB415_18:                             ;   in Loop: Header=BB415_7 Depth=1
	s_wait_loadcnt 0x0
	v_add_co_u32 v13, vcc_lo, v13, s0
	s_wait_alu 0xfffd
	v_add_co_ci_u32_e64 v14, null, s1, v14, vcc_lo
	s_delay_alu instid0(VALU_DEP_2) | instskip(SKIP_1) | instid1(VALU_DEP_2)
	v_add_co_u32 v15, vcc_lo, v13, v9
	s_wait_alu 0xfffd
	v_add_co_ci_u32_e64 v16, null, v14, v10, vcc_lo
	s_and_saveexec_b32 s2, s31
	s_cbranch_execz .LBB415_23
; %bb.19:                               ;   in Loop: Header=BB415_7 Depth=1
	v_mul_f64_e32 v[1:2], s[18:19], v[33:34]
	v_mul_f64_e32 v[3:4], s[16:17], v[33:34]
	s_and_b32 vcc_lo, exec_lo, s30
	s_mov_b32 s3, -1
	s_delay_alu instid0(VALU_DEP_2) | instskip(NEXT) | instid1(VALU_DEP_2)
	v_fma_f64 v[1:2], s[16:17], v[31:32], -v[1:2]
	v_fma_f64 v[3:4], s[18:19], v[31:32], v[3:4]
	s_wait_alu 0xfffe
	s_cbranch_vccz .LBB415_21
; %bb.20:                               ;   in Loop: Header=BB415_7 Depth=1
	v_lshlrev_b64_e32 v[17:18], 4, v[5:6]
	s_mov_b32 s3, 0
	s_delay_alu instid0(VALU_DEP_1) | instskip(SKIP_1) | instid1(VALU_DEP_2)
	v_add_co_u32 v17, vcc_lo, v15, v17
	s_wait_alu 0xfffd
	v_add_co_ci_u32_e64 v18, null, v16, v18, vcc_lo
	flat_load_b128 v[31:34], v[17:18]
	s_wait_loadcnt_dscnt 0x0
	v_mul_f64_e32 v[45:46], s[12:13], v[33:34]
	v_mul_f64_e32 v[33:34], s[10:11], v[33:34]
	s_delay_alu instid0(VALU_DEP_2) | instskip(NEXT) | instid1(VALU_DEP_2)
	v_fma_f64 v[45:46], s[10:11], v[31:32], -v[45:46]
	v_fma_f64 v[33:34], s[12:13], v[31:32], v[33:34]
	s_delay_alu instid0(VALU_DEP_2) | instskip(NEXT) | instid1(VALU_DEP_2)
	v_add_f64_e32 v[31:32], v[1:2], v[45:46]
	v_add_f64_e32 v[33:34], v[3:4], v[33:34]
	flat_store_b128 v[17:18], v[31:34]
.LBB415_21:                             ;   in Loop: Header=BB415_7 Depth=1
	s_wait_alu 0xfffe
	s_and_not1_b32 vcc_lo, exec_lo, s3
	s_wait_alu 0xfffe
	s_cbranch_vccnz .LBB415_23
; %bb.22:                               ;   in Loop: Header=BB415_7 Depth=1
	v_lshlrev_b64_e32 v[17:18], 4, v[5:6]
	s_delay_alu instid0(VALU_DEP_1) | instskip(SKIP_1) | instid1(VALU_DEP_2)
	v_add_co_u32 v17, vcc_lo, v15, v17
	s_wait_alu 0xfffd
	v_add_co_ci_u32_e64 v18, null, v16, v18, vcc_lo
	flat_store_b128 v[17:18], v[1:4]
.LBB415_23:                             ;   in Loop: Header=BB415_7 Depth=1
	s_wait_alu 0xfffe
	s_or_b32 exec_lo, exec_lo, s2
	s_and_saveexec_b32 s2, s26
	s_cbranch_execz .LBB415_28
; %bb.24:                               ;   in Loop: Header=BB415_7 Depth=1
	v_mul_f64_e32 v[1:2], s[18:19], v[29:30]
	v_mul_f64_e32 v[3:4], s[16:17], v[29:30]
	s_and_not1_b32 vcc_lo, exec_lo, s30
	s_mov_b32 s3, -1
	s_delay_alu instid0(VALU_DEP_2) | instskip(NEXT) | instid1(VALU_DEP_2)
	v_fma_f64 v[1:2], s[16:17], v[27:28], -v[1:2]
	v_fma_f64 v[3:4], s[18:19], v[27:28], v[3:4]
	s_wait_alu 0xfffe
	s_cbranch_vccnz .LBB415_26
; %bb.25:                               ;   in Loop: Header=BB415_7 Depth=1
	v_lshlrev_b64_e32 v[17:18], 4, v[7:8]
	s_mov_b32 s3, 0
	s_delay_alu instid0(VALU_DEP_1) | instskip(SKIP_1) | instid1(VALU_DEP_2)
	v_add_co_u32 v17, vcc_lo, v15, v17
	s_wait_alu 0xfffd
	v_add_co_ci_u32_e64 v18, null, v16, v18, vcc_lo
	flat_load_b128 v[27:30], v[17:18]
	s_wait_loadcnt_dscnt 0x0
	v_mul_f64_e32 v[31:32], s[12:13], v[29:30]
	v_mul_f64_e32 v[29:30], s[10:11], v[29:30]
	s_delay_alu instid0(VALU_DEP_2) | instskip(NEXT) | instid1(VALU_DEP_2)
	v_fma_f64 v[31:32], s[10:11], v[27:28], -v[31:32]
	v_fma_f64 v[29:30], s[12:13], v[27:28], v[29:30]
	s_delay_alu instid0(VALU_DEP_2) | instskip(NEXT) | instid1(VALU_DEP_2)
	v_add_f64_e32 v[27:28], v[1:2], v[31:32]
	v_add_f64_e32 v[29:30], v[3:4], v[29:30]
	flat_store_b128 v[17:18], v[27:30]
.LBB415_26:                             ;   in Loop: Header=BB415_7 Depth=1
	s_wait_alu 0xfffe
	s_and_not1_b32 vcc_lo, exec_lo, s3
	s_wait_alu 0xfffe
	s_cbranch_vccnz .LBB415_28
; %bb.27:                               ;   in Loop: Header=BB415_7 Depth=1
	v_lshlrev_b64_e32 v[17:18], 4, v[7:8]
	s_delay_alu instid0(VALU_DEP_1) | instskip(SKIP_1) | instid1(VALU_DEP_2)
	v_add_co_u32 v15, vcc_lo, v15, v17
	s_wait_alu 0xfffd
	v_add_co_ci_u32_e64 v16, null, v16, v18, vcc_lo
	flat_store_b128 v[15:16], v[1:4]
.LBB415_28:                             ;   in Loop: Header=BB415_7 Depth=1
	s_wait_alu 0xfffe
	s_or_b32 exec_lo, exec_lo, s2
	v_add_co_u32 v15, vcc_lo, v13, v11
	s_wait_alu 0xfffd
	v_add_co_ci_u32_e64 v16, null, v14, v12, vcc_lo
	s_and_saveexec_b32 s2, s4
	s_cbranch_execz .LBB415_33
; %bb.29:                               ;   in Loop: Header=BB415_7 Depth=1
	v_mul_f64_e32 v[1:2], s[18:19], v[25:26]
	v_mul_f64_e32 v[3:4], s[16:17], v[25:26]
	v_lshlrev_b64_e32 v[13:14], 4, v[5:6]
	s_and_not1_b32 vcc_lo, exec_lo, s30
	s_mov_b32 s3, -1
	s_delay_alu instid0(VALU_DEP_3) | instskip(NEXT) | instid1(VALU_DEP_3)
	v_fma_f64 v[1:2], s[16:17], v[23:24], -v[1:2]
	v_fma_f64 v[3:4], s[18:19], v[23:24], v[3:4]
	s_wait_alu 0xfffe
	s_cbranch_vccnz .LBB415_31
; %bb.30:                               ;   in Loop: Header=BB415_7 Depth=1
	v_add_co_u32 v17, vcc_lo, v15, v13
	s_wait_alu 0xfffd
	v_add_co_ci_u32_e64 v18, null, v16, v14, vcc_lo
	s_mov_b32 s3, 0
	flat_load_b128 v[23:26], v[17:18]
	s_wait_loadcnt_dscnt 0x0
	v_mul_f64_e32 v[27:28], s[12:13], v[25:26]
	v_mul_f64_e32 v[25:26], s[10:11], v[25:26]
	s_delay_alu instid0(VALU_DEP_2) | instskip(NEXT) | instid1(VALU_DEP_2)
	v_fma_f64 v[27:28], s[10:11], v[23:24], -v[27:28]
	v_fma_f64 v[25:26], s[12:13], v[23:24], v[25:26]
	s_delay_alu instid0(VALU_DEP_2) | instskip(NEXT) | instid1(VALU_DEP_2)
	v_add_f64_e32 v[23:24], v[1:2], v[27:28]
	v_add_f64_e32 v[25:26], v[3:4], v[25:26]
	flat_store_b128 v[17:18], v[23:26]
.LBB415_31:                             ;   in Loop: Header=BB415_7 Depth=1
	s_wait_alu 0xfffe
	s_and_not1_b32 vcc_lo, exec_lo, s3
	s_wait_alu 0xfffe
	s_cbranch_vccnz .LBB415_33
; %bb.32:                               ;   in Loop: Header=BB415_7 Depth=1
	v_add_co_u32 v13, vcc_lo, v15, v13
	s_wait_alu 0xfffd
	v_add_co_ci_u32_e64 v14, null, v16, v14, vcc_lo
	flat_store_b128 v[13:14], v[1:4]
.LBB415_33:                             ;   in Loop: Header=BB415_7 Depth=1
	s_wait_alu 0xfffe
	s_or_b32 exec_lo, exec_lo, s2
	s_and_saveexec_b32 s2, s33
	s_cbranch_execz .LBB415_6
; %bb.34:                               ;   in Loop: Header=BB415_7 Depth=1
	v_mul_f64_e32 v[1:2], s[18:19], v[19:20]
	v_mul_f64_e32 v[3:4], s[16:17], v[19:20]
	v_lshlrev_b64_e32 v[13:14], 4, v[7:8]
	s_and_not1_b32 vcc_lo, exec_lo, s30
	s_mov_b32 s3, -1
	s_delay_alu instid0(VALU_DEP_3) | instskip(NEXT) | instid1(VALU_DEP_3)
	v_fma_f64 v[1:2], s[16:17], v[21:22], -v[1:2]
	v_fma_f64 v[3:4], s[18:19], v[21:22], v[3:4]
	s_wait_alu 0xfffe
	s_cbranch_vccnz .LBB415_36
; %bb.35:                               ;   in Loop: Header=BB415_7 Depth=1
	v_add_co_u32 v21, vcc_lo, v15, v13
	s_wait_alu 0xfffd
	v_add_co_ci_u32_e64 v22, null, v16, v14, vcc_lo
	s_mov_b32 s3, 0
	flat_load_b128 v[17:20], v[21:22]
	s_wait_loadcnt_dscnt 0x0
	v_mul_f64_e32 v[23:24], s[12:13], v[19:20]
	v_mul_f64_e32 v[19:20], s[10:11], v[19:20]
	s_delay_alu instid0(VALU_DEP_2) | instskip(NEXT) | instid1(VALU_DEP_2)
	v_fma_f64 v[23:24], s[10:11], v[17:18], -v[23:24]
	v_fma_f64 v[19:20], s[12:13], v[17:18], v[19:20]
	s_delay_alu instid0(VALU_DEP_2) | instskip(NEXT) | instid1(VALU_DEP_2)
	v_add_f64_e32 v[17:18], v[1:2], v[23:24]
	v_add_f64_e32 v[19:20], v[3:4], v[19:20]
	flat_store_b128 v[21:22], v[17:20]
.LBB415_36:                             ;   in Loop: Header=BB415_7 Depth=1
	s_wait_alu 0xfffe
	s_and_not1_b32 vcc_lo, exec_lo, s3
	s_wait_alu 0xfffe
	s_cbranch_vccnz .LBB415_6
; %bb.37:                               ;   in Loop: Header=BB415_7 Depth=1
	v_add_co_u32 v13, vcc_lo, v15, v13
	s_wait_alu 0xfffd
	v_add_co_ci_u32_e64 v14, null, v16, v14, vcc_lo
	flat_store_b128 v[13:14], v[1:4]
	s_branch .LBB415_6
.LBB415_38:
.LBB415_39:
	s_nop 0
	s_sendmsg sendmsg(MSG_DEALLOC_VGPRS)
	s_endpgm
	.section	.rodata,"a",@progbits
	.p2align	6, 0x0
	.amdhsa_kernel _ZL29rocblas_internal_gemmt_kernelIiLi16ELi32ELi8ELc78ELc84ELc85ELb0ELb0E19rocblas_complex_numIdES1_PKPKS1_PKPS1_EviT_T9_T10_S9_lSB_S9_lSA_T11_S9_li
		.amdhsa_group_segment_fixed_size 8192
		.amdhsa_private_segment_fixed_size 0
		.amdhsa_kernarg_size 116
		.amdhsa_user_sgpr_count 2
		.amdhsa_user_sgpr_dispatch_ptr 0
		.amdhsa_user_sgpr_queue_ptr 0
		.amdhsa_user_sgpr_kernarg_segment_ptr 1
		.amdhsa_user_sgpr_dispatch_id 0
		.amdhsa_user_sgpr_private_segment_size 0
		.amdhsa_wavefront_size32 1
		.amdhsa_uses_dynamic_stack 0
		.amdhsa_enable_private_segment 0
		.amdhsa_system_sgpr_workgroup_id_x 1
		.amdhsa_system_sgpr_workgroup_id_y 1
		.amdhsa_system_sgpr_workgroup_id_z 1
		.amdhsa_system_sgpr_workgroup_info 0
		.amdhsa_system_vgpr_workitem_id 1
		.amdhsa_next_free_vgpr 133
		.amdhsa_next_free_sgpr 40
		.amdhsa_reserve_vcc 1
		.amdhsa_float_round_mode_32 0
		.amdhsa_float_round_mode_16_64 0
		.amdhsa_float_denorm_mode_32 3
		.amdhsa_float_denorm_mode_16_64 3
		.amdhsa_fp16_overflow 0
		.amdhsa_workgroup_processor_mode 1
		.amdhsa_memory_ordered 1
		.amdhsa_forward_progress 1
		.amdhsa_inst_pref_size 28
		.amdhsa_round_robin_scheduling 0
		.amdhsa_exception_fp_ieee_invalid_op 0
		.amdhsa_exception_fp_denorm_src 0
		.amdhsa_exception_fp_ieee_div_zero 0
		.amdhsa_exception_fp_ieee_overflow 0
		.amdhsa_exception_fp_ieee_underflow 0
		.amdhsa_exception_fp_ieee_inexact 0
		.amdhsa_exception_int_div_zero 0
	.end_amdhsa_kernel
	.section	.text._ZL29rocblas_internal_gemmt_kernelIiLi16ELi32ELi8ELc78ELc84ELc85ELb0ELb0E19rocblas_complex_numIdES1_PKPKS1_PKPS1_EviT_T9_T10_S9_lSB_S9_lSA_T11_S9_li,"axG",@progbits,_ZL29rocblas_internal_gemmt_kernelIiLi16ELi32ELi8ELc78ELc84ELc85ELb0ELb0E19rocblas_complex_numIdES1_PKPKS1_PKPS1_EviT_T9_T10_S9_lSB_S9_lSA_T11_S9_li,comdat
.Lfunc_end415:
	.size	_ZL29rocblas_internal_gemmt_kernelIiLi16ELi32ELi8ELc78ELc84ELc85ELb0ELb0E19rocblas_complex_numIdES1_PKPKS1_PKPS1_EviT_T9_T10_S9_lSB_S9_lSA_T11_S9_li, .Lfunc_end415-_ZL29rocblas_internal_gemmt_kernelIiLi16ELi32ELi8ELc78ELc84ELc85ELb0ELb0E19rocblas_complex_numIdES1_PKPKS1_PKPS1_EviT_T9_T10_S9_lSB_S9_lSA_T11_S9_li
                                        ; -- End function
	.set _ZL29rocblas_internal_gemmt_kernelIiLi16ELi32ELi8ELc78ELc84ELc85ELb0ELb0E19rocblas_complex_numIdES1_PKPKS1_PKPS1_EviT_T9_T10_S9_lSB_S9_lSA_T11_S9_li.num_vgpr, 133
	.set _ZL29rocblas_internal_gemmt_kernelIiLi16ELi32ELi8ELc78ELc84ELc85ELb0ELb0E19rocblas_complex_numIdES1_PKPKS1_PKPS1_EviT_T9_T10_S9_lSB_S9_lSA_T11_S9_li.num_agpr, 0
	.set _ZL29rocblas_internal_gemmt_kernelIiLi16ELi32ELi8ELc78ELc84ELc85ELb0ELb0E19rocblas_complex_numIdES1_PKPKS1_PKPS1_EviT_T9_T10_S9_lSB_S9_lSA_T11_S9_li.numbered_sgpr, 40
	.set _ZL29rocblas_internal_gemmt_kernelIiLi16ELi32ELi8ELc78ELc84ELc85ELb0ELb0E19rocblas_complex_numIdES1_PKPKS1_PKPS1_EviT_T9_T10_S9_lSB_S9_lSA_T11_S9_li.num_named_barrier, 0
	.set _ZL29rocblas_internal_gemmt_kernelIiLi16ELi32ELi8ELc78ELc84ELc85ELb0ELb0E19rocblas_complex_numIdES1_PKPKS1_PKPS1_EviT_T9_T10_S9_lSB_S9_lSA_T11_S9_li.private_seg_size, 0
	.set _ZL29rocblas_internal_gemmt_kernelIiLi16ELi32ELi8ELc78ELc84ELc85ELb0ELb0E19rocblas_complex_numIdES1_PKPKS1_PKPS1_EviT_T9_T10_S9_lSB_S9_lSA_T11_S9_li.uses_vcc, 1
	.set _ZL29rocblas_internal_gemmt_kernelIiLi16ELi32ELi8ELc78ELc84ELc85ELb0ELb0E19rocblas_complex_numIdES1_PKPKS1_PKPS1_EviT_T9_T10_S9_lSB_S9_lSA_T11_S9_li.uses_flat_scratch, 0
	.set _ZL29rocblas_internal_gemmt_kernelIiLi16ELi32ELi8ELc78ELc84ELc85ELb0ELb0E19rocblas_complex_numIdES1_PKPKS1_PKPS1_EviT_T9_T10_S9_lSB_S9_lSA_T11_S9_li.has_dyn_sized_stack, 0
	.set _ZL29rocblas_internal_gemmt_kernelIiLi16ELi32ELi8ELc78ELc84ELc85ELb0ELb0E19rocblas_complex_numIdES1_PKPKS1_PKPS1_EviT_T9_T10_S9_lSB_S9_lSA_T11_S9_li.has_recursion, 0
	.set _ZL29rocblas_internal_gemmt_kernelIiLi16ELi32ELi8ELc78ELc84ELc85ELb0ELb0E19rocblas_complex_numIdES1_PKPKS1_PKPS1_EviT_T9_T10_S9_lSB_S9_lSA_T11_S9_li.has_indirect_call, 0
	.section	.AMDGPU.csdata,"",@progbits
; Kernel info:
; codeLenInByte = 3476
; TotalNumSgprs: 42
; NumVgprs: 133
; ScratchSize: 0
; MemoryBound: 0
; FloatMode: 240
; IeeeMode: 1
; LDSByteSize: 8192 bytes/workgroup (compile time only)
; SGPRBlocks: 0
; VGPRBlocks: 16
; NumSGPRsForWavesPerEU: 42
; NumVGPRsForWavesPerEU: 133
; Occupancy: 10
; WaveLimiterHint : 1
; COMPUTE_PGM_RSRC2:SCRATCH_EN: 0
; COMPUTE_PGM_RSRC2:USER_SGPR: 2
; COMPUTE_PGM_RSRC2:TRAP_HANDLER: 0
; COMPUTE_PGM_RSRC2:TGID_X_EN: 1
; COMPUTE_PGM_RSRC2:TGID_Y_EN: 1
; COMPUTE_PGM_RSRC2:TGID_Z_EN: 1
; COMPUTE_PGM_RSRC2:TIDIG_COMP_CNT: 1
	.section	.text._ZL29rocblas_internal_gemmt_kernelIiLi16ELi32ELi8ELc78ELc67ELc85ELb0ELb1E19rocblas_complex_numIdES1_PKPKS1_PKPS1_EviT_T9_T10_S9_lSB_S9_lSA_T11_S9_li,"axG",@progbits,_ZL29rocblas_internal_gemmt_kernelIiLi16ELi32ELi8ELc78ELc67ELc85ELb0ELb1E19rocblas_complex_numIdES1_PKPKS1_PKPS1_EviT_T9_T10_S9_lSB_S9_lSA_T11_S9_li,comdat
	.globl	_ZL29rocblas_internal_gemmt_kernelIiLi16ELi32ELi8ELc78ELc67ELc85ELb0ELb1E19rocblas_complex_numIdES1_PKPKS1_PKPS1_EviT_T9_T10_S9_lSB_S9_lSA_T11_S9_li ; -- Begin function _ZL29rocblas_internal_gemmt_kernelIiLi16ELi32ELi8ELc78ELc67ELc85ELb0ELb1E19rocblas_complex_numIdES1_PKPKS1_PKPS1_EviT_T9_T10_S9_lSB_S9_lSA_T11_S9_li
	.p2align	8
	.type	_ZL29rocblas_internal_gemmt_kernelIiLi16ELi32ELi8ELc78ELc67ELc85ELb0ELb1E19rocblas_complex_numIdES1_PKPKS1_PKPS1_EviT_T9_T10_S9_lSB_S9_lSA_T11_S9_li,@function
_ZL29rocblas_internal_gemmt_kernelIiLi16ELi32ELi8ELc78ELc67ELc85ELb0ELb1E19rocblas_complex_numIdES1_PKPKS1_PKPS1_EviT_T9_T10_S9_lSB_S9_lSA_T11_S9_li: ; @_ZL29rocblas_internal_gemmt_kernelIiLi16ELi32ELi8ELc78ELc67ELc85ELb0ELb1E19rocblas_complex_numIdES1_PKPKS1_PKPS1_EviT_T9_T10_S9_lSB_S9_lSA_T11_S9_li
; %bb.0:
	s_clause 0x2
	s_load_b256 s[4:11], s[0:1], 0x40
	s_load_b64 s[24:25], s[0:1], 0x0
	s_load_b128 s[12:15], s[0:1], 0x8
	s_wait_kmcnt 0x0
	v_cmp_eq_f64_e64 s2, s[6:7], 1.0
	v_cmp_eq_f64_e64 s23, s[8:9], 0
	s_and_b32 s2, s2, s23
	s_delay_alu instid0(SALU_CYCLE_1)
	s_and_not1_b32 vcc_lo, exec_lo, s2
	s_mov_b32 s2, -1
	s_cbranch_vccnz .LBB416_3
; %bb.1:
	s_cmp_lg_u32 s25, 0
	s_cbranch_scc0 .LBB416_36
; %bb.2:
	v_cmp_neq_f64_e64 s2, s[12:13], 0
	v_cmp_neq_f64_e64 s3, s[14:15], 0
	s_or_b32 s2, s2, s3
.LBB416_3:
	s_delay_alu instid0(SALU_CYCLE_1)
	s_and_b32 vcc_lo, exec_lo, s2
	s_cbranch_vccz .LBB416_37
; %bb.4:
	s_load_b32 s33, s[0:1], 0x70
	s_lshr_b32 s26, ttmp7, 16
	s_wait_kmcnt 0x0
	s_cmp_ge_u32 s26, s33
	s_cbranch_scc1 .LBB416_37
; %bb.5:
	v_cmp_neq_f64_e64 s34, s[12:13], 0
	v_cmp_neq_f64_e64 s35, s[14:15], 0
	;; [unrolled: 1-line block ×3, first 2 shown]
	v_and_b32_e32 v1, 0x3ff, v0
	v_bfe_u32 v2, v0, 10, 10
	s_clause 0x4
	s_load_b96 s[20:22], s[0:1], 0x18
	s_load_b128 s[16:19], s[0:1], 0x28
	s_load_b32 s28, s[0:1], 0x38
	s_load_b32 s37, s[0:1], 0x60
	s_load_b64 s[30:31], s[0:1], 0x68
	v_and_b32_e32 v35, 7, v0
	s_lshl_b32 s0, ttmp9, 5
	v_lshlrev_b32_e32 v36, 4, v1
	v_lshl_add_u32 v0, v2, 4, v1
	v_add_nc_u32_e32 v5, s0, v1
	s_lshl_b32 s1, ttmp7, 5
	v_lshl_add_u32 v37, v2, 7, 0x1000
	s_wait_alu 0xfffe
	s_and_b32 s2, s1, 0x1fffe0
	v_and_b32_e32 v1, 31, v0
	v_lshrrev_b32_e32 v38, 5, v0
	v_add_nc_u32_e32 v4, s2, v2
	v_lshrrev_b32_e32 v2, 3, v0
	v_add_nc_u32_e32 v7, 16, v5
	v_or_b32_e32 v0, s0, v1
	v_lshlrev_b32_e32 v1, 4, v1
	s_wait_kmcnt 0x0
	v_mad_co_i64_i32 v[9:10], null, v38, s22, 0
	v_mad_co_i64_i32 v[11:12], null, s28, v35, 0
	v_cmp_gt_i32_e32 vcc_lo, s24, v4
	v_cmp_le_i32_e64 s1, v5, v4
	v_add_nc_u32_e32 v15, s2, v2
	v_cmp_le_i32_e64 s2, v7, v4
	s_ashr_i32 s39, s22, 31
	s_ashr_i32 s29, s28, 31
	v_lshl_or_b32 v39, v38, 9, v1
	v_add_nc_u32_e32 v1, 16, v4
	v_lshlrev_b32_e32 v3, 4, v35
	v_lshlrev_b64_e32 v[9:10], 4, v[9:10]
	v_lshlrev_b64_e32 v[11:12], 4, v[11:12]
	v_cmp_gt_i32_e64 s3, s24, v0
	v_mad_co_i64_i32 v[13:14], null, v1, s37, 0
	s_or_b32 s40, s34, s35
	s_cmp_gt_i32 s25, 0
	v_lshl_or_b32 v2, v2, 7, v3
	s_cselect_b32 s41, -1, 0
	s_xor_b32 s23, s23, -1
	s_and_b32 s35, vcc_lo, s1
	s_wait_alu 0xfffe
	s_or_b32 s34, s36, s23
	s_and_b32 s36, vcc_lo, s2
	v_cmp_gt_i32_e32 vcc_lo, s24, v1
	v_cmp_le_i32_e64 s1, v5, v1
	v_cmp_le_i32_e64 s2, v7, v1
	v_ashrrev_i32_e32 v1, 31, v0
	s_lshl_b64 s[16:17], s[16:17], 4
	v_cmp_gt_i32_e64 s0, s24, v15
	v_add_nc_u32_e32 v40, 0x1000, v2
	v_mad_co_i64_i32 v[2:3], null, v4, s37, 0
	v_lshlrev_b64_e32 v[0:1], 4, v[0:1]
	s_and_b32 s24, vcc_lo, s1
	s_and_b32 s37, vcc_lo, s2
	v_add_co_u32 v4, vcc_lo, v9, s16
	s_lshl_b64 s[4:5], s[4:5], 4
	v_add_co_ci_u32_e64 v9, null, s17, v10, vcc_lo
	v_add_co_u32 v10, vcc_lo, v11, s4
	v_lshlrev_b32_e32 v11, 4, v15
	v_add_co_u32 v41, s1, v4, v0
	s_wait_alu 0xf1ff
	v_add_co_ci_u32_e64 v42, null, v9, v1, s1
	s_wait_alu 0xfffd
	v_add_co_ci_u32_e64 v1, null, s5, v12, vcc_lo
	v_add_co_u32 v4, vcc_lo, v10, v11
	v_lshlrev_b64_e32 v[9:10], 4, v[2:3]
	v_lshlrev_b64_e32 v[11:12], 4, v[13:14]
	v_ashrrev_i32_e32 v6, 31, v5
	v_ashrrev_i32_e32 v8, 31, v7
	v_mov_b32_e32 v0, 0
	s_wait_alu 0xfffd
	v_add_co_ci_u32_e64 v43, null, 0, v1, vcc_lo
	v_or_b32_e32 v44, 8, v4
	s_mov_b32 s38, s22
	s_mov_b32 s27, 0
	s_lshl_b64 s[4:5], s[38:39], 7
	s_and_b32 s1, s40, s41
	s_lshl_b64 s[16:17], s[28:29], 7
	s_xor_b32 s28, s3, -1
	s_lshl_b64 s[2:3], s[30:31], 4
	s_branch .LBB416_7
.LBB416_6:                              ;   in Loop: Header=BB416_7 Depth=1
	s_wait_alu 0xfffe
	s_or_b32 exec_lo, exec_lo, s22
	s_add_co_i32 s26, s26, 0x10000
	s_delay_alu instid0(SALU_CYCLE_1)
	s_cmp_lt_u32 s26, s33
	s_cbranch_scc0 .LBB416_37
.LBB416_7:                              ; =>This Loop Header: Depth=1
                                        ;     Child Loop BB416_10 Depth 2
	s_lshl_b64 s[22:23], s[26:27], 3
	v_mov_b32_e32 v31, 0
	s_wait_alu 0xfffe
	s_add_nc_u64 s[30:31], s[10:11], s[22:23]
	v_mov_b32_e32 v27, 0
	global_load_b64 v[13:14], v0, s[30:31]
	v_mov_b32_e32 v23, 0
	v_dual_mov_b32 v21, 0 :: v_dual_mov_b32 v32, 0
	v_dual_mov_b32 v33, 0 :: v_dual_mov_b32 v28, 0
	;; [unrolled: 1-line block ×5, first 2 shown]
	v_mov_b32_e32 v30, 0
	v_mov_b32_e32 v26, 0
	;; [unrolled: 1-line block ×3, first 2 shown]
	s_and_not1_b32 vcc_lo, exec_lo, s1
	s_wait_alu 0xfffe
	s_cbranch_vccnz .LBB416_16
; %bb.8:                                ;   in Loop: Header=BB416_7 Depth=1
	s_add_nc_u64 s[30:31], s[20:21], s[22:23]
	s_add_nc_u64 s[22:23], s[18:19], s[22:23]
	s_clause 0x1
	global_load_b64 v[1:2], v0, s[30:31]
	global_load_b64 v[3:4], v0, s[22:23]
	v_mov_b32_e32 v19, 0
	v_mov_b32_e32 v25, 0
	v_mov_b32_e32 v29, 0
	v_dual_mov_b32 v33, 0 :: v_dual_mov_b32 v20, 0
	v_dual_mov_b32 v21, 0 :: v_dual_mov_b32 v26, 0
	;; [unrolled: 1-line block ×5, first 2 shown]
	v_mov_b32_e32 v24, 0
	v_mov_b32_e32 v28, 0
	;; [unrolled: 1-line block ×3, first 2 shown]
	s_mov_b32 s22, 0
	s_wait_loadcnt 0x1
	v_add_co_u32 v15, vcc_lo, v1, v41
	s_wait_alu 0xfffd
	v_add_co_ci_u32_e64 v16, null, v2, v42, vcc_lo
	s_wait_loadcnt 0x0
	v_add_co_u32 v17, vcc_lo, v3, v44
	s_wait_alu 0xfffd
	v_add_co_ci_u32_e64 v18, null, v4, v43, vcc_lo
	s_branch .LBB416_10
.LBB416_9:                              ;   in Loop: Header=BB416_10 Depth=2
	s_wait_alu 0xfffe
	s_or_b32 exec_lo, exec_lo, s23
	ds_store_b128 v40, v[1:4]
	s_wait_dscnt 0x0
	s_barrier_signal -1
	s_barrier_wait -1
	global_inv scope:SCOPE_SE
	ds_load_b128 v[1:4], v37
	ds_load_b128 v[45:48], v36
	ds_load_b128 v[49:52], v36 offset:256
	ds_load_b128 v[53:56], v37 offset:2048
	;; [unrolled: 1-line block ×10, first 2 shown]
	v_add_co_u32 v15, vcc_lo, v15, s4
	s_wait_alu 0xfffd
	v_add_co_ci_u32_e64 v16, null, s5, v16, vcc_lo
	v_add_co_u32 v17, vcc_lo, v17, s16
	s_wait_alu 0xfffd
	v_add_co_ci_u32_e64 v18, null, s17, v18, vcc_lo
	s_add_co_i32 s22, s22, 8
	s_wait_alu 0xfffe
	s_cmp_lt_i32 s22, s25
	s_wait_dscnt 0xa
	v_mul_f64_e32 v[89:90], v[3:4], v[47:48]
	v_mul_f64_e32 v[91:92], v[1:2], v[47:48]
	s_wait_dscnt 0x9
	v_mul_f64_e32 v[93:94], v[3:4], v[51:52]
	v_mul_f64_e32 v[95:96], v[1:2], v[51:52]
	;; [unrolled: 3-line block ×3, first 2 shown]
	v_mul_f64_e32 v[99:100], v[55:56], v[51:52]
	v_mul_f64_e32 v[51:52], v[53:54], v[51:52]
	s_wait_dscnt 0x5
	v_mul_f64_e32 v[101:102], v[59:60], v[67:68]
	v_mul_f64_e32 v[103:104], v[57:58], v[67:68]
	s_wait_dscnt 0x4
	v_mul_f64_e32 v[105:106], v[59:60], v[71:72]
	v_mul_f64_e32 v[107:108], v[57:58], v[71:72]
	;; [unrolled: 1-line block ×6, first 2 shown]
	s_wait_dscnt 0x2
	v_mul_f64_e32 v[117:118], v[75:76], v[79:80]
	v_mul_f64_e32 v[119:120], v[73:74], v[79:80]
	s_wait_dscnt 0x1
	v_mul_f64_e32 v[121:122], v[75:76], v[83:84]
	v_mul_f64_e32 v[123:124], v[73:74], v[83:84]
	;; [unrolled: 3-line block ×3, first 2 shown]
	v_mul_f64_e32 v[127:128], v[87:88], v[83:84]
	v_mul_f64_e32 v[83:84], v[85:86], v[83:84]
	v_fma_f64 v[89:90], v[1:2], v[45:46], -v[89:90]
	v_fma_f64 v[91:92], v[3:4], v[45:46], v[91:92]
	v_fma_f64 v[93:94], v[1:2], v[49:50], -v[93:94]
	v_fma_f64 v[95:96], v[3:4], v[49:50], v[95:96]
	;; [unrolled: 2-line block ×8, first 2 shown]
	ds_load_b128 v[1:4], v37 offset:48
	ds_load_b128 v[45:48], v37 offset:2096
	;; [unrolled: 1-line block ×4, first 2 shown]
	v_fma_f64 v[117:118], v[73:74], v[77:78], -v[117:118]
	v_fma_f64 v[119:120], v[75:76], v[77:78], v[119:120]
	v_fma_f64 v[73:74], v[73:74], v[81:82], -v[121:122]
	v_fma_f64 v[75:76], v[75:76], v[81:82], v[123:124]
	;; [unrolled: 2-line block ×4, first 2 shown]
	s_wait_dscnt 0x1
	v_mul_f64_e32 v[107:108], v[1:2], v[51:52]
	s_wait_dscnt 0x0
	v_mul_f64_e32 v[109:110], v[3:4], v[55:56]
	v_mul_f64_e32 v[111:112], v[1:2], v[55:56]
	v_add_f64_e32 v[67:68], v[31:32], v[89:90]
	v_add_f64_e32 v[69:70], v[91:92], v[33:34]
	;; [unrolled: 1-line block ×8, first 2 shown]
	v_mul_f64_e32 v[99:100], v[3:4], v[51:52]
	v_mul_f64_e32 v[113:114], v[47:48], v[51:52]
	;; [unrolled: 1-line block ×5, first 2 shown]
	ds_load_b128 v[19:22], v37 offset:64
	ds_load_b128 v[23:26], v36 offset:2048
	;; [unrolled: 1-line block ×4, first 2 shown]
	s_wait_dscnt 0x0
	v_mul_f64_e32 v[123:124], v[33:34], v[25:26]
	v_mul_f64_e32 v[125:126], v[33:34], v[29:30]
	v_fma_f64 v[107:108], v[3:4], v[49:50], v[107:108]
	v_fma_f64 v[109:110], v[1:2], v[53:54], -v[109:110]
	v_fma_f64 v[111:112], v[3:4], v[53:54], v[111:112]
	v_add_f64_e32 v[83:84], v[67:68], v[101:102]
	v_add_f64_e32 v[85:86], v[103:104], v[69:70]
	;; [unrolled: 1-line block ×8, first 2 shown]
	v_mul_f64_e32 v[97:98], v[21:22], v[25:26]
	v_mul_f64_e32 v[101:102], v[19:20], v[25:26]
	;; [unrolled: 1-line block ×6, first 2 shown]
	v_fma_f64 v[99:100], v[1:2], v[49:50], -v[99:100]
	v_fma_f64 v[113:114], v[45:46], v[49:50], -v[113:114]
	v_fma_f64 v[127:128], v[47:48], v[49:50], v[51:52]
	v_fma_f64 v[115:116], v[45:46], v[53:54], -v[115:116]
	v_fma_f64 v[53:54], v[47:48], v[53:54], v[129:130]
	ds_load_b128 v[55:58], v37 offset:80
	ds_load_b128 v[59:62], v37 offset:2128
	;; [unrolled: 1-line block ×4, first 2 shown]
	v_fma_f64 v[123:124], v[31:32], v[23:24], -v[123:124]
	v_fma_f64 v[125:126], v[31:32], v[27:28], -v[125:126]
	v_add_f64_e32 v[83:84], v[83:84], v[117:118]
	v_add_f64_e32 v[85:86], v[119:120], v[85:86]
	v_add_f64_e32 v[117:118], v[71:72], v[73:74]
	v_add_f64_e32 v[75:76], v[75:76], v[87:88]
	v_add_f64_e32 v[87:88], v[89:90], v[121:122]
	v_add_f64_e32 v[77:78], v[77:78], v[91:92]
	v_add_f64_e32 v[79:80], v[93:94], v[79:80]
	v_add_f64_e32 v[81:82], v[81:82], v[95:96]
	s_wait_dscnt 0x1
	v_mul_f64_e32 v[89:90], v[57:58], v[65:66]
	v_mul_f64_e32 v[91:92], v[55:56], v[65:66]
	s_wait_dscnt 0x0
	v_mul_f64_e32 v[93:94], v[57:58], v[69:70]
	v_mul_f64_e32 v[95:96], v[55:56], v[69:70]
	;; [unrolled: 1-line block ×6, first 2 shown]
	v_fma_f64 v[97:98], v[19:20], v[23:24], -v[97:98]
	v_fma_f64 v[101:102], v[21:22], v[23:24], v[101:102]
	v_fma_f64 v[103:104], v[19:20], v[27:28], -v[103:104]
	v_fma_f64 v[105:106], v[21:22], v[27:28], v[105:106]
	v_fma_f64 v[129:130], v[33:34], v[23:24], v[25:26]
	;; [unrolled: 1-line block ×3, first 2 shown]
	ds_load_b128 v[1:4], v37 offset:96
	ds_load_b128 v[45:48], v36 offset:3072
	;; [unrolled: 1-line block ×8, first 2 shown]
	s_wait_loadcnt_dscnt 0x0
	s_barrier_signal -1
	s_barrier_wait -1
	global_inv scope:SCOPE_SE
	v_add_f64_e32 v[83:84], v[83:84], v[99:100]
	v_add_f64_e32 v[85:86], v[107:108], v[85:86]
	;; [unrolled: 1-line block ×8, first 2 shown]
	v_mul_f64_e32 v[81:82], v[3:4], v[47:48]
	v_mul_f64_e32 v[107:108], v[1:2], v[47:48]
	;; [unrolled: 1-line block ×8, first 2 shown]
	v_fma_f64 v[89:90], v[55:56], v[63:64], -v[89:90]
	v_fma_f64 v[91:92], v[57:58], v[63:64], v[91:92]
	v_fma_f64 v[55:56], v[55:56], v[67:68], -v[93:94]
	v_fma_f64 v[57:58], v[57:58], v[67:68], v[95:96]
	v_fma_f64 v[93:94], v[59:60], v[63:64], -v[119:120]
	v_fma_f64 v[63:64], v[61:62], v[63:64], v[65:66]
	v_fma_f64 v[59:60], v[59:60], v[67:68], -v[121:122]
	v_fma_f64 v[61:62], v[61:62], v[67:68], v[69:70]
	v_mul_f64_e32 v[95:96], v[21:22], v[33:34]
	v_add_f64_e32 v[65:66], v[83:84], v[97:98]
	v_add_f64_e32 v[67:68], v[101:102], v[85:86]
	;; [unrolled: 1-line block ×8, first 2 shown]
	v_mul_f64_e32 v[85:86], v[21:22], v[29:30]
	v_mul_f64_e32 v[87:88], v[19:20], v[29:30]
	;; [unrolled: 1-line block ×7, first 2 shown]
	v_fma_f64 v[81:82], v[1:2], v[45:46], -v[81:82]
	v_fma_f64 v[103:104], v[3:4], v[45:46], v[107:108]
	v_fma_f64 v[1:2], v[1:2], v[49:50], -v[109:110]
	v_fma_f64 v[3:4], v[3:4], v[49:50], v[111:112]
	;; [unrolled: 2-line block ×4, first 2 shown]
	v_add_f64_e32 v[51:52], v[65:66], v[89:90]
	v_add_f64_e32 v[65:66], v[91:92], v[67:68]
	;; [unrolled: 1-line block ×8, first 2 shown]
	v_fma_f64 v[61:62], v[19:20], v[27:28], -v[85:86]
	v_fma_f64 v[69:70], v[21:22], v[27:28], v[87:88]
	v_fma_f64 v[19:20], v[19:20], v[31:32], -v[95:96]
	v_fma_f64 v[21:22], v[21:22], v[31:32], v[97:98]
	;; [unrolled: 2-line block ×4, first 2 shown]
	v_add_f64_e32 v[23:24], v[51:52], v[81:82]
	v_add_f64_e32 v[25:26], v[103:104], v[65:66]
	;; [unrolled: 1-line block ×16, first 2 shown]
	s_cbranch_scc0 .LBB416_16
.LBB416_10:                             ;   Parent Loop BB416_7 Depth=1
                                        ; =>  This Inner Loop Header: Depth=2
	s_wait_alu 0xfffe
	v_add_nc_u32_e32 v1, s22, v38
	s_delay_alu instid0(VALU_DEP_1)
	v_cmp_le_i32_e32 vcc_lo, s25, v1
	s_or_b32 s23, s28, vcc_lo
	s_wait_alu 0xfffe
	s_and_saveexec_b32 s29, s23
	s_wait_alu 0xfffe
	s_xor_b32 s23, exec_lo, s29
; %bb.11:                               ;   in Loop: Header=BB416_10 Depth=2
	v_dual_mov_b32 v1, v0 :: v_dual_mov_b32 v2, v0
	v_mov_b32_e32 v3, v0
	ds_store_b128 v39, v[0:3]
; %bb.12:                               ;   in Loop: Header=BB416_10 Depth=2
	s_wait_alu 0xfffe
	s_and_not1_saveexec_b32 s23, s23
	s_cbranch_execz .LBB416_14
; %bb.13:                               ;   in Loop: Header=BB416_10 Depth=2
	flat_load_b128 v[1:4], v[15:16]
	s_wait_loadcnt_dscnt 0x0
	ds_store_2addr_b64 v39, v[1:2], v[3:4] offset1:1
.LBB416_14:                             ;   in Loop: Header=BB416_10 Depth=2
	s_wait_alu 0xfffe
	s_or_b32 exec_lo, exec_lo, s23
	v_add_nc_u32_e32 v1, s22, v35
	v_mov_b32_e32 v3, 0
	v_mov_b32_e32 v4, 0
	s_delay_alu instid0(VALU_DEP_3)
	v_cmp_gt_i32_e32 vcc_lo, s25, v1
	v_mov_b32_e32 v1, 0
	v_mov_b32_e32 v2, 0
	s_and_b32 s29, vcc_lo, s0
	s_wait_alu 0xfffe
	s_and_saveexec_b32 s23, s29
	s_cbranch_execz .LBB416_9
; %bb.15:                               ;   in Loop: Header=BB416_10 Depth=2
	flat_load_b128 v[1:4], v[17:18] offset:-8
	s_wait_loadcnt_dscnt 0x0
	v_xor_b32_e32 v4, 0x80000000, v4
	s_branch .LBB416_9
.LBB416_16:                             ;   in Loop: Header=BB416_7 Depth=1
	s_wait_loadcnt 0x0
	v_add_co_u32 v13, vcc_lo, v13, s2
	s_wait_alu 0xfffd
	v_add_co_ci_u32_e64 v14, null, s3, v14, vcc_lo
	s_delay_alu instid0(VALU_DEP_2) | instskip(SKIP_1) | instid1(VALU_DEP_2)
	v_add_co_u32 v15, vcc_lo, v13, v9
	s_wait_alu 0xfffd
	v_add_co_ci_u32_e64 v16, null, v14, v10, vcc_lo
	s_and_saveexec_b32 s22, s35
	s_cbranch_execz .LBB416_21
; %bb.17:                               ;   in Loop: Header=BB416_7 Depth=1
	v_mul_f64_e32 v[1:2], s[14:15], v[33:34]
	v_mul_f64_e32 v[3:4], s[12:13], v[33:34]
	s_and_b32 vcc_lo, exec_lo, s34
	s_mov_b32 s23, -1
	s_delay_alu instid0(VALU_DEP_2) | instskip(NEXT) | instid1(VALU_DEP_2)
	v_fma_f64 v[1:2], s[12:13], v[31:32], -v[1:2]
	v_fma_f64 v[3:4], s[14:15], v[31:32], v[3:4]
	s_wait_alu 0xfffe
	s_cbranch_vccz .LBB416_19
; %bb.18:                               ;   in Loop: Header=BB416_7 Depth=1
	v_lshlrev_b64_e32 v[17:18], 4, v[5:6]
	s_mov_b32 s23, 0
	s_delay_alu instid0(VALU_DEP_1) | instskip(SKIP_1) | instid1(VALU_DEP_2)
	v_add_co_u32 v17, vcc_lo, v15, v17
	s_wait_alu 0xfffd
	v_add_co_ci_u32_e64 v18, null, v16, v18, vcc_lo
	flat_load_b128 v[31:34], v[17:18]
	s_wait_loadcnt_dscnt 0x0
	v_mul_f64_e32 v[45:46], s[8:9], v[33:34]
	v_mul_f64_e32 v[33:34], s[6:7], v[33:34]
	s_delay_alu instid0(VALU_DEP_2) | instskip(NEXT) | instid1(VALU_DEP_2)
	v_fma_f64 v[45:46], s[6:7], v[31:32], -v[45:46]
	v_fma_f64 v[33:34], s[8:9], v[31:32], v[33:34]
	s_delay_alu instid0(VALU_DEP_2) | instskip(NEXT) | instid1(VALU_DEP_2)
	v_add_f64_e32 v[31:32], v[1:2], v[45:46]
	v_add_f64_e32 v[33:34], v[3:4], v[33:34]
	flat_store_b128 v[17:18], v[31:34]
.LBB416_19:                             ;   in Loop: Header=BB416_7 Depth=1
	s_wait_alu 0xfffe
	s_and_not1_b32 vcc_lo, exec_lo, s23
	s_wait_alu 0xfffe
	s_cbranch_vccnz .LBB416_21
; %bb.20:                               ;   in Loop: Header=BB416_7 Depth=1
	v_lshlrev_b64_e32 v[17:18], 4, v[5:6]
	s_delay_alu instid0(VALU_DEP_1) | instskip(SKIP_1) | instid1(VALU_DEP_2)
	v_add_co_u32 v17, vcc_lo, v15, v17
	s_wait_alu 0xfffd
	v_add_co_ci_u32_e64 v18, null, v16, v18, vcc_lo
	flat_store_b128 v[17:18], v[1:4]
.LBB416_21:                             ;   in Loop: Header=BB416_7 Depth=1
	s_wait_alu 0xfffe
	s_or_b32 exec_lo, exec_lo, s22
	s_and_saveexec_b32 s22, s36
	s_cbranch_execz .LBB416_26
; %bb.22:                               ;   in Loop: Header=BB416_7 Depth=1
	v_mul_f64_e32 v[1:2], s[14:15], v[29:30]
	v_mul_f64_e32 v[3:4], s[12:13], v[29:30]
	s_and_not1_b32 vcc_lo, exec_lo, s34
	s_mov_b32 s23, -1
	s_delay_alu instid0(VALU_DEP_2) | instskip(NEXT) | instid1(VALU_DEP_2)
	v_fma_f64 v[1:2], s[12:13], v[27:28], -v[1:2]
	v_fma_f64 v[3:4], s[14:15], v[27:28], v[3:4]
	s_wait_alu 0xfffe
	s_cbranch_vccnz .LBB416_24
; %bb.23:                               ;   in Loop: Header=BB416_7 Depth=1
	v_lshlrev_b64_e32 v[17:18], 4, v[7:8]
	s_mov_b32 s23, 0
	s_delay_alu instid0(VALU_DEP_1) | instskip(SKIP_1) | instid1(VALU_DEP_2)
	v_add_co_u32 v17, vcc_lo, v15, v17
	s_wait_alu 0xfffd
	v_add_co_ci_u32_e64 v18, null, v16, v18, vcc_lo
	flat_load_b128 v[27:30], v[17:18]
	s_wait_loadcnt_dscnt 0x0
	v_mul_f64_e32 v[31:32], s[8:9], v[29:30]
	v_mul_f64_e32 v[29:30], s[6:7], v[29:30]
	s_delay_alu instid0(VALU_DEP_2) | instskip(NEXT) | instid1(VALU_DEP_2)
	v_fma_f64 v[31:32], s[6:7], v[27:28], -v[31:32]
	v_fma_f64 v[29:30], s[8:9], v[27:28], v[29:30]
	s_delay_alu instid0(VALU_DEP_2) | instskip(NEXT) | instid1(VALU_DEP_2)
	v_add_f64_e32 v[27:28], v[1:2], v[31:32]
	v_add_f64_e32 v[29:30], v[3:4], v[29:30]
	flat_store_b128 v[17:18], v[27:30]
.LBB416_24:                             ;   in Loop: Header=BB416_7 Depth=1
	s_wait_alu 0xfffe
	s_and_not1_b32 vcc_lo, exec_lo, s23
	s_wait_alu 0xfffe
	s_cbranch_vccnz .LBB416_26
; %bb.25:                               ;   in Loop: Header=BB416_7 Depth=1
	v_lshlrev_b64_e32 v[17:18], 4, v[7:8]
	s_delay_alu instid0(VALU_DEP_1) | instskip(SKIP_1) | instid1(VALU_DEP_2)
	v_add_co_u32 v15, vcc_lo, v15, v17
	s_wait_alu 0xfffd
	v_add_co_ci_u32_e64 v16, null, v16, v18, vcc_lo
	flat_store_b128 v[15:16], v[1:4]
.LBB416_26:                             ;   in Loop: Header=BB416_7 Depth=1
	s_wait_alu 0xfffe
	s_or_b32 exec_lo, exec_lo, s22
	v_add_co_u32 v15, vcc_lo, v13, v11
	s_wait_alu 0xfffd
	v_add_co_ci_u32_e64 v16, null, v14, v12, vcc_lo
	s_and_saveexec_b32 s22, s24
	s_cbranch_execz .LBB416_31
; %bb.27:                               ;   in Loop: Header=BB416_7 Depth=1
	v_mul_f64_e32 v[1:2], s[14:15], v[25:26]
	v_mul_f64_e32 v[3:4], s[12:13], v[25:26]
	v_lshlrev_b64_e32 v[13:14], 4, v[5:6]
	s_and_not1_b32 vcc_lo, exec_lo, s34
	s_mov_b32 s23, -1
	s_delay_alu instid0(VALU_DEP_3) | instskip(NEXT) | instid1(VALU_DEP_3)
	v_fma_f64 v[1:2], s[12:13], v[23:24], -v[1:2]
	v_fma_f64 v[3:4], s[14:15], v[23:24], v[3:4]
	s_wait_alu 0xfffe
	s_cbranch_vccnz .LBB416_29
; %bb.28:                               ;   in Loop: Header=BB416_7 Depth=1
	v_add_co_u32 v17, vcc_lo, v15, v13
	s_wait_alu 0xfffd
	v_add_co_ci_u32_e64 v18, null, v16, v14, vcc_lo
	s_mov_b32 s23, 0
	flat_load_b128 v[23:26], v[17:18]
	s_wait_loadcnt_dscnt 0x0
	v_mul_f64_e32 v[27:28], s[8:9], v[25:26]
	v_mul_f64_e32 v[25:26], s[6:7], v[25:26]
	s_delay_alu instid0(VALU_DEP_2) | instskip(NEXT) | instid1(VALU_DEP_2)
	v_fma_f64 v[27:28], s[6:7], v[23:24], -v[27:28]
	v_fma_f64 v[25:26], s[8:9], v[23:24], v[25:26]
	s_delay_alu instid0(VALU_DEP_2) | instskip(NEXT) | instid1(VALU_DEP_2)
	v_add_f64_e32 v[23:24], v[1:2], v[27:28]
	v_add_f64_e32 v[25:26], v[3:4], v[25:26]
	flat_store_b128 v[17:18], v[23:26]
.LBB416_29:                             ;   in Loop: Header=BB416_7 Depth=1
	s_wait_alu 0xfffe
	s_and_not1_b32 vcc_lo, exec_lo, s23
	s_wait_alu 0xfffe
	s_cbranch_vccnz .LBB416_31
; %bb.30:                               ;   in Loop: Header=BB416_7 Depth=1
	v_add_co_u32 v13, vcc_lo, v15, v13
	s_wait_alu 0xfffd
	v_add_co_ci_u32_e64 v14, null, v16, v14, vcc_lo
	flat_store_b128 v[13:14], v[1:4]
.LBB416_31:                             ;   in Loop: Header=BB416_7 Depth=1
	s_wait_alu 0xfffe
	s_or_b32 exec_lo, exec_lo, s22
	s_and_saveexec_b32 s22, s37
	s_cbranch_execz .LBB416_6
; %bb.32:                               ;   in Loop: Header=BB416_7 Depth=1
	v_mul_f64_e32 v[1:2], s[14:15], v[19:20]
	v_mul_f64_e32 v[3:4], s[12:13], v[19:20]
	v_lshlrev_b64_e32 v[13:14], 4, v[7:8]
	s_and_not1_b32 vcc_lo, exec_lo, s34
	s_mov_b32 s23, -1
	s_delay_alu instid0(VALU_DEP_3) | instskip(NEXT) | instid1(VALU_DEP_3)
	v_fma_f64 v[1:2], s[12:13], v[21:22], -v[1:2]
	v_fma_f64 v[3:4], s[14:15], v[21:22], v[3:4]
	s_wait_alu 0xfffe
	s_cbranch_vccnz .LBB416_34
; %bb.33:                               ;   in Loop: Header=BB416_7 Depth=1
	v_add_co_u32 v21, vcc_lo, v15, v13
	s_wait_alu 0xfffd
	v_add_co_ci_u32_e64 v22, null, v16, v14, vcc_lo
	s_mov_b32 s23, 0
	flat_load_b128 v[17:20], v[21:22]
	s_wait_loadcnt_dscnt 0x0
	v_mul_f64_e32 v[23:24], s[8:9], v[19:20]
	v_mul_f64_e32 v[19:20], s[6:7], v[19:20]
	s_delay_alu instid0(VALU_DEP_2) | instskip(NEXT) | instid1(VALU_DEP_2)
	v_fma_f64 v[23:24], s[6:7], v[17:18], -v[23:24]
	v_fma_f64 v[19:20], s[8:9], v[17:18], v[19:20]
	s_delay_alu instid0(VALU_DEP_2) | instskip(NEXT) | instid1(VALU_DEP_2)
	v_add_f64_e32 v[17:18], v[1:2], v[23:24]
	v_add_f64_e32 v[19:20], v[3:4], v[19:20]
	flat_store_b128 v[21:22], v[17:20]
.LBB416_34:                             ;   in Loop: Header=BB416_7 Depth=1
	s_wait_alu 0xfffe
	s_and_not1_b32 vcc_lo, exec_lo, s23
	s_wait_alu 0xfffe
	s_cbranch_vccnz .LBB416_6
; %bb.35:                               ;   in Loop: Header=BB416_7 Depth=1
	v_add_co_u32 v13, vcc_lo, v15, v13
	s_wait_alu 0xfffd
	v_add_co_ci_u32_e64 v14, null, v16, v14, vcc_lo
	flat_store_b128 v[13:14], v[1:4]
	s_branch .LBB416_6
.LBB416_36:
.LBB416_37:
	s_nop 0
	s_sendmsg sendmsg(MSG_DEALLOC_VGPRS)
	s_endpgm
	.section	.rodata,"a",@progbits
	.p2align	6, 0x0
	.amdhsa_kernel _ZL29rocblas_internal_gemmt_kernelIiLi16ELi32ELi8ELc78ELc67ELc85ELb0ELb1E19rocblas_complex_numIdES1_PKPKS1_PKPS1_EviT_T9_T10_S9_lSB_S9_lSA_T11_S9_li
		.amdhsa_group_segment_fixed_size 8192
		.amdhsa_private_segment_fixed_size 0
		.amdhsa_kernarg_size 116
		.amdhsa_user_sgpr_count 2
		.amdhsa_user_sgpr_dispatch_ptr 0
		.amdhsa_user_sgpr_queue_ptr 0
		.amdhsa_user_sgpr_kernarg_segment_ptr 1
		.amdhsa_user_sgpr_dispatch_id 0
		.amdhsa_user_sgpr_private_segment_size 0
		.amdhsa_wavefront_size32 1
		.amdhsa_uses_dynamic_stack 0
		.amdhsa_enable_private_segment 0
		.amdhsa_system_sgpr_workgroup_id_x 1
		.amdhsa_system_sgpr_workgroup_id_y 1
		.amdhsa_system_sgpr_workgroup_id_z 1
		.amdhsa_system_sgpr_workgroup_info 0
		.amdhsa_system_vgpr_workitem_id 1
		.amdhsa_next_free_vgpr 133
		.amdhsa_next_free_sgpr 42
		.amdhsa_reserve_vcc 1
		.amdhsa_float_round_mode_32 0
		.amdhsa_float_round_mode_16_64 0
		.amdhsa_float_denorm_mode_32 3
		.amdhsa_float_denorm_mode_16_64 3
		.amdhsa_fp16_overflow 0
		.amdhsa_workgroup_processor_mode 1
		.amdhsa_memory_ordered 1
		.amdhsa_forward_progress 1
		.amdhsa_inst_pref_size 27
		.amdhsa_round_robin_scheduling 0
		.amdhsa_exception_fp_ieee_invalid_op 0
		.amdhsa_exception_fp_denorm_src 0
		.amdhsa_exception_fp_ieee_div_zero 0
		.amdhsa_exception_fp_ieee_overflow 0
		.amdhsa_exception_fp_ieee_underflow 0
		.amdhsa_exception_fp_ieee_inexact 0
		.amdhsa_exception_int_div_zero 0
	.end_amdhsa_kernel
	.section	.text._ZL29rocblas_internal_gemmt_kernelIiLi16ELi32ELi8ELc78ELc67ELc85ELb0ELb1E19rocblas_complex_numIdES1_PKPKS1_PKPS1_EviT_T9_T10_S9_lSB_S9_lSA_T11_S9_li,"axG",@progbits,_ZL29rocblas_internal_gemmt_kernelIiLi16ELi32ELi8ELc78ELc67ELc85ELb0ELb1E19rocblas_complex_numIdES1_PKPKS1_PKPS1_EviT_T9_T10_S9_lSB_S9_lSA_T11_S9_li,comdat
.Lfunc_end416:
	.size	_ZL29rocblas_internal_gemmt_kernelIiLi16ELi32ELi8ELc78ELc67ELc85ELb0ELb1E19rocblas_complex_numIdES1_PKPKS1_PKPS1_EviT_T9_T10_S9_lSB_S9_lSA_T11_S9_li, .Lfunc_end416-_ZL29rocblas_internal_gemmt_kernelIiLi16ELi32ELi8ELc78ELc67ELc85ELb0ELb1E19rocblas_complex_numIdES1_PKPKS1_PKPS1_EviT_T9_T10_S9_lSB_S9_lSA_T11_S9_li
                                        ; -- End function
	.set _ZL29rocblas_internal_gemmt_kernelIiLi16ELi32ELi8ELc78ELc67ELc85ELb0ELb1E19rocblas_complex_numIdES1_PKPKS1_PKPS1_EviT_T9_T10_S9_lSB_S9_lSA_T11_S9_li.num_vgpr, 133
	.set _ZL29rocblas_internal_gemmt_kernelIiLi16ELi32ELi8ELc78ELc67ELc85ELb0ELb1E19rocblas_complex_numIdES1_PKPKS1_PKPS1_EviT_T9_T10_S9_lSB_S9_lSA_T11_S9_li.num_agpr, 0
	.set _ZL29rocblas_internal_gemmt_kernelIiLi16ELi32ELi8ELc78ELc67ELc85ELb0ELb1E19rocblas_complex_numIdES1_PKPKS1_PKPS1_EviT_T9_T10_S9_lSB_S9_lSA_T11_S9_li.numbered_sgpr, 42
	.set _ZL29rocblas_internal_gemmt_kernelIiLi16ELi32ELi8ELc78ELc67ELc85ELb0ELb1E19rocblas_complex_numIdES1_PKPKS1_PKPS1_EviT_T9_T10_S9_lSB_S9_lSA_T11_S9_li.num_named_barrier, 0
	.set _ZL29rocblas_internal_gemmt_kernelIiLi16ELi32ELi8ELc78ELc67ELc85ELb0ELb1E19rocblas_complex_numIdES1_PKPKS1_PKPS1_EviT_T9_T10_S9_lSB_S9_lSA_T11_S9_li.private_seg_size, 0
	.set _ZL29rocblas_internal_gemmt_kernelIiLi16ELi32ELi8ELc78ELc67ELc85ELb0ELb1E19rocblas_complex_numIdES1_PKPKS1_PKPS1_EviT_T9_T10_S9_lSB_S9_lSA_T11_S9_li.uses_vcc, 1
	.set _ZL29rocblas_internal_gemmt_kernelIiLi16ELi32ELi8ELc78ELc67ELc85ELb0ELb1E19rocblas_complex_numIdES1_PKPKS1_PKPS1_EviT_T9_T10_S9_lSB_S9_lSA_T11_S9_li.uses_flat_scratch, 0
	.set _ZL29rocblas_internal_gemmt_kernelIiLi16ELi32ELi8ELc78ELc67ELc85ELb0ELb1E19rocblas_complex_numIdES1_PKPKS1_PKPS1_EviT_T9_T10_S9_lSB_S9_lSA_T11_S9_li.has_dyn_sized_stack, 0
	.set _ZL29rocblas_internal_gemmt_kernelIiLi16ELi32ELi8ELc78ELc67ELc85ELb0ELb1E19rocblas_complex_numIdES1_PKPKS1_PKPS1_EviT_T9_T10_S9_lSB_S9_lSA_T11_S9_li.has_recursion, 0
	.set _ZL29rocblas_internal_gemmt_kernelIiLi16ELi32ELi8ELc78ELc67ELc85ELb0ELb1E19rocblas_complex_numIdES1_PKPKS1_PKPS1_EviT_T9_T10_S9_lSB_S9_lSA_T11_S9_li.has_indirect_call, 0
	.section	.AMDGPU.csdata,"",@progbits
; Kernel info:
; codeLenInByte = 3456
; TotalNumSgprs: 44
; NumVgprs: 133
; ScratchSize: 0
; MemoryBound: 1
; FloatMode: 240
; IeeeMode: 1
; LDSByteSize: 8192 bytes/workgroup (compile time only)
; SGPRBlocks: 0
; VGPRBlocks: 16
; NumSGPRsForWavesPerEU: 44
; NumVGPRsForWavesPerEU: 133
; Occupancy: 10
; WaveLimiterHint : 1
; COMPUTE_PGM_RSRC2:SCRATCH_EN: 0
; COMPUTE_PGM_RSRC2:USER_SGPR: 2
; COMPUTE_PGM_RSRC2:TRAP_HANDLER: 0
; COMPUTE_PGM_RSRC2:TGID_X_EN: 1
; COMPUTE_PGM_RSRC2:TGID_Y_EN: 1
; COMPUTE_PGM_RSRC2:TGID_Z_EN: 1
; COMPUTE_PGM_RSRC2:TIDIG_COMP_CNT: 1
	.section	.text._ZL29rocblas_internal_gemmt_kernelIiLi16ELi32ELi8ELc84ELc78ELc85ELb0ELb0E19rocblas_complex_numIdES1_PKPKS1_PKPS1_EviT_T9_T10_S9_lSB_S9_lSA_T11_S9_li,"axG",@progbits,_ZL29rocblas_internal_gemmt_kernelIiLi16ELi32ELi8ELc84ELc78ELc85ELb0ELb0E19rocblas_complex_numIdES1_PKPKS1_PKPS1_EviT_T9_T10_S9_lSB_S9_lSA_T11_S9_li,comdat
	.globl	_ZL29rocblas_internal_gemmt_kernelIiLi16ELi32ELi8ELc84ELc78ELc85ELb0ELb0E19rocblas_complex_numIdES1_PKPKS1_PKPS1_EviT_T9_T10_S9_lSB_S9_lSA_T11_S9_li ; -- Begin function _ZL29rocblas_internal_gemmt_kernelIiLi16ELi32ELi8ELc84ELc78ELc85ELb0ELb0E19rocblas_complex_numIdES1_PKPKS1_PKPS1_EviT_T9_T10_S9_lSB_S9_lSA_T11_S9_li
	.p2align	8
	.type	_ZL29rocblas_internal_gemmt_kernelIiLi16ELi32ELi8ELc84ELc78ELc85ELb0ELb0E19rocblas_complex_numIdES1_PKPKS1_PKPS1_EviT_T9_T10_S9_lSB_S9_lSA_T11_S9_li,@function
_ZL29rocblas_internal_gemmt_kernelIiLi16ELi32ELi8ELc84ELc78ELc85ELb0ELb0E19rocblas_complex_numIdES1_PKPKS1_PKPS1_EviT_T9_T10_S9_lSB_S9_lSA_T11_S9_li: ; @_ZL29rocblas_internal_gemmt_kernelIiLi16ELi32ELi8ELc84ELc78ELc85ELb0ELb0E19rocblas_complex_numIdES1_PKPKS1_PKPS1_EviT_T9_T10_S9_lSB_S9_lSA_T11_S9_li
; %bb.0:
	s_clause 0x2
	s_load_b256 s[4:11], s[0:1], 0x40
	s_load_b64 s[24:25], s[0:1], 0x0
	s_load_b128 s[12:15], s[0:1], 0x8
	s_wait_kmcnt 0x0
	v_cmp_eq_f64_e64 s2, s[6:7], 1.0
	v_cmp_eq_f64_e64 s28, s[8:9], 0
	s_and_b32 s2, s2, s28
	s_delay_alu instid0(SALU_CYCLE_1)
	s_and_not1_b32 vcc_lo, exec_lo, s2
	s_mov_b32 s2, -1
	s_cbranch_vccnz .LBB417_3
; %bb.1:
	s_cmp_lg_u32 s25, 0
	s_cbranch_scc0 .LBB417_38
; %bb.2:
	v_cmp_neq_f64_e64 s2, s[12:13], 0
	v_cmp_neq_f64_e64 s3, s[14:15], 0
	s_or_b32 s2, s2, s3
.LBB417_3:
	s_delay_alu instid0(SALU_CYCLE_1)
	s_and_b32 vcc_lo, exec_lo, s2
	s_cbranch_vccz .LBB417_39
; %bb.4:
	s_load_b32 s23, s[0:1], 0x70
	s_lshr_b32 s26, ttmp7, 16
	s_wait_kmcnt 0x0
	s_cmp_ge_u32 s26, s23
	s_cbranch_scc1 .LBB417_39
; %bb.5:
	v_cmp_neq_f64_e64 s29, s[12:13], 0
	v_cmp_neq_f64_e64 s30, s[14:15], 0
	v_and_b32_e32 v1, 0x3ff, v0
	v_bfe_u32 v2, v0, 10, 10
	s_clause 0x4
	s_load_b96 s[20:22], s[0:1], 0x18
	s_load_b128 s[16:19], s[0:1], 0x28
	s_load_b32 s33, s[0:1], 0x38
	s_load_b32 s36, s[0:1], 0x60
	s_load_b64 s[34:35], s[0:1], 0x68
	v_and_b32_e32 v35, 7, v0
	s_lshl_b32 s1, ttmp9, 5
	v_lshlrev_b32_e32 v36, 4, v1
	v_lshl_add_u32 v0, v2, 4, v1
	v_add_nc_u32_e32 v5, s1, v1
	v_lshlrev_b32_e32 v13, 4, v35
	v_cmp_neq_f64_e64 s31, s[6:7], 0
	s_lshl_b32 s0, ttmp7, 5
	v_lshrrev_b32_e32 v38, 5, v0
	v_and_b32_e32 v1, 31, v0
	v_lshrrev_b32_e32 v0, 3, v0
	s_wait_alu 0xfffe
	s_and_b32 s2, s0, 0x1fffe0
	v_add_nc_u32_e32 v7, 16, v5
	v_add_nc_u32_e32 v3, s2, v2
	v_or_b32_e32 v4, s1, v1
	v_lshlrev_b32_e32 v1, 4, v1
	v_add_nc_u32_e32 v9, s2, v0
	v_lshl_or_b32 v0, v0, 7, v13
	v_lshl_add_u32 v37, v2, 7, 0x1000
	v_cmp_gt_i32_e32 vcc_lo, s24, v3
	v_cmp_le_i32_e64 s0, v5, v3
	v_cmp_le_i32_e64 s1, v7, v3
	v_cmp_gt_i32_e64 s2, s24, v4
	v_lshl_or_b32 v39, v38, 9, v1
	v_add_nc_u32_e32 v40, 0x1000, v0
	s_wait_kmcnt 0x0
	v_mad_co_i64_i32 v[1:2], null, v3, s36, 0
	v_add_nc_u32_e32 v0, 16, v3
	v_mad_co_i64_i32 v[3:4], null, s22, v4, 0
	v_cmp_gt_i32_e64 s3, s24, v9
	v_mad_co_i64_i32 v[9:10], null, s33, v9, 0
	v_lshlrev_b32_e32 v14, 4, v38
	s_or_b32 s37, s29, s30
	s_cmp_gt_i32 s25, 0
	s_delay_alu instid0(VALU_DEP_4)
	v_lshlrev_b64_e32 v[3:4], 4, v[3:4]
	s_cselect_b32 s38, -1, 0
	s_xor_b32 s29, s28, -1
	s_and_b32 s28, vcc_lo, s0
	s_and_b32 s30, vcc_lo, s1
	v_cmp_gt_i32_e32 vcc_lo, s24, v0
	v_cmp_le_i32_e64 s0, v5, v0
	v_cmp_le_i32_e64 s1, v7, v0
	v_lshlrev_b64_e32 v[9:10], 4, v[9:10]
	v_mad_co_i64_i32 v[11:12], null, v0, s36, 0
	s_and_b32 s22, vcc_lo, s0
	s_and_b32 s24, vcc_lo, s1
	s_lshl_b64 s[0:1], s[16:17], 4
	v_ashrrev_i32_e32 v6, 31, v5
	s_wait_alu 0xfffe
	v_add_co_u32 v3, vcc_lo, v3, s0
	s_delay_alu instid0(VALU_DEP_1)
	v_add_co_ci_u32_e64 v4, null, s1, v4, vcc_lo
	s_lshl_b64 s[0:1], s[4:5], 4
	v_lshlrev_b64_e32 v[11:12], 4, v[11:12]
	s_wait_alu 0xfffe
	v_add_co_u32 v9, vcc_lo, v9, s0
	s_wait_alu 0xfffd
	v_add_co_ci_u32_e64 v10, null, s1, v10, vcc_lo
	v_add_co_u32 v41, vcc_lo, v3, v14
	s_wait_alu 0xfffd
	v_add_co_ci_u32_e64 v42, null, 0, v4, vcc_lo
	;; [unrolled: 3-line block ×3, first 2 shown]
	v_lshlrev_b64_e32 v[9:10], 4, v[1:2]
	v_ashrrev_i32_e32 v8, 31, v7
	v_mov_b32_e32 v0, 0
	s_mov_b32 s27, 0
	s_or_b32 s29, s31, s29
	s_and_b32 s4, s37, s38
	s_xor_b32 s5, s2, -1
	s_xor_b32 s16, s3, -1
	s_lshl_b64 s[0:1], s[34:35], 4
	s_branch .LBB417_7
.LBB417_6:                              ;   in Loop: Header=BB417_7 Depth=1
	s_wait_alu 0xfffe
	s_or_b32 exec_lo, exec_lo, s2
	s_add_co_i32 s26, s26, 0x10000
	s_delay_alu instid0(SALU_CYCLE_1)
	s_cmp_lt_u32 s26, s23
	s_cbranch_scc0 .LBB417_39
.LBB417_7:                              ; =>This Loop Header: Depth=1
                                        ;     Child Loop BB417_10 Depth 2
	s_lshl_b64 s[2:3], s[26:27], 3
	v_mov_b32_e32 v31, 0
	s_wait_alu 0xfffe
	s_add_nc_u64 s[34:35], s[10:11], s[2:3]
	v_mov_b32_e32 v27, 0
	global_load_b64 v[13:14], v0, s[34:35]
	v_mov_b32_e32 v23, 0
	v_dual_mov_b32 v21, 0 :: v_dual_mov_b32 v32, 0
	v_dual_mov_b32 v33, 0 :: v_dual_mov_b32 v28, 0
	;; [unrolled: 1-line block ×5, first 2 shown]
	v_mov_b32_e32 v30, 0
	v_mov_b32_e32 v26, 0
	;; [unrolled: 1-line block ×3, first 2 shown]
	s_and_not1_b32 vcc_lo, exec_lo, s4
	s_wait_alu 0xfffe
	s_cbranch_vccnz .LBB417_18
; %bb.8:                                ;   in Loop: Header=BB417_7 Depth=1
	s_add_nc_u64 s[34:35], s[20:21], s[2:3]
	s_add_nc_u64 s[2:3], s[18:19], s[2:3]
	s_clause 0x1
	global_load_b64 v[1:2], v0, s[34:35]
	global_load_b64 v[3:4], v0, s[2:3]
	v_mov_b32_e32 v19, 0
	v_mov_b32_e32 v25, 0
	;; [unrolled: 1-line block ×3, first 2 shown]
	v_dual_mov_b32 v33, 0 :: v_dual_mov_b32 v20, 0
	v_dual_mov_b32 v21, 0 :: v_dual_mov_b32 v26, 0
	;; [unrolled: 1-line block ×5, first 2 shown]
	v_mov_b32_e32 v24, 0
	v_mov_b32_e32 v28, 0
	;; [unrolled: 1-line block ×3, first 2 shown]
	s_mov_b32 s2, 0
	s_wait_loadcnt 0x1
	v_add_co_u32 v15, vcc_lo, v1, v41
	s_wait_alu 0xfffd
	v_add_co_ci_u32_e64 v16, null, v2, v42, vcc_lo
	s_wait_loadcnt 0x0
	v_add_co_u32 v17, vcc_lo, v3, v43
	s_wait_alu 0xfffd
	v_add_co_ci_u32_e64 v18, null, v4, v44, vcc_lo
	s_branch .LBB417_10
.LBB417_9:                              ;   in Loop: Header=BB417_10 Depth=2
	s_wait_alu 0xfffe
	s_or_b32 exec_lo, exec_lo, s3
	s_wait_dscnt 0x0
	s_barrier_signal -1
	s_barrier_wait -1
	global_inv scope:SCOPE_SE
	ds_load_b128 v[1:4], v37
	ds_load_b128 v[45:48], v36
	ds_load_b128 v[49:52], v36 offset:256
	ds_load_b128 v[53:56], v37 offset:2048
	;; [unrolled: 1-line block ×10, first 2 shown]
	v_add_co_u32 v15, vcc_lo, 0x80, v15
	s_wait_alu 0xfffd
	v_add_co_ci_u32_e64 v16, null, 0, v16, vcc_lo
	v_add_co_u32 v17, vcc_lo, 0x80, v17
	s_wait_alu 0xfffd
	v_add_co_ci_u32_e64 v18, null, 0, v18, vcc_lo
	s_add_co_i32 s2, s2, 8
	s_wait_alu 0xfffe
	s_cmp_lt_i32 s2, s25
	s_wait_dscnt 0xa
	v_mul_f64_e32 v[89:90], v[3:4], v[47:48]
	v_mul_f64_e32 v[91:92], v[1:2], v[47:48]
	s_wait_dscnt 0x9
	v_mul_f64_e32 v[93:94], v[3:4], v[51:52]
	v_mul_f64_e32 v[95:96], v[1:2], v[51:52]
	;; [unrolled: 3-line block ×3, first 2 shown]
	v_mul_f64_e32 v[99:100], v[55:56], v[51:52]
	v_mul_f64_e32 v[51:52], v[53:54], v[51:52]
	s_wait_dscnt 0x5
	v_mul_f64_e32 v[101:102], v[59:60], v[67:68]
	v_mul_f64_e32 v[103:104], v[57:58], v[67:68]
	s_wait_dscnt 0x4
	v_mul_f64_e32 v[105:106], v[59:60], v[71:72]
	v_mul_f64_e32 v[107:108], v[57:58], v[71:72]
	;; [unrolled: 1-line block ×6, first 2 shown]
	s_wait_dscnt 0x2
	v_mul_f64_e32 v[117:118], v[75:76], v[79:80]
	v_mul_f64_e32 v[119:120], v[73:74], v[79:80]
	s_wait_dscnt 0x1
	v_mul_f64_e32 v[121:122], v[75:76], v[83:84]
	v_mul_f64_e32 v[123:124], v[73:74], v[83:84]
	;; [unrolled: 3-line block ×3, first 2 shown]
	v_mul_f64_e32 v[127:128], v[87:88], v[83:84]
	v_mul_f64_e32 v[83:84], v[85:86], v[83:84]
	v_fma_f64 v[89:90], v[1:2], v[45:46], -v[89:90]
	v_fma_f64 v[91:92], v[3:4], v[45:46], v[91:92]
	v_fma_f64 v[93:94], v[1:2], v[49:50], -v[93:94]
	v_fma_f64 v[95:96], v[3:4], v[49:50], v[95:96]
	;; [unrolled: 2-line block ×8, first 2 shown]
	ds_load_b128 v[1:4], v37 offset:48
	ds_load_b128 v[45:48], v37 offset:2096
	;; [unrolled: 1-line block ×4, first 2 shown]
	v_fma_f64 v[117:118], v[73:74], v[77:78], -v[117:118]
	v_fma_f64 v[119:120], v[75:76], v[77:78], v[119:120]
	v_fma_f64 v[73:74], v[73:74], v[81:82], -v[121:122]
	v_fma_f64 v[75:76], v[75:76], v[81:82], v[123:124]
	v_fma_f64 v[121:122], v[85:86], v[77:78], -v[125:126]
	v_fma_f64 v[77:78], v[87:88], v[77:78], v[79:80]
	v_fma_f64 v[79:80], v[85:86], v[81:82], -v[127:128]
	v_fma_f64 v[81:82], v[87:88], v[81:82], v[83:84]
	s_wait_dscnt 0x1
	v_mul_f64_e32 v[107:108], v[1:2], v[51:52]
	s_wait_dscnt 0x0
	v_mul_f64_e32 v[109:110], v[3:4], v[55:56]
	v_mul_f64_e32 v[111:112], v[1:2], v[55:56]
	v_add_f64_e32 v[67:68], v[31:32], v[89:90]
	v_add_f64_e32 v[69:70], v[91:92], v[33:34]
	;; [unrolled: 1-line block ×8, first 2 shown]
	v_mul_f64_e32 v[99:100], v[3:4], v[51:52]
	v_mul_f64_e32 v[113:114], v[47:48], v[51:52]
	v_mul_f64_e32 v[51:52], v[45:46], v[51:52]
	v_mul_f64_e32 v[115:116], v[47:48], v[55:56]
	v_mul_f64_e32 v[129:130], v[45:46], v[55:56]
	ds_load_b128 v[19:22], v37 offset:64
	ds_load_b128 v[23:26], v36 offset:2048
	ds_load_b128 v[27:30], v36 offset:2304
	ds_load_b128 v[31:34], v37 offset:2112
	s_wait_dscnt 0x0
	v_mul_f64_e32 v[123:124], v[33:34], v[25:26]
	v_mul_f64_e32 v[125:126], v[33:34], v[29:30]
	v_fma_f64 v[107:108], v[3:4], v[49:50], v[107:108]
	v_fma_f64 v[109:110], v[1:2], v[53:54], -v[109:110]
	v_fma_f64 v[111:112], v[3:4], v[53:54], v[111:112]
	v_add_f64_e32 v[83:84], v[67:68], v[101:102]
	v_add_f64_e32 v[85:86], v[103:104], v[69:70]
	;; [unrolled: 1-line block ×8, first 2 shown]
	v_mul_f64_e32 v[97:98], v[21:22], v[25:26]
	v_mul_f64_e32 v[101:102], v[19:20], v[25:26]
	v_mul_f64_e32 v[103:104], v[21:22], v[29:30]
	v_mul_f64_e32 v[105:106], v[19:20], v[29:30]
	v_mul_f64_e32 v[25:26], v[31:32], v[25:26]
	v_mul_f64_e32 v[29:30], v[31:32], v[29:30]
	v_fma_f64 v[99:100], v[1:2], v[49:50], -v[99:100]
	v_fma_f64 v[113:114], v[45:46], v[49:50], -v[113:114]
	v_fma_f64 v[127:128], v[47:48], v[49:50], v[51:52]
	v_fma_f64 v[115:116], v[45:46], v[53:54], -v[115:116]
	v_fma_f64 v[53:54], v[47:48], v[53:54], v[129:130]
	ds_load_b128 v[55:58], v37 offset:80
	ds_load_b128 v[59:62], v37 offset:2128
	;; [unrolled: 1-line block ×4, first 2 shown]
	v_fma_f64 v[123:124], v[31:32], v[23:24], -v[123:124]
	v_fma_f64 v[125:126], v[31:32], v[27:28], -v[125:126]
	v_add_f64_e32 v[83:84], v[83:84], v[117:118]
	v_add_f64_e32 v[85:86], v[119:120], v[85:86]
	;; [unrolled: 1-line block ×8, first 2 shown]
	s_wait_dscnt 0x1
	v_mul_f64_e32 v[89:90], v[57:58], v[65:66]
	v_mul_f64_e32 v[91:92], v[55:56], v[65:66]
	s_wait_dscnt 0x0
	v_mul_f64_e32 v[93:94], v[57:58], v[69:70]
	v_mul_f64_e32 v[95:96], v[55:56], v[69:70]
	;; [unrolled: 1-line block ×6, first 2 shown]
	v_fma_f64 v[97:98], v[19:20], v[23:24], -v[97:98]
	v_fma_f64 v[101:102], v[21:22], v[23:24], v[101:102]
	v_fma_f64 v[103:104], v[19:20], v[27:28], -v[103:104]
	v_fma_f64 v[105:106], v[21:22], v[27:28], v[105:106]
	v_fma_f64 v[129:130], v[33:34], v[23:24], v[25:26]
	v_fma_f64 v[131:132], v[33:34], v[27:28], v[29:30]
	ds_load_b128 v[1:4], v37 offset:96
	ds_load_b128 v[45:48], v36 offset:3072
	;; [unrolled: 1-line block ×8, first 2 shown]
	s_wait_loadcnt_dscnt 0x0
	s_barrier_signal -1
	s_barrier_wait -1
	global_inv scope:SCOPE_SE
	v_add_f64_e32 v[83:84], v[83:84], v[99:100]
	v_add_f64_e32 v[85:86], v[107:108], v[85:86]
	;; [unrolled: 1-line block ×8, first 2 shown]
	v_mul_f64_e32 v[81:82], v[3:4], v[47:48]
	v_mul_f64_e32 v[107:108], v[1:2], v[47:48]
	;; [unrolled: 1-line block ×8, first 2 shown]
	v_fma_f64 v[89:90], v[55:56], v[63:64], -v[89:90]
	v_fma_f64 v[91:92], v[57:58], v[63:64], v[91:92]
	v_fma_f64 v[55:56], v[55:56], v[67:68], -v[93:94]
	v_fma_f64 v[57:58], v[57:58], v[67:68], v[95:96]
	;; [unrolled: 2-line block ×4, first 2 shown]
	v_mul_f64_e32 v[95:96], v[21:22], v[33:34]
	v_add_f64_e32 v[65:66], v[83:84], v[97:98]
	v_add_f64_e32 v[67:68], v[101:102], v[85:86]
	;; [unrolled: 1-line block ×8, first 2 shown]
	v_mul_f64_e32 v[85:86], v[21:22], v[29:30]
	v_mul_f64_e32 v[87:88], v[19:20], v[29:30]
	;; [unrolled: 1-line block ×7, first 2 shown]
	v_fma_f64 v[81:82], v[1:2], v[45:46], -v[81:82]
	v_fma_f64 v[103:104], v[3:4], v[45:46], v[107:108]
	v_fma_f64 v[1:2], v[1:2], v[49:50], -v[109:110]
	v_fma_f64 v[3:4], v[3:4], v[49:50], v[111:112]
	;; [unrolled: 2-line block ×4, first 2 shown]
	v_add_f64_e32 v[51:52], v[65:66], v[89:90]
	v_add_f64_e32 v[65:66], v[91:92], v[67:68]
	;; [unrolled: 1-line block ×8, first 2 shown]
	v_fma_f64 v[61:62], v[19:20], v[27:28], -v[85:86]
	v_fma_f64 v[69:70], v[21:22], v[27:28], v[87:88]
	v_fma_f64 v[19:20], v[19:20], v[31:32], -v[95:96]
	v_fma_f64 v[21:22], v[21:22], v[31:32], v[97:98]
	;; [unrolled: 2-line block ×4, first 2 shown]
	v_add_f64_e32 v[23:24], v[51:52], v[81:82]
	v_add_f64_e32 v[25:26], v[103:104], v[65:66]
	;; [unrolled: 1-line block ×16, first 2 shown]
	s_cbranch_scc0 .LBB417_18
.LBB417_10:                             ;   Parent Loop BB417_7 Depth=1
                                        ; =>  This Inner Loop Header: Depth=2
	s_wait_alu 0xfffe
	v_add_nc_u32_e32 v1, s2, v38
	s_delay_alu instid0(VALU_DEP_1) | instskip(SKIP_3) | instid1(SALU_CYCLE_1)
	v_cmp_le_i32_e32 vcc_lo, s25, v1
	s_or_b32 s3, s5, vcc_lo
	s_wait_alu 0xfffe
	s_and_saveexec_b32 s17, s3
	s_xor_b32 s3, exec_lo, s17
; %bb.11:                               ;   in Loop: Header=BB417_10 Depth=2
	v_dual_mov_b32 v1, v0 :: v_dual_mov_b32 v2, v0
	v_mov_b32_e32 v3, v0
	ds_store_b128 v39, v[0:3]
; %bb.12:                               ;   in Loop: Header=BB417_10 Depth=2
	s_wait_alu 0xfffe
	s_and_not1_saveexec_b32 s3, s3
	s_cbranch_execz .LBB417_14
; %bb.13:                               ;   in Loop: Header=BB417_10 Depth=2
	flat_load_b128 v[1:4], v[15:16]
	s_wait_loadcnt_dscnt 0x0
	ds_store_2addr_b64 v39, v[1:2], v[3:4] offset1:1
.LBB417_14:                             ;   in Loop: Header=BB417_10 Depth=2
	s_wait_alu 0xfffe
	s_or_b32 exec_lo, exec_lo, s3
	v_add_nc_u32_e32 v1, s2, v35
	s_delay_alu instid0(VALU_DEP_1) | instskip(SKIP_3) | instid1(SALU_CYCLE_1)
	v_cmp_le_i32_e32 vcc_lo, s25, v1
	s_or_b32 s3, vcc_lo, s16
	s_wait_alu 0xfffe
	s_and_saveexec_b32 s17, s3
	s_xor_b32 s3, exec_lo, s17
; %bb.15:                               ;   in Loop: Header=BB417_10 Depth=2
	v_dual_mov_b32 v1, v0 :: v_dual_mov_b32 v2, v0
	v_mov_b32_e32 v3, v0
	ds_store_b128 v40, v[0:3]
; %bb.16:                               ;   in Loop: Header=BB417_10 Depth=2
	s_wait_alu 0xfffe
	s_and_not1_saveexec_b32 s3, s3
	s_cbranch_execz .LBB417_9
; %bb.17:                               ;   in Loop: Header=BB417_10 Depth=2
	flat_load_b128 v[1:4], v[17:18]
	s_wait_loadcnt_dscnt 0x0
	ds_store_2addr_b64 v40, v[1:2], v[3:4] offset1:1
	s_branch .LBB417_9
.LBB417_18:                             ;   in Loop: Header=BB417_7 Depth=1
	s_wait_loadcnt 0x0
	v_add_co_u32 v13, vcc_lo, v13, s0
	s_wait_alu 0xfffd
	v_add_co_ci_u32_e64 v14, null, s1, v14, vcc_lo
	s_delay_alu instid0(VALU_DEP_2) | instskip(SKIP_1) | instid1(VALU_DEP_2)
	v_add_co_u32 v15, vcc_lo, v13, v9
	s_wait_alu 0xfffd
	v_add_co_ci_u32_e64 v16, null, v14, v10, vcc_lo
	s_and_saveexec_b32 s2, s28
	s_cbranch_execz .LBB417_23
; %bb.19:                               ;   in Loop: Header=BB417_7 Depth=1
	v_mul_f64_e32 v[1:2], s[14:15], v[33:34]
	v_mul_f64_e32 v[3:4], s[12:13], v[33:34]
	s_and_b32 vcc_lo, exec_lo, s29
	s_mov_b32 s3, -1
	s_delay_alu instid0(VALU_DEP_2) | instskip(NEXT) | instid1(VALU_DEP_2)
	v_fma_f64 v[1:2], s[12:13], v[31:32], -v[1:2]
	v_fma_f64 v[3:4], s[14:15], v[31:32], v[3:4]
	s_wait_alu 0xfffe
	s_cbranch_vccz .LBB417_21
; %bb.20:                               ;   in Loop: Header=BB417_7 Depth=1
	v_lshlrev_b64_e32 v[17:18], 4, v[5:6]
	s_mov_b32 s3, 0
	s_delay_alu instid0(VALU_DEP_1) | instskip(SKIP_1) | instid1(VALU_DEP_2)
	v_add_co_u32 v17, vcc_lo, v15, v17
	s_wait_alu 0xfffd
	v_add_co_ci_u32_e64 v18, null, v16, v18, vcc_lo
	flat_load_b128 v[31:34], v[17:18]
	s_wait_loadcnt_dscnt 0x0
	v_mul_f64_e32 v[45:46], s[8:9], v[33:34]
	v_mul_f64_e32 v[33:34], s[6:7], v[33:34]
	s_delay_alu instid0(VALU_DEP_2) | instskip(NEXT) | instid1(VALU_DEP_2)
	v_fma_f64 v[45:46], s[6:7], v[31:32], -v[45:46]
	v_fma_f64 v[33:34], s[8:9], v[31:32], v[33:34]
	s_delay_alu instid0(VALU_DEP_2) | instskip(NEXT) | instid1(VALU_DEP_2)
	v_add_f64_e32 v[31:32], v[1:2], v[45:46]
	v_add_f64_e32 v[33:34], v[3:4], v[33:34]
	flat_store_b128 v[17:18], v[31:34]
.LBB417_21:                             ;   in Loop: Header=BB417_7 Depth=1
	s_wait_alu 0xfffe
	s_and_not1_b32 vcc_lo, exec_lo, s3
	s_wait_alu 0xfffe
	s_cbranch_vccnz .LBB417_23
; %bb.22:                               ;   in Loop: Header=BB417_7 Depth=1
	v_lshlrev_b64_e32 v[17:18], 4, v[5:6]
	s_delay_alu instid0(VALU_DEP_1) | instskip(SKIP_1) | instid1(VALU_DEP_2)
	v_add_co_u32 v17, vcc_lo, v15, v17
	s_wait_alu 0xfffd
	v_add_co_ci_u32_e64 v18, null, v16, v18, vcc_lo
	flat_store_b128 v[17:18], v[1:4]
.LBB417_23:                             ;   in Loop: Header=BB417_7 Depth=1
	s_wait_alu 0xfffe
	s_or_b32 exec_lo, exec_lo, s2
	s_and_saveexec_b32 s2, s30
	s_cbranch_execz .LBB417_28
; %bb.24:                               ;   in Loop: Header=BB417_7 Depth=1
	v_mul_f64_e32 v[1:2], s[14:15], v[29:30]
	v_mul_f64_e32 v[3:4], s[12:13], v[29:30]
	s_and_not1_b32 vcc_lo, exec_lo, s29
	s_mov_b32 s3, -1
	s_delay_alu instid0(VALU_DEP_2) | instskip(NEXT) | instid1(VALU_DEP_2)
	v_fma_f64 v[1:2], s[12:13], v[27:28], -v[1:2]
	v_fma_f64 v[3:4], s[14:15], v[27:28], v[3:4]
	s_wait_alu 0xfffe
	s_cbranch_vccnz .LBB417_26
; %bb.25:                               ;   in Loop: Header=BB417_7 Depth=1
	v_lshlrev_b64_e32 v[17:18], 4, v[7:8]
	s_mov_b32 s3, 0
	s_delay_alu instid0(VALU_DEP_1) | instskip(SKIP_1) | instid1(VALU_DEP_2)
	v_add_co_u32 v17, vcc_lo, v15, v17
	s_wait_alu 0xfffd
	v_add_co_ci_u32_e64 v18, null, v16, v18, vcc_lo
	flat_load_b128 v[27:30], v[17:18]
	s_wait_loadcnt_dscnt 0x0
	v_mul_f64_e32 v[31:32], s[8:9], v[29:30]
	v_mul_f64_e32 v[29:30], s[6:7], v[29:30]
	s_delay_alu instid0(VALU_DEP_2) | instskip(NEXT) | instid1(VALU_DEP_2)
	v_fma_f64 v[31:32], s[6:7], v[27:28], -v[31:32]
	v_fma_f64 v[29:30], s[8:9], v[27:28], v[29:30]
	s_delay_alu instid0(VALU_DEP_2) | instskip(NEXT) | instid1(VALU_DEP_2)
	v_add_f64_e32 v[27:28], v[1:2], v[31:32]
	v_add_f64_e32 v[29:30], v[3:4], v[29:30]
	flat_store_b128 v[17:18], v[27:30]
.LBB417_26:                             ;   in Loop: Header=BB417_7 Depth=1
	s_wait_alu 0xfffe
	s_and_not1_b32 vcc_lo, exec_lo, s3
	s_wait_alu 0xfffe
	s_cbranch_vccnz .LBB417_28
; %bb.27:                               ;   in Loop: Header=BB417_7 Depth=1
	v_lshlrev_b64_e32 v[17:18], 4, v[7:8]
	s_delay_alu instid0(VALU_DEP_1) | instskip(SKIP_1) | instid1(VALU_DEP_2)
	v_add_co_u32 v15, vcc_lo, v15, v17
	s_wait_alu 0xfffd
	v_add_co_ci_u32_e64 v16, null, v16, v18, vcc_lo
	flat_store_b128 v[15:16], v[1:4]
.LBB417_28:                             ;   in Loop: Header=BB417_7 Depth=1
	s_wait_alu 0xfffe
	s_or_b32 exec_lo, exec_lo, s2
	v_add_co_u32 v15, vcc_lo, v13, v11
	s_wait_alu 0xfffd
	v_add_co_ci_u32_e64 v16, null, v14, v12, vcc_lo
	s_and_saveexec_b32 s2, s22
	s_cbranch_execz .LBB417_33
; %bb.29:                               ;   in Loop: Header=BB417_7 Depth=1
	v_mul_f64_e32 v[1:2], s[14:15], v[25:26]
	v_mul_f64_e32 v[3:4], s[12:13], v[25:26]
	v_lshlrev_b64_e32 v[13:14], 4, v[5:6]
	s_and_not1_b32 vcc_lo, exec_lo, s29
	s_mov_b32 s3, -1
	s_delay_alu instid0(VALU_DEP_3) | instskip(NEXT) | instid1(VALU_DEP_3)
	v_fma_f64 v[1:2], s[12:13], v[23:24], -v[1:2]
	v_fma_f64 v[3:4], s[14:15], v[23:24], v[3:4]
	s_wait_alu 0xfffe
	s_cbranch_vccnz .LBB417_31
; %bb.30:                               ;   in Loop: Header=BB417_7 Depth=1
	v_add_co_u32 v17, vcc_lo, v15, v13
	s_wait_alu 0xfffd
	v_add_co_ci_u32_e64 v18, null, v16, v14, vcc_lo
	s_mov_b32 s3, 0
	flat_load_b128 v[23:26], v[17:18]
	s_wait_loadcnt_dscnt 0x0
	v_mul_f64_e32 v[27:28], s[8:9], v[25:26]
	v_mul_f64_e32 v[25:26], s[6:7], v[25:26]
	s_delay_alu instid0(VALU_DEP_2) | instskip(NEXT) | instid1(VALU_DEP_2)
	v_fma_f64 v[27:28], s[6:7], v[23:24], -v[27:28]
	v_fma_f64 v[25:26], s[8:9], v[23:24], v[25:26]
	s_delay_alu instid0(VALU_DEP_2) | instskip(NEXT) | instid1(VALU_DEP_2)
	v_add_f64_e32 v[23:24], v[1:2], v[27:28]
	v_add_f64_e32 v[25:26], v[3:4], v[25:26]
	flat_store_b128 v[17:18], v[23:26]
.LBB417_31:                             ;   in Loop: Header=BB417_7 Depth=1
	s_wait_alu 0xfffe
	s_and_not1_b32 vcc_lo, exec_lo, s3
	s_wait_alu 0xfffe
	s_cbranch_vccnz .LBB417_33
; %bb.32:                               ;   in Loop: Header=BB417_7 Depth=1
	v_add_co_u32 v13, vcc_lo, v15, v13
	s_wait_alu 0xfffd
	v_add_co_ci_u32_e64 v14, null, v16, v14, vcc_lo
	flat_store_b128 v[13:14], v[1:4]
.LBB417_33:                             ;   in Loop: Header=BB417_7 Depth=1
	s_wait_alu 0xfffe
	s_or_b32 exec_lo, exec_lo, s2
	s_and_saveexec_b32 s2, s24
	s_cbranch_execz .LBB417_6
; %bb.34:                               ;   in Loop: Header=BB417_7 Depth=1
	v_mul_f64_e32 v[1:2], s[14:15], v[19:20]
	v_mul_f64_e32 v[3:4], s[12:13], v[19:20]
	v_lshlrev_b64_e32 v[13:14], 4, v[7:8]
	s_and_not1_b32 vcc_lo, exec_lo, s29
	s_mov_b32 s3, -1
	s_delay_alu instid0(VALU_DEP_3) | instskip(NEXT) | instid1(VALU_DEP_3)
	v_fma_f64 v[1:2], s[12:13], v[21:22], -v[1:2]
	v_fma_f64 v[3:4], s[14:15], v[21:22], v[3:4]
	s_wait_alu 0xfffe
	s_cbranch_vccnz .LBB417_36
; %bb.35:                               ;   in Loop: Header=BB417_7 Depth=1
	v_add_co_u32 v21, vcc_lo, v15, v13
	s_wait_alu 0xfffd
	v_add_co_ci_u32_e64 v22, null, v16, v14, vcc_lo
	s_mov_b32 s3, 0
	flat_load_b128 v[17:20], v[21:22]
	s_wait_loadcnt_dscnt 0x0
	v_mul_f64_e32 v[23:24], s[8:9], v[19:20]
	v_mul_f64_e32 v[19:20], s[6:7], v[19:20]
	s_delay_alu instid0(VALU_DEP_2) | instskip(NEXT) | instid1(VALU_DEP_2)
	v_fma_f64 v[23:24], s[6:7], v[17:18], -v[23:24]
	v_fma_f64 v[19:20], s[8:9], v[17:18], v[19:20]
	s_delay_alu instid0(VALU_DEP_2) | instskip(NEXT) | instid1(VALU_DEP_2)
	v_add_f64_e32 v[17:18], v[1:2], v[23:24]
	v_add_f64_e32 v[19:20], v[3:4], v[19:20]
	flat_store_b128 v[21:22], v[17:20]
.LBB417_36:                             ;   in Loop: Header=BB417_7 Depth=1
	s_wait_alu 0xfffe
	s_and_not1_b32 vcc_lo, exec_lo, s3
	s_wait_alu 0xfffe
	s_cbranch_vccnz .LBB417_6
; %bb.37:                               ;   in Loop: Header=BB417_7 Depth=1
	v_add_co_u32 v13, vcc_lo, v15, v13
	s_wait_alu 0xfffd
	v_add_co_ci_u32_e64 v14, null, v16, v14, vcc_lo
	flat_store_b128 v[13:14], v[1:4]
	s_branch .LBB417_6
.LBB417_38:
.LBB417_39:
	s_nop 0
	s_sendmsg sendmsg(MSG_DEALLOC_VGPRS)
	s_endpgm
	.section	.rodata,"a",@progbits
	.p2align	6, 0x0
	.amdhsa_kernel _ZL29rocblas_internal_gemmt_kernelIiLi16ELi32ELi8ELc84ELc78ELc85ELb0ELb0E19rocblas_complex_numIdES1_PKPKS1_PKPS1_EviT_T9_T10_S9_lSB_S9_lSA_T11_S9_li
		.amdhsa_group_segment_fixed_size 8192
		.amdhsa_private_segment_fixed_size 0
		.amdhsa_kernarg_size 116
		.amdhsa_user_sgpr_count 2
		.amdhsa_user_sgpr_dispatch_ptr 0
		.amdhsa_user_sgpr_queue_ptr 0
		.amdhsa_user_sgpr_kernarg_segment_ptr 1
		.amdhsa_user_sgpr_dispatch_id 0
		.amdhsa_user_sgpr_private_segment_size 0
		.amdhsa_wavefront_size32 1
		.amdhsa_uses_dynamic_stack 0
		.amdhsa_enable_private_segment 0
		.amdhsa_system_sgpr_workgroup_id_x 1
		.amdhsa_system_sgpr_workgroup_id_y 1
		.amdhsa_system_sgpr_workgroup_id_z 1
		.amdhsa_system_sgpr_workgroup_info 0
		.amdhsa_system_vgpr_workitem_id 1
		.amdhsa_next_free_vgpr 133
		.amdhsa_next_free_sgpr 39
		.amdhsa_reserve_vcc 1
		.amdhsa_float_round_mode_32 0
		.amdhsa_float_round_mode_16_64 0
		.amdhsa_float_denorm_mode_32 3
		.amdhsa_float_denorm_mode_16_64 3
		.amdhsa_fp16_overflow 0
		.amdhsa_workgroup_processor_mode 1
		.amdhsa_memory_ordered 1
		.amdhsa_forward_progress 1
		.amdhsa_inst_pref_size 27
		.amdhsa_round_robin_scheduling 0
		.amdhsa_exception_fp_ieee_invalid_op 0
		.amdhsa_exception_fp_denorm_src 0
		.amdhsa_exception_fp_ieee_div_zero 0
		.amdhsa_exception_fp_ieee_overflow 0
		.amdhsa_exception_fp_ieee_underflow 0
		.amdhsa_exception_fp_ieee_inexact 0
		.amdhsa_exception_int_div_zero 0
	.end_amdhsa_kernel
	.section	.text._ZL29rocblas_internal_gemmt_kernelIiLi16ELi32ELi8ELc84ELc78ELc85ELb0ELb0E19rocblas_complex_numIdES1_PKPKS1_PKPS1_EviT_T9_T10_S9_lSB_S9_lSA_T11_S9_li,"axG",@progbits,_ZL29rocblas_internal_gemmt_kernelIiLi16ELi32ELi8ELc84ELc78ELc85ELb0ELb0E19rocblas_complex_numIdES1_PKPKS1_PKPS1_EviT_T9_T10_S9_lSB_S9_lSA_T11_S9_li,comdat
.Lfunc_end417:
	.size	_ZL29rocblas_internal_gemmt_kernelIiLi16ELi32ELi8ELc84ELc78ELc85ELb0ELb0E19rocblas_complex_numIdES1_PKPKS1_PKPS1_EviT_T9_T10_S9_lSB_S9_lSA_T11_S9_li, .Lfunc_end417-_ZL29rocblas_internal_gemmt_kernelIiLi16ELi32ELi8ELc84ELc78ELc85ELb0ELb0E19rocblas_complex_numIdES1_PKPKS1_PKPS1_EviT_T9_T10_S9_lSB_S9_lSA_T11_S9_li
                                        ; -- End function
	.set _ZL29rocblas_internal_gemmt_kernelIiLi16ELi32ELi8ELc84ELc78ELc85ELb0ELb0E19rocblas_complex_numIdES1_PKPKS1_PKPS1_EviT_T9_T10_S9_lSB_S9_lSA_T11_S9_li.num_vgpr, 133
	.set _ZL29rocblas_internal_gemmt_kernelIiLi16ELi32ELi8ELc84ELc78ELc85ELb0ELb0E19rocblas_complex_numIdES1_PKPKS1_PKPS1_EviT_T9_T10_S9_lSB_S9_lSA_T11_S9_li.num_agpr, 0
	.set _ZL29rocblas_internal_gemmt_kernelIiLi16ELi32ELi8ELc84ELc78ELc85ELb0ELb0E19rocblas_complex_numIdES1_PKPKS1_PKPS1_EviT_T9_T10_S9_lSB_S9_lSA_T11_S9_li.numbered_sgpr, 39
	.set _ZL29rocblas_internal_gemmt_kernelIiLi16ELi32ELi8ELc84ELc78ELc85ELb0ELb0E19rocblas_complex_numIdES1_PKPKS1_PKPS1_EviT_T9_T10_S9_lSB_S9_lSA_T11_S9_li.num_named_barrier, 0
	.set _ZL29rocblas_internal_gemmt_kernelIiLi16ELi32ELi8ELc84ELc78ELc85ELb0ELb0E19rocblas_complex_numIdES1_PKPKS1_PKPS1_EviT_T9_T10_S9_lSB_S9_lSA_T11_S9_li.private_seg_size, 0
	.set _ZL29rocblas_internal_gemmt_kernelIiLi16ELi32ELi8ELc84ELc78ELc85ELb0ELb0E19rocblas_complex_numIdES1_PKPKS1_PKPS1_EviT_T9_T10_S9_lSB_S9_lSA_T11_S9_li.uses_vcc, 1
	.set _ZL29rocblas_internal_gemmt_kernelIiLi16ELi32ELi8ELc84ELc78ELc85ELb0ELb0E19rocblas_complex_numIdES1_PKPKS1_PKPS1_EviT_T9_T10_S9_lSB_S9_lSA_T11_S9_li.uses_flat_scratch, 0
	.set _ZL29rocblas_internal_gemmt_kernelIiLi16ELi32ELi8ELc84ELc78ELc85ELb0ELb0E19rocblas_complex_numIdES1_PKPKS1_PKPS1_EviT_T9_T10_S9_lSB_S9_lSA_T11_S9_li.has_dyn_sized_stack, 0
	.set _ZL29rocblas_internal_gemmt_kernelIiLi16ELi32ELi8ELc84ELc78ELc85ELb0ELb0E19rocblas_complex_numIdES1_PKPKS1_PKPS1_EviT_T9_T10_S9_lSB_S9_lSA_T11_S9_li.has_recursion, 0
	.set _ZL29rocblas_internal_gemmt_kernelIiLi16ELi32ELi8ELc84ELc78ELc85ELb0ELb0E19rocblas_complex_numIdES1_PKPKS1_PKPS1_EviT_T9_T10_S9_lSB_S9_lSA_T11_S9_li.has_indirect_call, 0
	.section	.AMDGPU.csdata,"",@progbits
; Kernel info:
; codeLenInByte = 3452
; TotalNumSgprs: 41
; NumVgprs: 133
; ScratchSize: 0
; MemoryBound: 0
; FloatMode: 240
; IeeeMode: 1
; LDSByteSize: 8192 bytes/workgroup (compile time only)
; SGPRBlocks: 0
; VGPRBlocks: 16
; NumSGPRsForWavesPerEU: 41
; NumVGPRsForWavesPerEU: 133
; Occupancy: 10
; WaveLimiterHint : 1
; COMPUTE_PGM_RSRC2:SCRATCH_EN: 0
; COMPUTE_PGM_RSRC2:USER_SGPR: 2
; COMPUTE_PGM_RSRC2:TRAP_HANDLER: 0
; COMPUTE_PGM_RSRC2:TGID_X_EN: 1
; COMPUTE_PGM_RSRC2:TGID_Y_EN: 1
; COMPUTE_PGM_RSRC2:TGID_Z_EN: 1
; COMPUTE_PGM_RSRC2:TIDIG_COMP_CNT: 1
	.section	.text._ZL29rocblas_internal_gemmt_kernelIiLi16ELi32ELi8ELc84ELc84ELc85ELb0ELb0E19rocblas_complex_numIdES1_PKPKS1_PKPS1_EviT_T9_T10_S9_lSB_S9_lSA_T11_S9_li,"axG",@progbits,_ZL29rocblas_internal_gemmt_kernelIiLi16ELi32ELi8ELc84ELc84ELc85ELb0ELb0E19rocblas_complex_numIdES1_PKPKS1_PKPS1_EviT_T9_T10_S9_lSB_S9_lSA_T11_S9_li,comdat
	.globl	_ZL29rocblas_internal_gemmt_kernelIiLi16ELi32ELi8ELc84ELc84ELc85ELb0ELb0E19rocblas_complex_numIdES1_PKPKS1_PKPS1_EviT_T9_T10_S9_lSB_S9_lSA_T11_S9_li ; -- Begin function _ZL29rocblas_internal_gemmt_kernelIiLi16ELi32ELi8ELc84ELc84ELc85ELb0ELb0E19rocblas_complex_numIdES1_PKPKS1_PKPS1_EviT_T9_T10_S9_lSB_S9_lSA_T11_S9_li
	.p2align	8
	.type	_ZL29rocblas_internal_gemmt_kernelIiLi16ELi32ELi8ELc84ELc84ELc85ELb0ELb0E19rocblas_complex_numIdES1_PKPKS1_PKPS1_EviT_T9_T10_S9_lSB_S9_lSA_T11_S9_li,@function
_ZL29rocblas_internal_gemmt_kernelIiLi16ELi32ELi8ELc84ELc84ELc85ELb0ELb0E19rocblas_complex_numIdES1_PKPKS1_PKPS1_EviT_T9_T10_S9_lSB_S9_lSA_T11_S9_li: ; @_ZL29rocblas_internal_gemmt_kernelIiLi16ELi32ELi8ELc84ELc84ELc85ELb0ELb0E19rocblas_complex_numIdES1_PKPKS1_PKPS1_EviT_T9_T10_S9_lSB_S9_lSA_T11_S9_li
; %bb.0:
	s_clause 0x2
	s_load_b256 s[4:11], s[0:1], 0x40
	s_load_b64 s[24:25], s[0:1], 0x0
	s_load_b128 s[12:15], s[0:1], 0x8
	s_wait_kmcnt 0x0
	v_cmp_eq_f64_e64 s2, s[6:7], 1.0
	v_cmp_eq_f64_e64 s30, s[8:9], 0
	s_and_b32 s2, s2, s30
	s_delay_alu instid0(SALU_CYCLE_1)
	s_and_not1_b32 vcc_lo, exec_lo, s2
	s_mov_b32 s2, -1
	s_cbranch_vccnz .LBB418_3
; %bb.1:
	s_cmp_lg_u32 s25, 0
	s_cbranch_scc0 .LBB418_38
; %bb.2:
	v_cmp_neq_f64_e64 s2, s[12:13], 0
	v_cmp_neq_f64_e64 s3, s[14:15], 0
	s_or_b32 s2, s2, s3
.LBB418_3:
	s_delay_alu instid0(SALU_CYCLE_1)
	s_and_b32 vcc_lo, exec_lo, s2
	s_cbranch_vccz .LBB418_39
; %bb.4:
	s_load_b32 s23, s[0:1], 0x70
	s_lshr_b32 s26, ttmp7, 16
	s_wait_kmcnt 0x0
	s_cmp_ge_u32 s26, s23
	s_cbranch_scc1 .LBB418_39
; %bb.5:
	v_cmp_neq_f64_e64 s31, s[12:13], 0
	v_cmp_neq_f64_e64 s33, s[14:15], 0
	v_and_b32_e32 v1, 0x3ff, v0
	v_bfe_u32 v2, v0, 10, 10
	s_clause 0x4
	s_load_b96 s[20:22], s[0:1], 0x18
	s_load_b128 s[16:19], s[0:1], 0x28
	s_load_b32 s34, s[0:1], 0x38
	s_load_b32 s37, s[0:1], 0x60
	s_load_b64 s[28:29], s[0:1], 0x68
	v_and_b32_e32 v35, 7, v0
	s_lshl_b32 s1, ttmp9, 5
	v_lshlrev_b32_e32 v36, 4, v1
	v_lshl_add_u32 v0, v2, 4, v1
	v_add_nc_u32_e32 v5, s1, v1
	v_lshlrev_b32_e32 v3, 4, v35
	v_cmp_neq_f64_e64 s36, s[6:7], 0
	s_lshl_b32 s0, ttmp7, 5
	v_lshrrev_b32_e32 v38, 5, v0
	v_and_b32_e32 v1, 31, v0
	v_lshrrev_b32_e32 v0, 3, v0
	s_wait_alu 0xfffe
	s_and_b32 s2, s0, 0x1fffe0
	v_add_nc_u32_e32 v7, 16, v5
	v_add_nc_u32_e32 v4, s2, v2
	v_or_b32_e32 v9, s1, v1
	v_add_nc_u32_e32 v13, s2, v0
	v_lshlrev_b32_e32 v1, 4, v1
	v_lshl_or_b32 v0, v0, 7, v3
	v_lshl_add_u32 v37, v2, 7, 0x1000
	v_cmp_gt_i32_e32 vcc_lo, s24, v4
	v_cmp_le_i32_e64 s0, v5, v4
	v_cmp_le_i32_e64 s1, v7, v4
	v_lshl_or_b32 v39, v38, 9, v1
	v_add_nc_u32_e32 v40, 0x1000, v0
	s_wait_kmcnt 0x0
	v_mad_co_i64_i32 v[1:2], null, v4, s37, 0
	v_add_nc_u32_e32 v0, 16, v4
	v_mad_co_i64_i32 v[3:4], null, s22, v9, 0
	s_ashr_i32 s35, s34, 31
	v_cmp_gt_i32_e64 s2, s24, v9
	v_mad_co_i64_i32 v[9:10], null, s34, v35, 0
	v_cmp_gt_i32_e64 s3, s24, v13
	s_or_b32 s38, s31, s33
	s_cmp_gt_i32 s25, 0
	v_lshlrev_b64_e32 v[3:4], 4, v[3:4]
	s_cselect_b32 s39, -1, 0
	s_and_b32 s31, vcc_lo, s0
	s_and_b32 s33, vcc_lo, s1
	v_cmp_gt_i32_e32 vcc_lo, s24, v0
	v_cmp_le_i32_e64 s0, v5, v0
	v_cmp_le_i32_e64 s1, v7, v0
	v_lshlrev_b64_e32 v[9:10], 4, v[9:10]
	v_lshlrev_b32_e32 v14, 4, v38
	v_mad_co_i64_i32 v[11:12], null, v0, s37, 0
	s_and_b32 s22, vcc_lo, s0
	s_and_b32 s24, vcc_lo, s1
	s_lshl_b64 s[0:1], s[16:17], 4
	v_lshlrev_b32_e32 v13, 4, v13
	s_wait_alu 0xfffe
	v_add_co_u32 v3, vcc_lo, v3, s0
	s_delay_alu instid0(VALU_DEP_1)
	v_add_co_ci_u32_e64 v4, null, s1, v4, vcc_lo
	s_lshl_b64 s[0:1], s[4:5], 4
	v_lshlrev_b64_e32 v[11:12], 4, v[11:12]
	s_wait_alu 0xfffe
	v_add_co_u32 v9, vcc_lo, v9, s0
	s_wait_alu 0xfffd
	v_add_co_ci_u32_e64 v10, null, s1, v10, vcc_lo
	v_add_co_u32 v41, vcc_lo, v3, v14
	s_wait_alu 0xfffd
	v_add_co_ci_u32_e64 v42, null, 0, v4, vcc_lo
	;; [unrolled: 3-line block ×3, first 2 shown]
	v_lshlrev_b64_e32 v[9:10], 4, v[1:2]
	v_ashrrev_i32_e32 v6, 31, v5
	v_ashrrev_i32_e32 v8, 31, v7
	v_mov_b32_e32 v0, 0
	s_xor_b32 s30, s30, -1
	s_mov_b32 s27, 0
	s_or_b32 s30, s36, s30
	s_lshl_b64 s[0:1], s[34:35], 7
	s_and_b32 s16, s38, s39
	s_xor_b32 s17, s2, -1
	s_xor_b32 s34, s3, -1
	s_lshl_b64 s[2:3], s[28:29], 4
	s_branch .LBB418_7
.LBB418_6:                              ;   in Loop: Header=BB418_7 Depth=1
	s_wait_alu 0xfffe
	s_or_b32 exec_lo, exec_lo, s4
	s_add_co_i32 s26, s26, 0x10000
	s_delay_alu instid0(SALU_CYCLE_1)
	s_cmp_lt_u32 s26, s23
	s_cbranch_scc0 .LBB418_39
.LBB418_7:                              ; =>This Loop Header: Depth=1
                                        ;     Child Loop BB418_10 Depth 2
	s_lshl_b64 s[4:5], s[26:27], 3
	v_mov_b32_e32 v31, 0
	s_wait_alu 0xfffe
	s_add_nc_u64 s[28:29], s[10:11], s[4:5]
	v_mov_b32_e32 v27, 0
	global_load_b64 v[13:14], v0, s[28:29]
	v_mov_b32_e32 v23, 0
	v_dual_mov_b32 v21, 0 :: v_dual_mov_b32 v32, 0
	v_dual_mov_b32 v33, 0 :: v_dual_mov_b32 v28, 0
	v_dual_mov_b32 v29, 0 :: v_dual_mov_b32 v24, 0
	v_dual_mov_b32 v25, 0 :: v_dual_mov_b32 v22, 0
	v_dual_mov_b32 v19, 0 :: v_dual_mov_b32 v34, 0
	v_mov_b32_e32 v30, 0
	v_mov_b32_e32 v26, 0
	;; [unrolled: 1-line block ×3, first 2 shown]
	s_and_not1_b32 vcc_lo, exec_lo, s16
	s_wait_alu 0xfffe
	s_cbranch_vccnz .LBB418_18
; %bb.8:                                ;   in Loop: Header=BB418_7 Depth=1
	s_add_nc_u64 s[28:29], s[20:21], s[4:5]
	s_add_nc_u64 s[4:5], s[18:19], s[4:5]
	s_clause 0x1
	global_load_b64 v[1:2], v0, s[28:29]
	global_load_b64 v[3:4], v0, s[4:5]
	v_mov_b32_e32 v19, 0
	v_mov_b32_e32 v25, 0
	;; [unrolled: 1-line block ×3, first 2 shown]
	v_dual_mov_b32 v33, 0 :: v_dual_mov_b32 v20, 0
	v_dual_mov_b32 v21, 0 :: v_dual_mov_b32 v26, 0
	;; [unrolled: 1-line block ×5, first 2 shown]
	v_mov_b32_e32 v24, 0
	v_mov_b32_e32 v28, 0
	;; [unrolled: 1-line block ×3, first 2 shown]
	s_mov_b32 s4, 0
	s_wait_loadcnt 0x1
	v_add_co_u32 v15, vcc_lo, v1, v41
	s_wait_alu 0xfffd
	v_add_co_ci_u32_e64 v16, null, v2, v42, vcc_lo
	s_wait_loadcnt 0x0
	v_add_co_u32 v17, vcc_lo, v3, v43
	s_wait_alu 0xfffd
	v_add_co_ci_u32_e64 v18, null, v4, v44, vcc_lo
	s_branch .LBB418_10
.LBB418_9:                              ;   in Loop: Header=BB418_10 Depth=2
	s_wait_alu 0xfffe
	s_or_b32 exec_lo, exec_lo, s5
	s_wait_dscnt 0x0
	s_barrier_signal -1
	s_barrier_wait -1
	global_inv scope:SCOPE_SE
	ds_load_b128 v[1:4], v37
	ds_load_b128 v[45:48], v36
	ds_load_b128 v[49:52], v36 offset:256
	ds_load_b128 v[53:56], v37 offset:2048
	;; [unrolled: 1-line block ×10, first 2 shown]
	v_add_co_u32 v15, vcc_lo, 0x80, v15
	s_wait_alu 0xfffd
	v_add_co_ci_u32_e64 v16, null, 0, v16, vcc_lo
	v_add_co_u32 v17, vcc_lo, v17, s0
	s_wait_alu 0xfffd
	v_add_co_ci_u32_e64 v18, null, s1, v18, vcc_lo
	s_add_co_i32 s4, s4, 8
	s_wait_alu 0xfffe
	s_cmp_lt_i32 s4, s25
	s_wait_dscnt 0xa
	v_mul_f64_e32 v[89:90], v[3:4], v[47:48]
	v_mul_f64_e32 v[91:92], v[1:2], v[47:48]
	s_wait_dscnt 0x9
	v_mul_f64_e32 v[93:94], v[3:4], v[51:52]
	v_mul_f64_e32 v[95:96], v[1:2], v[51:52]
	;; [unrolled: 3-line block ×3, first 2 shown]
	v_mul_f64_e32 v[99:100], v[55:56], v[51:52]
	v_mul_f64_e32 v[51:52], v[53:54], v[51:52]
	s_wait_dscnt 0x5
	v_mul_f64_e32 v[101:102], v[59:60], v[67:68]
	v_mul_f64_e32 v[103:104], v[57:58], v[67:68]
	s_wait_dscnt 0x4
	v_mul_f64_e32 v[105:106], v[59:60], v[71:72]
	v_mul_f64_e32 v[107:108], v[57:58], v[71:72]
	;; [unrolled: 1-line block ×6, first 2 shown]
	s_wait_dscnt 0x2
	v_mul_f64_e32 v[117:118], v[75:76], v[79:80]
	v_mul_f64_e32 v[119:120], v[73:74], v[79:80]
	s_wait_dscnt 0x1
	v_mul_f64_e32 v[121:122], v[75:76], v[83:84]
	v_mul_f64_e32 v[123:124], v[73:74], v[83:84]
	;; [unrolled: 3-line block ×3, first 2 shown]
	v_mul_f64_e32 v[127:128], v[87:88], v[83:84]
	v_mul_f64_e32 v[83:84], v[85:86], v[83:84]
	v_fma_f64 v[89:90], v[1:2], v[45:46], -v[89:90]
	v_fma_f64 v[91:92], v[3:4], v[45:46], v[91:92]
	v_fma_f64 v[93:94], v[1:2], v[49:50], -v[93:94]
	v_fma_f64 v[95:96], v[3:4], v[49:50], v[95:96]
	;; [unrolled: 2-line block ×8, first 2 shown]
	ds_load_b128 v[1:4], v37 offset:48
	ds_load_b128 v[45:48], v37 offset:2096
	;; [unrolled: 1-line block ×4, first 2 shown]
	v_fma_f64 v[117:118], v[73:74], v[77:78], -v[117:118]
	v_fma_f64 v[119:120], v[75:76], v[77:78], v[119:120]
	v_fma_f64 v[73:74], v[73:74], v[81:82], -v[121:122]
	v_fma_f64 v[75:76], v[75:76], v[81:82], v[123:124]
	;; [unrolled: 2-line block ×4, first 2 shown]
	s_wait_dscnt 0x1
	v_mul_f64_e32 v[107:108], v[1:2], v[51:52]
	s_wait_dscnt 0x0
	v_mul_f64_e32 v[109:110], v[3:4], v[55:56]
	v_mul_f64_e32 v[111:112], v[1:2], v[55:56]
	v_add_f64_e32 v[67:68], v[31:32], v[89:90]
	v_add_f64_e32 v[69:70], v[91:92], v[33:34]
	;; [unrolled: 1-line block ×8, first 2 shown]
	v_mul_f64_e32 v[99:100], v[3:4], v[51:52]
	v_mul_f64_e32 v[113:114], v[47:48], v[51:52]
	;; [unrolled: 1-line block ×5, first 2 shown]
	ds_load_b128 v[19:22], v37 offset:64
	ds_load_b128 v[23:26], v36 offset:2048
	;; [unrolled: 1-line block ×4, first 2 shown]
	s_wait_dscnt 0x0
	v_mul_f64_e32 v[123:124], v[33:34], v[25:26]
	v_mul_f64_e32 v[125:126], v[33:34], v[29:30]
	v_fma_f64 v[107:108], v[3:4], v[49:50], v[107:108]
	v_fma_f64 v[109:110], v[1:2], v[53:54], -v[109:110]
	v_fma_f64 v[111:112], v[3:4], v[53:54], v[111:112]
	v_add_f64_e32 v[83:84], v[67:68], v[101:102]
	v_add_f64_e32 v[85:86], v[103:104], v[69:70]
	;; [unrolled: 1-line block ×8, first 2 shown]
	v_mul_f64_e32 v[97:98], v[21:22], v[25:26]
	v_mul_f64_e32 v[101:102], v[19:20], v[25:26]
	;; [unrolled: 1-line block ×6, first 2 shown]
	v_fma_f64 v[99:100], v[1:2], v[49:50], -v[99:100]
	v_fma_f64 v[113:114], v[45:46], v[49:50], -v[113:114]
	v_fma_f64 v[127:128], v[47:48], v[49:50], v[51:52]
	v_fma_f64 v[115:116], v[45:46], v[53:54], -v[115:116]
	v_fma_f64 v[53:54], v[47:48], v[53:54], v[129:130]
	ds_load_b128 v[55:58], v37 offset:80
	ds_load_b128 v[59:62], v37 offset:2128
	;; [unrolled: 1-line block ×4, first 2 shown]
	v_fma_f64 v[123:124], v[31:32], v[23:24], -v[123:124]
	v_fma_f64 v[125:126], v[31:32], v[27:28], -v[125:126]
	v_add_f64_e32 v[83:84], v[83:84], v[117:118]
	v_add_f64_e32 v[85:86], v[119:120], v[85:86]
	;; [unrolled: 1-line block ×8, first 2 shown]
	s_wait_dscnt 0x1
	v_mul_f64_e32 v[89:90], v[57:58], v[65:66]
	v_mul_f64_e32 v[91:92], v[55:56], v[65:66]
	s_wait_dscnt 0x0
	v_mul_f64_e32 v[93:94], v[57:58], v[69:70]
	v_mul_f64_e32 v[95:96], v[55:56], v[69:70]
	;; [unrolled: 1-line block ×6, first 2 shown]
	v_fma_f64 v[97:98], v[19:20], v[23:24], -v[97:98]
	v_fma_f64 v[101:102], v[21:22], v[23:24], v[101:102]
	v_fma_f64 v[103:104], v[19:20], v[27:28], -v[103:104]
	v_fma_f64 v[105:106], v[21:22], v[27:28], v[105:106]
	v_fma_f64 v[129:130], v[33:34], v[23:24], v[25:26]
	;; [unrolled: 1-line block ×3, first 2 shown]
	ds_load_b128 v[1:4], v37 offset:96
	ds_load_b128 v[45:48], v36 offset:3072
	;; [unrolled: 1-line block ×8, first 2 shown]
	s_wait_loadcnt_dscnt 0x0
	s_barrier_signal -1
	s_barrier_wait -1
	global_inv scope:SCOPE_SE
	v_add_f64_e32 v[83:84], v[83:84], v[99:100]
	v_add_f64_e32 v[85:86], v[107:108], v[85:86]
	;; [unrolled: 1-line block ×8, first 2 shown]
	v_mul_f64_e32 v[81:82], v[3:4], v[47:48]
	v_mul_f64_e32 v[107:108], v[1:2], v[47:48]
	;; [unrolled: 1-line block ×8, first 2 shown]
	v_fma_f64 v[89:90], v[55:56], v[63:64], -v[89:90]
	v_fma_f64 v[91:92], v[57:58], v[63:64], v[91:92]
	v_fma_f64 v[55:56], v[55:56], v[67:68], -v[93:94]
	v_fma_f64 v[57:58], v[57:58], v[67:68], v[95:96]
	;; [unrolled: 2-line block ×4, first 2 shown]
	v_mul_f64_e32 v[95:96], v[21:22], v[33:34]
	v_add_f64_e32 v[65:66], v[83:84], v[97:98]
	v_add_f64_e32 v[67:68], v[101:102], v[85:86]
	;; [unrolled: 1-line block ×8, first 2 shown]
	v_mul_f64_e32 v[85:86], v[21:22], v[29:30]
	v_mul_f64_e32 v[87:88], v[19:20], v[29:30]
	;; [unrolled: 1-line block ×7, first 2 shown]
	v_fma_f64 v[81:82], v[1:2], v[45:46], -v[81:82]
	v_fma_f64 v[103:104], v[3:4], v[45:46], v[107:108]
	v_fma_f64 v[1:2], v[1:2], v[49:50], -v[109:110]
	v_fma_f64 v[3:4], v[3:4], v[49:50], v[111:112]
	;; [unrolled: 2-line block ×4, first 2 shown]
	v_add_f64_e32 v[51:52], v[65:66], v[89:90]
	v_add_f64_e32 v[65:66], v[91:92], v[67:68]
	;; [unrolled: 1-line block ×8, first 2 shown]
	v_fma_f64 v[61:62], v[19:20], v[27:28], -v[85:86]
	v_fma_f64 v[69:70], v[21:22], v[27:28], v[87:88]
	v_fma_f64 v[19:20], v[19:20], v[31:32], -v[95:96]
	v_fma_f64 v[21:22], v[21:22], v[31:32], v[97:98]
	;; [unrolled: 2-line block ×4, first 2 shown]
	v_add_f64_e32 v[23:24], v[51:52], v[81:82]
	v_add_f64_e32 v[25:26], v[103:104], v[65:66]
	;; [unrolled: 1-line block ×16, first 2 shown]
	s_cbranch_scc0 .LBB418_18
.LBB418_10:                             ;   Parent Loop BB418_7 Depth=1
                                        ; =>  This Inner Loop Header: Depth=2
	s_wait_alu 0xfffe
	v_add_nc_u32_e32 v1, s4, v38
	s_delay_alu instid0(VALU_DEP_1) | instskip(SKIP_3) | instid1(SALU_CYCLE_1)
	v_cmp_le_i32_e32 vcc_lo, s25, v1
	s_or_b32 s5, s17, vcc_lo
	s_wait_alu 0xfffe
	s_and_saveexec_b32 s28, s5
	s_xor_b32 s5, exec_lo, s28
; %bb.11:                               ;   in Loop: Header=BB418_10 Depth=2
	v_dual_mov_b32 v1, v0 :: v_dual_mov_b32 v2, v0
	v_mov_b32_e32 v3, v0
	ds_store_b128 v39, v[0:3]
; %bb.12:                               ;   in Loop: Header=BB418_10 Depth=2
	s_wait_alu 0xfffe
	s_and_not1_saveexec_b32 s5, s5
	s_cbranch_execz .LBB418_14
; %bb.13:                               ;   in Loop: Header=BB418_10 Depth=2
	flat_load_b128 v[1:4], v[15:16]
	s_wait_loadcnt_dscnt 0x0
	ds_store_2addr_b64 v39, v[1:2], v[3:4] offset1:1
.LBB418_14:                             ;   in Loop: Header=BB418_10 Depth=2
	s_wait_alu 0xfffe
	s_or_b32 exec_lo, exec_lo, s5
	v_add_nc_u32_e32 v1, s4, v35
	s_delay_alu instid0(VALU_DEP_1) | instskip(SKIP_3) | instid1(SALU_CYCLE_1)
	v_cmp_le_i32_e32 vcc_lo, s25, v1
	s_or_b32 s5, vcc_lo, s34
	s_wait_alu 0xfffe
	s_and_saveexec_b32 s28, s5
	s_xor_b32 s5, exec_lo, s28
; %bb.15:                               ;   in Loop: Header=BB418_10 Depth=2
	v_dual_mov_b32 v1, v0 :: v_dual_mov_b32 v2, v0
	v_mov_b32_e32 v3, v0
	ds_store_b128 v40, v[0:3]
; %bb.16:                               ;   in Loop: Header=BB418_10 Depth=2
	s_wait_alu 0xfffe
	s_and_not1_saveexec_b32 s5, s5
	s_cbranch_execz .LBB418_9
; %bb.17:                               ;   in Loop: Header=BB418_10 Depth=2
	flat_load_b128 v[1:4], v[17:18]
	s_wait_loadcnt_dscnt 0x0
	ds_store_2addr_b64 v40, v[1:2], v[3:4] offset1:1
	s_branch .LBB418_9
.LBB418_18:                             ;   in Loop: Header=BB418_7 Depth=1
	s_wait_loadcnt 0x0
	v_add_co_u32 v13, vcc_lo, v13, s2
	s_wait_alu 0xfffd
	v_add_co_ci_u32_e64 v14, null, s3, v14, vcc_lo
	s_delay_alu instid0(VALU_DEP_2) | instskip(SKIP_1) | instid1(VALU_DEP_2)
	v_add_co_u32 v15, vcc_lo, v13, v9
	s_wait_alu 0xfffd
	v_add_co_ci_u32_e64 v16, null, v14, v10, vcc_lo
	s_and_saveexec_b32 s4, s31
	s_cbranch_execz .LBB418_23
; %bb.19:                               ;   in Loop: Header=BB418_7 Depth=1
	v_mul_f64_e32 v[1:2], s[14:15], v[33:34]
	v_mul_f64_e32 v[3:4], s[12:13], v[33:34]
	s_and_b32 vcc_lo, exec_lo, s30
	s_mov_b32 s5, -1
	s_delay_alu instid0(VALU_DEP_2) | instskip(NEXT) | instid1(VALU_DEP_2)
	v_fma_f64 v[1:2], s[12:13], v[31:32], -v[1:2]
	v_fma_f64 v[3:4], s[14:15], v[31:32], v[3:4]
	s_wait_alu 0xfffe
	s_cbranch_vccz .LBB418_21
; %bb.20:                               ;   in Loop: Header=BB418_7 Depth=1
	v_lshlrev_b64_e32 v[17:18], 4, v[5:6]
	s_mov_b32 s5, 0
	s_delay_alu instid0(VALU_DEP_1) | instskip(SKIP_1) | instid1(VALU_DEP_2)
	v_add_co_u32 v17, vcc_lo, v15, v17
	s_wait_alu 0xfffd
	v_add_co_ci_u32_e64 v18, null, v16, v18, vcc_lo
	flat_load_b128 v[31:34], v[17:18]
	s_wait_loadcnt_dscnt 0x0
	v_mul_f64_e32 v[45:46], s[8:9], v[33:34]
	v_mul_f64_e32 v[33:34], s[6:7], v[33:34]
	s_delay_alu instid0(VALU_DEP_2) | instskip(NEXT) | instid1(VALU_DEP_2)
	v_fma_f64 v[45:46], s[6:7], v[31:32], -v[45:46]
	v_fma_f64 v[33:34], s[8:9], v[31:32], v[33:34]
	s_delay_alu instid0(VALU_DEP_2) | instskip(NEXT) | instid1(VALU_DEP_2)
	v_add_f64_e32 v[31:32], v[1:2], v[45:46]
	v_add_f64_e32 v[33:34], v[3:4], v[33:34]
	flat_store_b128 v[17:18], v[31:34]
.LBB418_21:                             ;   in Loop: Header=BB418_7 Depth=1
	s_wait_alu 0xfffe
	s_and_not1_b32 vcc_lo, exec_lo, s5
	s_wait_alu 0xfffe
	s_cbranch_vccnz .LBB418_23
; %bb.22:                               ;   in Loop: Header=BB418_7 Depth=1
	v_lshlrev_b64_e32 v[17:18], 4, v[5:6]
	s_delay_alu instid0(VALU_DEP_1) | instskip(SKIP_1) | instid1(VALU_DEP_2)
	v_add_co_u32 v17, vcc_lo, v15, v17
	s_wait_alu 0xfffd
	v_add_co_ci_u32_e64 v18, null, v16, v18, vcc_lo
	flat_store_b128 v[17:18], v[1:4]
.LBB418_23:                             ;   in Loop: Header=BB418_7 Depth=1
	s_wait_alu 0xfffe
	s_or_b32 exec_lo, exec_lo, s4
	s_and_saveexec_b32 s4, s33
	s_cbranch_execz .LBB418_28
; %bb.24:                               ;   in Loop: Header=BB418_7 Depth=1
	v_mul_f64_e32 v[1:2], s[14:15], v[29:30]
	v_mul_f64_e32 v[3:4], s[12:13], v[29:30]
	s_and_not1_b32 vcc_lo, exec_lo, s30
	s_mov_b32 s5, -1
	s_delay_alu instid0(VALU_DEP_2) | instskip(NEXT) | instid1(VALU_DEP_2)
	v_fma_f64 v[1:2], s[12:13], v[27:28], -v[1:2]
	v_fma_f64 v[3:4], s[14:15], v[27:28], v[3:4]
	s_wait_alu 0xfffe
	s_cbranch_vccnz .LBB418_26
; %bb.25:                               ;   in Loop: Header=BB418_7 Depth=1
	v_lshlrev_b64_e32 v[17:18], 4, v[7:8]
	s_mov_b32 s5, 0
	s_delay_alu instid0(VALU_DEP_1) | instskip(SKIP_1) | instid1(VALU_DEP_2)
	v_add_co_u32 v17, vcc_lo, v15, v17
	s_wait_alu 0xfffd
	v_add_co_ci_u32_e64 v18, null, v16, v18, vcc_lo
	flat_load_b128 v[27:30], v[17:18]
	s_wait_loadcnt_dscnt 0x0
	v_mul_f64_e32 v[31:32], s[8:9], v[29:30]
	v_mul_f64_e32 v[29:30], s[6:7], v[29:30]
	s_delay_alu instid0(VALU_DEP_2) | instskip(NEXT) | instid1(VALU_DEP_2)
	v_fma_f64 v[31:32], s[6:7], v[27:28], -v[31:32]
	v_fma_f64 v[29:30], s[8:9], v[27:28], v[29:30]
	s_delay_alu instid0(VALU_DEP_2) | instskip(NEXT) | instid1(VALU_DEP_2)
	v_add_f64_e32 v[27:28], v[1:2], v[31:32]
	v_add_f64_e32 v[29:30], v[3:4], v[29:30]
	flat_store_b128 v[17:18], v[27:30]
.LBB418_26:                             ;   in Loop: Header=BB418_7 Depth=1
	s_wait_alu 0xfffe
	s_and_not1_b32 vcc_lo, exec_lo, s5
	s_wait_alu 0xfffe
	s_cbranch_vccnz .LBB418_28
; %bb.27:                               ;   in Loop: Header=BB418_7 Depth=1
	v_lshlrev_b64_e32 v[17:18], 4, v[7:8]
	s_delay_alu instid0(VALU_DEP_1) | instskip(SKIP_1) | instid1(VALU_DEP_2)
	v_add_co_u32 v15, vcc_lo, v15, v17
	s_wait_alu 0xfffd
	v_add_co_ci_u32_e64 v16, null, v16, v18, vcc_lo
	flat_store_b128 v[15:16], v[1:4]
.LBB418_28:                             ;   in Loop: Header=BB418_7 Depth=1
	s_wait_alu 0xfffe
	s_or_b32 exec_lo, exec_lo, s4
	v_add_co_u32 v15, vcc_lo, v13, v11
	s_wait_alu 0xfffd
	v_add_co_ci_u32_e64 v16, null, v14, v12, vcc_lo
	s_and_saveexec_b32 s4, s22
	s_cbranch_execz .LBB418_33
; %bb.29:                               ;   in Loop: Header=BB418_7 Depth=1
	v_mul_f64_e32 v[1:2], s[14:15], v[25:26]
	v_mul_f64_e32 v[3:4], s[12:13], v[25:26]
	v_lshlrev_b64_e32 v[13:14], 4, v[5:6]
	s_and_not1_b32 vcc_lo, exec_lo, s30
	s_mov_b32 s5, -1
	s_delay_alu instid0(VALU_DEP_3) | instskip(NEXT) | instid1(VALU_DEP_3)
	v_fma_f64 v[1:2], s[12:13], v[23:24], -v[1:2]
	v_fma_f64 v[3:4], s[14:15], v[23:24], v[3:4]
	s_wait_alu 0xfffe
	s_cbranch_vccnz .LBB418_31
; %bb.30:                               ;   in Loop: Header=BB418_7 Depth=1
	v_add_co_u32 v17, vcc_lo, v15, v13
	s_wait_alu 0xfffd
	v_add_co_ci_u32_e64 v18, null, v16, v14, vcc_lo
	s_mov_b32 s5, 0
	flat_load_b128 v[23:26], v[17:18]
	s_wait_loadcnt_dscnt 0x0
	v_mul_f64_e32 v[27:28], s[8:9], v[25:26]
	v_mul_f64_e32 v[25:26], s[6:7], v[25:26]
	s_delay_alu instid0(VALU_DEP_2) | instskip(NEXT) | instid1(VALU_DEP_2)
	v_fma_f64 v[27:28], s[6:7], v[23:24], -v[27:28]
	v_fma_f64 v[25:26], s[8:9], v[23:24], v[25:26]
	s_delay_alu instid0(VALU_DEP_2) | instskip(NEXT) | instid1(VALU_DEP_2)
	v_add_f64_e32 v[23:24], v[1:2], v[27:28]
	v_add_f64_e32 v[25:26], v[3:4], v[25:26]
	flat_store_b128 v[17:18], v[23:26]
.LBB418_31:                             ;   in Loop: Header=BB418_7 Depth=1
	s_wait_alu 0xfffe
	s_and_not1_b32 vcc_lo, exec_lo, s5
	s_wait_alu 0xfffe
	s_cbranch_vccnz .LBB418_33
; %bb.32:                               ;   in Loop: Header=BB418_7 Depth=1
	v_add_co_u32 v13, vcc_lo, v15, v13
	s_wait_alu 0xfffd
	v_add_co_ci_u32_e64 v14, null, v16, v14, vcc_lo
	flat_store_b128 v[13:14], v[1:4]
.LBB418_33:                             ;   in Loop: Header=BB418_7 Depth=1
	s_wait_alu 0xfffe
	s_or_b32 exec_lo, exec_lo, s4
	s_and_saveexec_b32 s4, s24
	s_cbranch_execz .LBB418_6
; %bb.34:                               ;   in Loop: Header=BB418_7 Depth=1
	v_mul_f64_e32 v[1:2], s[14:15], v[19:20]
	v_mul_f64_e32 v[3:4], s[12:13], v[19:20]
	v_lshlrev_b64_e32 v[13:14], 4, v[7:8]
	s_and_not1_b32 vcc_lo, exec_lo, s30
	s_mov_b32 s5, -1
	s_delay_alu instid0(VALU_DEP_3) | instskip(NEXT) | instid1(VALU_DEP_3)
	v_fma_f64 v[1:2], s[12:13], v[21:22], -v[1:2]
	v_fma_f64 v[3:4], s[14:15], v[21:22], v[3:4]
	s_wait_alu 0xfffe
	s_cbranch_vccnz .LBB418_36
; %bb.35:                               ;   in Loop: Header=BB418_7 Depth=1
	v_add_co_u32 v21, vcc_lo, v15, v13
	s_wait_alu 0xfffd
	v_add_co_ci_u32_e64 v22, null, v16, v14, vcc_lo
	s_mov_b32 s5, 0
	flat_load_b128 v[17:20], v[21:22]
	s_wait_loadcnt_dscnt 0x0
	v_mul_f64_e32 v[23:24], s[8:9], v[19:20]
	v_mul_f64_e32 v[19:20], s[6:7], v[19:20]
	s_delay_alu instid0(VALU_DEP_2) | instskip(NEXT) | instid1(VALU_DEP_2)
	v_fma_f64 v[23:24], s[6:7], v[17:18], -v[23:24]
	v_fma_f64 v[19:20], s[8:9], v[17:18], v[19:20]
	s_delay_alu instid0(VALU_DEP_2) | instskip(NEXT) | instid1(VALU_DEP_2)
	v_add_f64_e32 v[17:18], v[1:2], v[23:24]
	v_add_f64_e32 v[19:20], v[3:4], v[19:20]
	flat_store_b128 v[21:22], v[17:20]
.LBB418_36:                             ;   in Loop: Header=BB418_7 Depth=1
	s_wait_alu 0xfffe
	s_and_not1_b32 vcc_lo, exec_lo, s5
	s_wait_alu 0xfffe
	s_cbranch_vccnz .LBB418_6
; %bb.37:                               ;   in Loop: Header=BB418_7 Depth=1
	v_add_co_u32 v13, vcc_lo, v15, v13
	s_wait_alu 0xfffd
	v_add_co_ci_u32_e64 v14, null, v16, v14, vcc_lo
	flat_store_b128 v[13:14], v[1:4]
	s_branch .LBB418_6
.LBB418_38:
.LBB418_39:
	s_nop 0
	s_sendmsg sendmsg(MSG_DEALLOC_VGPRS)
	s_endpgm
	.section	.rodata,"a",@progbits
	.p2align	6, 0x0
	.amdhsa_kernel _ZL29rocblas_internal_gemmt_kernelIiLi16ELi32ELi8ELc84ELc84ELc85ELb0ELb0E19rocblas_complex_numIdES1_PKPKS1_PKPS1_EviT_T9_T10_S9_lSB_S9_lSA_T11_S9_li
		.amdhsa_group_segment_fixed_size 8192
		.amdhsa_private_segment_fixed_size 0
		.amdhsa_kernarg_size 116
		.amdhsa_user_sgpr_count 2
		.amdhsa_user_sgpr_dispatch_ptr 0
		.amdhsa_user_sgpr_queue_ptr 0
		.amdhsa_user_sgpr_kernarg_segment_ptr 1
		.amdhsa_user_sgpr_dispatch_id 0
		.amdhsa_user_sgpr_private_segment_size 0
		.amdhsa_wavefront_size32 1
		.amdhsa_uses_dynamic_stack 0
		.amdhsa_enable_private_segment 0
		.amdhsa_system_sgpr_workgroup_id_x 1
		.amdhsa_system_sgpr_workgroup_id_y 1
		.amdhsa_system_sgpr_workgroup_id_z 1
		.amdhsa_system_sgpr_workgroup_info 0
		.amdhsa_system_vgpr_workitem_id 1
		.amdhsa_next_free_vgpr 133
		.amdhsa_next_free_sgpr 40
		.amdhsa_reserve_vcc 1
		.amdhsa_float_round_mode_32 0
		.amdhsa_float_round_mode_16_64 0
		.amdhsa_float_denorm_mode_32 3
		.amdhsa_float_denorm_mode_16_64 3
		.amdhsa_fp16_overflow 0
		.amdhsa_workgroup_processor_mode 1
		.amdhsa_memory_ordered 1
		.amdhsa_forward_progress 1
		.amdhsa_inst_pref_size 27
		.amdhsa_round_robin_scheduling 0
		.amdhsa_exception_fp_ieee_invalid_op 0
		.amdhsa_exception_fp_denorm_src 0
		.amdhsa_exception_fp_ieee_div_zero 0
		.amdhsa_exception_fp_ieee_overflow 0
		.amdhsa_exception_fp_ieee_underflow 0
		.amdhsa_exception_fp_ieee_inexact 0
		.amdhsa_exception_int_div_zero 0
	.end_amdhsa_kernel
	.section	.text._ZL29rocblas_internal_gemmt_kernelIiLi16ELi32ELi8ELc84ELc84ELc85ELb0ELb0E19rocblas_complex_numIdES1_PKPKS1_PKPS1_EviT_T9_T10_S9_lSB_S9_lSA_T11_S9_li,"axG",@progbits,_ZL29rocblas_internal_gemmt_kernelIiLi16ELi32ELi8ELc84ELc84ELc85ELb0ELb0E19rocblas_complex_numIdES1_PKPKS1_PKPS1_EviT_T9_T10_S9_lSB_S9_lSA_T11_S9_li,comdat
.Lfunc_end418:
	.size	_ZL29rocblas_internal_gemmt_kernelIiLi16ELi32ELi8ELc84ELc84ELc85ELb0ELb0E19rocblas_complex_numIdES1_PKPKS1_PKPS1_EviT_T9_T10_S9_lSB_S9_lSA_T11_S9_li, .Lfunc_end418-_ZL29rocblas_internal_gemmt_kernelIiLi16ELi32ELi8ELc84ELc84ELc85ELb0ELb0E19rocblas_complex_numIdES1_PKPKS1_PKPS1_EviT_T9_T10_S9_lSB_S9_lSA_T11_S9_li
                                        ; -- End function
	.set _ZL29rocblas_internal_gemmt_kernelIiLi16ELi32ELi8ELc84ELc84ELc85ELb0ELb0E19rocblas_complex_numIdES1_PKPKS1_PKPS1_EviT_T9_T10_S9_lSB_S9_lSA_T11_S9_li.num_vgpr, 133
	.set _ZL29rocblas_internal_gemmt_kernelIiLi16ELi32ELi8ELc84ELc84ELc85ELb0ELb0E19rocblas_complex_numIdES1_PKPKS1_PKPS1_EviT_T9_T10_S9_lSB_S9_lSA_T11_S9_li.num_agpr, 0
	.set _ZL29rocblas_internal_gemmt_kernelIiLi16ELi32ELi8ELc84ELc84ELc85ELb0ELb0E19rocblas_complex_numIdES1_PKPKS1_PKPS1_EviT_T9_T10_S9_lSB_S9_lSA_T11_S9_li.numbered_sgpr, 40
	.set _ZL29rocblas_internal_gemmt_kernelIiLi16ELi32ELi8ELc84ELc84ELc85ELb0ELb0E19rocblas_complex_numIdES1_PKPKS1_PKPS1_EviT_T9_T10_S9_lSB_S9_lSA_T11_S9_li.num_named_barrier, 0
	.set _ZL29rocblas_internal_gemmt_kernelIiLi16ELi32ELi8ELc84ELc84ELc85ELb0ELb0E19rocblas_complex_numIdES1_PKPKS1_PKPS1_EviT_T9_T10_S9_lSB_S9_lSA_T11_S9_li.private_seg_size, 0
	.set _ZL29rocblas_internal_gemmt_kernelIiLi16ELi32ELi8ELc84ELc84ELc85ELb0ELb0E19rocblas_complex_numIdES1_PKPKS1_PKPS1_EviT_T9_T10_S9_lSB_S9_lSA_T11_S9_li.uses_vcc, 1
	.set _ZL29rocblas_internal_gemmt_kernelIiLi16ELi32ELi8ELc84ELc84ELc85ELb0ELb0E19rocblas_complex_numIdES1_PKPKS1_PKPS1_EviT_T9_T10_S9_lSB_S9_lSA_T11_S9_li.uses_flat_scratch, 0
	.set _ZL29rocblas_internal_gemmt_kernelIiLi16ELi32ELi8ELc84ELc84ELc85ELb0ELb0E19rocblas_complex_numIdES1_PKPKS1_PKPS1_EviT_T9_T10_S9_lSB_S9_lSA_T11_S9_li.has_dyn_sized_stack, 0
	.set _ZL29rocblas_internal_gemmt_kernelIiLi16ELi32ELi8ELc84ELc84ELc85ELb0ELb0E19rocblas_complex_numIdES1_PKPKS1_PKPS1_EviT_T9_T10_S9_lSB_S9_lSA_T11_S9_li.has_recursion, 0
	.set _ZL29rocblas_internal_gemmt_kernelIiLi16ELi32ELi8ELc84ELc84ELc85ELb0ELb0E19rocblas_complex_numIdES1_PKPKS1_PKPS1_EviT_T9_T10_S9_lSB_S9_lSA_T11_S9_li.has_indirect_call, 0
	.section	.AMDGPU.csdata,"",@progbits
; Kernel info:
; codeLenInByte = 3456
; TotalNumSgprs: 42
; NumVgprs: 133
; ScratchSize: 0
; MemoryBound: 0
; FloatMode: 240
; IeeeMode: 1
; LDSByteSize: 8192 bytes/workgroup (compile time only)
; SGPRBlocks: 0
; VGPRBlocks: 16
; NumSGPRsForWavesPerEU: 42
; NumVGPRsForWavesPerEU: 133
; Occupancy: 10
; WaveLimiterHint : 1
; COMPUTE_PGM_RSRC2:SCRATCH_EN: 0
; COMPUTE_PGM_RSRC2:USER_SGPR: 2
; COMPUTE_PGM_RSRC2:TRAP_HANDLER: 0
; COMPUTE_PGM_RSRC2:TGID_X_EN: 1
; COMPUTE_PGM_RSRC2:TGID_Y_EN: 1
; COMPUTE_PGM_RSRC2:TGID_Z_EN: 1
; COMPUTE_PGM_RSRC2:TIDIG_COMP_CNT: 1
	.section	.text._ZL29rocblas_internal_gemmt_kernelIiLi16ELi32ELi8ELc84ELc67ELc85ELb0ELb1E19rocblas_complex_numIdES1_PKPKS1_PKPS1_EviT_T9_T10_S9_lSB_S9_lSA_T11_S9_li,"axG",@progbits,_ZL29rocblas_internal_gemmt_kernelIiLi16ELi32ELi8ELc84ELc67ELc85ELb0ELb1E19rocblas_complex_numIdES1_PKPKS1_PKPS1_EviT_T9_T10_S9_lSB_S9_lSA_T11_S9_li,comdat
	.globl	_ZL29rocblas_internal_gemmt_kernelIiLi16ELi32ELi8ELc84ELc67ELc85ELb0ELb1E19rocblas_complex_numIdES1_PKPKS1_PKPS1_EviT_T9_T10_S9_lSB_S9_lSA_T11_S9_li ; -- Begin function _ZL29rocblas_internal_gemmt_kernelIiLi16ELi32ELi8ELc84ELc67ELc85ELb0ELb1E19rocblas_complex_numIdES1_PKPKS1_PKPS1_EviT_T9_T10_S9_lSB_S9_lSA_T11_S9_li
	.p2align	8
	.type	_ZL29rocblas_internal_gemmt_kernelIiLi16ELi32ELi8ELc84ELc67ELc85ELb0ELb1E19rocblas_complex_numIdES1_PKPKS1_PKPS1_EviT_T9_T10_S9_lSB_S9_lSA_T11_S9_li,@function
_ZL29rocblas_internal_gemmt_kernelIiLi16ELi32ELi8ELc84ELc67ELc85ELb0ELb1E19rocblas_complex_numIdES1_PKPKS1_PKPS1_EviT_T9_T10_S9_lSB_S9_lSA_T11_S9_li: ; @_ZL29rocblas_internal_gemmt_kernelIiLi16ELi32ELi8ELc84ELc67ELc85ELb0ELb1E19rocblas_complex_numIdES1_PKPKS1_PKPS1_EviT_T9_T10_S9_lSB_S9_lSA_T11_S9_li
; %bb.0:
	s_clause 0x2
	s_load_b256 s[4:11], s[0:1], 0x40
	s_load_b64 s[24:25], s[0:1], 0x0
	s_load_b128 s[12:15], s[0:1], 0x8
	s_wait_kmcnt 0x0
	v_cmp_eq_f64_e64 s2, s[6:7], 1.0
	v_cmp_eq_f64_e64 s33, s[8:9], 0
	s_and_b32 s2, s2, s33
	s_delay_alu instid0(SALU_CYCLE_1)
	s_and_not1_b32 vcc_lo, exec_lo, s2
	s_mov_b32 s2, -1
	s_cbranch_vccnz .LBB419_3
; %bb.1:
	s_cmp_lg_u32 s25, 0
	s_cbranch_scc0 .LBB419_36
; %bb.2:
	v_cmp_neq_f64_e64 s2, s[12:13], 0
	v_cmp_neq_f64_e64 s3, s[14:15], 0
	s_or_b32 s2, s2, s3
.LBB419_3:
	s_delay_alu instid0(SALU_CYCLE_1)
	s_and_b32 vcc_lo, exec_lo, s2
	s_cbranch_vccz .LBB419_37
; %bb.4:
	s_load_b32 s23, s[0:1], 0x70
	s_lshr_b32 s26, ttmp7, 16
	s_wait_kmcnt 0x0
	s_cmp_ge_u32 s26, s23
	s_cbranch_scc1 .LBB419_37
; %bb.5:
	v_cmp_neq_f64_e64 s34, s[12:13], 0
	v_cmp_neq_f64_e64 s35, s[14:15], 0
	v_and_b32_e32 v1, 0x3ff, v0
	v_bfe_u32 v2, v0, 10, 10
	s_clause 0x4
	s_load_b96 s[20:22], s[0:1], 0x18
	s_load_b128 s[16:19], s[0:1], 0x28
	s_load_b32 s28, s[0:1], 0x38
	s_load_b32 s37, s[0:1], 0x60
	s_load_b64 s[30:31], s[0:1], 0x68
	v_and_b32_e32 v35, 7, v0
	s_lshl_b32 s0, ttmp9, 5
	v_lshlrev_b32_e32 v36, 4, v1
	v_lshl_add_u32 v0, v2, 4, v1
	v_add_nc_u32_e32 v5, s0, v1
	v_lshlrev_b32_e32 v3, 4, v35
	s_lshl_b32 s1, ttmp7, 5
	v_cmp_neq_f64_e64 s36, s[6:7], 0
	v_lshrrev_b32_e32 v38, 5, v0
	v_and_b32_e32 v1, 31, v0
	v_lshrrev_b32_e32 v0, 3, v0
	s_wait_alu 0xfffe
	s_and_b32 s2, s1, 0x1fffe0
	v_add_nc_u32_e32 v7, 16, v5
	v_add_nc_u32_e32 v4, s2, v2
	v_or_b32_e32 v9, s0, v1
	v_add_nc_u32_e32 v13, s2, v0
	v_lshlrev_b32_e32 v1, 4, v1
	v_lshl_or_b32 v0, v0, 7, v3
	v_lshl_add_u32 v37, v2, 7, 0x1000
	v_cmp_gt_i32_e32 vcc_lo, s24, v4
	v_cmp_le_i32_e64 s1, v5, v4
	v_cmp_le_i32_e64 s2, v7, v4
	v_lshl_or_b32 v39, v38, 9, v1
	v_add_nc_u32_e32 v40, 0x1000, v0
	s_wait_kmcnt 0x0
	v_mad_co_i64_i32 v[1:2], null, v4, s37, 0
	v_add_nc_u32_e32 v0, 16, v4
	v_mad_co_i64_i32 v[3:4], null, s22, v9, 0
	v_cmp_gt_i32_e64 s3, s24, v9
	v_mad_co_i64_i32 v[9:10], null, s28, v35, 0
	s_ashr_i32 s29, s28, 31
	v_cmp_gt_i32_e64 s0, s24, v13
	s_or_b32 s38, s34, s35
	s_cmp_gt_i32 s25, 0
	v_lshlrev_b64_e32 v[3:4], 4, v[3:4]
	s_cselect_b32 s39, -1, 0
	s_and_b32 s34, vcc_lo, s1
	s_and_b32 s35, vcc_lo, s2
	v_cmp_gt_i32_e32 vcc_lo, s24, v0
	v_cmp_le_i32_e64 s1, v5, v0
	v_cmp_le_i32_e64 s2, v7, v0
	v_lshlrev_b64_e32 v[9:10], 4, v[9:10]
	s_lshl_b64 s[16:17], s[16:17], 4
	s_lshl_b64 s[4:5], s[4:5], 4
	s_and_b32 s22, vcc_lo, s1
	s_and_b32 s24, vcc_lo, s2
	v_add_co_u32 v3, vcc_lo, v3, s16
	s_delay_alu instid0(VALU_DEP_1)
	v_add_co_ci_u32_e64 v4, null, s17, v4, vcc_lo
	v_add_co_u32 v9, vcc_lo, v9, s4
	v_lshlrev_b32_e32 v13, 4, v13
	v_mad_co_i64_i32 v[11:12], null, v0, s37, 0
	v_lshlrev_b32_e32 v14, 4, v38
	s_wait_alu 0xfffd
	v_add_co_ci_u32_e64 v10, null, s5, v10, vcc_lo
	v_add_co_u32 v9, vcc_lo, v9, v13
	s_delay_alu instid0(VALU_DEP_3) | instskip(SKIP_1) | instid1(VALU_DEP_3)
	v_add_co_u32 v41, s1, v3, v14
	s_wait_alu 0xfffd
	v_add_co_ci_u32_e64 v43, null, 0, v10, vcc_lo
	s_delay_alu instid0(VALU_DEP_3)
	v_or_b32_e32 v44, 8, v9
	v_lshlrev_b64_e32 v[9:10], 4, v[1:2]
	v_lshlrev_b64_e32 v[11:12], 4, v[11:12]
	v_ashrrev_i32_e32 v6, 31, v5
	v_ashrrev_i32_e32 v8, 31, v7
	v_mov_b32_e32 v0, 0
	s_wait_alu 0xf1ff
	v_add_co_ci_u32_e64 v42, null, 0, v4, s1
	s_xor_b32 s33, s33, -1
	s_mov_b32 s27, 0
	s_or_b32 s33, s36, s33
	s_and_b32 s1, s38, s39
	s_wait_alu 0xfffe
	s_lshl_b64 s[4:5], s[28:29], 7
	s_xor_b32 s28, s3, -1
	s_lshl_b64 s[2:3], s[30:31], 4
	s_branch .LBB419_7
.LBB419_6:                              ;   in Loop: Header=BB419_7 Depth=1
	s_wait_alu 0xfffe
	s_or_b32 exec_lo, exec_lo, s16
	s_add_co_i32 s26, s26, 0x10000
	s_delay_alu instid0(SALU_CYCLE_1)
	s_cmp_lt_u32 s26, s23
	s_cbranch_scc0 .LBB419_37
.LBB419_7:                              ; =>This Loop Header: Depth=1
                                        ;     Child Loop BB419_10 Depth 2
	s_lshl_b64 s[16:17], s[26:27], 3
	v_mov_b32_e32 v31, 0
	s_wait_alu 0xfffe
	s_add_nc_u64 s[30:31], s[10:11], s[16:17]
	v_mov_b32_e32 v27, 0
	global_load_b64 v[13:14], v0, s[30:31]
	v_mov_b32_e32 v23, 0
	v_dual_mov_b32 v21, 0 :: v_dual_mov_b32 v32, 0
	v_dual_mov_b32 v33, 0 :: v_dual_mov_b32 v28, 0
	;; [unrolled: 1-line block ×5, first 2 shown]
	v_mov_b32_e32 v30, 0
	v_mov_b32_e32 v26, 0
	;; [unrolled: 1-line block ×3, first 2 shown]
	s_and_not1_b32 vcc_lo, exec_lo, s1
	s_wait_alu 0xfffe
	s_cbranch_vccnz .LBB419_16
; %bb.8:                                ;   in Loop: Header=BB419_7 Depth=1
	s_add_nc_u64 s[30:31], s[20:21], s[16:17]
	s_add_nc_u64 s[16:17], s[18:19], s[16:17]
	s_clause 0x1
	global_load_b64 v[1:2], v0, s[30:31]
	global_load_b64 v[3:4], v0, s[16:17]
	v_mov_b32_e32 v19, 0
	v_mov_b32_e32 v25, 0
	;; [unrolled: 1-line block ×3, first 2 shown]
	v_dual_mov_b32 v33, 0 :: v_dual_mov_b32 v20, 0
	v_dual_mov_b32 v21, 0 :: v_dual_mov_b32 v26, 0
	;; [unrolled: 1-line block ×5, first 2 shown]
	v_mov_b32_e32 v24, 0
	v_mov_b32_e32 v28, 0
	;; [unrolled: 1-line block ×3, first 2 shown]
	s_mov_b32 s16, 0
	s_wait_loadcnt 0x1
	v_add_co_u32 v15, vcc_lo, v1, v41
	s_wait_alu 0xfffd
	v_add_co_ci_u32_e64 v16, null, v2, v42, vcc_lo
	s_wait_loadcnt 0x0
	v_add_co_u32 v17, vcc_lo, v3, v44
	s_wait_alu 0xfffd
	v_add_co_ci_u32_e64 v18, null, v4, v43, vcc_lo
	s_branch .LBB419_10
.LBB419_9:                              ;   in Loop: Header=BB419_10 Depth=2
	s_wait_alu 0xfffe
	s_or_b32 exec_lo, exec_lo, s17
	ds_store_b128 v40, v[1:4]
	s_wait_dscnt 0x0
	s_barrier_signal -1
	s_barrier_wait -1
	global_inv scope:SCOPE_SE
	ds_load_b128 v[1:4], v37
	ds_load_b128 v[45:48], v36
	ds_load_b128 v[49:52], v36 offset:256
	ds_load_b128 v[53:56], v37 offset:2048
	;; [unrolled: 1-line block ×10, first 2 shown]
	v_add_co_u32 v15, vcc_lo, 0x80, v15
	s_wait_alu 0xfffd
	v_add_co_ci_u32_e64 v16, null, 0, v16, vcc_lo
	v_add_co_u32 v17, vcc_lo, v17, s4
	s_wait_alu 0xfffd
	v_add_co_ci_u32_e64 v18, null, s5, v18, vcc_lo
	s_add_co_i32 s16, s16, 8
	s_wait_alu 0xfffe
	s_cmp_lt_i32 s16, s25
	s_wait_dscnt 0xa
	v_mul_f64_e32 v[89:90], v[3:4], v[47:48]
	v_mul_f64_e32 v[91:92], v[1:2], v[47:48]
	s_wait_dscnt 0x9
	v_mul_f64_e32 v[93:94], v[3:4], v[51:52]
	v_mul_f64_e32 v[95:96], v[1:2], v[51:52]
	;; [unrolled: 3-line block ×3, first 2 shown]
	v_mul_f64_e32 v[99:100], v[55:56], v[51:52]
	v_mul_f64_e32 v[51:52], v[53:54], v[51:52]
	s_wait_dscnt 0x5
	v_mul_f64_e32 v[101:102], v[59:60], v[67:68]
	v_mul_f64_e32 v[103:104], v[57:58], v[67:68]
	s_wait_dscnt 0x4
	v_mul_f64_e32 v[105:106], v[59:60], v[71:72]
	v_mul_f64_e32 v[107:108], v[57:58], v[71:72]
	;; [unrolled: 1-line block ×6, first 2 shown]
	s_wait_dscnt 0x2
	v_mul_f64_e32 v[117:118], v[75:76], v[79:80]
	v_mul_f64_e32 v[119:120], v[73:74], v[79:80]
	s_wait_dscnt 0x1
	v_mul_f64_e32 v[121:122], v[75:76], v[83:84]
	v_mul_f64_e32 v[123:124], v[73:74], v[83:84]
	;; [unrolled: 3-line block ×3, first 2 shown]
	v_mul_f64_e32 v[127:128], v[87:88], v[83:84]
	v_mul_f64_e32 v[83:84], v[85:86], v[83:84]
	v_fma_f64 v[89:90], v[1:2], v[45:46], -v[89:90]
	v_fma_f64 v[91:92], v[3:4], v[45:46], v[91:92]
	v_fma_f64 v[93:94], v[1:2], v[49:50], -v[93:94]
	v_fma_f64 v[95:96], v[3:4], v[49:50], v[95:96]
	v_fma_f64 v[97:98], v[53:54], v[45:46], -v[97:98]
	v_fma_f64 v[113:114], v[55:56], v[45:46], v[47:48]
	v_fma_f64 v[99:100], v[53:54], v[49:50], -v[99:100]
	v_fma_f64 v[115:116], v[55:56], v[49:50], v[51:52]
	v_fma_f64 v[101:102], v[57:58], v[65:66], -v[101:102]
	v_fma_f64 v[103:104], v[59:60], v[65:66], v[103:104]
	v_fma_f64 v[57:58], v[57:58], v[69:70], -v[105:106]
	v_fma_f64 v[59:60], v[59:60], v[69:70], v[107:108]
	v_fma_f64 v[105:106], v[61:62], v[65:66], -v[109:110]
	v_fma_f64 v[65:66], v[63:64], v[65:66], v[67:68]
	v_fma_f64 v[61:62], v[61:62], v[69:70], -v[111:112]
	v_fma_f64 v[63:64], v[63:64], v[69:70], v[71:72]
	ds_load_b128 v[1:4], v37 offset:48
	ds_load_b128 v[45:48], v37 offset:2096
	;; [unrolled: 1-line block ×4, first 2 shown]
	v_fma_f64 v[117:118], v[73:74], v[77:78], -v[117:118]
	v_fma_f64 v[119:120], v[75:76], v[77:78], v[119:120]
	v_fma_f64 v[73:74], v[73:74], v[81:82], -v[121:122]
	v_fma_f64 v[75:76], v[75:76], v[81:82], v[123:124]
	;; [unrolled: 2-line block ×4, first 2 shown]
	s_wait_dscnt 0x1
	v_mul_f64_e32 v[107:108], v[1:2], v[51:52]
	s_wait_dscnt 0x0
	v_mul_f64_e32 v[109:110], v[3:4], v[55:56]
	v_mul_f64_e32 v[111:112], v[1:2], v[55:56]
	v_add_f64_e32 v[67:68], v[31:32], v[89:90]
	v_add_f64_e32 v[69:70], v[91:92], v[33:34]
	;; [unrolled: 1-line block ×8, first 2 shown]
	v_mul_f64_e32 v[99:100], v[3:4], v[51:52]
	v_mul_f64_e32 v[113:114], v[47:48], v[51:52]
	;; [unrolled: 1-line block ×5, first 2 shown]
	ds_load_b128 v[19:22], v37 offset:64
	ds_load_b128 v[23:26], v36 offset:2048
	;; [unrolled: 1-line block ×4, first 2 shown]
	s_wait_dscnt 0x0
	v_mul_f64_e32 v[123:124], v[33:34], v[25:26]
	v_mul_f64_e32 v[125:126], v[33:34], v[29:30]
	v_fma_f64 v[107:108], v[3:4], v[49:50], v[107:108]
	v_fma_f64 v[109:110], v[1:2], v[53:54], -v[109:110]
	v_fma_f64 v[111:112], v[3:4], v[53:54], v[111:112]
	v_add_f64_e32 v[83:84], v[67:68], v[101:102]
	v_add_f64_e32 v[85:86], v[103:104], v[69:70]
	;; [unrolled: 1-line block ×8, first 2 shown]
	v_mul_f64_e32 v[97:98], v[21:22], v[25:26]
	v_mul_f64_e32 v[101:102], v[19:20], v[25:26]
	v_mul_f64_e32 v[103:104], v[21:22], v[29:30]
	v_mul_f64_e32 v[105:106], v[19:20], v[29:30]
	v_mul_f64_e32 v[25:26], v[31:32], v[25:26]
	v_mul_f64_e32 v[29:30], v[31:32], v[29:30]
	v_fma_f64 v[99:100], v[1:2], v[49:50], -v[99:100]
	v_fma_f64 v[113:114], v[45:46], v[49:50], -v[113:114]
	v_fma_f64 v[127:128], v[47:48], v[49:50], v[51:52]
	v_fma_f64 v[115:116], v[45:46], v[53:54], -v[115:116]
	v_fma_f64 v[53:54], v[47:48], v[53:54], v[129:130]
	ds_load_b128 v[55:58], v37 offset:80
	ds_load_b128 v[59:62], v37 offset:2128
	;; [unrolled: 1-line block ×4, first 2 shown]
	v_fma_f64 v[123:124], v[31:32], v[23:24], -v[123:124]
	v_fma_f64 v[125:126], v[31:32], v[27:28], -v[125:126]
	v_add_f64_e32 v[83:84], v[83:84], v[117:118]
	v_add_f64_e32 v[85:86], v[119:120], v[85:86]
	;; [unrolled: 1-line block ×8, first 2 shown]
	s_wait_dscnt 0x1
	v_mul_f64_e32 v[89:90], v[57:58], v[65:66]
	v_mul_f64_e32 v[91:92], v[55:56], v[65:66]
	s_wait_dscnt 0x0
	v_mul_f64_e32 v[93:94], v[57:58], v[69:70]
	v_mul_f64_e32 v[95:96], v[55:56], v[69:70]
	;; [unrolled: 1-line block ×6, first 2 shown]
	v_fma_f64 v[97:98], v[19:20], v[23:24], -v[97:98]
	v_fma_f64 v[101:102], v[21:22], v[23:24], v[101:102]
	v_fma_f64 v[103:104], v[19:20], v[27:28], -v[103:104]
	v_fma_f64 v[105:106], v[21:22], v[27:28], v[105:106]
	v_fma_f64 v[129:130], v[33:34], v[23:24], v[25:26]
	;; [unrolled: 1-line block ×3, first 2 shown]
	ds_load_b128 v[1:4], v37 offset:96
	ds_load_b128 v[45:48], v36 offset:3072
	;; [unrolled: 1-line block ×8, first 2 shown]
	s_wait_loadcnt_dscnt 0x0
	s_barrier_signal -1
	s_barrier_wait -1
	global_inv scope:SCOPE_SE
	v_add_f64_e32 v[83:84], v[83:84], v[99:100]
	v_add_f64_e32 v[85:86], v[107:108], v[85:86]
	;; [unrolled: 1-line block ×8, first 2 shown]
	v_mul_f64_e32 v[81:82], v[3:4], v[47:48]
	v_mul_f64_e32 v[107:108], v[1:2], v[47:48]
	;; [unrolled: 1-line block ×8, first 2 shown]
	v_fma_f64 v[89:90], v[55:56], v[63:64], -v[89:90]
	v_fma_f64 v[91:92], v[57:58], v[63:64], v[91:92]
	v_fma_f64 v[55:56], v[55:56], v[67:68], -v[93:94]
	v_fma_f64 v[57:58], v[57:58], v[67:68], v[95:96]
	;; [unrolled: 2-line block ×4, first 2 shown]
	v_mul_f64_e32 v[95:96], v[21:22], v[33:34]
	v_add_f64_e32 v[65:66], v[83:84], v[97:98]
	v_add_f64_e32 v[67:68], v[101:102], v[85:86]
	;; [unrolled: 1-line block ×8, first 2 shown]
	v_mul_f64_e32 v[85:86], v[21:22], v[29:30]
	v_mul_f64_e32 v[87:88], v[19:20], v[29:30]
	;; [unrolled: 1-line block ×7, first 2 shown]
	v_fma_f64 v[81:82], v[1:2], v[45:46], -v[81:82]
	v_fma_f64 v[103:104], v[3:4], v[45:46], v[107:108]
	v_fma_f64 v[1:2], v[1:2], v[49:50], -v[109:110]
	v_fma_f64 v[3:4], v[3:4], v[49:50], v[111:112]
	;; [unrolled: 2-line block ×4, first 2 shown]
	v_add_f64_e32 v[51:52], v[65:66], v[89:90]
	v_add_f64_e32 v[65:66], v[91:92], v[67:68]
	;; [unrolled: 1-line block ×8, first 2 shown]
	v_fma_f64 v[61:62], v[19:20], v[27:28], -v[85:86]
	v_fma_f64 v[69:70], v[21:22], v[27:28], v[87:88]
	v_fma_f64 v[19:20], v[19:20], v[31:32], -v[95:96]
	v_fma_f64 v[21:22], v[21:22], v[31:32], v[97:98]
	;; [unrolled: 2-line block ×4, first 2 shown]
	v_add_f64_e32 v[23:24], v[51:52], v[81:82]
	v_add_f64_e32 v[25:26], v[103:104], v[65:66]
	;; [unrolled: 1-line block ×16, first 2 shown]
	s_cbranch_scc0 .LBB419_16
.LBB419_10:                             ;   Parent Loop BB419_7 Depth=1
                                        ; =>  This Inner Loop Header: Depth=2
	s_wait_alu 0xfffe
	v_add_nc_u32_e32 v1, s16, v38
	s_delay_alu instid0(VALU_DEP_1)
	v_cmp_le_i32_e32 vcc_lo, s25, v1
	s_or_b32 s17, s28, vcc_lo
	s_wait_alu 0xfffe
	s_and_saveexec_b32 s29, s17
	s_wait_alu 0xfffe
	s_xor_b32 s17, exec_lo, s29
; %bb.11:                               ;   in Loop: Header=BB419_10 Depth=2
	v_dual_mov_b32 v1, v0 :: v_dual_mov_b32 v2, v0
	v_mov_b32_e32 v3, v0
	ds_store_b128 v39, v[0:3]
; %bb.12:                               ;   in Loop: Header=BB419_10 Depth=2
	s_wait_alu 0xfffe
	s_and_not1_saveexec_b32 s17, s17
	s_cbranch_execz .LBB419_14
; %bb.13:                               ;   in Loop: Header=BB419_10 Depth=2
	flat_load_b128 v[1:4], v[15:16]
	s_wait_loadcnt_dscnt 0x0
	ds_store_2addr_b64 v39, v[1:2], v[3:4] offset1:1
.LBB419_14:                             ;   in Loop: Header=BB419_10 Depth=2
	s_wait_alu 0xfffe
	s_or_b32 exec_lo, exec_lo, s17
	v_add_nc_u32_e32 v1, s16, v35
	v_mov_b32_e32 v3, 0
	v_mov_b32_e32 v4, 0
	s_delay_alu instid0(VALU_DEP_3)
	v_cmp_gt_i32_e32 vcc_lo, s25, v1
	v_mov_b32_e32 v1, 0
	v_mov_b32_e32 v2, 0
	s_and_b32 s29, vcc_lo, s0
	s_wait_alu 0xfffe
	s_and_saveexec_b32 s17, s29
	s_cbranch_execz .LBB419_9
; %bb.15:                               ;   in Loop: Header=BB419_10 Depth=2
	flat_load_b128 v[1:4], v[17:18] offset:-8
	s_wait_loadcnt_dscnt 0x0
	v_xor_b32_e32 v4, 0x80000000, v4
	s_branch .LBB419_9
.LBB419_16:                             ;   in Loop: Header=BB419_7 Depth=1
	s_wait_loadcnt 0x0
	v_add_co_u32 v13, vcc_lo, v13, s2
	s_wait_alu 0xfffd
	v_add_co_ci_u32_e64 v14, null, s3, v14, vcc_lo
	s_delay_alu instid0(VALU_DEP_2) | instskip(SKIP_1) | instid1(VALU_DEP_2)
	v_add_co_u32 v15, vcc_lo, v13, v9
	s_wait_alu 0xfffd
	v_add_co_ci_u32_e64 v16, null, v14, v10, vcc_lo
	s_and_saveexec_b32 s16, s34
	s_cbranch_execz .LBB419_21
; %bb.17:                               ;   in Loop: Header=BB419_7 Depth=1
	v_mul_f64_e32 v[1:2], s[14:15], v[33:34]
	v_mul_f64_e32 v[3:4], s[12:13], v[33:34]
	s_and_b32 vcc_lo, exec_lo, s33
	s_mov_b32 s17, -1
	s_delay_alu instid0(VALU_DEP_2) | instskip(NEXT) | instid1(VALU_DEP_2)
	v_fma_f64 v[1:2], s[12:13], v[31:32], -v[1:2]
	v_fma_f64 v[3:4], s[14:15], v[31:32], v[3:4]
	s_wait_alu 0xfffe
	s_cbranch_vccz .LBB419_19
; %bb.18:                               ;   in Loop: Header=BB419_7 Depth=1
	v_lshlrev_b64_e32 v[17:18], 4, v[5:6]
	s_mov_b32 s17, 0
	s_delay_alu instid0(VALU_DEP_1) | instskip(SKIP_1) | instid1(VALU_DEP_2)
	v_add_co_u32 v17, vcc_lo, v15, v17
	s_wait_alu 0xfffd
	v_add_co_ci_u32_e64 v18, null, v16, v18, vcc_lo
	flat_load_b128 v[31:34], v[17:18]
	s_wait_loadcnt_dscnt 0x0
	v_mul_f64_e32 v[45:46], s[8:9], v[33:34]
	v_mul_f64_e32 v[33:34], s[6:7], v[33:34]
	s_delay_alu instid0(VALU_DEP_2) | instskip(NEXT) | instid1(VALU_DEP_2)
	v_fma_f64 v[45:46], s[6:7], v[31:32], -v[45:46]
	v_fma_f64 v[33:34], s[8:9], v[31:32], v[33:34]
	s_delay_alu instid0(VALU_DEP_2) | instskip(NEXT) | instid1(VALU_DEP_2)
	v_add_f64_e32 v[31:32], v[1:2], v[45:46]
	v_add_f64_e32 v[33:34], v[3:4], v[33:34]
	flat_store_b128 v[17:18], v[31:34]
.LBB419_19:                             ;   in Loop: Header=BB419_7 Depth=1
	s_wait_alu 0xfffe
	s_and_not1_b32 vcc_lo, exec_lo, s17
	s_wait_alu 0xfffe
	s_cbranch_vccnz .LBB419_21
; %bb.20:                               ;   in Loop: Header=BB419_7 Depth=1
	v_lshlrev_b64_e32 v[17:18], 4, v[5:6]
	s_delay_alu instid0(VALU_DEP_1) | instskip(SKIP_1) | instid1(VALU_DEP_2)
	v_add_co_u32 v17, vcc_lo, v15, v17
	s_wait_alu 0xfffd
	v_add_co_ci_u32_e64 v18, null, v16, v18, vcc_lo
	flat_store_b128 v[17:18], v[1:4]
.LBB419_21:                             ;   in Loop: Header=BB419_7 Depth=1
	s_wait_alu 0xfffe
	s_or_b32 exec_lo, exec_lo, s16
	s_and_saveexec_b32 s16, s35
	s_cbranch_execz .LBB419_26
; %bb.22:                               ;   in Loop: Header=BB419_7 Depth=1
	v_mul_f64_e32 v[1:2], s[14:15], v[29:30]
	v_mul_f64_e32 v[3:4], s[12:13], v[29:30]
	s_and_not1_b32 vcc_lo, exec_lo, s33
	s_mov_b32 s17, -1
	s_delay_alu instid0(VALU_DEP_2) | instskip(NEXT) | instid1(VALU_DEP_2)
	v_fma_f64 v[1:2], s[12:13], v[27:28], -v[1:2]
	v_fma_f64 v[3:4], s[14:15], v[27:28], v[3:4]
	s_wait_alu 0xfffe
	s_cbranch_vccnz .LBB419_24
; %bb.23:                               ;   in Loop: Header=BB419_7 Depth=1
	v_lshlrev_b64_e32 v[17:18], 4, v[7:8]
	s_mov_b32 s17, 0
	s_delay_alu instid0(VALU_DEP_1) | instskip(SKIP_1) | instid1(VALU_DEP_2)
	v_add_co_u32 v17, vcc_lo, v15, v17
	s_wait_alu 0xfffd
	v_add_co_ci_u32_e64 v18, null, v16, v18, vcc_lo
	flat_load_b128 v[27:30], v[17:18]
	s_wait_loadcnt_dscnt 0x0
	v_mul_f64_e32 v[31:32], s[8:9], v[29:30]
	v_mul_f64_e32 v[29:30], s[6:7], v[29:30]
	s_delay_alu instid0(VALU_DEP_2) | instskip(NEXT) | instid1(VALU_DEP_2)
	v_fma_f64 v[31:32], s[6:7], v[27:28], -v[31:32]
	v_fma_f64 v[29:30], s[8:9], v[27:28], v[29:30]
	s_delay_alu instid0(VALU_DEP_2) | instskip(NEXT) | instid1(VALU_DEP_2)
	v_add_f64_e32 v[27:28], v[1:2], v[31:32]
	v_add_f64_e32 v[29:30], v[3:4], v[29:30]
	flat_store_b128 v[17:18], v[27:30]
.LBB419_24:                             ;   in Loop: Header=BB419_7 Depth=1
	s_wait_alu 0xfffe
	s_and_not1_b32 vcc_lo, exec_lo, s17
	s_wait_alu 0xfffe
	s_cbranch_vccnz .LBB419_26
; %bb.25:                               ;   in Loop: Header=BB419_7 Depth=1
	v_lshlrev_b64_e32 v[17:18], 4, v[7:8]
	s_delay_alu instid0(VALU_DEP_1) | instskip(SKIP_1) | instid1(VALU_DEP_2)
	v_add_co_u32 v15, vcc_lo, v15, v17
	s_wait_alu 0xfffd
	v_add_co_ci_u32_e64 v16, null, v16, v18, vcc_lo
	flat_store_b128 v[15:16], v[1:4]
.LBB419_26:                             ;   in Loop: Header=BB419_7 Depth=1
	s_wait_alu 0xfffe
	s_or_b32 exec_lo, exec_lo, s16
	v_add_co_u32 v15, vcc_lo, v13, v11
	s_wait_alu 0xfffd
	v_add_co_ci_u32_e64 v16, null, v14, v12, vcc_lo
	s_and_saveexec_b32 s16, s22
	s_cbranch_execz .LBB419_31
; %bb.27:                               ;   in Loop: Header=BB419_7 Depth=1
	v_mul_f64_e32 v[1:2], s[14:15], v[25:26]
	v_mul_f64_e32 v[3:4], s[12:13], v[25:26]
	v_lshlrev_b64_e32 v[13:14], 4, v[5:6]
	s_and_not1_b32 vcc_lo, exec_lo, s33
	s_mov_b32 s17, -1
	s_delay_alu instid0(VALU_DEP_3) | instskip(NEXT) | instid1(VALU_DEP_3)
	v_fma_f64 v[1:2], s[12:13], v[23:24], -v[1:2]
	v_fma_f64 v[3:4], s[14:15], v[23:24], v[3:4]
	s_wait_alu 0xfffe
	s_cbranch_vccnz .LBB419_29
; %bb.28:                               ;   in Loop: Header=BB419_7 Depth=1
	v_add_co_u32 v17, vcc_lo, v15, v13
	s_wait_alu 0xfffd
	v_add_co_ci_u32_e64 v18, null, v16, v14, vcc_lo
	s_mov_b32 s17, 0
	flat_load_b128 v[23:26], v[17:18]
	s_wait_loadcnt_dscnt 0x0
	v_mul_f64_e32 v[27:28], s[8:9], v[25:26]
	v_mul_f64_e32 v[25:26], s[6:7], v[25:26]
	s_delay_alu instid0(VALU_DEP_2) | instskip(NEXT) | instid1(VALU_DEP_2)
	v_fma_f64 v[27:28], s[6:7], v[23:24], -v[27:28]
	v_fma_f64 v[25:26], s[8:9], v[23:24], v[25:26]
	s_delay_alu instid0(VALU_DEP_2) | instskip(NEXT) | instid1(VALU_DEP_2)
	v_add_f64_e32 v[23:24], v[1:2], v[27:28]
	v_add_f64_e32 v[25:26], v[3:4], v[25:26]
	flat_store_b128 v[17:18], v[23:26]
.LBB419_29:                             ;   in Loop: Header=BB419_7 Depth=1
	s_wait_alu 0xfffe
	s_and_not1_b32 vcc_lo, exec_lo, s17
	s_wait_alu 0xfffe
	s_cbranch_vccnz .LBB419_31
; %bb.30:                               ;   in Loop: Header=BB419_7 Depth=1
	v_add_co_u32 v13, vcc_lo, v15, v13
	s_wait_alu 0xfffd
	v_add_co_ci_u32_e64 v14, null, v16, v14, vcc_lo
	flat_store_b128 v[13:14], v[1:4]
.LBB419_31:                             ;   in Loop: Header=BB419_7 Depth=1
	s_wait_alu 0xfffe
	s_or_b32 exec_lo, exec_lo, s16
	s_and_saveexec_b32 s16, s24
	s_cbranch_execz .LBB419_6
; %bb.32:                               ;   in Loop: Header=BB419_7 Depth=1
	v_mul_f64_e32 v[1:2], s[14:15], v[19:20]
	v_mul_f64_e32 v[3:4], s[12:13], v[19:20]
	v_lshlrev_b64_e32 v[13:14], 4, v[7:8]
	s_and_not1_b32 vcc_lo, exec_lo, s33
	s_mov_b32 s17, -1
	s_delay_alu instid0(VALU_DEP_3) | instskip(NEXT) | instid1(VALU_DEP_3)
	v_fma_f64 v[1:2], s[12:13], v[21:22], -v[1:2]
	v_fma_f64 v[3:4], s[14:15], v[21:22], v[3:4]
	s_wait_alu 0xfffe
	s_cbranch_vccnz .LBB419_34
; %bb.33:                               ;   in Loop: Header=BB419_7 Depth=1
	v_add_co_u32 v21, vcc_lo, v15, v13
	s_wait_alu 0xfffd
	v_add_co_ci_u32_e64 v22, null, v16, v14, vcc_lo
	s_mov_b32 s17, 0
	flat_load_b128 v[17:20], v[21:22]
	s_wait_loadcnt_dscnt 0x0
	v_mul_f64_e32 v[23:24], s[8:9], v[19:20]
	v_mul_f64_e32 v[19:20], s[6:7], v[19:20]
	s_delay_alu instid0(VALU_DEP_2) | instskip(NEXT) | instid1(VALU_DEP_2)
	v_fma_f64 v[23:24], s[6:7], v[17:18], -v[23:24]
	v_fma_f64 v[19:20], s[8:9], v[17:18], v[19:20]
	s_delay_alu instid0(VALU_DEP_2) | instskip(NEXT) | instid1(VALU_DEP_2)
	v_add_f64_e32 v[17:18], v[1:2], v[23:24]
	v_add_f64_e32 v[19:20], v[3:4], v[19:20]
	flat_store_b128 v[21:22], v[17:20]
.LBB419_34:                             ;   in Loop: Header=BB419_7 Depth=1
	s_wait_alu 0xfffe
	s_and_not1_b32 vcc_lo, exec_lo, s17
	s_wait_alu 0xfffe
	s_cbranch_vccnz .LBB419_6
; %bb.35:                               ;   in Loop: Header=BB419_7 Depth=1
	v_add_co_u32 v13, vcc_lo, v15, v13
	s_wait_alu 0xfffd
	v_add_co_ci_u32_e64 v14, null, v16, v14, vcc_lo
	flat_store_b128 v[13:14], v[1:4]
	s_branch .LBB419_6
.LBB419_36:
.LBB419_37:
	s_nop 0
	s_sendmsg sendmsg(MSG_DEALLOC_VGPRS)
	s_endpgm
	.section	.rodata,"a",@progbits
	.p2align	6, 0x0
	.amdhsa_kernel _ZL29rocblas_internal_gemmt_kernelIiLi16ELi32ELi8ELc84ELc67ELc85ELb0ELb1E19rocblas_complex_numIdES1_PKPKS1_PKPS1_EviT_T9_T10_S9_lSB_S9_lSA_T11_S9_li
		.amdhsa_group_segment_fixed_size 8192
		.amdhsa_private_segment_fixed_size 0
		.amdhsa_kernarg_size 116
		.amdhsa_user_sgpr_count 2
		.amdhsa_user_sgpr_dispatch_ptr 0
		.amdhsa_user_sgpr_queue_ptr 0
		.amdhsa_user_sgpr_kernarg_segment_ptr 1
		.amdhsa_user_sgpr_dispatch_id 0
		.amdhsa_user_sgpr_private_segment_size 0
		.amdhsa_wavefront_size32 1
		.amdhsa_uses_dynamic_stack 0
		.amdhsa_enable_private_segment 0
		.amdhsa_system_sgpr_workgroup_id_x 1
		.amdhsa_system_sgpr_workgroup_id_y 1
		.amdhsa_system_sgpr_workgroup_id_z 1
		.amdhsa_system_sgpr_workgroup_info 0
		.amdhsa_system_vgpr_workitem_id 1
		.amdhsa_next_free_vgpr 133
		.amdhsa_next_free_sgpr 40
		.amdhsa_reserve_vcc 1
		.amdhsa_float_round_mode_32 0
		.amdhsa_float_round_mode_16_64 0
		.amdhsa_float_denorm_mode_32 3
		.amdhsa_float_denorm_mode_16_64 3
		.amdhsa_fp16_overflow 0
		.amdhsa_workgroup_processor_mode 1
		.amdhsa_memory_ordered 1
		.amdhsa_forward_progress 1
		.amdhsa_inst_pref_size 27
		.amdhsa_round_robin_scheduling 0
		.amdhsa_exception_fp_ieee_invalid_op 0
		.amdhsa_exception_fp_denorm_src 0
		.amdhsa_exception_fp_ieee_div_zero 0
		.amdhsa_exception_fp_ieee_overflow 0
		.amdhsa_exception_fp_ieee_underflow 0
		.amdhsa_exception_fp_ieee_inexact 0
		.amdhsa_exception_int_div_zero 0
	.end_amdhsa_kernel
	.section	.text._ZL29rocblas_internal_gemmt_kernelIiLi16ELi32ELi8ELc84ELc67ELc85ELb0ELb1E19rocblas_complex_numIdES1_PKPKS1_PKPS1_EviT_T9_T10_S9_lSB_S9_lSA_T11_S9_li,"axG",@progbits,_ZL29rocblas_internal_gemmt_kernelIiLi16ELi32ELi8ELc84ELc67ELc85ELb0ELb1E19rocblas_complex_numIdES1_PKPKS1_PKPS1_EviT_T9_T10_S9_lSB_S9_lSA_T11_S9_li,comdat
.Lfunc_end419:
	.size	_ZL29rocblas_internal_gemmt_kernelIiLi16ELi32ELi8ELc84ELc67ELc85ELb0ELb1E19rocblas_complex_numIdES1_PKPKS1_PKPS1_EviT_T9_T10_S9_lSB_S9_lSA_T11_S9_li, .Lfunc_end419-_ZL29rocblas_internal_gemmt_kernelIiLi16ELi32ELi8ELc84ELc67ELc85ELb0ELb1E19rocblas_complex_numIdES1_PKPKS1_PKPS1_EviT_T9_T10_S9_lSB_S9_lSA_T11_S9_li
                                        ; -- End function
	.set _ZL29rocblas_internal_gemmt_kernelIiLi16ELi32ELi8ELc84ELc67ELc85ELb0ELb1E19rocblas_complex_numIdES1_PKPKS1_PKPS1_EviT_T9_T10_S9_lSB_S9_lSA_T11_S9_li.num_vgpr, 133
	.set _ZL29rocblas_internal_gemmt_kernelIiLi16ELi32ELi8ELc84ELc67ELc85ELb0ELb1E19rocblas_complex_numIdES1_PKPKS1_PKPS1_EviT_T9_T10_S9_lSB_S9_lSA_T11_S9_li.num_agpr, 0
	.set _ZL29rocblas_internal_gemmt_kernelIiLi16ELi32ELi8ELc84ELc67ELc85ELb0ELb1E19rocblas_complex_numIdES1_PKPKS1_PKPS1_EviT_T9_T10_S9_lSB_S9_lSA_T11_S9_li.numbered_sgpr, 40
	.set _ZL29rocblas_internal_gemmt_kernelIiLi16ELi32ELi8ELc84ELc67ELc85ELb0ELb1E19rocblas_complex_numIdES1_PKPKS1_PKPS1_EviT_T9_T10_S9_lSB_S9_lSA_T11_S9_li.num_named_barrier, 0
	.set _ZL29rocblas_internal_gemmt_kernelIiLi16ELi32ELi8ELc84ELc67ELc85ELb0ELb1E19rocblas_complex_numIdES1_PKPKS1_PKPS1_EviT_T9_T10_S9_lSB_S9_lSA_T11_S9_li.private_seg_size, 0
	.set _ZL29rocblas_internal_gemmt_kernelIiLi16ELi32ELi8ELc84ELc67ELc85ELb0ELb1E19rocblas_complex_numIdES1_PKPKS1_PKPS1_EviT_T9_T10_S9_lSB_S9_lSA_T11_S9_li.uses_vcc, 1
	.set _ZL29rocblas_internal_gemmt_kernelIiLi16ELi32ELi8ELc84ELc67ELc85ELb0ELb1E19rocblas_complex_numIdES1_PKPKS1_PKPS1_EviT_T9_T10_S9_lSB_S9_lSA_T11_S9_li.uses_flat_scratch, 0
	.set _ZL29rocblas_internal_gemmt_kernelIiLi16ELi32ELi8ELc84ELc67ELc85ELb0ELb1E19rocblas_complex_numIdES1_PKPKS1_PKPS1_EviT_T9_T10_S9_lSB_S9_lSA_T11_S9_li.has_dyn_sized_stack, 0
	.set _ZL29rocblas_internal_gemmt_kernelIiLi16ELi32ELi8ELc84ELc67ELc85ELb0ELb1E19rocblas_complex_numIdES1_PKPKS1_PKPS1_EviT_T9_T10_S9_lSB_S9_lSA_T11_S9_li.has_recursion, 0
	.set _ZL29rocblas_internal_gemmt_kernelIiLi16ELi32ELi8ELc84ELc67ELc85ELb0ELb1E19rocblas_complex_numIdES1_PKPKS1_PKPS1_EviT_T9_T10_S9_lSB_S9_lSA_T11_S9_li.has_indirect_call, 0
	.section	.AMDGPU.csdata,"",@progbits
; Kernel info:
; codeLenInByte = 3456
; TotalNumSgprs: 42
; NumVgprs: 133
; ScratchSize: 0
; MemoryBound: 1
; FloatMode: 240
; IeeeMode: 1
; LDSByteSize: 8192 bytes/workgroup (compile time only)
; SGPRBlocks: 0
; VGPRBlocks: 16
; NumSGPRsForWavesPerEU: 42
; NumVGPRsForWavesPerEU: 133
; Occupancy: 10
; WaveLimiterHint : 1
; COMPUTE_PGM_RSRC2:SCRATCH_EN: 0
; COMPUTE_PGM_RSRC2:USER_SGPR: 2
; COMPUTE_PGM_RSRC2:TRAP_HANDLER: 0
; COMPUTE_PGM_RSRC2:TGID_X_EN: 1
; COMPUTE_PGM_RSRC2:TGID_Y_EN: 1
; COMPUTE_PGM_RSRC2:TGID_Z_EN: 1
; COMPUTE_PGM_RSRC2:TIDIG_COMP_CNT: 1
	.section	.text._ZL29rocblas_internal_gemmt_kernelIiLi16ELi32ELi8ELc67ELc78ELc85ELb1ELb0E19rocblas_complex_numIdES1_PKPKS1_PKPS1_EviT_T9_T10_S9_lSB_S9_lSA_T11_S9_li,"axG",@progbits,_ZL29rocblas_internal_gemmt_kernelIiLi16ELi32ELi8ELc67ELc78ELc85ELb1ELb0E19rocblas_complex_numIdES1_PKPKS1_PKPS1_EviT_T9_T10_S9_lSB_S9_lSA_T11_S9_li,comdat
	.globl	_ZL29rocblas_internal_gemmt_kernelIiLi16ELi32ELi8ELc67ELc78ELc85ELb1ELb0E19rocblas_complex_numIdES1_PKPKS1_PKPS1_EviT_T9_T10_S9_lSB_S9_lSA_T11_S9_li ; -- Begin function _ZL29rocblas_internal_gemmt_kernelIiLi16ELi32ELi8ELc67ELc78ELc85ELb1ELb0E19rocblas_complex_numIdES1_PKPKS1_PKPS1_EviT_T9_T10_S9_lSB_S9_lSA_T11_S9_li
	.p2align	8
	.type	_ZL29rocblas_internal_gemmt_kernelIiLi16ELi32ELi8ELc67ELc78ELc85ELb1ELb0E19rocblas_complex_numIdES1_PKPKS1_PKPS1_EviT_T9_T10_S9_lSB_S9_lSA_T11_S9_li,@function
_ZL29rocblas_internal_gemmt_kernelIiLi16ELi32ELi8ELc67ELc78ELc85ELb1ELb0E19rocblas_complex_numIdES1_PKPKS1_PKPS1_EviT_T9_T10_S9_lSB_S9_lSA_T11_S9_li: ; @_ZL29rocblas_internal_gemmt_kernelIiLi16ELi32ELi8ELc67ELc78ELc85ELb1ELb0E19rocblas_complex_numIdES1_PKPKS1_PKPS1_EviT_T9_T10_S9_lSB_S9_lSA_T11_S9_li
; %bb.0:
	s_clause 0x2
	s_load_b256 s[8:15], s[0:1], 0x40
	s_load_b64 s[4:5], s[0:1], 0x0
	s_load_b128 s[16:19], s[0:1], 0x8
	s_wait_kmcnt 0x0
	v_cmp_eq_f64_e64 s2, s[10:11], 1.0
	v_cmp_eq_f64_e64 s3, s[12:13], 0
	s_and_b32 s2, s2, s3
	s_delay_alu instid0(SALU_CYCLE_1)
	s_and_not1_b32 vcc_lo, exec_lo, s2
	s_mov_b32 s2, -1
	s_cbranch_vccnz .LBB420_3
; %bb.1:
	s_cmp_lg_u32 s5, 0
	s_cbranch_scc0 .LBB420_36
; %bb.2:
	v_cmp_neq_f64_e64 s2, s[16:17], 0
	v_cmp_neq_f64_e64 s6, s[18:19], 0
	s_or_b32 s2, s2, s6
.LBB420_3:
	s_delay_alu instid0(SALU_CYCLE_1)
	s_and_b32 vcc_lo, exec_lo, s2
	s_cbranch_vccz .LBB420_37
; %bb.4:
	s_load_b32 s27, s[0:1], 0x70
	s_lshr_b32 s6, ttmp7, 16
	s_wait_kmcnt 0x0
	s_cmp_ge_u32 s6, s27
	s_cbranch_scc1 .LBB420_37
; %bb.5:
	v_cmp_neq_f64_e64 s28, s[16:17], 0
	v_cmp_neq_f64_e64 s29, s[18:19], 0
	;; [unrolled: 1-line block ×3, first 2 shown]
	v_and_b32_e32 v1, 0x3ff, v0
	v_bfe_u32 v2, v0, 10, 10
	s_clause 0x4
	s_load_b96 s[24:26], s[0:1], 0x18
	s_load_b128 s[20:23], s[0:1], 0x28
	s_load_b32 s34, s[0:1], 0x38
	s_load_b32 s35, s[0:1], 0x60
	s_load_b64 s[30:31], s[0:1], 0x68
	v_and_b32_e32 v35, 7, v0
	s_lshl_b32 s1, ttmp7, 5
	s_lshl_b32 s0, ttmp9, 5
	v_lshl_add_u32 v0, v2, 4, v1
	s_and_b32 s2, s1, 0x1fffe0
	v_lshlrev_b32_e32 v36, 4, v1
	v_add_nc_u32_e32 v3, s2, v2
	v_add_nc_u32_e32 v5, s0, v1
	v_and_b32_e32 v1, 31, v0
	v_lshrrev_b32_e32 v38, 5, v0
	v_lshrrev_b32_e32 v0, 3, v0
	v_cmp_gt_i32_e32 vcc_lo, s4, v3
	v_cmp_le_i32_e64 s1, v5, v3
	v_add_nc_u32_e32 v7, 16, v5
	v_or_b32_e32 v4, s0, v1
	v_lshlrev_b32_e32 v1, 4, v1
	v_lshl_add_u32 v37, v2, 7, 0x1000
	v_add_nc_u32_e32 v10, 16, v3
	v_add_nc_u32_e32 v9, s2, v0
	v_cmp_gt_i32_e64 s0, s4, v4
	v_lshl_or_b32 v39, v38, 9, v1
	s_wait_kmcnt 0x0
	v_mad_co_i64_i32 v[1:2], null, v3, s35, 0
	v_cmp_gt_i32_e64 s2, s4, v9
	v_mad_co_i64_i32 v[11:12], null, v10, s35, 0
	v_lshlrev_b32_e32 v14, 4, v38
	v_lshlrev_b32_e32 v13, 4, v35
	v_ashrrev_i32_e32 v6, 31, v5
	v_ashrrev_i32_e32 v8, 31, v7
	s_mov_b32 s7, 0
	s_delay_alu instid0(VALU_DEP_3)
	v_lshl_or_b32 v0, v0, 7, v13
	s_or_b32 s36, s28, s29
	s_cmp_gt_i32 s5, 0
	v_lshlrev_b64_e32 v[11:12], 4, v[11:12]
	s_cselect_b32 s37, -1, 0
	s_and_b32 s28, vcc_lo, s1
	v_cmp_le_i32_e64 s1, v7, v3
	v_mad_co_i64_i32 v[3:4], null, s26, v4, 0
	s_xor_b32 s3, s3, -1
	s_lshl_b64 s[20:21], s[20:21], 4
	s_wait_alu 0xfffe
	s_or_b32 s29, s33, s3
	v_cmp_gt_i32_e64 s3, s4, v10
	v_cmp_le_i32_e64 s4, v5, v10
	s_and_b32 s26, vcc_lo, s1
	v_cmp_le_i32_e32 vcc_lo, v7, v10
	v_lshlrev_b64_e32 v[3:4], 4, v[3:4]
	v_mad_co_i64_i32 v[9:10], null, s34, v9, 0
	s_lshl_b64 s[8:9], s[8:9], 4
	v_add_nc_u32_e32 v40, 0x1000, v0
	v_mov_b32_e32 v0, 0
	v_add_co_u32 v15, s1, v3, s20
	s_wait_alu 0xf1ff
	v_add_co_ci_u32_e64 v16, null, s21, v4, s1
	v_lshlrev_b64_e32 v[3:4], 4, v[9:10]
	s_delay_alu instid0(VALU_DEP_3) | instskip(SKIP_1) | instid1(VALU_DEP_3)
	v_add_co_u32 v9, s1, v15, v14
	s_wait_alu 0xf1ff
	v_add_co_ci_u32_e64 v41, null, 0, v16, s1
	s_and_b32 s4, s3, s4
	v_add_co_u32 v3, s1, v3, s8
	s_wait_alu 0xf1ff
	v_add_co_ci_u32_e64 v4, null, s9, v4, s1
	v_or_b32_e32 v42, 8, v9
	s_delay_alu instid0(VALU_DEP_3)
	v_add_co_u32 v43, s1, v3, v13
	v_lshlrev_b64_e32 v[9:10], 4, v[1:2]
	s_wait_alu 0xf1ff
	v_add_co_ci_u32_e64 v44, null, 0, v4, s1
	s_and_b32 s1, s36, s37
	s_and_b32 s20, s3, vcc_lo
	s_xor_b32 s21, s2, -1
	s_lshl_b64 s[2:3], s[30:31], 4
	s_branch .LBB420_7
.LBB420_6:                              ;   in Loop: Header=BB420_7 Depth=1
	s_wait_alu 0xfffe
	s_or_b32 exec_lo, exec_lo, s8
	s_add_co_i32 s6, s6, 0x10000
	s_delay_alu instid0(SALU_CYCLE_1)
	s_cmp_lt_u32 s6, s27
	s_cbranch_scc0 .LBB420_37
.LBB420_7:                              ; =>This Loop Header: Depth=1
                                        ;     Child Loop BB420_10 Depth 2
	s_lshl_b64 s[8:9], s[6:7], 3
	v_mov_b32_e32 v31, 0
	s_wait_alu 0xfffe
	s_add_nc_u64 s[30:31], s[14:15], s[8:9]
	v_mov_b32_e32 v27, 0
	global_load_b64 v[13:14], v0, s[30:31]
	v_mov_b32_e32 v23, 0
	v_dual_mov_b32 v21, 0 :: v_dual_mov_b32 v32, 0
	v_dual_mov_b32 v33, 0 :: v_dual_mov_b32 v28, 0
	;; [unrolled: 1-line block ×5, first 2 shown]
	v_mov_b32_e32 v30, 0
	v_mov_b32_e32 v26, 0
	;; [unrolled: 1-line block ×3, first 2 shown]
	s_and_not1_b32 vcc_lo, exec_lo, s1
	s_wait_alu 0xfffe
	s_cbranch_vccnz .LBB420_16
; %bb.8:                                ;   in Loop: Header=BB420_7 Depth=1
	s_add_nc_u64 s[30:31], s[24:25], s[8:9]
	s_add_nc_u64 s[8:9], s[22:23], s[8:9]
	s_clause 0x1
	global_load_b64 v[1:2], v0, s[30:31]
	global_load_b64 v[3:4], v0, s[8:9]
	v_mov_b32_e32 v19, 0
	v_mov_b32_e32 v25, 0
	;; [unrolled: 1-line block ×3, first 2 shown]
	v_dual_mov_b32 v33, 0 :: v_dual_mov_b32 v20, 0
	v_dual_mov_b32 v21, 0 :: v_dual_mov_b32 v26, 0
	;; [unrolled: 1-line block ×5, first 2 shown]
	v_mov_b32_e32 v24, 0
	v_mov_b32_e32 v28, 0
	;; [unrolled: 1-line block ×3, first 2 shown]
	s_mov_b32 s8, 0
	s_wait_loadcnt 0x1
	v_add_co_u32 v15, vcc_lo, v1, v42
	s_wait_alu 0xfffd
	v_add_co_ci_u32_e64 v16, null, v2, v41, vcc_lo
	s_wait_loadcnt 0x0
	v_add_co_u32 v17, vcc_lo, v3, v43
	s_wait_alu 0xfffd
	v_add_co_ci_u32_e64 v18, null, v4, v44, vcc_lo
	s_branch .LBB420_10
.LBB420_9:                              ;   in Loop: Header=BB420_10 Depth=2
	s_wait_alu 0xfffe
	s_or_b32 exec_lo, exec_lo, s9
	s_wait_dscnt 0x0
	s_barrier_signal -1
	s_barrier_wait -1
	global_inv scope:SCOPE_SE
	ds_load_b128 v[1:4], v37
	ds_load_b128 v[45:48], v36
	ds_load_b128 v[49:52], v36 offset:256
	ds_load_b128 v[53:56], v37 offset:2048
	;; [unrolled: 1-line block ×10, first 2 shown]
	v_add_co_u32 v15, vcc_lo, 0x80, v15
	s_wait_alu 0xfffd
	v_add_co_ci_u32_e64 v16, null, 0, v16, vcc_lo
	v_add_co_u32 v17, vcc_lo, 0x80, v17
	s_wait_alu 0xfffd
	v_add_co_ci_u32_e64 v18, null, 0, v18, vcc_lo
	s_add_co_i32 s8, s8, 8
	s_wait_alu 0xfffe
	s_cmp_lt_i32 s8, s5
	s_wait_dscnt 0xa
	v_mul_f64_e32 v[89:90], v[3:4], v[47:48]
	v_mul_f64_e32 v[91:92], v[1:2], v[47:48]
	s_wait_dscnt 0x9
	v_mul_f64_e32 v[93:94], v[3:4], v[51:52]
	v_mul_f64_e32 v[95:96], v[1:2], v[51:52]
	;; [unrolled: 3-line block ×3, first 2 shown]
	v_mul_f64_e32 v[99:100], v[55:56], v[51:52]
	v_mul_f64_e32 v[51:52], v[53:54], v[51:52]
	s_wait_dscnt 0x5
	v_mul_f64_e32 v[101:102], v[59:60], v[67:68]
	v_mul_f64_e32 v[103:104], v[57:58], v[67:68]
	s_wait_dscnt 0x4
	v_mul_f64_e32 v[105:106], v[59:60], v[71:72]
	v_mul_f64_e32 v[107:108], v[57:58], v[71:72]
	;; [unrolled: 1-line block ×6, first 2 shown]
	s_wait_dscnt 0x2
	v_mul_f64_e32 v[117:118], v[75:76], v[79:80]
	v_mul_f64_e32 v[119:120], v[73:74], v[79:80]
	s_wait_dscnt 0x1
	v_mul_f64_e32 v[121:122], v[75:76], v[83:84]
	v_mul_f64_e32 v[123:124], v[73:74], v[83:84]
	;; [unrolled: 3-line block ×3, first 2 shown]
	v_mul_f64_e32 v[127:128], v[87:88], v[83:84]
	v_mul_f64_e32 v[83:84], v[85:86], v[83:84]
	v_fma_f64 v[89:90], v[1:2], v[45:46], -v[89:90]
	v_fma_f64 v[91:92], v[3:4], v[45:46], v[91:92]
	v_fma_f64 v[93:94], v[1:2], v[49:50], -v[93:94]
	v_fma_f64 v[95:96], v[3:4], v[49:50], v[95:96]
	;; [unrolled: 2-line block ×8, first 2 shown]
	ds_load_b128 v[1:4], v37 offset:48
	ds_load_b128 v[45:48], v37 offset:2096
	;; [unrolled: 1-line block ×4, first 2 shown]
	v_fma_f64 v[117:118], v[73:74], v[77:78], -v[117:118]
	v_fma_f64 v[119:120], v[75:76], v[77:78], v[119:120]
	v_fma_f64 v[73:74], v[73:74], v[81:82], -v[121:122]
	v_fma_f64 v[75:76], v[75:76], v[81:82], v[123:124]
	;; [unrolled: 2-line block ×4, first 2 shown]
	s_wait_dscnt 0x1
	v_mul_f64_e32 v[107:108], v[1:2], v[51:52]
	s_wait_dscnt 0x0
	v_mul_f64_e32 v[109:110], v[3:4], v[55:56]
	v_mul_f64_e32 v[111:112], v[1:2], v[55:56]
	v_add_f64_e32 v[67:68], v[31:32], v[89:90]
	v_add_f64_e32 v[69:70], v[91:92], v[33:34]
	;; [unrolled: 1-line block ×8, first 2 shown]
	v_mul_f64_e32 v[99:100], v[3:4], v[51:52]
	v_mul_f64_e32 v[113:114], v[47:48], v[51:52]
	;; [unrolled: 1-line block ×5, first 2 shown]
	ds_load_b128 v[19:22], v37 offset:64
	ds_load_b128 v[23:26], v36 offset:2048
	;; [unrolled: 1-line block ×4, first 2 shown]
	s_wait_dscnt 0x0
	v_mul_f64_e32 v[123:124], v[33:34], v[25:26]
	v_mul_f64_e32 v[125:126], v[33:34], v[29:30]
	v_fma_f64 v[107:108], v[3:4], v[49:50], v[107:108]
	v_fma_f64 v[109:110], v[1:2], v[53:54], -v[109:110]
	v_fma_f64 v[111:112], v[3:4], v[53:54], v[111:112]
	v_add_f64_e32 v[83:84], v[67:68], v[101:102]
	v_add_f64_e32 v[85:86], v[103:104], v[69:70]
	;; [unrolled: 1-line block ×8, first 2 shown]
	v_mul_f64_e32 v[97:98], v[21:22], v[25:26]
	v_mul_f64_e32 v[101:102], v[19:20], v[25:26]
	;; [unrolled: 1-line block ×6, first 2 shown]
	v_fma_f64 v[99:100], v[1:2], v[49:50], -v[99:100]
	v_fma_f64 v[113:114], v[45:46], v[49:50], -v[113:114]
	v_fma_f64 v[127:128], v[47:48], v[49:50], v[51:52]
	v_fma_f64 v[115:116], v[45:46], v[53:54], -v[115:116]
	v_fma_f64 v[53:54], v[47:48], v[53:54], v[129:130]
	ds_load_b128 v[55:58], v37 offset:80
	ds_load_b128 v[59:62], v37 offset:2128
	;; [unrolled: 1-line block ×4, first 2 shown]
	v_fma_f64 v[123:124], v[31:32], v[23:24], -v[123:124]
	v_fma_f64 v[125:126], v[31:32], v[27:28], -v[125:126]
	v_add_f64_e32 v[83:84], v[83:84], v[117:118]
	v_add_f64_e32 v[85:86], v[119:120], v[85:86]
	;; [unrolled: 1-line block ×8, first 2 shown]
	s_wait_dscnt 0x1
	v_mul_f64_e32 v[89:90], v[57:58], v[65:66]
	v_mul_f64_e32 v[91:92], v[55:56], v[65:66]
	s_wait_dscnt 0x0
	v_mul_f64_e32 v[93:94], v[57:58], v[69:70]
	v_mul_f64_e32 v[95:96], v[55:56], v[69:70]
	;; [unrolled: 1-line block ×6, first 2 shown]
	v_fma_f64 v[97:98], v[19:20], v[23:24], -v[97:98]
	v_fma_f64 v[101:102], v[21:22], v[23:24], v[101:102]
	v_fma_f64 v[103:104], v[19:20], v[27:28], -v[103:104]
	v_fma_f64 v[105:106], v[21:22], v[27:28], v[105:106]
	v_fma_f64 v[129:130], v[33:34], v[23:24], v[25:26]
	;; [unrolled: 1-line block ×3, first 2 shown]
	ds_load_b128 v[1:4], v37 offset:96
	ds_load_b128 v[45:48], v36 offset:3072
	;; [unrolled: 1-line block ×8, first 2 shown]
	s_wait_loadcnt_dscnt 0x0
	s_barrier_signal -1
	s_barrier_wait -1
	global_inv scope:SCOPE_SE
	v_add_f64_e32 v[83:84], v[83:84], v[99:100]
	v_add_f64_e32 v[85:86], v[107:108], v[85:86]
	;; [unrolled: 1-line block ×8, first 2 shown]
	v_mul_f64_e32 v[81:82], v[3:4], v[47:48]
	v_mul_f64_e32 v[107:108], v[1:2], v[47:48]
	v_mul_f64_e32 v[109:110], v[3:4], v[51:52]
	v_mul_f64_e32 v[111:112], v[1:2], v[51:52]
	v_mul_f64_e32 v[113:114], v[73:74], v[47:48]
	v_mul_f64_e32 v[47:48], v[71:72], v[47:48]
	v_mul_f64_e32 v[115:116], v[73:74], v[51:52]
	v_mul_f64_e32 v[51:52], v[71:72], v[51:52]
	v_fma_f64 v[89:90], v[55:56], v[63:64], -v[89:90]
	v_fma_f64 v[91:92], v[57:58], v[63:64], v[91:92]
	v_fma_f64 v[55:56], v[55:56], v[67:68], -v[93:94]
	v_fma_f64 v[57:58], v[57:58], v[67:68], v[95:96]
	;; [unrolled: 2-line block ×4, first 2 shown]
	v_mul_f64_e32 v[95:96], v[21:22], v[33:34]
	v_add_f64_e32 v[65:66], v[83:84], v[97:98]
	v_add_f64_e32 v[67:68], v[101:102], v[85:86]
	;; [unrolled: 1-line block ×8, first 2 shown]
	v_mul_f64_e32 v[85:86], v[21:22], v[29:30]
	v_mul_f64_e32 v[87:88], v[19:20], v[29:30]
	v_mul_f64_e32 v[97:98], v[19:20], v[33:34]
	v_mul_f64_e32 v[99:100], v[25:26], v[29:30]
	v_mul_f64_e32 v[29:30], v[23:24], v[29:30]
	v_mul_f64_e32 v[101:102], v[25:26], v[33:34]
	v_mul_f64_e32 v[33:34], v[23:24], v[33:34]
	v_fma_f64 v[81:82], v[1:2], v[45:46], -v[81:82]
	v_fma_f64 v[103:104], v[3:4], v[45:46], v[107:108]
	v_fma_f64 v[1:2], v[1:2], v[49:50], -v[109:110]
	v_fma_f64 v[3:4], v[3:4], v[49:50], v[111:112]
	;; [unrolled: 2-line block ×4, first 2 shown]
	v_add_f64_e32 v[51:52], v[65:66], v[89:90]
	v_add_f64_e32 v[65:66], v[91:92], v[67:68]
	;; [unrolled: 1-line block ×8, first 2 shown]
	v_fma_f64 v[61:62], v[19:20], v[27:28], -v[85:86]
	v_fma_f64 v[69:70], v[21:22], v[27:28], v[87:88]
	v_fma_f64 v[19:20], v[19:20], v[31:32], -v[95:96]
	v_fma_f64 v[21:22], v[21:22], v[31:32], v[97:98]
	;; [unrolled: 2-line block ×4, first 2 shown]
	v_add_f64_e32 v[23:24], v[51:52], v[81:82]
	v_add_f64_e32 v[25:26], v[103:104], v[65:66]
	;; [unrolled: 1-line block ×16, first 2 shown]
	s_cbranch_scc0 .LBB420_16
.LBB420_10:                             ;   Parent Loop BB420_7 Depth=1
                                        ; =>  This Inner Loop Header: Depth=2
	s_wait_alu 0xfffe
	v_add_nc_u32_e32 v1, s8, v38
	v_mov_b32_e32 v3, 0
	v_mov_b32_e32 v4, 0
	s_delay_alu instid0(VALU_DEP_3) | instskip(SKIP_3) | instid1(SALU_CYCLE_1)
	v_cmp_gt_i32_e32 vcc_lo, s5, v1
	v_mov_b32_e32 v1, 0
	v_mov_b32_e32 v2, 0
	s_and_b32 s30, s0, vcc_lo
	s_and_saveexec_b32 s9, s30
	s_cbranch_execz .LBB420_12
; %bb.11:                               ;   in Loop: Header=BB420_10 Depth=2
	flat_load_b128 v[1:4], v[15:16] offset:-8
	s_wait_loadcnt_dscnt 0x0
	v_xor_b32_e32 v4, 0x80000000, v4
.LBB420_12:                             ;   in Loop: Header=BB420_10 Depth=2
	s_wait_alu 0xfffe
	s_or_b32 exec_lo, exec_lo, s9
	v_add_nc_u32_e32 v45, s8, v35
	ds_store_b128 v39, v[1:4]
	v_cmp_le_i32_e32 vcc_lo, s5, v45
	s_or_b32 s9, vcc_lo, s21
	s_wait_alu 0xfffe
	s_and_saveexec_b32 s30, s9
	s_delay_alu instid0(SALU_CYCLE_1)
	s_xor_b32 s9, exec_lo, s30
; %bb.13:                               ;   in Loop: Header=BB420_10 Depth=2
	v_dual_mov_b32 v1, v0 :: v_dual_mov_b32 v2, v0
	v_mov_b32_e32 v3, v0
	ds_store_b128 v40, v[0:3]
; %bb.14:                               ;   in Loop: Header=BB420_10 Depth=2
	s_wait_alu 0xfffe
	s_and_not1_saveexec_b32 s9, s9
	s_cbranch_execz .LBB420_9
; %bb.15:                               ;   in Loop: Header=BB420_10 Depth=2
	flat_load_b128 v[1:4], v[17:18]
	s_wait_loadcnt_dscnt 0x0
	ds_store_2addr_b64 v40, v[1:2], v[3:4] offset1:1
	s_branch .LBB420_9
.LBB420_16:                             ;   in Loop: Header=BB420_7 Depth=1
	s_wait_loadcnt 0x0
	v_add_co_u32 v13, vcc_lo, v13, s2
	s_wait_alu 0xfffd
	v_add_co_ci_u32_e64 v14, null, s3, v14, vcc_lo
	s_delay_alu instid0(VALU_DEP_2) | instskip(SKIP_1) | instid1(VALU_DEP_2)
	v_add_co_u32 v15, vcc_lo, v13, v9
	s_wait_alu 0xfffd
	v_add_co_ci_u32_e64 v16, null, v14, v10, vcc_lo
	s_and_saveexec_b32 s8, s28
	s_cbranch_execz .LBB420_21
; %bb.17:                               ;   in Loop: Header=BB420_7 Depth=1
	v_mul_f64_e32 v[1:2], s[18:19], v[33:34]
	v_mul_f64_e32 v[3:4], s[16:17], v[33:34]
	s_and_b32 vcc_lo, exec_lo, s29
	s_mov_b32 s9, -1
	s_delay_alu instid0(VALU_DEP_2) | instskip(NEXT) | instid1(VALU_DEP_2)
	v_fma_f64 v[1:2], s[16:17], v[31:32], -v[1:2]
	v_fma_f64 v[3:4], s[18:19], v[31:32], v[3:4]
	s_wait_alu 0xfffe
	s_cbranch_vccz .LBB420_19
; %bb.18:                               ;   in Loop: Header=BB420_7 Depth=1
	v_lshlrev_b64_e32 v[17:18], 4, v[5:6]
	s_mov_b32 s9, 0
	s_delay_alu instid0(VALU_DEP_1) | instskip(SKIP_1) | instid1(VALU_DEP_2)
	v_add_co_u32 v17, vcc_lo, v15, v17
	s_wait_alu 0xfffd
	v_add_co_ci_u32_e64 v18, null, v16, v18, vcc_lo
	flat_load_b128 v[31:34], v[17:18]
	s_wait_loadcnt_dscnt 0x0
	v_mul_f64_e32 v[45:46], s[12:13], v[33:34]
	v_mul_f64_e32 v[33:34], s[10:11], v[33:34]
	s_delay_alu instid0(VALU_DEP_2) | instskip(NEXT) | instid1(VALU_DEP_2)
	v_fma_f64 v[45:46], s[10:11], v[31:32], -v[45:46]
	v_fma_f64 v[33:34], s[12:13], v[31:32], v[33:34]
	s_delay_alu instid0(VALU_DEP_2) | instskip(NEXT) | instid1(VALU_DEP_2)
	v_add_f64_e32 v[31:32], v[1:2], v[45:46]
	v_add_f64_e32 v[33:34], v[3:4], v[33:34]
	flat_store_b128 v[17:18], v[31:34]
.LBB420_19:                             ;   in Loop: Header=BB420_7 Depth=1
	s_wait_alu 0xfffe
	s_and_not1_b32 vcc_lo, exec_lo, s9
	s_wait_alu 0xfffe
	s_cbranch_vccnz .LBB420_21
; %bb.20:                               ;   in Loop: Header=BB420_7 Depth=1
	v_lshlrev_b64_e32 v[17:18], 4, v[5:6]
	s_delay_alu instid0(VALU_DEP_1) | instskip(SKIP_1) | instid1(VALU_DEP_2)
	v_add_co_u32 v17, vcc_lo, v15, v17
	s_wait_alu 0xfffd
	v_add_co_ci_u32_e64 v18, null, v16, v18, vcc_lo
	flat_store_b128 v[17:18], v[1:4]
.LBB420_21:                             ;   in Loop: Header=BB420_7 Depth=1
	s_wait_alu 0xfffe
	s_or_b32 exec_lo, exec_lo, s8
	s_and_saveexec_b32 s8, s26
	s_cbranch_execz .LBB420_26
; %bb.22:                               ;   in Loop: Header=BB420_7 Depth=1
	v_mul_f64_e32 v[1:2], s[18:19], v[29:30]
	v_mul_f64_e32 v[3:4], s[16:17], v[29:30]
	s_and_not1_b32 vcc_lo, exec_lo, s29
	s_mov_b32 s9, -1
	s_delay_alu instid0(VALU_DEP_2) | instskip(NEXT) | instid1(VALU_DEP_2)
	v_fma_f64 v[1:2], s[16:17], v[27:28], -v[1:2]
	v_fma_f64 v[3:4], s[18:19], v[27:28], v[3:4]
	s_wait_alu 0xfffe
	s_cbranch_vccnz .LBB420_24
; %bb.23:                               ;   in Loop: Header=BB420_7 Depth=1
	v_lshlrev_b64_e32 v[17:18], 4, v[7:8]
	s_mov_b32 s9, 0
	s_delay_alu instid0(VALU_DEP_1) | instskip(SKIP_1) | instid1(VALU_DEP_2)
	v_add_co_u32 v17, vcc_lo, v15, v17
	s_wait_alu 0xfffd
	v_add_co_ci_u32_e64 v18, null, v16, v18, vcc_lo
	flat_load_b128 v[27:30], v[17:18]
	s_wait_loadcnt_dscnt 0x0
	v_mul_f64_e32 v[31:32], s[12:13], v[29:30]
	v_mul_f64_e32 v[29:30], s[10:11], v[29:30]
	s_delay_alu instid0(VALU_DEP_2) | instskip(NEXT) | instid1(VALU_DEP_2)
	v_fma_f64 v[31:32], s[10:11], v[27:28], -v[31:32]
	v_fma_f64 v[29:30], s[12:13], v[27:28], v[29:30]
	s_delay_alu instid0(VALU_DEP_2) | instskip(NEXT) | instid1(VALU_DEP_2)
	v_add_f64_e32 v[27:28], v[1:2], v[31:32]
	v_add_f64_e32 v[29:30], v[3:4], v[29:30]
	flat_store_b128 v[17:18], v[27:30]
.LBB420_24:                             ;   in Loop: Header=BB420_7 Depth=1
	s_wait_alu 0xfffe
	s_and_not1_b32 vcc_lo, exec_lo, s9
	s_wait_alu 0xfffe
	s_cbranch_vccnz .LBB420_26
; %bb.25:                               ;   in Loop: Header=BB420_7 Depth=1
	v_lshlrev_b64_e32 v[17:18], 4, v[7:8]
	s_delay_alu instid0(VALU_DEP_1) | instskip(SKIP_1) | instid1(VALU_DEP_2)
	v_add_co_u32 v15, vcc_lo, v15, v17
	s_wait_alu 0xfffd
	v_add_co_ci_u32_e64 v16, null, v16, v18, vcc_lo
	flat_store_b128 v[15:16], v[1:4]
.LBB420_26:                             ;   in Loop: Header=BB420_7 Depth=1
	s_wait_alu 0xfffe
	s_or_b32 exec_lo, exec_lo, s8
	v_add_co_u32 v15, vcc_lo, v13, v11
	s_wait_alu 0xfffd
	v_add_co_ci_u32_e64 v16, null, v14, v12, vcc_lo
	s_and_saveexec_b32 s8, s4
	s_cbranch_execz .LBB420_31
; %bb.27:                               ;   in Loop: Header=BB420_7 Depth=1
	v_mul_f64_e32 v[1:2], s[18:19], v[25:26]
	v_mul_f64_e32 v[3:4], s[16:17], v[25:26]
	v_lshlrev_b64_e32 v[13:14], 4, v[5:6]
	s_and_not1_b32 vcc_lo, exec_lo, s29
	s_mov_b32 s9, -1
	s_delay_alu instid0(VALU_DEP_3) | instskip(NEXT) | instid1(VALU_DEP_3)
	v_fma_f64 v[1:2], s[16:17], v[23:24], -v[1:2]
	v_fma_f64 v[3:4], s[18:19], v[23:24], v[3:4]
	s_wait_alu 0xfffe
	s_cbranch_vccnz .LBB420_29
; %bb.28:                               ;   in Loop: Header=BB420_7 Depth=1
	v_add_co_u32 v17, vcc_lo, v15, v13
	s_wait_alu 0xfffd
	v_add_co_ci_u32_e64 v18, null, v16, v14, vcc_lo
	s_mov_b32 s9, 0
	flat_load_b128 v[23:26], v[17:18]
	s_wait_loadcnt_dscnt 0x0
	v_mul_f64_e32 v[27:28], s[12:13], v[25:26]
	v_mul_f64_e32 v[25:26], s[10:11], v[25:26]
	s_delay_alu instid0(VALU_DEP_2) | instskip(NEXT) | instid1(VALU_DEP_2)
	v_fma_f64 v[27:28], s[10:11], v[23:24], -v[27:28]
	v_fma_f64 v[25:26], s[12:13], v[23:24], v[25:26]
	s_delay_alu instid0(VALU_DEP_2) | instskip(NEXT) | instid1(VALU_DEP_2)
	v_add_f64_e32 v[23:24], v[1:2], v[27:28]
	v_add_f64_e32 v[25:26], v[3:4], v[25:26]
	flat_store_b128 v[17:18], v[23:26]
.LBB420_29:                             ;   in Loop: Header=BB420_7 Depth=1
	s_wait_alu 0xfffe
	s_and_not1_b32 vcc_lo, exec_lo, s9
	s_wait_alu 0xfffe
	s_cbranch_vccnz .LBB420_31
; %bb.30:                               ;   in Loop: Header=BB420_7 Depth=1
	v_add_co_u32 v13, vcc_lo, v15, v13
	s_wait_alu 0xfffd
	v_add_co_ci_u32_e64 v14, null, v16, v14, vcc_lo
	flat_store_b128 v[13:14], v[1:4]
.LBB420_31:                             ;   in Loop: Header=BB420_7 Depth=1
	s_wait_alu 0xfffe
	s_or_b32 exec_lo, exec_lo, s8
	s_and_saveexec_b32 s8, s20
	s_cbranch_execz .LBB420_6
; %bb.32:                               ;   in Loop: Header=BB420_7 Depth=1
	v_mul_f64_e32 v[1:2], s[18:19], v[19:20]
	v_mul_f64_e32 v[3:4], s[16:17], v[19:20]
	v_lshlrev_b64_e32 v[13:14], 4, v[7:8]
	s_and_not1_b32 vcc_lo, exec_lo, s29
	s_mov_b32 s9, -1
	s_delay_alu instid0(VALU_DEP_3) | instskip(NEXT) | instid1(VALU_DEP_3)
	v_fma_f64 v[1:2], s[16:17], v[21:22], -v[1:2]
	v_fma_f64 v[3:4], s[18:19], v[21:22], v[3:4]
	s_wait_alu 0xfffe
	s_cbranch_vccnz .LBB420_34
; %bb.33:                               ;   in Loop: Header=BB420_7 Depth=1
	v_add_co_u32 v21, vcc_lo, v15, v13
	s_wait_alu 0xfffd
	v_add_co_ci_u32_e64 v22, null, v16, v14, vcc_lo
	s_mov_b32 s9, 0
	flat_load_b128 v[17:20], v[21:22]
	s_wait_loadcnt_dscnt 0x0
	v_mul_f64_e32 v[23:24], s[12:13], v[19:20]
	v_mul_f64_e32 v[19:20], s[10:11], v[19:20]
	s_delay_alu instid0(VALU_DEP_2) | instskip(NEXT) | instid1(VALU_DEP_2)
	v_fma_f64 v[23:24], s[10:11], v[17:18], -v[23:24]
	v_fma_f64 v[19:20], s[12:13], v[17:18], v[19:20]
	s_delay_alu instid0(VALU_DEP_2) | instskip(NEXT) | instid1(VALU_DEP_2)
	v_add_f64_e32 v[17:18], v[1:2], v[23:24]
	v_add_f64_e32 v[19:20], v[3:4], v[19:20]
	flat_store_b128 v[21:22], v[17:20]
.LBB420_34:                             ;   in Loop: Header=BB420_7 Depth=1
	s_wait_alu 0xfffe
	s_and_not1_b32 vcc_lo, exec_lo, s9
	s_wait_alu 0xfffe
	s_cbranch_vccnz .LBB420_6
; %bb.35:                               ;   in Loop: Header=BB420_7 Depth=1
	v_add_co_u32 v13, vcc_lo, v15, v13
	s_wait_alu 0xfffd
	v_add_co_ci_u32_e64 v14, null, v16, v14, vcc_lo
	flat_store_b128 v[13:14], v[1:4]
	s_branch .LBB420_6
.LBB420_36:
.LBB420_37:
	s_nop 0
	s_sendmsg sendmsg(MSG_DEALLOC_VGPRS)
	s_endpgm
	.section	.rodata,"a",@progbits
	.p2align	6, 0x0
	.amdhsa_kernel _ZL29rocblas_internal_gemmt_kernelIiLi16ELi32ELi8ELc67ELc78ELc85ELb1ELb0E19rocblas_complex_numIdES1_PKPKS1_PKPS1_EviT_T9_T10_S9_lSB_S9_lSA_T11_S9_li
		.amdhsa_group_segment_fixed_size 8192
		.amdhsa_private_segment_fixed_size 0
		.amdhsa_kernarg_size 116
		.amdhsa_user_sgpr_count 2
		.amdhsa_user_sgpr_dispatch_ptr 0
		.amdhsa_user_sgpr_queue_ptr 0
		.amdhsa_user_sgpr_kernarg_segment_ptr 1
		.amdhsa_user_sgpr_dispatch_id 0
		.amdhsa_user_sgpr_private_segment_size 0
		.amdhsa_wavefront_size32 1
		.amdhsa_uses_dynamic_stack 0
		.amdhsa_enable_private_segment 0
		.amdhsa_system_sgpr_workgroup_id_x 1
		.amdhsa_system_sgpr_workgroup_id_y 1
		.amdhsa_system_sgpr_workgroup_id_z 1
		.amdhsa_system_sgpr_workgroup_info 0
		.amdhsa_system_vgpr_workitem_id 1
		.amdhsa_next_free_vgpr 133
		.amdhsa_next_free_sgpr 38
		.amdhsa_reserve_vcc 1
		.amdhsa_float_round_mode_32 0
		.amdhsa_float_round_mode_16_64 0
		.amdhsa_float_denorm_mode_32 3
		.amdhsa_float_denorm_mode_16_64 3
		.amdhsa_fp16_overflow 0
		.amdhsa_workgroup_processor_mode 1
		.amdhsa_memory_ordered 1
		.amdhsa_forward_progress 1
		.amdhsa_inst_pref_size 27
		.amdhsa_round_robin_scheduling 0
		.amdhsa_exception_fp_ieee_invalid_op 0
		.amdhsa_exception_fp_denorm_src 0
		.amdhsa_exception_fp_ieee_div_zero 0
		.amdhsa_exception_fp_ieee_overflow 0
		.amdhsa_exception_fp_ieee_underflow 0
		.amdhsa_exception_fp_ieee_inexact 0
		.amdhsa_exception_int_div_zero 0
	.end_amdhsa_kernel
	.section	.text._ZL29rocblas_internal_gemmt_kernelIiLi16ELi32ELi8ELc67ELc78ELc85ELb1ELb0E19rocblas_complex_numIdES1_PKPKS1_PKPS1_EviT_T9_T10_S9_lSB_S9_lSA_T11_S9_li,"axG",@progbits,_ZL29rocblas_internal_gemmt_kernelIiLi16ELi32ELi8ELc67ELc78ELc85ELb1ELb0E19rocblas_complex_numIdES1_PKPKS1_PKPS1_EviT_T9_T10_S9_lSB_S9_lSA_T11_S9_li,comdat
.Lfunc_end420:
	.size	_ZL29rocblas_internal_gemmt_kernelIiLi16ELi32ELi8ELc67ELc78ELc85ELb1ELb0E19rocblas_complex_numIdES1_PKPKS1_PKPS1_EviT_T9_T10_S9_lSB_S9_lSA_T11_S9_li, .Lfunc_end420-_ZL29rocblas_internal_gemmt_kernelIiLi16ELi32ELi8ELc67ELc78ELc85ELb1ELb0E19rocblas_complex_numIdES1_PKPKS1_PKPS1_EviT_T9_T10_S9_lSB_S9_lSA_T11_S9_li
                                        ; -- End function
	.set _ZL29rocblas_internal_gemmt_kernelIiLi16ELi32ELi8ELc67ELc78ELc85ELb1ELb0E19rocblas_complex_numIdES1_PKPKS1_PKPS1_EviT_T9_T10_S9_lSB_S9_lSA_T11_S9_li.num_vgpr, 133
	.set _ZL29rocblas_internal_gemmt_kernelIiLi16ELi32ELi8ELc67ELc78ELc85ELb1ELb0E19rocblas_complex_numIdES1_PKPKS1_PKPS1_EviT_T9_T10_S9_lSB_S9_lSA_T11_S9_li.num_agpr, 0
	.set _ZL29rocblas_internal_gemmt_kernelIiLi16ELi32ELi8ELc67ELc78ELc85ELb1ELb0E19rocblas_complex_numIdES1_PKPKS1_PKPS1_EviT_T9_T10_S9_lSB_S9_lSA_T11_S9_li.numbered_sgpr, 38
	.set _ZL29rocblas_internal_gemmt_kernelIiLi16ELi32ELi8ELc67ELc78ELc85ELb1ELb0E19rocblas_complex_numIdES1_PKPKS1_PKPS1_EviT_T9_T10_S9_lSB_S9_lSA_T11_S9_li.num_named_barrier, 0
	.set _ZL29rocblas_internal_gemmt_kernelIiLi16ELi32ELi8ELc67ELc78ELc85ELb1ELb0E19rocblas_complex_numIdES1_PKPKS1_PKPS1_EviT_T9_T10_S9_lSB_S9_lSA_T11_S9_li.private_seg_size, 0
	.set _ZL29rocblas_internal_gemmt_kernelIiLi16ELi32ELi8ELc67ELc78ELc85ELb1ELb0E19rocblas_complex_numIdES1_PKPKS1_PKPS1_EviT_T9_T10_S9_lSB_S9_lSA_T11_S9_li.uses_vcc, 1
	.set _ZL29rocblas_internal_gemmt_kernelIiLi16ELi32ELi8ELc67ELc78ELc85ELb1ELb0E19rocblas_complex_numIdES1_PKPKS1_PKPS1_EviT_T9_T10_S9_lSB_S9_lSA_T11_S9_li.uses_flat_scratch, 0
	.set _ZL29rocblas_internal_gemmt_kernelIiLi16ELi32ELi8ELc67ELc78ELc85ELb1ELb0E19rocblas_complex_numIdES1_PKPKS1_PKPS1_EviT_T9_T10_S9_lSB_S9_lSA_T11_S9_li.has_dyn_sized_stack, 0
	.set _ZL29rocblas_internal_gemmt_kernelIiLi16ELi32ELi8ELc67ELc78ELc85ELb1ELb0E19rocblas_complex_numIdES1_PKPKS1_PKPS1_EviT_T9_T10_S9_lSB_S9_lSA_T11_S9_li.has_recursion, 0
	.set _ZL29rocblas_internal_gemmt_kernelIiLi16ELi32ELi8ELc67ELc78ELc85ELb1ELb0E19rocblas_complex_numIdES1_PKPKS1_PKPS1_EviT_T9_T10_S9_lSB_S9_lSA_T11_S9_li.has_indirect_call, 0
	.section	.AMDGPU.csdata,"",@progbits
; Kernel info:
; codeLenInByte = 3440
; TotalNumSgprs: 40
; NumVgprs: 133
; ScratchSize: 0
; MemoryBound: 1
; FloatMode: 240
; IeeeMode: 1
; LDSByteSize: 8192 bytes/workgroup (compile time only)
; SGPRBlocks: 0
; VGPRBlocks: 16
; NumSGPRsForWavesPerEU: 40
; NumVGPRsForWavesPerEU: 133
; Occupancy: 10
; WaveLimiterHint : 1
; COMPUTE_PGM_RSRC2:SCRATCH_EN: 0
; COMPUTE_PGM_RSRC2:USER_SGPR: 2
; COMPUTE_PGM_RSRC2:TRAP_HANDLER: 0
; COMPUTE_PGM_RSRC2:TGID_X_EN: 1
; COMPUTE_PGM_RSRC2:TGID_Y_EN: 1
; COMPUTE_PGM_RSRC2:TGID_Z_EN: 1
; COMPUTE_PGM_RSRC2:TIDIG_COMP_CNT: 1
	.section	.text._ZL29rocblas_internal_gemmt_kernelIiLi16ELi32ELi8ELc67ELc84ELc85ELb1ELb0E19rocblas_complex_numIdES1_PKPKS1_PKPS1_EviT_T9_T10_S9_lSB_S9_lSA_T11_S9_li,"axG",@progbits,_ZL29rocblas_internal_gemmt_kernelIiLi16ELi32ELi8ELc67ELc84ELc85ELb1ELb0E19rocblas_complex_numIdES1_PKPKS1_PKPS1_EviT_T9_T10_S9_lSB_S9_lSA_T11_S9_li,comdat
	.globl	_ZL29rocblas_internal_gemmt_kernelIiLi16ELi32ELi8ELc67ELc84ELc85ELb1ELb0E19rocblas_complex_numIdES1_PKPKS1_PKPS1_EviT_T9_T10_S9_lSB_S9_lSA_T11_S9_li ; -- Begin function _ZL29rocblas_internal_gemmt_kernelIiLi16ELi32ELi8ELc67ELc84ELc85ELb1ELb0E19rocblas_complex_numIdES1_PKPKS1_PKPS1_EviT_T9_T10_S9_lSB_S9_lSA_T11_S9_li
	.p2align	8
	.type	_ZL29rocblas_internal_gemmt_kernelIiLi16ELi32ELi8ELc67ELc84ELc85ELb1ELb0E19rocblas_complex_numIdES1_PKPKS1_PKPS1_EviT_T9_T10_S9_lSB_S9_lSA_T11_S9_li,@function
_ZL29rocblas_internal_gemmt_kernelIiLi16ELi32ELi8ELc67ELc84ELc85ELb1ELb0E19rocblas_complex_numIdES1_PKPKS1_PKPS1_EviT_T9_T10_S9_lSB_S9_lSA_T11_S9_li: ; @_ZL29rocblas_internal_gemmt_kernelIiLi16ELi32ELi8ELc67ELc84ELc85ELb1ELb0E19rocblas_complex_numIdES1_PKPKS1_PKPS1_EviT_T9_T10_S9_lSB_S9_lSA_T11_S9_li
; %bb.0:
	s_clause 0x2
	s_load_b256 s[4:11], s[0:1], 0x40
	s_load_b64 s[24:25], s[0:1], 0x0
	s_load_b128 s[12:15], s[0:1], 0x8
	s_wait_kmcnt 0x0
	v_cmp_eq_f64_e64 s2, s[6:7], 1.0
	v_cmp_eq_f64_e64 s33, s[8:9], 0
	s_and_b32 s2, s2, s33
	s_delay_alu instid0(SALU_CYCLE_1)
	s_and_not1_b32 vcc_lo, exec_lo, s2
	s_mov_b32 s2, -1
	s_cbranch_vccnz .LBB421_3
; %bb.1:
	s_cmp_lg_u32 s25, 0
	s_cbranch_scc0 .LBB421_36
; %bb.2:
	v_cmp_neq_f64_e64 s2, s[12:13], 0
	v_cmp_neq_f64_e64 s3, s[14:15], 0
	s_or_b32 s2, s2, s3
.LBB421_3:
	s_delay_alu instid0(SALU_CYCLE_1)
	s_and_b32 vcc_lo, exec_lo, s2
	s_cbranch_vccz .LBB421_37
; %bb.4:
	s_load_b32 s23, s[0:1], 0x70
	s_lshr_b32 s26, ttmp7, 16
	s_wait_kmcnt 0x0
	s_cmp_ge_u32 s26, s23
	s_cbranch_scc1 .LBB421_37
; %bb.5:
	v_cmp_neq_f64_e64 s3, s[12:13], 0
	v_cmp_neq_f64_e64 s34, s[14:15], 0
	;; [unrolled: 1-line block ×3, first 2 shown]
	v_and_b32_e32 v1, 0x3ff, v0
	v_bfe_u32 v2, v0, 10, 10
	s_clause 0x4
	s_load_b96 s[20:22], s[0:1], 0x18
	s_load_b128 s[16:19], s[0:1], 0x28
	s_load_b32 s28, s[0:1], 0x38
	s_load_b32 s36, s[0:1], 0x60
	s_load_b64 s[30:31], s[0:1], 0x68
	v_and_b32_e32 v35, 7, v0
	s_lshl_b32 s0, ttmp9, 5
	v_lshlrev_b32_e32 v36, 4, v1
	v_lshl_add_u32 v0, v2, 4, v1
	v_add_nc_u32_e32 v5, s0, v1
	s_lshl_b32 s1, ttmp7, 5
	v_lshlrev_b32_e32 v3, 4, v35
	s_wait_alu 0xfffe
	s_and_b32 s2, s1, 0x1fffe0
	v_lshrrev_b32_e32 v38, 5, v0
	v_lshrrev_b32_e32 v1, 3, v0
	v_and_b32_e32 v0, 31, v0
	v_lshl_add_u32 v37, v2, 7, 0x1000
	v_add_nc_u32_e32 v2, s2, v2
	v_add_nc_u32_e32 v7, 16, v5
	;; [unrolled: 1-line block ×3, first 2 shown]
	v_or_b32_e32 v4, s0, v0
	v_lshl_or_b32 v1, v1, 7, v3
	v_cmp_gt_i32_e32 vcc_lo, s24, v2
	v_cmp_le_i32_e64 s1, v5, v2
	v_add_nc_u32_e32 v9, 16, v2
	v_cmp_gt_i32_e64 s0, s24, v4
	s_wait_kmcnt 0x0
	v_mad_co_i64_i32 v[3:4], null, s22, v4, 0
	v_cmp_le_i32_e64 s2, v7, v2
	s_ashr_i32 s29, s28, 31
	v_mad_co_i64_i32 v[11:12], null, v9, s36, 0
	v_lshlrev_b32_e32 v14, 4, v38
	v_add_nc_u32_e32 v40, 0x1000, v1
	v_lshlrev_b64_e32 v[3:4], 4, v[3:4]
	v_mad_co_i64_i32 v[1:2], null, v2, s36, 0
	v_lshlrev_b32_e32 v0, 4, v0
	s_or_b32 s37, s3, s34
	s_cmp_gt_i32 s25, 0
	v_cmp_gt_i32_e64 s3, s24, v13
	s_cselect_b32 s38, -1, 0
	s_xor_b32 s33, s33, -1
	s_and_b32 s34, vcc_lo, s1
	s_or_b32 s33, s35, s33
	s_and_b32 s35, vcc_lo, s2
	v_cmp_gt_i32_e32 vcc_lo, s24, v9
	v_cmp_le_i32_e64 s1, v5, v9
	v_cmp_le_i32_e64 s2, v7, v9
	v_mad_co_i64_i32 v[9:10], null, s28, v35, 0
	s_lshl_b64 s[16:17], s[16:17], 4
	s_and_b32 s1, vcc_lo, s1
	s_and_b32 s22, vcc_lo, s2
	v_add_co_u32 v15, vcc_lo, v3, s16
	s_delay_alu instid0(VALU_DEP_1) | instskip(SKIP_1) | instid1(VALU_DEP_3)
	v_add_co_ci_u32_e64 v16, null, s17, v4, vcc_lo
	v_lshlrev_b64_e32 v[3:4], 4, v[9:10]
	v_add_co_u32 v9, vcc_lo, v15, v14
	s_lshl_b64 s[4:5], s[4:5], 4
	s_wait_alu 0xfffd
	v_add_co_ci_u32_e64 v41, null, 0, v16, vcc_lo
	v_lshlrev_b32_e32 v10, 4, v13
	v_add_co_u32 v3, vcc_lo, v3, s4
	s_wait_alu 0xfffd
	v_add_co_ci_u32_e64 v4, null, s5, v4, vcc_lo
	v_or_b32_e32 v42, 8, v9
	s_delay_alu instid0(VALU_DEP_3)
	v_add_co_u32 v43, vcc_lo, v3, v10
	v_lshlrev_b64_e32 v[9:10], 4, v[1:2]
	v_lshlrev_b64_e32 v[11:12], 4, v[11:12]
	v_lshl_or_b32 v39, v38, 9, v0
	v_ashrrev_i32_e32 v6, 31, v5
	v_ashrrev_i32_e32 v8, 31, v7
	v_mov_b32_e32 v0, 0
	s_wait_alu 0xfffd
	v_add_co_ci_u32_e64 v44, null, 0, v4, vcc_lo
	s_mov_b32 s27, 0
	s_wait_alu 0xfffe
	s_and_b32 s24, s37, s38
	s_lshl_b64 s[4:5], s[28:29], 7
	s_xor_b32 s28, s3, -1
	s_lshl_b64 s[2:3], s[30:31], 4
	s_branch .LBB421_7
.LBB421_6:                              ;   in Loop: Header=BB421_7 Depth=1
	s_wait_alu 0xfffe
	s_or_b32 exec_lo, exec_lo, s16
	s_add_co_i32 s26, s26, 0x10000
	s_delay_alu instid0(SALU_CYCLE_1)
	s_cmp_lt_u32 s26, s23
	s_cbranch_scc0 .LBB421_37
.LBB421_7:                              ; =>This Loop Header: Depth=1
                                        ;     Child Loop BB421_10 Depth 2
	s_lshl_b64 s[16:17], s[26:27], 3
	v_mov_b32_e32 v31, 0
	s_wait_alu 0xfffe
	s_add_nc_u64 s[30:31], s[10:11], s[16:17]
	v_mov_b32_e32 v27, 0
	global_load_b64 v[13:14], v0, s[30:31]
	v_mov_b32_e32 v23, 0
	v_dual_mov_b32 v21, 0 :: v_dual_mov_b32 v32, 0
	v_dual_mov_b32 v33, 0 :: v_dual_mov_b32 v28, 0
	;; [unrolled: 1-line block ×5, first 2 shown]
	v_mov_b32_e32 v30, 0
	v_mov_b32_e32 v26, 0
	v_mov_b32_e32 v20, 0
	s_and_not1_b32 vcc_lo, exec_lo, s24
	s_wait_alu 0xfffe
	s_cbranch_vccnz .LBB421_16
; %bb.8:                                ;   in Loop: Header=BB421_7 Depth=1
	s_add_nc_u64 s[30:31], s[20:21], s[16:17]
	s_add_nc_u64 s[16:17], s[18:19], s[16:17]
	s_clause 0x1
	global_load_b64 v[1:2], v0, s[30:31]
	global_load_b64 v[3:4], v0, s[16:17]
	v_mov_b32_e32 v19, 0
	v_mov_b32_e32 v25, 0
	;; [unrolled: 1-line block ×3, first 2 shown]
	v_dual_mov_b32 v33, 0 :: v_dual_mov_b32 v20, 0
	v_dual_mov_b32 v21, 0 :: v_dual_mov_b32 v26, 0
	;; [unrolled: 1-line block ×5, first 2 shown]
	v_mov_b32_e32 v24, 0
	v_mov_b32_e32 v28, 0
	;; [unrolled: 1-line block ×3, first 2 shown]
	s_mov_b32 s16, 0
	s_wait_loadcnt 0x1
	v_add_co_u32 v15, vcc_lo, v1, v42
	s_wait_alu 0xfffd
	v_add_co_ci_u32_e64 v16, null, v2, v41, vcc_lo
	s_wait_loadcnt 0x0
	v_add_co_u32 v17, vcc_lo, v3, v43
	s_wait_alu 0xfffd
	v_add_co_ci_u32_e64 v18, null, v4, v44, vcc_lo
	s_branch .LBB421_10
.LBB421_9:                              ;   in Loop: Header=BB421_10 Depth=2
	s_wait_alu 0xfffe
	s_or_b32 exec_lo, exec_lo, s17
	s_wait_dscnt 0x0
	s_barrier_signal -1
	s_barrier_wait -1
	global_inv scope:SCOPE_SE
	ds_load_b128 v[1:4], v37
	ds_load_b128 v[45:48], v36
	ds_load_b128 v[49:52], v36 offset:256
	ds_load_b128 v[53:56], v37 offset:2048
	;; [unrolled: 1-line block ×10, first 2 shown]
	v_add_co_u32 v15, vcc_lo, 0x80, v15
	s_wait_alu 0xfffd
	v_add_co_ci_u32_e64 v16, null, 0, v16, vcc_lo
	v_add_co_u32 v17, vcc_lo, v17, s4
	s_wait_alu 0xfffd
	v_add_co_ci_u32_e64 v18, null, s5, v18, vcc_lo
	s_add_co_i32 s16, s16, 8
	s_wait_alu 0xfffe
	s_cmp_lt_i32 s16, s25
	s_wait_dscnt 0xa
	v_mul_f64_e32 v[89:90], v[3:4], v[47:48]
	v_mul_f64_e32 v[91:92], v[1:2], v[47:48]
	s_wait_dscnt 0x9
	v_mul_f64_e32 v[93:94], v[3:4], v[51:52]
	v_mul_f64_e32 v[95:96], v[1:2], v[51:52]
	;; [unrolled: 3-line block ×3, first 2 shown]
	v_mul_f64_e32 v[99:100], v[55:56], v[51:52]
	v_mul_f64_e32 v[51:52], v[53:54], v[51:52]
	s_wait_dscnt 0x5
	v_mul_f64_e32 v[101:102], v[59:60], v[67:68]
	v_mul_f64_e32 v[103:104], v[57:58], v[67:68]
	s_wait_dscnt 0x4
	v_mul_f64_e32 v[105:106], v[59:60], v[71:72]
	v_mul_f64_e32 v[107:108], v[57:58], v[71:72]
	;; [unrolled: 1-line block ×6, first 2 shown]
	s_wait_dscnt 0x2
	v_mul_f64_e32 v[117:118], v[75:76], v[79:80]
	v_mul_f64_e32 v[119:120], v[73:74], v[79:80]
	s_wait_dscnt 0x1
	v_mul_f64_e32 v[121:122], v[75:76], v[83:84]
	v_mul_f64_e32 v[123:124], v[73:74], v[83:84]
	;; [unrolled: 3-line block ×3, first 2 shown]
	v_mul_f64_e32 v[127:128], v[87:88], v[83:84]
	v_mul_f64_e32 v[83:84], v[85:86], v[83:84]
	v_fma_f64 v[89:90], v[1:2], v[45:46], -v[89:90]
	v_fma_f64 v[91:92], v[3:4], v[45:46], v[91:92]
	v_fma_f64 v[93:94], v[1:2], v[49:50], -v[93:94]
	v_fma_f64 v[95:96], v[3:4], v[49:50], v[95:96]
	v_fma_f64 v[97:98], v[53:54], v[45:46], -v[97:98]
	v_fma_f64 v[113:114], v[55:56], v[45:46], v[47:48]
	v_fma_f64 v[99:100], v[53:54], v[49:50], -v[99:100]
	v_fma_f64 v[115:116], v[55:56], v[49:50], v[51:52]
	v_fma_f64 v[101:102], v[57:58], v[65:66], -v[101:102]
	v_fma_f64 v[103:104], v[59:60], v[65:66], v[103:104]
	v_fma_f64 v[57:58], v[57:58], v[69:70], -v[105:106]
	v_fma_f64 v[59:60], v[59:60], v[69:70], v[107:108]
	v_fma_f64 v[105:106], v[61:62], v[65:66], -v[109:110]
	v_fma_f64 v[65:66], v[63:64], v[65:66], v[67:68]
	v_fma_f64 v[61:62], v[61:62], v[69:70], -v[111:112]
	v_fma_f64 v[63:64], v[63:64], v[69:70], v[71:72]
	ds_load_b128 v[1:4], v37 offset:48
	ds_load_b128 v[45:48], v37 offset:2096
	;; [unrolled: 1-line block ×4, first 2 shown]
	v_fma_f64 v[117:118], v[73:74], v[77:78], -v[117:118]
	v_fma_f64 v[119:120], v[75:76], v[77:78], v[119:120]
	v_fma_f64 v[73:74], v[73:74], v[81:82], -v[121:122]
	v_fma_f64 v[75:76], v[75:76], v[81:82], v[123:124]
	;; [unrolled: 2-line block ×4, first 2 shown]
	s_wait_dscnt 0x1
	v_mul_f64_e32 v[107:108], v[1:2], v[51:52]
	s_wait_dscnt 0x0
	v_mul_f64_e32 v[109:110], v[3:4], v[55:56]
	v_mul_f64_e32 v[111:112], v[1:2], v[55:56]
	v_add_f64_e32 v[67:68], v[31:32], v[89:90]
	v_add_f64_e32 v[69:70], v[91:92], v[33:34]
	;; [unrolled: 1-line block ×8, first 2 shown]
	v_mul_f64_e32 v[99:100], v[3:4], v[51:52]
	v_mul_f64_e32 v[113:114], v[47:48], v[51:52]
	;; [unrolled: 1-line block ×5, first 2 shown]
	ds_load_b128 v[19:22], v37 offset:64
	ds_load_b128 v[23:26], v36 offset:2048
	;; [unrolled: 1-line block ×4, first 2 shown]
	s_wait_dscnt 0x0
	v_mul_f64_e32 v[123:124], v[33:34], v[25:26]
	v_mul_f64_e32 v[125:126], v[33:34], v[29:30]
	v_fma_f64 v[107:108], v[3:4], v[49:50], v[107:108]
	v_fma_f64 v[109:110], v[1:2], v[53:54], -v[109:110]
	v_fma_f64 v[111:112], v[3:4], v[53:54], v[111:112]
	v_add_f64_e32 v[83:84], v[67:68], v[101:102]
	v_add_f64_e32 v[85:86], v[103:104], v[69:70]
	;; [unrolled: 1-line block ×8, first 2 shown]
	v_mul_f64_e32 v[97:98], v[21:22], v[25:26]
	v_mul_f64_e32 v[101:102], v[19:20], v[25:26]
	;; [unrolled: 1-line block ×6, first 2 shown]
	v_fma_f64 v[99:100], v[1:2], v[49:50], -v[99:100]
	v_fma_f64 v[113:114], v[45:46], v[49:50], -v[113:114]
	v_fma_f64 v[127:128], v[47:48], v[49:50], v[51:52]
	v_fma_f64 v[115:116], v[45:46], v[53:54], -v[115:116]
	v_fma_f64 v[53:54], v[47:48], v[53:54], v[129:130]
	ds_load_b128 v[55:58], v37 offset:80
	ds_load_b128 v[59:62], v37 offset:2128
	;; [unrolled: 1-line block ×4, first 2 shown]
	v_fma_f64 v[123:124], v[31:32], v[23:24], -v[123:124]
	v_fma_f64 v[125:126], v[31:32], v[27:28], -v[125:126]
	v_add_f64_e32 v[83:84], v[83:84], v[117:118]
	v_add_f64_e32 v[85:86], v[119:120], v[85:86]
	;; [unrolled: 1-line block ×8, first 2 shown]
	s_wait_dscnt 0x1
	v_mul_f64_e32 v[89:90], v[57:58], v[65:66]
	v_mul_f64_e32 v[91:92], v[55:56], v[65:66]
	s_wait_dscnt 0x0
	v_mul_f64_e32 v[93:94], v[57:58], v[69:70]
	v_mul_f64_e32 v[95:96], v[55:56], v[69:70]
	;; [unrolled: 1-line block ×6, first 2 shown]
	v_fma_f64 v[97:98], v[19:20], v[23:24], -v[97:98]
	v_fma_f64 v[101:102], v[21:22], v[23:24], v[101:102]
	v_fma_f64 v[103:104], v[19:20], v[27:28], -v[103:104]
	v_fma_f64 v[105:106], v[21:22], v[27:28], v[105:106]
	v_fma_f64 v[129:130], v[33:34], v[23:24], v[25:26]
	;; [unrolled: 1-line block ×3, first 2 shown]
	ds_load_b128 v[1:4], v37 offset:96
	ds_load_b128 v[45:48], v36 offset:3072
	ds_load_b128 v[49:52], v36 offset:3328
	ds_load_b128 v[71:74], v37 offset:2144
	ds_load_b128 v[19:22], v37 offset:112
	ds_load_b128 v[23:26], v37 offset:2160
	ds_load_b128 v[27:30], v36 offset:3584
	ds_load_b128 v[31:34], v36 offset:3840
	s_wait_loadcnt_dscnt 0x0
	s_barrier_signal -1
	s_barrier_wait -1
	global_inv scope:SCOPE_SE
	v_add_f64_e32 v[83:84], v[83:84], v[99:100]
	v_add_f64_e32 v[85:86], v[107:108], v[85:86]
	;; [unrolled: 1-line block ×8, first 2 shown]
	v_mul_f64_e32 v[81:82], v[3:4], v[47:48]
	v_mul_f64_e32 v[107:108], v[1:2], v[47:48]
	;; [unrolled: 1-line block ×8, first 2 shown]
	v_fma_f64 v[89:90], v[55:56], v[63:64], -v[89:90]
	v_fma_f64 v[91:92], v[57:58], v[63:64], v[91:92]
	v_fma_f64 v[55:56], v[55:56], v[67:68], -v[93:94]
	v_fma_f64 v[57:58], v[57:58], v[67:68], v[95:96]
	;; [unrolled: 2-line block ×4, first 2 shown]
	v_mul_f64_e32 v[95:96], v[21:22], v[33:34]
	v_add_f64_e32 v[65:66], v[83:84], v[97:98]
	v_add_f64_e32 v[67:68], v[101:102], v[85:86]
	;; [unrolled: 1-line block ×8, first 2 shown]
	v_mul_f64_e32 v[85:86], v[21:22], v[29:30]
	v_mul_f64_e32 v[87:88], v[19:20], v[29:30]
	;; [unrolled: 1-line block ×7, first 2 shown]
	v_fma_f64 v[81:82], v[1:2], v[45:46], -v[81:82]
	v_fma_f64 v[103:104], v[3:4], v[45:46], v[107:108]
	v_fma_f64 v[1:2], v[1:2], v[49:50], -v[109:110]
	v_fma_f64 v[3:4], v[3:4], v[49:50], v[111:112]
	;; [unrolled: 2-line block ×4, first 2 shown]
	v_add_f64_e32 v[51:52], v[65:66], v[89:90]
	v_add_f64_e32 v[65:66], v[91:92], v[67:68]
	;; [unrolled: 1-line block ×8, first 2 shown]
	v_fma_f64 v[61:62], v[19:20], v[27:28], -v[85:86]
	v_fma_f64 v[69:70], v[21:22], v[27:28], v[87:88]
	v_fma_f64 v[19:20], v[19:20], v[31:32], -v[95:96]
	v_fma_f64 v[21:22], v[21:22], v[31:32], v[97:98]
	;; [unrolled: 2-line block ×4, first 2 shown]
	v_add_f64_e32 v[23:24], v[51:52], v[81:82]
	v_add_f64_e32 v[25:26], v[103:104], v[65:66]
	;; [unrolled: 1-line block ×16, first 2 shown]
	s_cbranch_scc0 .LBB421_16
.LBB421_10:                             ;   Parent Loop BB421_7 Depth=1
                                        ; =>  This Inner Loop Header: Depth=2
	s_wait_alu 0xfffe
	v_add_nc_u32_e32 v1, s16, v38
	v_mov_b32_e32 v3, 0
	v_mov_b32_e32 v4, 0
	s_delay_alu instid0(VALU_DEP_3)
	v_cmp_gt_i32_e32 vcc_lo, s25, v1
	v_mov_b32_e32 v1, 0
	v_mov_b32_e32 v2, 0
	s_and_b32 s29, s0, vcc_lo
	s_wait_alu 0xfffe
	s_and_saveexec_b32 s17, s29
	s_cbranch_execz .LBB421_12
; %bb.11:                               ;   in Loop: Header=BB421_10 Depth=2
	flat_load_b128 v[1:4], v[15:16] offset:-8
	s_wait_loadcnt_dscnt 0x0
	v_xor_b32_e32 v4, 0x80000000, v4
.LBB421_12:                             ;   in Loop: Header=BB421_10 Depth=2
	s_wait_alu 0xfffe
	s_or_b32 exec_lo, exec_lo, s17
	v_add_nc_u32_e32 v45, s16, v35
	ds_store_b128 v39, v[1:4]
	v_cmp_le_i32_e32 vcc_lo, s25, v45
	s_or_b32 s17, vcc_lo, s28
	s_wait_alu 0xfffe
	s_and_saveexec_b32 s29, s17
	s_wait_alu 0xfffe
	s_xor_b32 s17, exec_lo, s29
; %bb.13:                               ;   in Loop: Header=BB421_10 Depth=2
	v_dual_mov_b32 v1, v0 :: v_dual_mov_b32 v2, v0
	v_mov_b32_e32 v3, v0
	ds_store_b128 v40, v[0:3]
; %bb.14:                               ;   in Loop: Header=BB421_10 Depth=2
	s_wait_alu 0xfffe
	s_and_not1_saveexec_b32 s17, s17
	s_cbranch_execz .LBB421_9
; %bb.15:                               ;   in Loop: Header=BB421_10 Depth=2
	flat_load_b128 v[1:4], v[17:18]
	s_wait_loadcnt_dscnt 0x0
	ds_store_2addr_b64 v40, v[1:2], v[3:4] offset1:1
	s_branch .LBB421_9
.LBB421_16:                             ;   in Loop: Header=BB421_7 Depth=1
	s_wait_loadcnt 0x0
	v_add_co_u32 v13, vcc_lo, v13, s2
	s_wait_alu 0xfffd
	v_add_co_ci_u32_e64 v14, null, s3, v14, vcc_lo
	s_delay_alu instid0(VALU_DEP_2) | instskip(SKIP_1) | instid1(VALU_DEP_2)
	v_add_co_u32 v15, vcc_lo, v13, v9
	s_wait_alu 0xfffd
	v_add_co_ci_u32_e64 v16, null, v14, v10, vcc_lo
	s_and_saveexec_b32 s16, s34
	s_cbranch_execz .LBB421_21
; %bb.17:                               ;   in Loop: Header=BB421_7 Depth=1
	v_mul_f64_e32 v[1:2], s[14:15], v[33:34]
	v_mul_f64_e32 v[3:4], s[12:13], v[33:34]
	s_and_b32 vcc_lo, exec_lo, s33
	s_mov_b32 s17, -1
	s_delay_alu instid0(VALU_DEP_2) | instskip(NEXT) | instid1(VALU_DEP_2)
	v_fma_f64 v[1:2], s[12:13], v[31:32], -v[1:2]
	v_fma_f64 v[3:4], s[14:15], v[31:32], v[3:4]
	s_wait_alu 0xfffe
	s_cbranch_vccz .LBB421_19
; %bb.18:                               ;   in Loop: Header=BB421_7 Depth=1
	v_lshlrev_b64_e32 v[17:18], 4, v[5:6]
	s_mov_b32 s17, 0
	s_delay_alu instid0(VALU_DEP_1) | instskip(SKIP_1) | instid1(VALU_DEP_2)
	v_add_co_u32 v17, vcc_lo, v15, v17
	s_wait_alu 0xfffd
	v_add_co_ci_u32_e64 v18, null, v16, v18, vcc_lo
	flat_load_b128 v[31:34], v[17:18]
	s_wait_loadcnt_dscnt 0x0
	v_mul_f64_e32 v[45:46], s[8:9], v[33:34]
	v_mul_f64_e32 v[33:34], s[6:7], v[33:34]
	s_delay_alu instid0(VALU_DEP_2) | instskip(NEXT) | instid1(VALU_DEP_2)
	v_fma_f64 v[45:46], s[6:7], v[31:32], -v[45:46]
	v_fma_f64 v[33:34], s[8:9], v[31:32], v[33:34]
	s_delay_alu instid0(VALU_DEP_2) | instskip(NEXT) | instid1(VALU_DEP_2)
	v_add_f64_e32 v[31:32], v[1:2], v[45:46]
	v_add_f64_e32 v[33:34], v[3:4], v[33:34]
	flat_store_b128 v[17:18], v[31:34]
.LBB421_19:                             ;   in Loop: Header=BB421_7 Depth=1
	s_wait_alu 0xfffe
	s_and_not1_b32 vcc_lo, exec_lo, s17
	s_wait_alu 0xfffe
	s_cbranch_vccnz .LBB421_21
; %bb.20:                               ;   in Loop: Header=BB421_7 Depth=1
	v_lshlrev_b64_e32 v[17:18], 4, v[5:6]
	s_delay_alu instid0(VALU_DEP_1) | instskip(SKIP_1) | instid1(VALU_DEP_2)
	v_add_co_u32 v17, vcc_lo, v15, v17
	s_wait_alu 0xfffd
	v_add_co_ci_u32_e64 v18, null, v16, v18, vcc_lo
	flat_store_b128 v[17:18], v[1:4]
.LBB421_21:                             ;   in Loop: Header=BB421_7 Depth=1
	s_wait_alu 0xfffe
	s_or_b32 exec_lo, exec_lo, s16
	s_and_saveexec_b32 s16, s35
	s_cbranch_execz .LBB421_26
; %bb.22:                               ;   in Loop: Header=BB421_7 Depth=1
	v_mul_f64_e32 v[1:2], s[14:15], v[29:30]
	v_mul_f64_e32 v[3:4], s[12:13], v[29:30]
	s_and_not1_b32 vcc_lo, exec_lo, s33
	s_mov_b32 s17, -1
	s_delay_alu instid0(VALU_DEP_2) | instskip(NEXT) | instid1(VALU_DEP_2)
	v_fma_f64 v[1:2], s[12:13], v[27:28], -v[1:2]
	v_fma_f64 v[3:4], s[14:15], v[27:28], v[3:4]
	s_wait_alu 0xfffe
	s_cbranch_vccnz .LBB421_24
; %bb.23:                               ;   in Loop: Header=BB421_7 Depth=1
	v_lshlrev_b64_e32 v[17:18], 4, v[7:8]
	s_mov_b32 s17, 0
	s_delay_alu instid0(VALU_DEP_1) | instskip(SKIP_1) | instid1(VALU_DEP_2)
	v_add_co_u32 v17, vcc_lo, v15, v17
	s_wait_alu 0xfffd
	v_add_co_ci_u32_e64 v18, null, v16, v18, vcc_lo
	flat_load_b128 v[27:30], v[17:18]
	s_wait_loadcnt_dscnt 0x0
	v_mul_f64_e32 v[31:32], s[8:9], v[29:30]
	v_mul_f64_e32 v[29:30], s[6:7], v[29:30]
	s_delay_alu instid0(VALU_DEP_2) | instskip(NEXT) | instid1(VALU_DEP_2)
	v_fma_f64 v[31:32], s[6:7], v[27:28], -v[31:32]
	v_fma_f64 v[29:30], s[8:9], v[27:28], v[29:30]
	s_delay_alu instid0(VALU_DEP_2) | instskip(NEXT) | instid1(VALU_DEP_2)
	v_add_f64_e32 v[27:28], v[1:2], v[31:32]
	v_add_f64_e32 v[29:30], v[3:4], v[29:30]
	flat_store_b128 v[17:18], v[27:30]
.LBB421_24:                             ;   in Loop: Header=BB421_7 Depth=1
	s_wait_alu 0xfffe
	s_and_not1_b32 vcc_lo, exec_lo, s17
	s_wait_alu 0xfffe
	s_cbranch_vccnz .LBB421_26
; %bb.25:                               ;   in Loop: Header=BB421_7 Depth=1
	v_lshlrev_b64_e32 v[17:18], 4, v[7:8]
	s_delay_alu instid0(VALU_DEP_1) | instskip(SKIP_1) | instid1(VALU_DEP_2)
	v_add_co_u32 v15, vcc_lo, v15, v17
	s_wait_alu 0xfffd
	v_add_co_ci_u32_e64 v16, null, v16, v18, vcc_lo
	flat_store_b128 v[15:16], v[1:4]
.LBB421_26:                             ;   in Loop: Header=BB421_7 Depth=1
	s_wait_alu 0xfffe
	s_or_b32 exec_lo, exec_lo, s16
	v_add_co_u32 v15, vcc_lo, v13, v11
	s_wait_alu 0xfffd
	v_add_co_ci_u32_e64 v16, null, v14, v12, vcc_lo
	s_and_saveexec_b32 s16, s1
	s_cbranch_execz .LBB421_31
; %bb.27:                               ;   in Loop: Header=BB421_7 Depth=1
	v_mul_f64_e32 v[1:2], s[14:15], v[25:26]
	v_mul_f64_e32 v[3:4], s[12:13], v[25:26]
	v_lshlrev_b64_e32 v[13:14], 4, v[5:6]
	s_and_not1_b32 vcc_lo, exec_lo, s33
	s_mov_b32 s17, -1
	s_delay_alu instid0(VALU_DEP_3) | instskip(NEXT) | instid1(VALU_DEP_3)
	v_fma_f64 v[1:2], s[12:13], v[23:24], -v[1:2]
	v_fma_f64 v[3:4], s[14:15], v[23:24], v[3:4]
	s_wait_alu 0xfffe
	s_cbranch_vccnz .LBB421_29
; %bb.28:                               ;   in Loop: Header=BB421_7 Depth=1
	v_add_co_u32 v17, vcc_lo, v15, v13
	s_wait_alu 0xfffd
	v_add_co_ci_u32_e64 v18, null, v16, v14, vcc_lo
	s_mov_b32 s17, 0
	flat_load_b128 v[23:26], v[17:18]
	s_wait_loadcnt_dscnt 0x0
	v_mul_f64_e32 v[27:28], s[8:9], v[25:26]
	v_mul_f64_e32 v[25:26], s[6:7], v[25:26]
	s_delay_alu instid0(VALU_DEP_2) | instskip(NEXT) | instid1(VALU_DEP_2)
	v_fma_f64 v[27:28], s[6:7], v[23:24], -v[27:28]
	v_fma_f64 v[25:26], s[8:9], v[23:24], v[25:26]
	s_delay_alu instid0(VALU_DEP_2) | instskip(NEXT) | instid1(VALU_DEP_2)
	v_add_f64_e32 v[23:24], v[1:2], v[27:28]
	v_add_f64_e32 v[25:26], v[3:4], v[25:26]
	flat_store_b128 v[17:18], v[23:26]
.LBB421_29:                             ;   in Loop: Header=BB421_7 Depth=1
	s_wait_alu 0xfffe
	s_and_not1_b32 vcc_lo, exec_lo, s17
	s_wait_alu 0xfffe
	s_cbranch_vccnz .LBB421_31
; %bb.30:                               ;   in Loop: Header=BB421_7 Depth=1
	v_add_co_u32 v13, vcc_lo, v15, v13
	s_wait_alu 0xfffd
	v_add_co_ci_u32_e64 v14, null, v16, v14, vcc_lo
	flat_store_b128 v[13:14], v[1:4]
.LBB421_31:                             ;   in Loop: Header=BB421_7 Depth=1
	s_wait_alu 0xfffe
	s_or_b32 exec_lo, exec_lo, s16
	s_and_saveexec_b32 s16, s22
	s_cbranch_execz .LBB421_6
; %bb.32:                               ;   in Loop: Header=BB421_7 Depth=1
	v_mul_f64_e32 v[1:2], s[14:15], v[19:20]
	v_mul_f64_e32 v[3:4], s[12:13], v[19:20]
	v_lshlrev_b64_e32 v[13:14], 4, v[7:8]
	s_and_not1_b32 vcc_lo, exec_lo, s33
	s_mov_b32 s17, -1
	s_delay_alu instid0(VALU_DEP_3) | instskip(NEXT) | instid1(VALU_DEP_3)
	v_fma_f64 v[1:2], s[12:13], v[21:22], -v[1:2]
	v_fma_f64 v[3:4], s[14:15], v[21:22], v[3:4]
	s_wait_alu 0xfffe
	s_cbranch_vccnz .LBB421_34
; %bb.33:                               ;   in Loop: Header=BB421_7 Depth=1
	v_add_co_u32 v21, vcc_lo, v15, v13
	s_wait_alu 0xfffd
	v_add_co_ci_u32_e64 v22, null, v16, v14, vcc_lo
	s_mov_b32 s17, 0
	flat_load_b128 v[17:20], v[21:22]
	s_wait_loadcnt_dscnt 0x0
	v_mul_f64_e32 v[23:24], s[8:9], v[19:20]
	v_mul_f64_e32 v[19:20], s[6:7], v[19:20]
	s_delay_alu instid0(VALU_DEP_2) | instskip(NEXT) | instid1(VALU_DEP_2)
	v_fma_f64 v[23:24], s[6:7], v[17:18], -v[23:24]
	v_fma_f64 v[19:20], s[8:9], v[17:18], v[19:20]
	s_delay_alu instid0(VALU_DEP_2) | instskip(NEXT) | instid1(VALU_DEP_2)
	v_add_f64_e32 v[17:18], v[1:2], v[23:24]
	v_add_f64_e32 v[19:20], v[3:4], v[19:20]
	flat_store_b128 v[21:22], v[17:20]
.LBB421_34:                             ;   in Loop: Header=BB421_7 Depth=1
	s_wait_alu 0xfffe
	s_and_not1_b32 vcc_lo, exec_lo, s17
	s_wait_alu 0xfffe
	s_cbranch_vccnz .LBB421_6
; %bb.35:                               ;   in Loop: Header=BB421_7 Depth=1
	v_add_co_u32 v13, vcc_lo, v15, v13
	s_wait_alu 0xfffd
	v_add_co_ci_u32_e64 v14, null, v16, v14, vcc_lo
	flat_store_b128 v[13:14], v[1:4]
	s_branch .LBB421_6
.LBB421_36:
.LBB421_37:
	s_nop 0
	s_sendmsg sendmsg(MSG_DEALLOC_VGPRS)
	s_endpgm
	.section	.rodata,"a",@progbits
	.p2align	6, 0x0
	.amdhsa_kernel _ZL29rocblas_internal_gemmt_kernelIiLi16ELi32ELi8ELc67ELc84ELc85ELb1ELb0E19rocblas_complex_numIdES1_PKPKS1_PKPS1_EviT_T9_T10_S9_lSB_S9_lSA_T11_S9_li
		.amdhsa_group_segment_fixed_size 8192
		.amdhsa_private_segment_fixed_size 0
		.amdhsa_kernarg_size 116
		.amdhsa_user_sgpr_count 2
		.amdhsa_user_sgpr_dispatch_ptr 0
		.amdhsa_user_sgpr_queue_ptr 0
		.amdhsa_user_sgpr_kernarg_segment_ptr 1
		.amdhsa_user_sgpr_dispatch_id 0
		.amdhsa_user_sgpr_private_segment_size 0
		.amdhsa_wavefront_size32 1
		.amdhsa_uses_dynamic_stack 0
		.amdhsa_enable_private_segment 0
		.amdhsa_system_sgpr_workgroup_id_x 1
		.amdhsa_system_sgpr_workgroup_id_y 1
		.amdhsa_system_sgpr_workgroup_id_z 1
		.amdhsa_system_sgpr_workgroup_info 0
		.amdhsa_system_vgpr_workitem_id 1
		.amdhsa_next_free_vgpr 133
		.amdhsa_next_free_sgpr 39
		.amdhsa_reserve_vcc 1
		.amdhsa_float_round_mode_32 0
		.amdhsa_float_round_mode_16_64 0
		.amdhsa_float_denorm_mode_32 3
		.amdhsa_float_denorm_mode_16_64 3
		.amdhsa_fp16_overflow 0
		.amdhsa_workgroup_processor_mode 1
		.amdhsa_memory_ordered 1
		.amdhsa_forward_progress 1
		.amdhsa_inst_pref_size 27
		.amdhsa_round_robin_scheduling 0
		.amdhsa_exception_fp_ieee_invalid_op 0
		.amdhsa_exception_fp_denorm_src 0
		.amdhsa_exception_fp_ieee_div_zero 0
		.amdhsa_exception_fp_ieee_overflow 0
		.amdhsa_exception_fp_ieee_underflow 0
		.amdhsa_exception_fp_ieee_inexact 0
		.amdhsa_exception_int_div_zero 0
	.end_amdhsa_kernel
	.section	.text._ZL29rocblas_internal_gemmt_kernelIiLi16ELi32ELi8ELc67ELc84ELc85ELb1ELb0E19rocblas_complex_numIdES1_PKPKS1_PKPS1_EviT_T9_T10_S9_lSB_S9_lSA_T11_S9_li,"axG",@progbits,_ZL29rocblas_internal_gemmt_kernelIiLi16ELi32ELi8ELc67ELc84ELc85ELb1ELb0E19rocblas_complex_numIdES1_PKPKS1_PKPS1_EviT_T9_T10_S9_lSB_S9_lSA_T11_S9_li,comdat
.Lfunc_end421:
	.size	_ZL29rocblas_internal_gemmt_kernelIiLi16ELi32ELi8ELc67ELc84ELc85ELb1ELb0E19rocblas_complex_numIdES1_PKPKS1_PKPS1_EviT_T9_T10_S9_lSB_S9_lSA_T11_S9_li, .Lfunc_end421-_ZL29rocblas_internal_gemmt_kernelIiLi16ELi32ELi8ELc67ELc84ELc85ELb1ELb0E19rocblas_complex_numIdES1_PKPKS1_PKPS1_EviT_T9_T10_S9_lSB_S9_lSA_T11_S9_li
                                        ; -- End function
	.set _ZL29rocblas_internal_gemmt_kernelIiLi16ELi32ELi8ELc67ELc84ELc85ELb1ELb0E19rocblas_complex_numIdES1_PKPKS1_PKPS1_EviT_T9_T10_S9_lSB_S9_lSA_T11_S9_li.num_vgpr, 133
	.set _ZL29rocblas_internal_gemmt_kernelIiLi16ELi32ELi8ELc67ELc84ELc85ELb1ELb0E19rocblas_complex_numIdES1_PKPKS1_PKPS1_EviT_T9_T10_S9_lSB_S9_lSA_T11_S9_li.num_agpr, 0
	.set _ZL29rocblas_internal_gemmt_kernelIiLi16ELi32ELi8ELc67ELc84ELc85ELb1ELb0E19rocblas_complex_numIdES1_PKPKS1_PKPS1_EviT_T9_T10_S9_lSB_S9_lSA_T11_S9_li.numbered_sgpr, 39
	.set _ZL29rocblas_internal_gemmt_kernelIiLi16ELi32ELi8ELc67ELc84ELc85ELb1ELb0E19rocblas_complex_numIdES1_PKPKS1_PKPS1_EviT_T9_T10_S9_lSB_S9_lSA_T11_S9_li.num_named_barrier, 0
	.set _ZL29rocblas_internal_gemmt_kernelIiLi16ELi32ELi8ELc67ELc84ELc85ELb1ELb0E19rocblas_complex_numIdES1_PKPKS1_PKPS1_EviT_T9_T10_S9_lSB_S9_lSA_T11_S9_li.private_seg_size, 0
	.set _ZL29rocblas_internal_gemmt_kernelIiLi16ELi32ELi8ELc67ELc84ELc85ELb1ELb0E19rocblas_complex_numIdES1_PKPKS1_PKPS1_EviT_T9_T10_S9_lSB_S9_lSA_T11_S9_li.uses_vcc, 1
	.set _ZL29rocblas_internal_gemmt_kernelIiLi16ELi32ELi8ELc67ELc84ELc85ELb1ELb0E19rocblas_complex_numIdES1_PKPKS1_PKPS1_EviT_T9_T10_S9_lSB_S9_lSA_T11_S9_li.uses_flat_scratch, 0
	.set _ZL29rocblas_internal_gemmt_kernelIiLi16ELi32ELi8ELc67ELc84ELc85ELb1ELb0E19rocblas_complex_numIdES1_PKPKS1_PKPS1_EviT_T9_T10_S9_lSB_S9_lSA_T11_S9_li.has_dyn_sized_stack, 0
	.set _ZL29rocblas_internal_gemmt_kernelIiLi16ELi32ELi8ELc67ELc84ELc85ELb1ELb0E19rocblas_complex_numIdES1_PKPKS1_PKPS1_EviT_T9_T10_S9_lSB_S9_lSA_T11_S9_li.has_recursion, 0
	.set _ZL29rocblas_internal_gemmt_kernelIiLi16ELi32ELi8ELc67ELc84ELc85ELb1ELb0E19rocblas_complex_numIdES1_PKPKS1_PKPS1_EviT_T9_T10_S9_lSB_S9_lSA_T11_S9_li.has_indirect_call, 0
	.section	.AMDGPU.csdata,"",@progbits
; Kernel info:
; codeLenInByte = 3448
; TotalNumSgprs: 41
; NumVgprs: 133
; ScratchSize: 0
; MemoryBound: 1
; FloatMode: 240
; IeeeMode: 1
; LDSByteSize: 8192 bytes/workgroup (compile time only)
; SGPRBlocks: 0
; VGPRBlocks: 16
; NumSGPRsForWavesPerEU: 41
; NumVGPRsForWavesPerEU: 133
; Occupancy: 10
; WaveLimiterHint : 1
; COMPUTE_PGM_RSRC2:SCRATCH_EN: 0
; COMPUTE_PGM_RSRC2:USER_SGPR: 2
; COMPUTE_PGM_RSRC2:TRAP_HANDLER: 0
; COMPUTE_PGM_RSRC2:TGID_X_EN: 1
; COMPUTE_PGM_RSRC2:TGID_Y_EN: 1
; COMPUTE_PGM_RSRC2:TGID_Z_EN: 1
; COMPUTE_PGM_RSRC2:TIDIG_COMP_CNT: 1
	.section	.text._ZL29rocblas_internal_gemmt_kernelIiLi16ELi32ELi8ELc67ELc67ELc85ELb1ELb1E19rocblas_complex_numIdES1_PKPKS1_PKPS1_EviT_T9_T10_S9_lSB_S9_lSA_T11_S9_li,"axG",@progbits,_ZL29rocblas_internal_gemmt_kernelIiLi16ELi32ELi8ELc67ELc67ELc85ELb1ELb1E19rocblas_complex_numIdES1_PKPKS1_PKPS1_EviT_T9_T10_S9_lSB_S9_lSA_T11_S9_li,comdat
	.globl	_ZL29rocblas_internal_gemmt_kernelIiLi16ELi32ELi8ELc67ELc67ELc85ELb1ELb1E19rocblas_complex_numIdES1_PKPKS1_PKPS1_EviT_T9_T10_S9_lSB_S9_lSA_T11_S9_li ; -- Begin function _ZL29rocblas_internal_gemmt_kernelIiLi16ELi32ELi8ELc67ELc67ELc85ELb1ELb1E19rocblas_complex_numIdES1_PKPKS1_PKPS1_EviT_T9_T10_S9_lSB_S9_lSA_T11_S9_li
	.p2align	8
	.type	_ZL29rocblas_internal_gemmt_kernelIiLi16ELi32ELi8ELc67ELc67ELc85ELb1ELb1E19rocblas_complex_numIdES1_PKPKS1_PKPS1_EviT_T9_T10_S9_lSB_S9_lSA_T11_S9_li,@function
_ZL29rocblas_internal_gemmt_kernelIiLi16ELi32ELi8ELc67ELc67ELc85ELb1ELb1E19rocblas_complex_numIdES1_PKPKS1_PKPS1_EviT_T9_T10_S9_lSB_S9_lSA_T11_S9_li: ; @_ZL29rocblas_internal_gemmt_kernelIiLi16ELi32ELi8ELc67ELc67ELc85ELb1ELb1E19rocblas_complex_numIdES1_PKPKS1_PKPS1_EviT_T9_T10_S9_lSB_S9_lSA_T11_S9_li
; %bb.0:
	s_clause 0x2
	s_load_b256 s[4:11], s[0:1], 0x40
	s_load_b64 s[24:25], s[0:1], 0x0
	s_load_b128 s[12:15], s[0:1], 0x8
	s_wait_kmcnt 0x0
	v_cmp_eq_f64_e64 s2, s[6:7], 1.0
	v_cmp_eq_f64_e64 s33, s[8:9], 0
	s_and_b32 s2, s2, s33
	s_delay_alu instid0(SALU_CYCLE_1)
	s_and_not1_b32 vcc_lo, exec_lo, s2
	s_mov_b32 s2, -1
	s_cbranch_vccnz .LBB422_3
; %bb.1:
	s_cmp_lg_u32 s25, 0
	s_cbranch_scc0 .LBB422_34
; %bb.2:
	v_cmp_neq_f64_e64 s2, s[12:13], 0
	v_cmp_neq_f64_e64 s3, s[14:15], 0
	s_or_b32 s2, s2, s3
.LBB422_3:
	s_delay_alu instid0(SALU_CYCLE_1)
	s_and_b32 vcc_lo, exec_lo, s2
	s_cbranch_vccz .LBB422_35
; %bb.4:
	s_load_b32 s23, s[0:1], 0x70
	s_lshr_b32 s26, ttmp7, 16
	s_wait_kmcnt 0x0
	s_cmp_ge_u32 s26, s23
	s_cbranch_scc1 .LBB422_35
; %bb.5:
	v_cmp_neq_f64_e64 s34, s[12:13], 0
	v_cmp_neq_f64_e64 s35, s[14:15], 0
	v_dual_mov_b32 v44, 0 :: v_dual_and_b32 v1, 0x3ff, v0
	v_bfe_u32 v2, v0, 10, 10
	s_clause 0x4
	s_load_b96 s[20:22], s[0:1], 0x18
	s_load_b128 s[16:19], s[0:1], 0x28
	s_load_b32 s28, s[0:1], 0x38
	s_load_b32 s37, s[0:1], 0x60
	s_load_b64 s[30:31], s[0:1], 0x68
	v_and_b32_e32 v38, 7, v0
	s_lshl_b32 s0, ttmp9, 5
	v_lshlrev_b32_e32 v39, 4, v1
	v_lshl_add_u32 v0, v2, 4, v1
	v_add_nc_u32_e32 v8, s0, v1
	v_lshlrev_b32_e32 v3, 4, v38
	v_cmp_neq_f64_e64 s36, s[6:7], 0
	s_lshl_b32 s1, ttmp7, 5
	v_lshrrev_b32_e32 v41, 5, v0
	v_and_b32_e32 v1, 31, v0
	v_lshrrev_b32_e32 v0, 3, v0
	s_wait_alu 0xfffe
	s_and_b32 s1, s1, 0x1fffe0
	v_lshl_add_u32 v40, v2, 7, 0x1000
	s_wait_alu 0xfffe
	v_add_nc_u32_e32 v2, s1, v2
	v_add_nc_u32_e32 v10, 16, v8
	v_or_b32_e32 v4, s0, v1
	v_add_nc_u32_e32 v12, s1, v0
	v_lshlrev_b32_e32 v1, 4, v1
	v_lshl_or_b32 v0, v0, 7, v3
	v_cmp_gt_i32_e32 vcc_lo, s24, v2
	v_cmp_le_i32_e64 s2, v8, v2
	v_cmp_le_i32_e64 s3, v10, v2
	v_lshl_or_b32 v42, v41, 9, v1
	v_add_nc_u32_e32 v43, 0x1000, v0
	s_wait_kmcnt 0x0
	v_mad_co_i64_i32 v[0:1], null, v2, s37, 0
	v_add_nc_u32_e32 v13, 16, v2
	v_mad_co_i64_i32 v[2:3], null, s22, v4, 0
	v_cmp_gt_i32_e64 s0, s24, v4
	v_mad_co_i64_i32 v[4:5], null, s28, v38, 0
	s_ashr_i32 s29, s28, 31
	s_or_b32 s38, s34, s35
	s_cmp_gt_i32 s25, 0
	v_lshlrev_b64_e32 v[2:3], 4, v[2:3]
	s_cselect_b32 s39, -1, 0
	s_and_b32 s34, vcc_lo, s2
	v_lshlrev_b64_e32 v[4:5], 4, v[4:5]
	s_and_b32 s35, vcc_lo, s3
	v_cmp_gt_i32_e32 vcc_lo, s24, v13
	v_cmp_le_i32_e64 s2, v8, v13
	s_lshl_b64 s[16:17], s[16:17], 4
	s_lshl_b64 s[4:5], s[4:5], 4
	v_add_co_u32 v2, s3, v2, s16
	v_cmp_gt_i32_e64 s1, s24, v12
	v_mad_co_i64_i32 v[6:7], null, v13, s37, 0
	s_and_b32 s22, vcc_lo, s2
	v_cmp_le_i32_e64 s2, v10, v13
	v_add_co_ci_u32_e64 v3, null, s17, v3, s3
	v_lshlrev_b32_e32 v13, 4, v41
	v_add_co_u32 v4, s3, v4, s4
	v_lshlrev_b32_e32 v12, 4, v12
	s_wait_alu 0xf1ff
	v_add_co_ci_u32_e64 v5, null, s5, v5, s3
	v_add_co_u32 v2, s4, v2, v13
	s_delay_alu instid0(VALU_DEP_3)
	v_add_co_u32 v4, s3, v4, v12
	v_lshlrev_b64_e32 v[12:13], 4, v[0:1]
	v_lshlrev_b64_e32 v[14:15], 4, v[6:7]
	v_ashrrev_i32_e32 v9, 31, v8
	v_ashrrev_i32_e32 v11, 31, v10
	s_wait_alu 0xf1ff
	v_add_co_ci_u32_e64 v45, null, 0, v3, s4
	v_or_b32_e32 v46, 8, v2
	v_add_co_ci_u32_e64 v47, null, 0, v5, s3
	v_or_b32_e32 v48, 8, v4
	s_xor_b32 s33, s33, -1
	s_mov_b32 s27, 0
	s_or_b32 s33, s36, s33
	s_and_b32 s24, s38, s39
	s_and_b32 s36, vcc_lo, s2
	s_wait_alu 0xfffe
	s_lshl_b64 s[2:3], s[28:29], 7
	s_lshl_b64 s[4:5], s[30:31], 4
	s_branch .LBB422_7
.LBB422_6:                              ;   in Loop: Header=BB422_7 Depth=1
	s_wait_alu 0xfffe
	s_or_b32 exec_lo, exec_lo, s16
	s_add_co_i32 s26, s26, 0x10000
	s_delay_alu instid0(SALU_CYCLE_1)
	s_cmp_lt_u32 s26, s23
	s_cbranch_scc0 .LBB422_35
.LBB422_7:                              ; =>This Loop Header: Depth=1
                                        ;     Child Loop BB422_10 Depth 2
	s_lshl_b64 s[16:17], s[26:27], 3
	v_mov_b32_e32 v34, 0
	s_wait_alu 0xfffe
	s_add_nc_u64 s[28:29], s[10:11], s[16:17]
	v_mov_b32_e32 v30, 0
	global_load_b64 v[16:17], v44, s[28:29]
	v_mov_b32_e32 v26, 0
	v_dual_mov_b32 v24, 0 :: v_dual_mov_b32 v35, 0
	v_dual_mov_b32 v36, 0 :: v_dual_mov_b32 v31, 0
	;; [unrolled: 1-line block ×5, first 2 shown]
	v_mov_b32_e32 v33, 0
	v_mov_b32_e32 v29, 0
	;; [unrolled: 1-line block ×3, first 2 shown]
	s_and_not1_b32 vcc_lo, exec_lo, s24
	s_wait_alu 0xfffe
	s_cbranch_vccnz .LBB422_14
; %bb.8:                                ;   in Loop: Header=BB422_7 Depth=1
	s_add_nc_u64 s[28:29], s[20:21], s[16:17]
	s_add_nc_u64 s[16:17], s[18:19], s[16:17]
	s_clause 0x1
	global_load_b64 v[0:1], v44, s[28:29]
	global_load_b64 v[2:3], v44, s[16:17]
	v_mov_b32_e32 v22, 0
	v_mov_b32_e32 v28, 0
	;; [unrolled: 1-line block ×3, first 2 shown]
	v_dual_mov_b32 v36, 0 :: v_dual_mov_b32 v23, 0
	v_dual_mov_b32 v24, 0 :: v_dual_mov_b32 v29, 0
	;; [unrolled: 1-line block ×5, first 2 shown]
	v_mov_b32_e32 v27, 0
	v_mov_b32_e32 v31, 0
	;; [unrolled: 1-line block ×3, first 2 shown]
	s_mov_b32 s16, 0
	s_wait_loadcnt 0x1
	v_add_co_u32 v18, vcc_lo, v0, v46
	s_wait_alu 0xfffd
	v_add_co_ci_u32_e64 v19, null, v1, v45, vcc_lo
	s_wait_loadcnt 0x0
	v_add_co_u32 v20, vcc_lo, v2, v48
	s_wait_alu 0xfffd
	v_add_co_ci_u32_e64 v21, null, v3, v47, vcc_lo
	s_branch .LBB422_10
.LBB422_9:                              ;   in Loop: Header=BB422_10 Depth=2
	s_wait_alu 0xfffe
	s_or_b32 exec_lo, exec_lo, s17
	ds_store_b128 v43, v[4:7]
	s_wait_dscnt 0x0
	s_barrier_signal -1
	s_barrier_wait -1
	global_inv scope:SCOPE_SE
	ds_load_b128 v[0:3], v40
	ds_load_b128 v[4:7], v39
	ds_load_b128 v[49:52], v39 offset:256
	ds_load_b128 v[53:56], v40 offset:2048
	;; [unrolled: 1-line block ×10, first 2 shown]
	v_add_co_u32 v18, vcc_lo, 0x80, v18
	s_wait_alu 0xfffd
	v_add_co_ci_u32_e64 v19, null, 0, v19, vcc_lo
	v_add_co_u32 v20, vcc_lo, v20, s2
	s_wait_alu 0xfffd
	v_add_co_ci_u32_e64 v21, null, s3, v21, vcc_lo
	s_add_co_i32 s16, s16, 8
	s_wait_alu 0xfffe
	s_cmp_lt_i32 s16, s25
	s_wait_dscnt 0xa
	v_mul_f64_e32 v[89:90], v[2:3], v[6:7]
	v_mul_f64_e32 v[91:92], v[0:1], v[6:7]
	s_wait_dscnt 0x9
	v_mul_f64_e32 v[93:94], v[2:3], v[51:52]
	v_mul_f64_e32 v[95:96], v[0:1], v[51:52]
	;; [unrolled: 3-line block ×3, first 2 shown]
	v_mul_f64_e32 v[99:100], v[55:56], v[51:52]
	v_mul_f64_e32 v[51:52], v[53:54], v[51:52]
	s_wait_dscnt 0x5
	v_mul_f64_e32 v[101:102], v[59:60], v[67:68]
	v_mul_f64_e32 v[103:104], v[57:58], v[67:68]
	s_wait_dscnt 0x4
	v_mul_f64_e32 v[105:106], v[59:60], v[71:72]
	v_mul_f64_e32 v[107:108], v[57:58], v[71:72]
	;; [unrolled: 1-line block ×6, first 2 shown]
	s_wait_dscnt 0x2
	v_mul_f64_e32 v[117:118], v[75:76], v[79:80]
	v_mul_f64_e32 v[119:120], v[73:74], v[79:80]
	s_wait_dscnt 0x1
	v_mul_f64_e32 v[121:122], v[75:76], v[83:84]
	v_mul_f64_e32 v[123:124], v[73:74], v[83:84]
	;; [unrolled: 3-line block ×3, first 2 shown]
	v_mul_f64_e32 v[127:128], v[87:88], v[83:84]
	v_mul_f64_e32 v[83:84], v[85:86], v[83:84]
	v_fma_f64 v[89:90], v[0:1], v[4:5], -v[89:90]
	v_fma_f64 v[91:92], v[2:3], v[4:5], v[91:92]
	v_fma_f64 v[93:94], v[0:1], v[49:50], -v[93:94]
	v_fma_f64 v[95:96], v[2:3], v[49:50], v[95:96]
	;; [unrolled: 2-line block ×8, first 2 shown]
	ds_load_b128 v[0:3], v40 offset:48
	ds_load_b128 v[4:7], v40 offset:2096
	;; [unrolled: 1-line block ×4, first 2 shown]
	v_fma_f64 v[117:118], v[73:74], v[77:78], -v[117:118]
	v_fma_f64 v[119:120], v[75:76], v[77:78], v[119:120]
	v_fma_f64 v[73:74], v[73:74], v[81:82], -v[121:122]
	v_fma_f64 v[75:76], v[75:76], v[81:82], v[123:124]
	;; [unrolled: 2-line block ×4, first 2 shown]
	s_wait_dscnt 0x1
	v_mul_f64_e32 v[107:108], v[0:1], v[51:52]
	s_wait_dscnt 0x0
	v_mul_f64_e32 v[109:110], v[2:3], v[55:56]
	v_mul_f64_e32 v[111:112], v[0:1], v[55:56]
	v_add_f64_e32 v[67:68], v[34:35], v[89:90]
	v_add_f64_e32 v[69:70], v[91:92], v[36:37]
	;; [unrolled: 1-line block ×8, first 2 shown]
	v_mul_f64_e32 v[99:100], v[2:3], v[51:52]
	v_mul_f64_e32 v[113:114], v[6:7], v[51:52]
	;; [unrolled: 1-line block ×5, first 2 shown]
	ds_load_b128 v[22:25], v40 offset:64
	ds_load_b128 v[26:29], v39 offset:2048
	;; [unrolled: 1-line block ×4, first 2 shown]
	s_wait_dscnt 0x0
	v_mul_f64_e32 v[123:124], v[36:37], v[28:29]
	v_mul_f64_e32 v[125:126], v[36:37], v[32:33]
	v_fma_f64 v[107:108], v[2:3], v[49:50], v[107:108]
	v_fma_f64 v[109:110], v[0:1], v[53:54], -v[109:110]
	v_fma_f64 v[111:112], v[2:3], v[53:54], v[111:112]
	v_add_f64_e32 v[83:84], v[67:68], v[101:102]
	v_add_f64_e32 v[85:86], v[103:104], v[69:70]
	;; [unrolled: 1-line block ×8, first 2 shown]
	v_mul_f64_e32 v[97:98], v[24:25], v[28:29]
	v_mul_f64_e32 v[101:102], v[22:23], v[28:29]
	;; [unrolled: 1-line block ×6, first 2 shown]
	v_fma_f64 v[99:100], v[0:1], v[49:50], -v[99:100]
	v_fma_f64 v[113:114], v[4:5], v[49:50], -v[113:114]
	v_fma_f64 v[127:128], v[6:7], v[49:50], v[51:52]
	v_fma_f64 v[115:116], v[4:5], v[53:54], -v[115:116]
	v_fma_f64 v[53:54], v[6:7], v[53:54], v[129:130]
	ds_load_b128 v[55:58], v40 offset:80
	ds_load_b128 v[59:62], v40 offset:2128
	;; [unrolled: 1-line block ×4, first 2 shown]
	v_fma_f64 v[123:124], v[34:35], v[26:27], -v[123:124]
	v_fma_f64 v[125:126], v[34:35], v[30:31], -v[125:126]
	v_add_f64_e32 v[83:84], v[83:84], v[117:118]
	v_add_f64_e32 v[85:86], v[119:120], v[85:86]
	v_add_f64_e32 v[117:118], v[71:72], v[73:74]
	v_add_f64_e32 v[75:76], v[75:76], v[87:88]
	v_add_f64_e32 v[87:88], v[89:90], v[121:122]
	v_add_f64_e32 v[77:78], v[77:78], v[91:92]
	v_add_f64_e32 v[79:80], v[93:94], v[79:80]
	v_add_f64_e32 v[81:82], v[81:82], v[95:96]
	s_wait_dscnt 0x1
	v_mul_f64_e32 v[89:90], v[57:58], v[65:66]
	v_mul_f64_e32 v[91:92], v[55:56], v[65:66]
	s_wait_dscnt 0x0
	v_mul_f64_e32 v[93:94], v[57:58], v[69:70]
	v_mul_f64_e32 v[95:96], v[55:56], v[69:70]
	;; [unrolled: 1-line block ×6, first 2 shown]
	v_fma_f64 v[97:98], v[22:23], v[26:27], -v[97:98]
	v_fma_f64 v[101:102], v[24:25], v[26:27], v[101:102]
	v_fma_f64 v[103:104], v[22:23], v[30:31], -v[103:104]
	v_fma_f64 v[105:106], v[24:25], v[30:31], v[105:106]
	v_fma_f64 v[129:130], v[36:37], v[26:27], v[28:29]
	;; [unrolled: 1-line block ×3, first 2 shown]
	ds_load_b128 v[0:3], v40 offset:96
	ds_load_b128 v[4:7], v39 offset:3072
	;; [unrolled: 1-line block ×8, first 2 shown]
	s_wait_loadcnt_dscnt 0x0
	s_barrier_signal -1
	s_barrier_wait -1
	global_inv scope:SCOPE_SE
	v_add_f64_e32 v[83:84], v[83:84], v[99:100]
	v_add_f64_e32 v[85:86], v[107:108], v[85:86]
	;; [unrolled: 1-line block ×8, first 2 shown]
	v_mul_f64_e32 v[81:82], v[2:3], v[6:7]
	v_mul_f64_e32 v[107:108], v[0:1], v[6:7]
	;; [unrolled: 1-line block ×8, first 2 shown]
	v_fma_f64 v[89:90], v[55:56], v[63:64], -v[89:90]
	v_fma_f64 v[91:92], v[57:58], v[63:64], v[91:92]
	v_fma_f64 v[55:56], v[55:56], v[67:68], -v[93:94]
	v_fma_f64 v[57:58], v[57:58], v[67:68], v[95:96]
	;; [unrolled: 2-line block ×4, first 2 shown]
	v_mul_f64_e32 v[95:96], v[24:25], v[36:37]
	v_add_f64_e32 v[65:66], v[83:84], v[97:98]
	v_add_f64_e32 v[67:68], v[101:102], v[85:86]
	;; [unrolled: 1-line block ×8, first 2 shown]
	v_mul_f64_e32 v[85:86], v[24:25], v[32:33]
	v_mul_f64_e32 v[87:88], v[22:23], v[32:33]
	;; [unrolled: 1-line block ×7, first 2 shown]
	v_fma_f64 v[81:82], v[0:1], v[4:5], -v[81:82]
	v_fma_f64 v[103:104], v[2:3], v[4:5], v[107:108]
	v_fma_f64 v[0:1], v[0:1], v[49:50], -v[109:110]
	v_fma_f64 v[2:3], v[2:3], v[49:50], v[111:112]
	;; [unrolled: 2-line block ×4, first 2 shown]
	v_add_f64_e32 v[51:52], v[65:66], v[89:90]
	v_add_f64_e32 v[65:66], v[91:92], v[67:68]
	;; [unrolled: 1-line block ×8, first 2 shown]
	v_fma_f64 v[61:62], v[22:23], v[30:31], -v[85:86]
	v_fma_f64 v[69:70], v[24:25], v[30:31], v[87:88]
	v_fma_f64 v[22:23], v[22:23], v[34:35], -v[95:96]
	v_fma_f64 v[24:25], v[24:25], v[34:35], v[97:98]
	;; [unrolled: 2-line block ×4, first 2 shown]
	v_add_f64_e32 v[26:27], v[51:52], v[81:82]
	v_add_f64_e32 v[28:29], v[103:104], v[65:66]
	;; [unrolled: 1-line block ×16, first 2 shown]
	s_cbranch_scc0 .LBB422_14
.LBB422_10:                             ;   Parent Loop BB422_7 Depth=1
                                        ; =>  This Inner Loop Header: Depth=2
	s_wait_alu 0xfffe
	v_add_nc_u32_e32 v0, s16, v41
	v_mov_b32_e32 v2, 0
	v_mov_b32_e32 v3, 0
	s_delay_alu instid0(VALU_DEP_3)
	v_cmp_gt_i32_e32 vcc_lo, s25, v0
	v_mov_b32_e32 v0, 0
	v_mov_b32_e32 v1, 0
	s_and_b32 s28, s0, vcc_lo
	s_wait_alu 0xfffe
	s_and_saveexec_b32 s17, s28
	s_cbranch_execz .LBB422_12
; %bb.11:                               ;   in Loop: Header=BB422_10 Depth=2
	flat_load_b128 v[0:3], v[18:19] offset:-8
	s_wait_loadcnt_dscnt 0x0
	v_xor_b32_e32 v3, 0x80000000, v3
.LBB422_12:                             ;   in Loop: Header=BB422_10 Depth=2
	s_wait_alu 0xfffe
	s_or_b32 exec_lo, exec_lo, s17
	v_add_nc_u32_e32 v4, s16, v38
	v_mov_b32_e32 v6, 0
	v_mov_b32_e32 v7, 0
	ds_store_b128 v42, v[0:3]
	v_cmp_gt_i32_e32 vcc_lo, s25, v4
	v_mov_b32_e32 v4, 0
	v_mov_b32_e32 v5, 0
	s_and_b32 s28, vcc_lo, s1
	s_wait_alu 0xfffe
	s_and_saveexec_b32 s17, s28
	s_cbranch_execz .LBB422_9
; %bb.13:                               ;   in Loop: Header=BB422_10 Depth=2
	flat_load_b128 v[4:7], v[20:21] offset:-8
	s_wait_loadcnt_dscnt 0x0
	v_xor_b32_e32 v7, 0x80000000, v7
	s_branch .LBB422_9
.LBB422_14:                             ;   in Loop: Header=BB422_7 Depth=1
	s_wait_loadcnt 0x0
	v_add_co_u32 v4, vcc_lo, v16, s4
	s_wait_alu 0xfffd
	v_add_co_ci_u32_e64 v5, null, s5, v17, vcc_lo
	s_delay_alu instid0(VALU_DEP_2) | instskip(SKIP_1) | instid1(VALU_DEP_2)
	v_add_co_u32 v6, vcc_lo, v4, v12
	s_wait_alu 0xfffd
	v_add_co_ci_u32_e64 v7, null, v5, v13, vcc_lo
	s_and_saveexec_b32 s16, s34
	s_cbranch_execz .LBB422_19
; %bb.15:                               ;   in Loop: Header=BB422_7 Depth=1
	v_mul_f64_e32 v[0:1], s[14:15], v[36:37]
	v_mul_f64_e32 v[2:3], s[12:13], v[36:37]
	s_and_b32 vcc_lo, exec_lo, s33
	s_mov_b32 s17, -1
	s_delay_alu instid0(VALU_DEP_2) | instskip(NEXT) | instid1(VALU_DEP_2)
	v_fma_f64 v[0:1], s[12:13], v[34:35], -v[0:1]
	v_fma_f64 v[2:3], s[14:15], v[34:35], v[2:3]
	s_wait_alu 0xfffe
	s_cbranch_vccz .LBB422_17
; %bb.16:                               ;   in Loop: Header=BB422_7 Depth=1
	v_lshlrev_b64_e32 v[16:17], 4, v[8:9]
	s_mov_b32 s17, 0
	s_delay_alu instid0(VALU_DEP_1) | instskip(SKIP_1) | instid1(VALU_DEP_2)
	v_add_co_u32 v20, vcc_lo, v6, v16
	s_wait_alu 0xfffd
	v_add_co_ci_u32_e64 v21, null, v7, v17, vcc_lo
	flat_load_b128 v[16:19], v[20:21]
	s_wait_loadcnt_dscnt 0x0
	v_mul_f64_e32 v[34:35], s[8:9], v[18:19]
	v_mul_f64_e32 v[18:19], s[6:7], v[18:19]
	s_delay_alu instid0(VALU_DEP_2) | instskip(NEXT) | instid1(VALU_DEP_2)
	v_fma_f64 v[34:35], s[6:7], v[16:17], -v[34:35]
	v_fma_f64 v[18:19], s[8:9], v[16:17], v[18:19]
	s_delay_alu instid0(VALU_DEP_2) | instskip(NEXT) | instid1(VALU_DEP_2)
	v_add_f64_e32 v[16:17], v[0:1], v[34:35]
	v_add_f64_e32 v[18:19], v[2:3], v[18:19]
	flat_store_b128 v[20:21], v[16:19]
.LBB422_17:                             ;   in Loop: Header=BB422_7 Depth=1
	s_wait_alu 0xfffe
	s_and_not1_b32 vcc_lo, exec_lo, s17
	s_wait_alu 0xfffe
	s_cbranch_vccnz .LBB422_19
; %bb.18:                               ;   in Loop: Header=BB422_7 Depth=1
	v_lshlrev_b64_e32 v[16:17], 4, v[8:9]
	s_delay_alu instid0(VALU_DEP_1) | instskip(SKIP_1) | instid1(VALU_DEP_2)
	v_add_co_u32 v16, vcc_lo, v6, v16
	s_wait_alu 0xfffd
	v_add_co_ci_u32_e64 v17, null, v7, v17, vcc_lo
	flat_store_b128 v[16:17], v[0:3]
.LBB422_19:                             ;   in Loop: Header=BB422_7 Depth=1
	s_wait_alu 0xfffe
	s_or_b32 exec_lo, exec_lo, s16
	s_and_saveexec_b32 s16, s35
	s_cbranch_execz .LBB422_24
; %bb.20:                               ;   in Loop: Header=BB422_7 Depth=1
	v_mul_f64_e32 v[0:1], s[14:15], v[32:33]
	v_mul_f64_e32 v[2:3], s[12:13], v[32:33]
	s_and_not1_b32 vcc_lo, exec_lo, s33
	s_mov_b32 s17, -1
	s_delay_alu instid0(VALU_DEP_2) | instskip(NEXT) | instid1(VALU_DEP_2)
	v_fma_f64 v[0:1], s[12:13], v[30:31], -v[0:1]
	v_fma_f64 v[2:3], s[14:15], v[30:31], v[2:3]
	s_wait_alu 0xfffe
	s_cbranch_vccnz .LBB422_22
; %bb.21:                               ;   in Loop: Header=BB422_7 Depth=1
	v_lshlrev_b64_e32 v[16:17], 4, v[10:11]
	s_mov_b32 s17, 0
	s_delay_alu instid0(VALU_DEP_1) | instskip(SKIP_1) | instid1(VALU_DEP_2)
	v_add_co_u32 v20, vcc_lo, v6, v16
	s_wait_alu 0xfffd
	v_add_co_ci_u32_e64 v21, null, v7, v17, vcc_lo
	flat_load_b128 v[16:19], v[20:21]
	s_wait_loadcnt_dscnt 0x0
	v_mul_f64_e32 v[30:31], s[8:9], v[18:19]
	v_mul_f64_e32 v[18:19], s[6:7], v[18:19]
	s_delay_alu instid0(VALU_DEP_2) | instskip(NEXT) | instid1(VALU_DEP_2)
	v_fma_f64 v[30:31], s[6:7], v[16:17], -v[30:31]
	v_fma_f64 v[18:19], s[8:9], v[16:17], v[18:19]
	s_delay_alu instid0(VALU_DEP_2) | instskip(NEXT) | instid1(VALU_DEP_2)
	v_add_f64_e32 v[16:17], v[0:1], v[30:31]
	v_add_f64_e32 v[18:19], v[2:3], v[18:19]
	flat_store_b128 v[20:21], v[16:19]
.LBB422_22:                             ;   in Loop: Header=BB422_7 Depth=1
	s_wait_alu 0xfffe
	s_and_not1_b32 vcc_lo, exec_lo, s17
	s_wait_alu 0xfffe
	s_cbranch_vccnz .LBB422_24
; %bb.23:                               ;   in Loop: Header=BB422_7 Depth=1
	v_lshlrev_b64_e32 v[16:17], 4, v[10:11]
	s_delay_alu instid0(VALU_DEP_1) | instskip(SKIP_1) | instid1(VALU_DEP_2)
	v_add_co_u32 v6, vcc_lo, v6, v16
	s_wait_alu 0xfffd
	v_add_co_ci_u32_e64 v7, null, v7, v17, vcc_lo
	flat_store_b128 v[6:7], v[0:3]
.LBB422_24:                             ;   in Loop: Header=BB422_7 Depth=1
	s_wait_alu 0xfffe
	s_or_b32 exec_lo, exec_lo, s16
	v_add_co_u32 v6, vcc_lo, v4, v14
	s_wait_alu 0xfffd
	v_add_co_ci_u32_e64 v7, null, v5, v15, vcc_lo
	s_and_saveexec_b32 s16, s22
	s_cbranch_execz .LBB422_29
; %bb.25:                               ;   in Loop: Header=BB422_7 Depth=1
	v_mul_f64_e32 v[0:1], s[14:15], v[28:29]
	v_mul_f64_e32 v[2:3], s[12:13], v[28:29]
	v_lshlrev_b64_e32 v[4:5], 4, v[8:9]
	s_and_not1_b32 vcc_lo, exec_lo, s33
	s_mov_b32 s17, -1
	s_delay_alu instid0(VALU_DEP_3) | instskip(NEXT) | instid1(VALU_DEP_3)
	v_fma_f64 v[0:1], s[12:13], v[26:27], -v[0:1]
	v_fma_f64 v[2:3], s[14:15], v[26:27], v[2:3]
	s_wait_alu 0xfffe
	s_cbranch_vccnz .LBB422_27
; %bb.26:                               ;   in Loop: Header=BB422_7 Depth=1
	v_add_co_u32 v20, vcc_lo, v6, v4
	s_wait_alu 0xfffd
	v_add_co_ci_u32_e64 v21, null, v7, v5, vcc_lo
	s_mov_b32 s17, 0
	flat_load_b128 v[16:19], v[20:21]
	s_wait_loadcnt_dscnt 0x0
	v_mul_f64_e32 v[26:27], s[8:9], v[18:19]
	v_mul_f64_e32 v[18:19], s[6:7], v[18:19]
	s_delay_alu instid0(VALU_DEP_2) | instskip(NEXT) | instid1(VALU_DEP_2)
	v_fma_f64 v[26:27], s[6:7], v[16:17], -v[26:27]
	v_fma_f64 v[18:19], s[8:9], v[16:17], v[18:19]
	s_delay_alu instid0(VALU_DEP_2) | instskip(NEXT) | instid1(VALU_DEP_2)
	v_add_f64_e32 v[16:17], v[0:1], v[26:27]
	v_add_f64_e32 v[18:19], v[2:3], v[18:19]
	flat_store_b128 v[20:21], v[16:19]
.LBB422_27:                             ;   in Loop: Header=BB422_7 Depth=1
	s_wait_alu 0xfffe
	s_and_not1_b32 vcc_lo, exec_lo, s17
	s_wait_alu 0xfffe
	s_cbranch_vccnz .LBB422_29
; %bb.28:                               ;   in Loop: Header=BB422_7 Depth=1
	v_add_co_u32 v4, vcc_lo, v6, v4
	s_wait_alu 0xfffd
	v_add_co_ci_u32_e64 v5, null, v7, v5, vcc_lo
	flat_store_b128 v[4:5], v[0:3]
.LBB422_29:                             ;   in Loop: Header=BB422_7 Depth=1
	s_wait_alu 0xfffe
	s_or_b32 exec_lo, exec_lo, s16
	s_and_saveexec_b32 s16, s36
	s_cbranch_execz .LBB422_6
; %bb.30:                               ;   in Loop: Header=BB422_7 Depth=1
	v_mul_f64_e32 v[0:1], s[14:15], v[22:23]
	v_mul_f64_e32 v[2:3], s[12:13], v[22:23]
	v_lshlrev_b64_e32 v[4:5], 4, v[10:11]
	s_and_not1_b32 vcc_lo, exec_lo, s33
	s_mov_b32 s17, -1
	s_delay_alu instid0(VALU_DEP_3) | instskip(NEXT) | instid1(VALU_DEP_3)
	v_fma_f64 v[0:1], s[12:13], v[24:25], -v[0:1]
	v_fma_f64 v[2:3], s[14:15], v[24:25], v[2:3]
	s_wait_alu 0xfffe
	s_cbranch_vccnz .LBB422_32
; %bb.31:                               ;   in Loop: Header=BB422_7 Depth=1
	v_add_co_u32 v20, vcc_lo, v6, v4
	s_wait_alu 0xfffd
	v_add_co_ci_u32_e64 v21, null, v7, v5, vcc_lo
	s_mov_b32 s17, 0
	flat_load_b128 v[16:19], v[20:21]
	s_wait_loadcnt_dscnt 0x0
	v_mul_f64_e32 v[22:23], s[8:9], v[18:19]
	v_mul_f64_e32 v[18:19], s[6:7], v[18:19]
	s_delay_alu instid0(VALU_DEP_2) | instskip(NEXT) | instid1(VALU_DEP_2)
	v_fma_f64 v[22:23], s[6:7], v[16:17], -v[22:23]
	v_fma_f64 v[18:19], s[8:9], v[16:17], v[18:19]
	s_delay_alu instid0(VALU_DEP_2) | instskip(NEXT) | instid1(VALU_DEP_2)
	v_add_f64_e32 v[16:17], v[0:1], v[22:23]
	v_add_f64_e32 v[18:19], v[2:3], v[18:19]
	flat_store_b128 v[20:21], v[16:19]
.LBB422_32:                             ;   in Loop: Header=BB422_7 Depth=1
	s_wait_alu 0xfffe
	s_and_not1_b32 vcc_lo, exec_lo, s17
	s_wait_alu 0xfffe
	s_cbranch_vccnz .LBB422_6
; %bb.33:                               ;   in Loop: Header=BB422_7 Depth=1
	v_add_co_u32 v4, vcc_lo, v6, v4
	s_wait_alu 0xfffd
	v_add_co_ci_u32_e64 v5, null, v7, v5, vcc_lo
	flat_store_b128 v[4:5], v[0:3]
	s_branch .LBB422_6
.LBB422_34:
.LBB422_35:
	s_nop 0
	s_sendmsg sendmsg(MSG_DEALLOC_VGPRS)
	s_endpgm
	.section	.rodata,"a",@progbits
	.p2align	6, 0x0
	.amdhsa_kernel _ZL29rocblas_internal_gemmt_kernelIiLi16ELi32ELi8ELc67ELc67ELc85ELb1ELb1E19rocblas_complex_numIdES1_PKPKS1_PKPS1_EviT_T9_T10_S9_lSB_S9_lSA_T11_S9_li
		.amdhsa_group_segment_fixed_size 8192
		.amdhsa_private_segment_fixed_size 0
		.amdhsa_kernarg_size 116
		.amdhsa_user_sgpr_count 2
		.amdhsa_user_sgpr_dispatch_ptr 0
		.amdhsa_user_sgpr_queue_ptr 0
		.amdhsa_user_sgpr_kernarg_segment_ptr 1
		.amdhsa_user_sgpr_dispatch_id 0
		.amdhsa_user_sgpr_private_segment_size 0
		.amdhsa_wavefront_size32 1
		.amdhsa_uses_dynamic_stack 0
		.amdhsa_enable_private_segment 0
		.amdhsa_system_sgpr_workgroup_id_x 1
		.amdhsa_system_sgpr_workgroup_id_y 1
		.amdhsa_system_sgpr_workgroup_id_z 1
		.amdhsa_system_sgpr_workgroup_info 0
		.amdhsa_system_vgpr_workitem_id 1
		.amdhsa_next_free_vgpr 133
		.amdhsa_next_free_sgpr 40
		.amdhsa_reserve_vcc 1
		.amdhsa_float_round_mode_32 0
		.amdhsa_float_round_mode_16_64 0
		.amdhsa_float_denorm_mode_32 3
		.amdhsa_float_denorm_mode_16_64 3
		.amdhsa_fp16_overflow 0
		.amdhsa_workgroup_processor_mode 1
		.amdhsa_memory_ordered 1
		.amdhsa_forward_progress 1
		.amdhsa_inst_pref_size 27
		.amdhsa_round_robin_scheduling 0
		.amdhsa_exception_fp_ieee_invalid_op 0
		.amdhsa_exception_fp_denorm_src 0
		.amdhsa_exception_fp_ieee_div_zero 0
		.amdhsa_exception_fp_ieee_overflow 0
		.amdhsa_exception_fp_ieee_underflow 0
		.amdhsa_exception_fp_ieee_inexact 0
		.amdhsa_exception_int_div_zero 0
	.end_amdhsa_kernel
	.section	.text._ZL29rocblas_internal_gemmt_kernelIiLi16ELi32ELi8ELc67ELc67ELc85ELb1ELb1E19rocblas_complex_numIdES1_PKPKS1_PKPS1_EviT_T9_T10_S9_lSB_S9_lSA_T11_S9_li,"axG",@progbits,_ZL29rocblas_internal_gemmt_kernelIiLi16ELi32ELi8ELc67ELc67ELc85ELb1ELb1E19rocblas_complex_numIdES1_PKPKS1_PKPS1_EviT_T9_T10_S9_lSB_S9_lSA_T11_S9_li,comdat
.Lfunc_end422:
	.size	_ZL29rocblas_internal_gemmt_kernelIiLi16ELi32ELi8ELc67ELc67ELc85ELb1ELb1E19rocblas_complex_numIdES1_PKPKS1_PKPS1_EviT_T9_T10_S9_lSB_S9_lSA_T11_S9_li, .Lfunc_end422-_ZL29rocblas_internal_gemmt_kernelIiLi16ELi32ELi8ELc67ELc67ELc85ELb1ELb1E19rocblas_complex_numIdES1_PKPKS1_PKPS1_EviT_T9_T10_S9_lSB_S9_lSA_T11_S9_li
                                        ; -- End function
	.set _ZL29rocblas_internal_gemmt_kernelIiLi16ELi32ELi8ELc67ELc67ELc85ELb1ELb1E19rocblas_complex_numIdES1_PKPKS1_PKPS1_EviT_T9_T10_S9_lSB_S9_lSA_T11_S9_li.num_vgpr, 133
	.set _ZL29rocblas_internal_gemmt_kernelIiLi16ELi32ELi8ELc67ELc67ELc85ELb1ELb1E19rocblas_complex_numIdES1_PKPKS1_PKPS1_EviT_T9_T10_S9_lSB_S9_lSA_T11_S9_li.num_agpr, 0
	.set _ZL29rocblas_internal_gemmt_kernelIiLi16ELi32ELi8ELc67ELc67ELc85ELb1ELb1E19rocblas_complex_numIdES1_PKPKS1_PKPS1_EviT_T9_T10_S9_lSB_S9_lSA_T11_S9_li.numbered_sgpr, 40
	.set _ZL29rocblas_internal_gemmt_kernelIiLi16ELi32ELi8ELc67ELc67ELc85ELb1ELb1E19rocblas_complex_numIdES1_PKPKS1_PKPS1_EviT_T9_T10_S9_lSB_S9_lSA_T11_S9_li.num_named_barrier, 0
	.set _ZL29rocblas_internal_gemmt_kernelIiLi16ELi32ELi8ELc67ELc67ELc85ELb1ELb1E19rocblas_complex_numIdES1_PKPKS1_PKPS1_EviT_T9_T10_S9_lSB_S9_lSA_T11_S9_li.private_seg_size, 0
	.set _ZL29rocblas_internal_gemmt_kernelIiLi16ELi32ELi8ELc67ELc67ELc85ELb1ELb1E19rocblas_complex_numIdES1_PKPKS1_PKPS1_EviT_T9_T10_S9_lSB_S9_lSA_T11_S9_li.uses_vcc, 1
	.set _ZL29rocblas_internal_gemmt_kernelIiLi16ELi32ELi8ELc67ELc67ELc85ELb1ELb1E19rocblas_complex_numIdES1_PKPKS1_PKPS1_EviT_T9_T10_S9_lSB_S9_lSA_T11_S9_li.uses_flat_scratch, 0
	.set _ZL29rocblas_internal_gemmt_kernelIiLi16ELi32ELi8ELc67ELc67ELc85ELb1ELb1E19rocblas_complex_numIdES1_PKPKS1_PKPS1_EviT_T9_T10_S9_lSB_S9_lSA_T11_S9_li.has_dyn_sized_stack, 0
	.set _ZL29rocblas_internal_gemmt_kernelIiLi16ELi32ELi8ELc67ELc67ELc85ELb1ELb1E19rocblas_complex_numIdES1_PKPKS1_PKPS1_EviT_T9_T10_S9_lSB_S9_lSA_T11_S9_li.has_recursion, 0
	.set _ZL29rocblas_internal_gemmt_kernelIiLi16ELi32ELi8ELc67ELc67ELc85ELb1ELb1E19rocblas_complex_numIdES1_PKPKS1_PKPS1_EviT_T9_T10_S9_lSB_S9_lSA_T11_S9_li.has_indirect_call, 0
	.section	.AMDGPU.csdata,"",@progbits
; Kernel info:
; codeLenInByte = 3432
; TotalNumSgprs: 42
; NumVgprs: 133
; ScratchSize: 0
; MemoryBound: 1
; FloatMode: 240
; IeeeMode: 1
; LDSByteSize: 8192 bytes/workgroup (compile time only)
; SGPRBlocks: 0
; VGPRBlocks: 16
; NumSGPRsForWavesPerEU: 42
; NumVGPRsForWavesPerEU: 133
; Occupancy: 10
; WaveLimiterHint : 1
; COMPUTE_PGM_RSRC2:SCRATCH_EN: 0
; COMPUTE_PGM_RSRC2:USER_SGPR: 2
; COMPUTE_PGM_RSRC2:TRAP_HANDLER: 0
; COMPUTE_PGM_RSRC2:TGID_X_EN: 1
; COMPUTE_PGM_RSRC2:TGID_Y_EN: 1
; COMPUTE_PGM_RSRC2:TGID_Z_EN: 1
; COMPUTE_PGM_RSRC2:TIDIG_COMP_CNT: 1
	.section	.text._ZL29rocblas_internal_gemmt_kernelIiLi16ELi32ELi8ELc78ELc78ELc76ELb0ELb0E19rocblas_complex_numIdES1_PKPKS1_PKPS1_EviT_T9_T10_S9_lSB_S9_lSA_T11_S9_li,"axG",@progbits,_ZL29rocblas_internal_gemmt_kernelIiLi16ELi32ELi8ELc78ELc78ELc76ELb0ELb0E19rocblas_complex_numIdES1_PKPKS1_PKPS1_EviT_T9_T10_S9_lSB_S9_lSA_T11_S9_li,comdat
	.globl	_ZL29rocblas_internal_gemmt_kernelIiLi16ELi32ELi8ELc78ELc78ELc76ELb0ELb0E19rocblas_complex_numIdES1_PKPKS1_PKPS1_EviT_T9_T10_S9_lSB_S9_lSA_T11_S9_li ; -- Begin function _ZL29rocblas_internal_gemmt_kernelIiLi16ELi32ELi8ELc78ELc78ELc76ELb0ELb0E19rocblas_complex_numIdES1_PKPKS1_PKPS1_EviT_T9_T10_S9_lSB_S9_lSA_T11_S9_li
	.p2align	8
	.type	_ZL29rocblas_internal_gemmt_kernelIiLi16ELi32ELi8ELc78ELc78ELc76ELb0ELb0E19rocblas_complex_numIdES1_PKPKS1_PKPS1_EviT_T9_T10_S9_lSB_S9_lSA_T11_S9_li,@function
_ZL29rocblas_internal_gemmt_kernelIiLi16ELi32ELi8ELc78ELc78ELc76ELb0ELb0E19rocblas_complex_numIdES1_PKPKS1_PKPS1_EviT_T9_T10_S9_lSB_S9_lSA_T11_S9_li: ; @_ZL29rocblas_internal_gemmt_kernelIiLi16ELi32ELi8ELc78ELc78ELc76ELb0ELb0E19rocblas_complex_numIdES1_PKPKS1_PKPS1_EviT_T9_T10_S9_lSB_S9_lSA_T11_S9_li
; %bb.0:
	s_clause 0x2
	s_load_b256 s[8:15], s[0:1], 0x40
	s_load_b64 s[4:5], s[0:1], 0x0
	s_load_b128 s[16:19], s[0:1], 0x8
	s_wait_kmcnt 0x0
	v_cmp_eq_f64_e64 s2, s[10:11], 1.0
	v_cmp_eq_f64_e64 s3, s[12:13], 0
	s_and_b32 s2, s2, s3
	s_delay_alu instid0(SALU_CYCLE_1)
	s_and_not1_b32 vcc_lo, exec_lo, s2
	s_mov_b32 s2, -1
	s_cbranch_vccnz .LBB423_3
; %bb.1:
	s_cmp_lg_u32 s5, 0
	s_cbranch_scc0 .LBB423_38
; %bb.2:
	v_cmp_neq_f64_e64 s2, s[16:17], 0
	v_cmp_neq_f64_e64 s6, s[18:19], 0
	s_or_b32 s2, s2, s6
.LBB423_3:
	s_delay_alu instid0(SALU_CYCLE_1)
	s_and_b32 vcc_lo, exec_lo, s2
	s_cbranch_vccz .LBB423_39
; %bb.4:
	s_load_b32 s27, s[0:1], 0x70
	s_lshr_b32 s6, ttmp7, 16
	s_wait_kmcnt 0x0
	s_cmp_ge_u32 s6, s27
	s_cbranch_scc1 .LBB423_39
; %bb.5:
	v_cmp_neq_f64_e64 s30, s[16:17], 0
	v_cmp_neq_f64_e64 s31, s[18:19], 0
	;; [unrolled: 1-line block ×3, first 2 shown]
	s_clause 0x4
	s_load_b96 s[24:26], s[0:1], 0x18
	s_load_b128 s[20:23], s[0:1], 0x28
	s_load_b32 s36, s[0:1], 0x38
	s_load_b32 s37, s[0:1], 0x60
	s_load_b64 s[28:29], s[0:1], 0x68
	v_and_b32_e32 v1, 0x3ff, v0
	v_bfe_u32 v2, v0, 10, 10
	v_and_b32_e32 v35, 7, v0
	s_lshl_b32 s0, ttmp7, 5
	s_lshl_b32 s1, ttmp9, 5
	s_and_b32 s2, s0, 0x1fffe0
	v_lshl_add_u32 v0, v2, 4, v1
	v_lshlrev_b32_e32 v4, 4, v35
	v_lshlrev_b32_e32 v36, 4, v1
	v_add_nc_u32_e32 v5, s1, v1
	v_add_nc_u32_e32 v1, s2, v2
	v_lshl_add_u32 v37, v2, 7, 0x1000
	v_and_b32_e32 v2, 31, v0
	v_lshrrev_b32_e32 v3, 3, v0
	v_lshrrev_b32_e32 v38, 5, v0
	v_cmp_le_i32_e32 vcc_lo, v1, v5
	v_cmp_gt_i32_e64 s0, s4, v5
	v_add_nc_u32_e32 v7, 16, v5
	v_or_b32_e32 v0, s1, v2
	v_add_nc_u32_e32 v13, s2, v3
	v_lshlrev_b32_e32 v2, 4, v2
	v_lshl_or_b32 v3, v3, 7, v4
	s_wait_kmcnt 0x0
	s_ashr_i32 s35, s26, 31
	v_mad_co_i64_i32 v[9:10], null, v38, s26, 0
	v_lshl_or_b32 v39, v38, 9, v2
	v_add_nc_u32_e32 v40, 0x1000, v3
	v_mad_co_i64_i32 v[2:3], null, v1, s37, 0
	v_cmp_gt_i32_e64 s2, s4, v13
	v_mad_co_i64_i32 v[13:14], null, s36, v13, 0
	v_lshlrev_b64_e32 v[9:10], 4, v[9:10]
	s_mov_b32 s34, s26
	v_cmp_gt_i32_e64 s1, s4, v0
	s_or_b32 s38, s30, s31
	s_cmp_gt_i32 s5, 0
	v_ashrrev_i32_e32 v6, 31, v5
	s_cselect_b32 s39, -1, 0
	s_xor_b32 s3, s3, -1
	s_and_b32 s31, vcc_lo, s0
	s_wait_alu 0xfffe
	s_or_b32 s30, s33, s3
	v_cmp_le_i32_e32 vcc_lo, v1, v7
	v_add_nc_u32_e32 v1, 16, v1
	v_cmp_gt_i32_e64 s3, s4, v7
	s_lshl_b64 s[20:21], s[20:21], 4
	s_lshl_b64 s[8:9], s[8:9], 4
	v_ashrrev_i32_e32 v8, 31, v7
	v_cmp_le_i32_e64 s4, v1, v5
	s_and_b32 s26, vcc_lo, s3
	v_mad_co_i64_i32 v[11:12], null, v1, s37, 0
	v_cmp_le_i32_e32 vcc_lo, v1, v7
	v_ashrrev_i32_e32 v1, 31, v0
	s_mov_b32 s7, 0
	s_and_b32 s4, s4, s0
	s_and_b32 s33, vcc_lo, s3
	s_delay_alu instid0(VALU_DEP_1) | instskip(SKIP_1) | instid1(VALU_DEP_1)
	v_lshlrev_b64_e32 v[0:1], 4, v[0:1]
	v_add_co_u32 v15, vcc_lo, v9, s20
	v_add_co_ci_u32_e64 v16, null, s21, v10, vcc_lo
	v_lshlrev_b64_e32 v[9:10], 4, v[13:14]
	s_delay_alu instid0(VALU_DEP_3) | instskip(SKIP_1) | instid1(VALU_DEP_3)
	v_add_co_u32 v41, vcc_lo, v15, v0
	s_wait_alu 0xfffd
	v_add_co_ci_u32_e64 v42, null, v16, v1, vcc_lo
	v_lshlrev_b64_e32 v[11:12], 4, v[11:12]
	s_delay_alu instid0(VALU_DEP_4) | instskip(SKIP_3) | instid1(VALU_DEP_3)
	v_add_co_u32 v1, vcc_lo, v9, s8
	s_wait_alu 0xfffd
	v_add_co_ci_u32_e64 v9, null, s9, v10, vcc_lo
	v_mov_b32_e32 v0, 0
	v_add_co_u32 v43, vcc_lo, v1, v4
	s_wait_alu 0xfffd
	s_delay_alu instid0(VALU_DEP_3)
	v_add_co_ci_u32_e64 v44, null, 0, v9, vcc_lo
	v_lshlrev_b64_e32 v[9:10], 4, v[2:3]
	s_lshl_b64 s[20:21], s[34:35], 7
	s_and_b32 s8, s38, s39
	s_xor_b32 s9, s1, -1
	s_xor_b32 s34, s2, -1
	s_lshl_b64 s[0:1], s[28:29], 4
	s_branch .LBB423_7
.LBB423_6:                              ;   in Loop: Header=BB423_7 Depth=1
	s_wait_alu 0xfffe
	s_or_b32 exec_lo, exec_lo, s2
	s_add_co_i32 s6, s6, 0x10000
	s_delay_alu instid0(SALU_CYCLE_1)
	s_cmp_lt_u32 s6, s27
	s_cbranch_scc0 .LBB423_39
.LBB423_7:                              ; =>This Loop Header: Depth=1
                                        ;     Child Loop BB423_10 Depth 2
	s_lshl_b64 s[2:3], s[6:7], 3
	v_mov_b32_e32 v31, 0
	s_wait_alu 0xfffe
	s_add_nc_u64 s[28:29], s[14:15], s[2:3]
	v_mov_b32_e32 v27, 0
	global_load_b64 v[13:14], v0, s[28:29]
	v_mov_b32_e32 v23, 0
	v_dual_mov_b32 v21, 0 :: v_dual_mov_b32 v32, 0
	v_dual_mov_b32 v33, 0 :: v_dual_mov_b32 v28, 0
	;; [unrolled: 1-line block ×5, first 2 shown]
	v_mov_b32_e32 v30, 0
	v_mov_b32_e32 v26, 0
	;; [unrolled: 1-line block ×3, first 2 shown]
	s_and_not1_b32 vcc_lo, exec_lo, s8
	s_wait_alu 0xfffe
	s_cbranch_vccnz .LBB423_18
; %bb.8:                                ;   in Loop: Header=BB423_7 Depth=1
	s_add_nc_u64 s[28:29], s[24:25], s[2:3]
	s_add_nc_u64 s[2:3], s[22:23], s[2:3]
	s_clause 0x1
	global_load_b64 v[1:2], v0, s[28:29]
	global_load_b64 v[3:4], v0, s[2:3]
	v_mov_b32_e32 v19, 0
	v_mov_b32_e32 v25, 0
	;; [unrolled: 1-line block ×3, first 2 shown]
	v_dual_mov_b32 v33, 0 :: v_dual_mov_b32 v20, 0
	v_dual_mov_b32 v21, 0 :: v_dual_mov_b32 v26, 0
	;; [unrolled: 1-line block ×5, first 2 shown]
	v_mov_b32_e32 v24, 0
	v_mov_b32_e32 v28, 0
	v_mov_b32_e32 v32, 0
	s_mov_b32 s2, 0
	s_wait_loadcnt 0x1
	v_add_co_u32 v15, vcc_lo, v1, v41
	s_wait_alu 0xfffd
	v_add_co_ci_u32_e64 v16, null, v2, v42, vcc_lo
	s_wait_loadcnt 0x0
	v_add_co_u32 v17, vcc_lo, v3, v43
	s_wait_alu 0xfffd
	v_add_co_ci_u32_e64 v18, null, v4, v44, vcc_lo
	s_branch .LBB423_10
.LBB423_9:                              ;   in Loop: Header=BB423_10 Depth=2
	s_wait_alu 0xfffe
	s_or_b32 exec_lo, exec_lo, s3
	s_wait_dscnt 0x0
	s_barrier_signal -1
	s_barrier_wait -1
	global_inv scope:SCOPE_SE
	ds_load_b128 v[1:4], v37
	ds_load_b128 v[45:48], v36
	ds_load_b128 v[49:52], v36 offset:256
	ds_load_b128 v[53:56], v37 offset:2048
	;; [unrolled: 1-line block ×10, first 2 shown]
	v_add_co_u32 v15, vcc_lo, v15, s20
	s_wait_alu 0xfffd
	v_add_co_ci_u32_e64 v16, null, s21, v16, vcc_lo
	v_add_co_u32 v17, vcc_lo, 0x80, v17
	s_wait_alu 0xfffd
	v_add_co_ci_u32_e64 v18, null, 0, v18, vcc_lo
	s_add_co_i32 s2, s2, 8
	s_wait_alu 0xfffe
	s_cmp_lt_i32 s2, s5
	s_wait_dscnt 0xa
	v_mul_f64_e32 v[89:90], v[3:4], v[47:48]
	v_mul_f64_e32 v[91:92], v[1:2], v[47:48]
	s_wait_dscnt 0x9
	v_mul_f64_e32 v[93:94], v[3:4], v[51:52]
	v_mul_f64_e32 v[95:96], v[1:2], v[51:52]
	;; [unrolled: 3-line block ×3, first 2 shown]
	v_mul_f64_e32 v[99:100], v[55:56], v[51:52]
	v_mul_f64_e32 v[51:52], v[53:54], v[51:52]
	s_wait_dscnt 0x5
	v_mul_f64_e32 v[101:102], v[59:60], v[67:68]
	v_mul_f64_e32 v[103:104], v[57:58], v[67:68]
	s_wait_dscnt 0x4
	v_mul_f64_e32 v[105:106], v[59:60], v[71:72]
	v_mul_f64_e32 v[107:108], v[57:58], v[71:72]
	;; [unrolled: 1-line block ×6, first 2 shown]
	s_wait_dscnt 0x2
	v_mul_f64_e32 v[117:118], v[75:76], v[79:80]
	v_mul_f64_e32 v[119:120], v[73:74], v[79:80]
	s_wait_dscnt 0x1
	v_mul_f64_e32 v[121:122], v[75:76], v[83:84]
	v_mul_f64_e32 v[123:124], v[73:74], v[83:84]
	;; [unrolled: 3-line block ×3, first 2 shown]
	v_mul_f64_e32 v[127:128], v[87:88], v[83:84]
	v_mul_f64_e32 v[83:84], v[85:86], v[83:84]
	v_fma_f64 v[89:90], v[1:2], v[45:46], -v[89:90]
	v_fma_f64 v[91:92], v[3:4], v[45:46], v[91:92]
	v_fma_f64 v[93:94], v[1:2], v[49:50], -v[93:94]
	v_fma_f64 v[95:96], v[3:4], v[49:50], v[95:96]
	;; [unrolled: 2-line block ×8, first 2 shown]
	ds_load_b128 v[1:4], v37 offset:48
	ds_load_b128 v[45:48], v37 offset:2096
	;; [unrolled: 1-line block ×4, first 2 shown]
	v_fma_f64 v[117:118], v[73:74], v[77:78], -v[117:118]
	v_fma_f64 v[119:120], v[75:76], v[77:78], v[119:120]
	v_fma_f64 v[73:74], v[73:74], v[81:82], -v[121:122]
	v_fma_f64 v[75:76], v[75:76], v[81:82], v[123:124]
	;; [unrolled: 2-line block ×4, first 2 shown]
	s_wait_dscnt 0x1
	v_mul_f64_e32 v[107:108], v[1:2], v[51:52]
	s_wait_dscnt 0x0
	v_mul_f64_e32 v[109:110], v[3:4], v[55:56]
	v_mul_f64_e32 v[111:112], v[1:2], v[55:56]
	v_add_f64_e32 v[67:68], v[31:32], v[89:90]
	v_add_f64_e32 v[69:70], v[91:92], v[33:34]
	v_add_f64_e32 v[71:72], v[27:28], v[93:94]
	v_add_f64_e32 v[89:90], v[95:96], v[29:30]
	v_add_f64_e32 v[91:92], v[23:24], v[97:98]
	v_add_f64_e32 v[93:94], v[113:114], v[25:26]
	v_add_f64_e32 v[95:96], v[21:22], v[99:100]
	v_add_f64_e32 v[97:98], v[115:116], v[19:20]
	v_mul_f64_e32 v[99:100], v[3:4], v[51:52]
	v_mul_f64_e32 v[113:114], v[47:48], v[51:52]
	;; [unrolled: 1-line block ×5, first 2 shown]
	ds_load_b128 v[19:22], v37 offset:64
	ds_load_b128 v[23:26], v36 offset:2048
	;; [unrolled: 1-line block ×4, first 2 shown]
	s_wait_dscnt 0x0
	v_mul_f64_e32 v[123:124], v[33:34], v[25:26]
	v_mul_f64_e32 v[125:126], v[33:34], v[29:30]
	v_fma_f64 v[107:108], v[3:4], v[49:50], v[107:108]
	v_fma_f64 v[109:110], v[1:2], v[53:54], -v[109:110]
	v_fma_f64 v[111:112], v[3:4], v[53:54], v[111:112]
	v_add_f64_e32 v[83:84], v[67:68], v[101:102]
	v_add_f64_e32 v[85:86], v[103:104], v[69:70]
	;; [unrolled: 1-line block ×8, first 2 shown]
	v_mul_f64_e32 v[97:98], v[21:22], v[25:26]
	v_mul_f64_e32 v[101:102], v[19:20], v[25:26]
	;; [unrolled: 1-line block ×6, first 2 shown]
	v_fma_f64 v[99:100], v[1:2], v[49:50], -v[99:100]
	v_fma_f64 v[113:114], v[45:46], v[49:50], -v[113:114]
	v_fma_f64 v[127:128], v[47:48], v[49:50], v[51:52]
	v_fma_f64 v[115:116], v[45:46], v[53:54], -v[115:116]
	v_fma_f64 v[53:54], v[47:48], v[53:54], v[129:130]
	ds_load_b128 v[55:58], v37 offset:80
	ds_load_b128 v[59:62], v37 offset:2128
	;; [unrolled: 1-line block ×4, first 2 shown]
	v_fma_f64 v[123:124], v[31:32], v[23:24], -v[123:124]
	v_fma_f64 v[125:126], v[31:32], v[27:28], -v[125:126]
	v_add_f64_e32 v[83:84], v[83:84], v[117:118]
	v_add_f64_e32 v[85:86], v[119:120], v[85:86]
	;; [unrolled: 1-line block ×8, first 2 shown]
	s_wait_dscnt 0x1
	v_mul_f64_e32 v[89:90], v[57:58], v[65:66]
	v_mul_f64_e32 v[91:92], v[55:56], v[65:66]
	s_wait_dscnt 0x0
	v_mul_f64_e32 v[93:94], v[57:58], v[69:70]
	v_mul_f64_e32 v[95:96], v[55:56], v[69:70]
	;; [unrolled: 1-line block ×6, first 2 shown]
	v_fma_f64 v[97:98], v[19:20], v[23:24], -v[97:98]
	v_fma_f64 v[101:102], v[21:22], v[23:24], v[101:102]
	v_fma_f64 v[103:104], v[19:20], v[27:28], -v[103:104]
	v_fma_f64 v[105:106], v[21:22], v[27:28], v[105:106]
	v_fma_f64 v[129:130], v[33:34], v[23:24], v[25:26]
	;; [unrolled: 1-line block ×3, first 2 shown]
	ds_load_b128 v[1:4], v37 offset:96
	ds_load_b128 v[45:48], v36 offset:3072
	;; [unrolled: 1-line block ×8, first 2 shown]
	s_wait_loadcnt_dscnt 0x0
	s_barrier_signal -1
	s_barrier_wait -1
	global_inv scope:SCOPE_SE
	v_add_f64_e32 v[83:84], v[83:84], v[99:100]
	v_add_f64_e32 v[85:86], v[107:108], v[85:86]
	;; [unrolled: 1-line block ×8, first 2 shown]
	v_mul_f64_e32 v[81:82], v[3:4], v[47:48]
	v_mul_f64_e32 v[107:108], v[1:2], v[47:48]
	;; [unrolled: 1-line block ×8, first 2 shown]
	v_fma_f64 v[89:90], v[55:56], v[63:64], -v[89:90]
	v_fma_f64 v[91:92], v[57:58], v[63:64], v[91:92]
	v_fma_f64 v[55:56], v[55:56], v[67:68], -v[93:94]
	v_fma_f64 v[57:58], v[57:58], v[67:68], v[95:96]
	;; [unrolled: 2-line block ×4, first 2 shown]
	v_mul_f64_e32 v[95:96], v[21:22], v[33:34]
	v_add_f64_e32 v[65:66], v[83:84], v[97:98]
	v_add_f64_e32 v[67:68], v[101:102], v[85:86]
	;; [unrolled: 1-line block ×8, first 2 shown]
	v_mul_f64_e32 v[85:86], v[21:22], v[29:30]
	v_mul_f64_e32 v[87:88], v[19:20], v[29:30]
	;; [unrolled: 1-line block ×7, first 2 shown]
	v_fma_f64 v[81:82], v[1:2], v[45:46], -v[81:82]
	v_fma_f64 v[103:104], v[3:4], v[45:46], v[107:108]
	v_fma_f64 v[1:2], v[1:2], v[49:50], -v[109:110]
	v_fma_f64 v[3:4], v[3:4], v[49:50], v[111:112]
	;; [unrolled: 2-line block ×4, first 2 shown]
	v_add_f64_e32 v[51:52], v[65:66], v[89:90]
	v_add_f64_e32 v[65:66], v[91:92], v[67:68]
	;; [unrolled: 1-line block ×8, first 2 shown]
	v_fma_f64 v[61:62], v[19:20], v[27:28], -v[85:86]
	v_fma_f64 v[69:70], v[21:22], v[27:28], v[87:88]
	v_fma_f64 v[19:20], v[19:20], v[31:32], -v[95:96]
	v_fma_f64 v[21:22], v[21:22], v[31:32], v[97:98]
	;; [unrolled: 2-line block ×4, first 2 shown]
	v_add_f64_e32 v[23:24], v[51:52], v[81:82]
	v_add_f64_e32 v[25:26], v[103:104], v[65:66]
	;; [unrolled: 1-line block ×16, first 2 shown]
	s_cbranch_scc0 .LBB423_18
.LBB423_10:                             ;   Parent Loop BB423_7 Depth=1
                                        ; =>  This Inner Loop Header: Depth=2
	s_wait_alu 0xfffe
	v_add_nc_u32_e32 v1, s2, v38
	s_delay_alu instid0(VALU_DEP_1) | instskip(SKIP_3) | instid1(SALU_CYCLE_1)
	v_cmp_le_i32_e32 vcc_lo, s5, v1
	s_or_b32 s3, s9, vcc_lo
	s_wait_alu 0xfffe
	s_and_saveexec_b32 s28, s3
	s_xor_b32 s3, exec_lo, s28
; %bb.11:                               ;   in Loop: Header=BB423_10 Depth=2
	v_dual_mov_b32 v1, v0 :: v_dual_mov_b32 v2, v0
	v_mov_b32_e32 v3, v0
	ds_store_b128 v39, v[0:3]
; %bb.12:                               ;   in Loop: Header=BB423_10 Depth=2
	s_wait_alu 0xfffe
	s_and_not1_saveexec_b32 s3, s3
	s_cbranch_execz .LBB423_14
; %bb.13:                               ;   in Loop: Header=BB423_10 Depth=2
	flat_load_b128 v[1:4], v[15:16]
	s_wait_loadcnt_dscnt 0x0
	ds_store_2addr_b64 v39, v[1:2], v[3:4] offset1:1
.LBB423_14:                             ;   in Loop: Header=BB423_10 Depth=2
	s_wait_alu 0xfffe
	s_or_b32 exec_lo, exec_lo, s3
	v_add_nc_u32_e32 v1, s2, v35
	s_delay_alu instid0(VALU_DEP_1) | instskip(SKIP_3) | instid1(SALU_CYCLE_1)
	v_cmp_le_i32_e32 vcc_lo, s5, v1
	s_or_b32 s3, vcc_lo, s34
	s_wait_alu 0xfffe
	s_and_saveexec_b32 s28, s3
	s_xor_b32 s3, exec_lo, s28
; %bb.15:                               ;   in Loop: Header=BB423_10 Depth=2
	v_dual_mov_b32 v1, v0 :: v_dual_mov_b32 v2, v0
	v_mov_b32_e32 v3, v0
	ds_store_b128 v40, v[0:3]
; %bb.16:                               ;   in Loop: Header=BB423_10 Depth=2
	s_wait_alu 0xfffe
	s_and_not1_saveexec_b32 s3, s3
	s_cbranch_execz .LBB423_9
; %bb.17:                               ;   in Loop: Header=BB423_10 Depth=2
	flat_load_b128 v[1:4], v[17:18]
	s_wait_loadcnt_dscnt 0x0
	ds_store_2addr_b64 v40, v[1:2], v[3:4] offset1:1
	s_branch .LBB423_9
.LBB423_18:                             ;   in Loop: Header=BB423_7 Depth=1
	s_wait_loadcnt 0x0
	v_add_co_u32 v13, vcc_lo, v13, s0
	s_wait_alu 0xfffd
	v_add_co_ci_u32_e64 v14, null, s1, v14, vcc_lo
	s_delay_alu instid0(VALU_DEP_2) | instskip(SKIP_1) | instid1(VALU_DEP_2)
	v_add_co_u32 v15, vcc_lo, v13, v9
	s_wait_alu 0xfffd
	v_add_co_ci_u32_e64 v16, null, v14, v10, vcc_lo
	s_and_saveexec_b32 s2, s31
	s_cbranch_execz .LBB423_23
; %bb.19:                               ;   in Loop: Header=BB423_7 Depth=1
	v_mul_f64_e32 v[1:2], s[18:19], v[33:34]
	v_mul_f64_e32 v[3:4], s[16:17], v[33:34]
	s_and_b32 vcc_lo, exec_lo, s30
	s_mov_b32 s3, -1
	s_delay_alu instid0(VALU_DEP_2) | instskip(NEXT) | instid1(VALU_DEP_2)
	v_fma_f64 v[1:2], s[16:17], v[31:32], -v[1:2]
	v_fma_f64 v[3:4], s[18:19], v[31:32], v[3:4]
	s_wait_alu 0xfffe
	s_cbranch_vccz .LBB423_21
; %bb.20:                               ;   in Loop: Header=BB423_7 Depth=1
	v_lshlrev_b64_e32 v[17:18], 4, v[5:6]
	s_mov_b32 s3, 0
	s_delay_alu instid0(VALU_DEP_1) | instskip(SKIP_1) | instid1(VALU_DEP_2)
	v_add_co_u32 v17, vcc_lo, v15, v17
	s_wait_alu 0xfffd
	v_add_co_ci_u32_e64 v18, null, v16, v18, vcc_lo
	flat_load_b128 v[31:34], v[17:18]
	s_wait_loadcnt_dscnt 0x0
	v_mul_f64_e32 v[45:46], s[12:13], v[33:34]
	v_mul_f64_e32 v[33:34], s[10:11], v[33:34]
	s_delay_alu instid0(VALU_DEP_2) | instskip(NEXT) | instid1(VALU_DEP_2)
	v_fma_f64 v[45:46], s[10:11], v[31:32], -v[45:46]
	v_fma_f64 v[33:34], s[12:13], v[31:32], v[33:34]
	s_delay_alu instid0(VALU_DEP_2) | instskip(NEXT) | instid1(VALU_DEP_2)
	v_add_f64_e32 v[31:32], v[1:2], v[45:46]
	v_add_f64_e32 v[33:34], v[3:4], v[33:34]
	flat_store_b128 v[17:18], v[31:34]
.LBB423_21:                             ;   in Loop: Header=BB423_7 Depth=1
	s_wait_alu 0xfffe
	s_and_not1_b32 vcc_lo, exec_lo, s3
	s_wait_alu 0xfffe
	s_cbranch_vccnz .LBB423_23
; %bb.22:                               ;   in Loop: Header=BB423_7 Depth=1
	v_lshlrev_b64_e32 v[17:18], 4, v[5:6]
	s_delay_alu instid0(VALU_DEP_1) | instskip(SKIP_1) | instid1(VALU_DEP_2)
	v_add_co_u32 v17, vcc_lo, v15, v17
	s_wait_alu 0xfffd
	v_add_co_ci_u32_e64 v18, null, v16, v18, vcc_lo
	flat_store_b128 v[17:18], v[1:4]
.LBB423_23:                             ;   in Loop: Header=BB423_7 Depth=1
	s_wait_alu 0xfffe
	s_or_b32 exec_lo, exec_lo, s2
	s_and_saveexec_b32 s2, s26
	s_cbranch_execz .LBB423_28
; %bb.24:                               ;   in Loop: Header=BB423_7 Depth=1
	v_mul_f64_e32 v[1:2], s[18:19], v[29:30]
	v_mul_f64_e32 v[3:4], s[16:17], v[29:30]
	s_and_not1_b32 vcc_lo, exec_lo, s30
	s_mov_b32 s3, -1
	s_delay_alu instid0(VALU_DEP_2) | instskip(NEXT) | instid1(VALU_DEP_2)
	v_fma_f64 v[1:2], s[16:17], v[27:28], -v[1:2]
	v_fma_f64 v[3:4], s[18:19], v[27:28], v[3:4]
	s_wait_alu 0xfffe
	s_cbranch_vccnz .LBB423_26
; %bb.25:                               ;   in Loop: Header=BB423_7 Depth=1
	v_lshlrev_b64_e32 v[17:18], 4, v[7:8]
	s_mov_b32 s3, 0
	s_delay_alu instid0(VALU_DEP_1) | instskip(SKIP_1) | instid1(VALU_DEP_2)
	v_add_co_u32 v17, vcc_lo, v15, v17
	s_wait_alu 0xfffd
	v_add_co_ci_u32_e64 v18, null, v16, v18, vcc_lo
	flat_load_b128 v[27:30], v[17:18]
	s_wait_loadcnt_dscnt 0x0
	v_mul_f64_e32 v[31:32], s[12:13], v[29:30]
	v_mul_f64_e32 v[29:30], s[10:11], v[29:30]
	s_delay_alu instid0(VALU_DEP_2) | instskip(NEXT) | instid1(VALU_DEP_2)
	v_fma_f64 v[31:32], s[10:11], v[27:28], -v[31:32]
	v_fma_f64 v[29:30], s[12:13], v[27:28], v[29:30]
	s_delay_alu instid0(VALU_DEP_2) | instskip(NEXT) | instid1(VALU_DEP_2)
	v_add_f64_e32 v[27:28], v[1:2], v[31:32]
	v_add_f64_e32 v[29:30], v[3:4], v[29:30]
	flat_store_b128 v[17:18], v[27:30]
.LBB423_26:                             ;   in Loop: Header=BB423_7 Depth=1
	s_wait_alu 0xfffe
	s_and_not1_b32 vcc_lo, exec_lo, s3
	s_wait_alu 0xfffe
	s_cbranch_vccnz .LBB423_28
; %bb.27:                               ;   in Loop: Header=BB423_7 Depth=1
	v_lshlrev_b64_e32 v[17:18], 4, v[7:8]
	s_delay_alu instid0(VALU_DEP_1) | instskip(SKIP_1) | instid1(VALU_DEP_2)
	v_add_co_u32 v15, vcc_lo, v15, v17
	s_wait_alu 0xfffd
	v_add_co_ci_u32_e64 v16, null, v16, v18, vcc_lo
	flat_store_b128 v[15:16], v[1:4]
.LBB423_28:                             ;   in Loop: Header=BB423_7 Depth=1
	s_wait_alu 0xfffe
	s_or_b32 exec_lo, exec_lo, s2
	v_add_co_u32 v15, vcc_lo, v13, v11
	s_wait_alu 0xfffd
	v_add_co_ci_u32_e64 v16, null, v14, v12, vcc_lo
	s_and_saveexec_b32 s2, s4
	s_cbranch_execz .LBB423_33
; %bb.29:                               ;   in Loop: Header=BB423_7 Depth=1
	v_mul_f64_e32 v[1:2], s[18:19], v[25:26]
	v_mul_f64_e32 v[3:4], s[16:17], v[25:26]
	v_lshlrev_b64_e32 v[13:14], 4, v[5:6]
	s_and_not1_b32 vcc_lo, exec_lo, s30
	s_mov_b32 s3, -1
	s_delay_alu instid0(VALU_DEP_3) | instskip(NEXT) | instid1(VALU_DEP_3)
	v_fma_f64 v[1:2], s[16:17], v[23:24], -v[1:2]
	v_fma_f64 v[3:4], s[18:19], v[23:24], v[3:4]
	s_wait_alu 0xfffe
	s_cbranch_vccnz .LBB423_31
; %bb.30:                               ;   in Loop: Header=BB423_7 Depth=1
	v_add_co_u32 v17, vcc_lo, v15, v13
	s_wait_alu 0xfffd
	v_add_co_ci_u32_e64 v18, null, v16, v14, vcc_lo
	s_mov_b32 s3, 0
	flat_load_b128 v[23:26], v[17:18]
	s_wait_loadcnt_dscnt 0x0
	v_mul_f64_e32 v[27:28], s[12:13], v[25:26]
	v_mul_f64_e32 v[25:26], s[10:11], v[25:26]
	s_delay_alu instid0(VALU_DEP_2) | instskip(NEXT) | instid1(VALU_DEP_2)
	v_fma_f64 v[27:28], s[10:11], v[23:24], -v[27:28]
	v_fma_f64 v[25:26], s[12:13], v[23:24], v[25:26]
	s_delay_alu instid0(VALU_DEP_2) | instskip(NEXT) | instid1(VALU_DEP_2)
	v_add_f64_e32 v[23:24], v[1:2], v[27:28]
	v_add_f64_e32 v[25:26], v[3:4], v[25:26]
	flat_store_b128 v[17:18], v[23:26]
.LBB423_31:                             ;   in Loop: Header=BB423_7 Depth=1
	s_wait_alu 0xfffe
	s_and_not1_b32 vcc_lo, exec_lo, s3
	s_wait_alu 0xfffe
	s_cbranch_vccnz .LBB423_33
; %bb.32:                               ;   in Loop: Header=BB423_7 Depth=1
	v_add_co_u32 v13, vcc_lo, v15, v13
	s_wait_alu 0xfffd
	v_add_co_ci_u32_e64 v14, null, v16, v14, vcc_lo
	flat_store_b128 v[13:14], v[1:4]
.LBB423_33:                             ;   in Loop: Header=BB423_7 Depth=1
	s_wait_alu 0xfffe
	s_or_b32 exec_lo, exec_lo, s2
	s_and_saveexec_b32 s2, s33
	s_cbranch_execz .LBB423_6
; %bb.34:                               ;   in Loop: Header=BB423_7 Depth=1
	v_mul_f64_e32 v[1:2], s[18:19], v[19:20]
	v_mul_f64_e32 v[3:4], s[16:17], v[19:20]
	v_lshlrev_b64_e32 v[13:14], 4, v[7:8]
	s_and_not1_b32 vcc_lo, exec_lo, s30
	s_mov_b32 s3, -1
	s_delay_alu instid0(VALU_DEP_3) | instskip(NEXT) | instid1(VALU_DEP_3)
	v_fma_f64 v[1:2], s[16:17], v[21:22], -v[1:2]
	v_fma_f64 v[3:4], s[18:19], v[21:22], v[3:4]
	s_wait_alu 0xfffe
	s_cbranch_vccnz .LBB423_36
; %bb.35:                               ;   in Loop: Header=BB423_7 Depth=1
	v_add_co_u32 v21, vcc_lo, v15, v13
	s_wait_alu 0xfffd
	v_add_co_ci_u32_e64 v22, null, v16, v14, vcc_lo
	s_mov_b32 s3, 0
	flat_load_b128 v[17:20], v[21:22]
	s_wait_loadcnt_dscnt 0x0
	v_mul_f64_e32 v[23:24], s[12:13], v[19:20]
	v_mul_f64_e32 v[19:20], s[10:11], v[19:20]
	s_delay_alu instid0(VALU_DEP_2) | instskip(NEXT) | instid1(VALU_DEP_2)
	v_fma_f64 v[23:24], s[10:11], v[17:18], -v[23:24]
	v_fma_f64 v[19:20], s[12:13], v[17:18], v[19:20]
	s_delay_alu instid0(VALU_DEP_2) | instskip(NEXT) | instid1(VALU_DEP_2)
	v_add_f64_e32 v[17:18], v[1:2], v[23:24]
	v_add_f64_e32 v[19:20], v[3:4], v[19:20]
	flat_store_b128 v[21:22], v[17:20]
.LBB423_36:                             ;   in Loop: Header=BB423_7 Depth=1
	s_wait_alu 0xfffe
	s_and_not1_b32 vcc_lo, exec_lo, s3
	s_wait_alu 0xfffe
	s_cbranch_vccnz .LBB423_6
; %bb.37:                               ;   in Loop: Header=BB423_7 Depth=1
	v_add_co_u32 v13, vcc_lo, v15, v13
	s_wait_alu 0xfffd
	v_add_co_ci_u32_e64 v14, null, v16, v14, vcc_lo
	flat_store_b128 v[13:14], v[1:4]
	s_branch .LBB423_6
.LBB423_38:
.LBB423_39:
	s_nop 0
	s_sendmsg sendmsg(MSG_DEALLOC_VGPRS)
	s_endpgm
	.section	.rodata,"a",@progbits
	.p2align	6, 0x0
	.amdhsa_kernel _ZL29rocblas_internal_gemmt_kernelIiLi16ELi32ELi8ELc78ELc78ELc76ELb0ELb0E19rocblas_complex_numIdES1_PKPKS1_PKPS1_EviT_T9_T10_S9_lSB_S9_lSA_T11_S9_li
		.amdhsa_group_segment_fixed_size 8192
		.amdhsa_private_segment_fixed_size 0
		.amdhsa_kernarg_size 116
		.amdhsa_user_sgpr_count 2
		.amdhsa_user_sgpr_dispatch_ptr 0
		.amdhsa_user_sgpr_queue_ptr 0
		.amdhsa_user_sgpr_kernarg_segment_ptr 1
		.amdhsa_user_sgpr_dispatch_id 0
		.amdhsa_user_sgpr_private_segment_size 0
		.amdhsa_wavefront_size32 1
		.amdhsa_uses_dynamic_stack 0
		.amdhsa_enable_private_segment 0
		.amdhsa_system_sgpr_workgroup_id_x 1
		.amdhsa_system_sgpr_workgroup_id_y 1
		.amdhsa_system_sgpr_workgroup_id_z 1
		.amdhsa_system_sgpr_workgroup_info 0
		.amdhsa_system_vgpr_workitem_id 1
		.amdhsa_next_free_vgpr 133
		.amdhsa_next_free_sgpr 40
		.amdhsa_reserve_vcc 1
		.amdhsa_float_round_mode_32 0
		.amdhsa_float_round_mode_16_64 0
		.amdhsa_float_denorm_mode_32 3
		.amdhsa_float_denorm_mode_16_64 3
		.amdhsa_fp16_overflow 0
		.amdhsa_workgroup_processor_mode 1
		.amdhsa_memory_ordered 1
		.amdhsa_forward_progress 1
		.amdhsa_inst_pref_size 28
		.amdhsa_round_robin_scheduling 0
		.amdhsa_exception_fp_ieee_invalid_op 0
		.amdhsa_exception_fp_denorm_src 0
		.amdhsa_exception_fp_ieee_div_zero 0
		.amdhsa_exception_fp_ieee_overflow 0
		.amdhsa_exception_fp_ieee_underflow 0
		.amdhsa_exception_fp_ieee_inexact 0
		.amdhsa_exception_int_div_zero 0
	.end_amdhsa_kernel
	.section	.text._ZL29rocblas_internal_gemmt_kernelIiLi16ELi32ELi8ELc78ELc78ELc76ELb0ELb0E19rocblas_complex_numIdES1_PKPKS1_PKPS1_EviT_T9_T10_S9_lSB_S9_lSA_T11_S9_li,"axG",@progbits,_ZL29rocblas_internal_gemmt_kernelIiLi16ELi32ELi8ELc78ELc78ELc76ELb0ELb0E19rocblas_complex_numIdES1_PKPKS1_PKPS1_EviT_T9_T10_S9_lSB_S9_lSA_T11_S9_li,comdat
.Lfunc_end423:
	.size	_ZL29rocblas_internal_gemmt_kernelIiLi16ELi32ELi8ELc78ELc78ELc76ELb0ELb0E19rocblas_complex_numIdES1_PKPKS1_PKPS1_EviT_T9_T10_S9_lSB_S9_lSA_T11_S9_li, .Lfunc_end423-_ZL29rocblas_internal_gemmt_kernelIiLi16ELi32ELi8ELc78ELc78ELc76ELb0ELb0E19rocblas_complex_numIdES1_PKPKS1_PKPS1_EviT_T9_T10_S9_lSB_S9_lSA_T11_S9_li
                                        ; -- End function
	.set _ZL29rocblas_internal_gemmt_kernelIiLi16ELi32ELi8ELc78ELc78ELc76ELb0ELb0E19rocblas_complex_numIdES1_PKPKS1_PKPS1_EviT_T9_T10_S9_lSB_S9_lSA_T11_S9_li.num_vgpr, 133
	.set _ZL29rocblas_internal_gemmt_kernelIiLi16ELi32ELi8ELc78ELc78ELc76ELb0ELb0E19rocblas_complex_numIdES1_PKPKS1_PKPS1_EviT_T9_T10_S9_lSB_S9_lSA_T11_S9_li.num_agpr, 0
	.set _ZL29rocblas_internal_gemmt_kernelIiLi16ELi32ELi8ELc78ELc78ELc76ELb0ELb0E19rocblas_complex_numIdES1_PKPKS1_PKPS1_EviT_T9_T10_S9_lSB_S9_lSA_T11_S9_li.numbered_sgpr, 40
	.set _ZL29rocblas_internal_gemmt_kernelIiLi16ELi32ELi8ELc78ELc78ELc76ELb0ELb0E19rocblas_complex_numIdES1_PKPKS1_PKPS1_EviT_T9_T10_S9_lSB_S9_lSA_T11_S9_li.num_named_barrier, 0
	.set _ZL29rocblas_internal_gemmt_kernelIiLi16ELi32ELi8ELc78ELc78ELc76ELb0ELb0E19rocblas_complex_numIdES1_PKPKS1_PKPS1_EviT_T9_T10_S9_lSB_S9_lSA_T11_S9_li.private_seg_size, 0
	.set _ZL29rocblas_internal_gemmt_kernelIiLi16ELi32ELi8ELc78ELc78ELc76ELb0ELb0E19rocblas_complex_numIdES1_PKPKS1_PKPS1_EviT_T9_T10_S9_lSB_S9_lSA_T11_S9_li.uses_vcc, 1
	.set _ZL29rocblas_internal_gemmt_kernelIiLi16ELi32ELi8ELc78ELc78ELc76ELb0ELb0E19rocblas_complex_numIdES1_PKPKS1_PKPS1_EviT_T9_T10_S9_lSB_S9_lSA_T11_S9_li.uses_flat_scratch, 0
	.set _ZL29rocblas_internal_gemmt_kernelIiLi16ELi32ELi8ELc78ELc78ELc76ELb0ELb0E19rocblas_complex_numIdES1_PKPKS1_PKPS1_EviT_T9_T10_S9_lSB_S9_lSA_T11_S9_li.has_dyn_sized_stack, 0
	.set _ZL29rocblas_internal_gemmt_kernelIiLi16ELi32ELi8ELc78ELc78ELc76ELb0ELb0E19rocblas_complex_numIdES1_PKPKS1_PKPS1_EviT_T9_T10_S9_lSB_S9_lSA_T11_S9_li.has_recursion, 0
	.set _ZL29rocblas_internal_gemmt_kernelIiLi16ELi32ELi8ELc78ELc78ELc76ELb0ELb0E19rocblas_complex_numIdES1_PKPKS1_PKPS1_EviT_T9_T10_S9_lSB_S9_lSA_T11_S9_li.has_indirect_call, 0
	.section	.AMDGPU.csdata,"",@progbits
; Kernel info:
; codeLenInByte = 3460
; TotalNumSgprs: 42
; NumVgprs: 133
; ScratchSize: 0
; MemoryBound: 0
; FloatMode: 240
; IeeeMode: 1
; LDSByteSize: 8192 bytes/workgroup (compile time only)
; SGPRBlocks: 0
; VGPRBlocks: 16
; NumSGPRsForWavesPerEU: 42
; NumVGPRsForWavesPerEU: 133
; Occupancy: 10
; WaveLimiterHint : 1
; COMPUTE_PGM_RSRC2:SCRATCH_EN: 0
; COMPUTE_PGM_RSRC2:USER_SGPR: 2
; COMPUTE_PGM_RSRC2:TRAP_HANDLER: 0
; COMPUTE_PGM_RSRC2:TGID_X_EN: 1
; COMPUTE_PGM_RSRC2:TGID_Y_EN: 1
; COMPUTE_PGM_RSRC2:TGID_Z_EN: 1
; COMPUTE_PGM_RSRC2:TIDIG_COMP_CNT: 1
	.section	.text._ZL29rocblas_internal_gemmt_kernelIiLi16ELi32ELi8ELc78ELc84ELc76ELb0ELb0E19rocblas_complex_numIdES1_PKPKS1_PKPS1_EviT_T9_T10_S9_lSB_S9_lSA_T11_S9_li,"axG",@progbits,_ZL29rocblas_internal_gemmt_kernelIiLi16ELi32ELi8ELc78ELc84ELc76ELb0ELb0E19rocblas_complex_numIdES1_PKPKS1_PKPS1_EviT_T9_T10_S9_lSB_S9_lSA_T11_S9_li,comdat
	.globl	_ZL29rocblas_internal_gemmt_kernelIiLi16ELi32ELi8ELc78ELc84ELc76ELb0ELb0E19rocblas_complex_numIdES1_PKPKS1_PKPS1_EviT_T9_T10_S9_lSB_S9_lSA_T11_S9_li ; -- Begin function _ZL29rocblas_internal_gemmt_kernelIiLi16ELi32ELi8ELc78ELc84ELc76ELb0ELb0E19rocblas_complex_numIdES1_PKPKS1_PKPS1_EviT_T9_T10_S9_lSB_S9_lSA_T11_S9_li
	.p2align	8
	.type	_ZL29rocblas_internal_gemmt_kernelIiLi16ELi32ELi8ELc78ELc84ELc76ELb0ELb0E19rocblas_complex_numIdES1_PKPKS1_PKPS1_EviT_T9_T10_S9_lSB_S9_lSA_T11_S9_li,@function
_ZL29rocblas_internal_gemmt_kernelIiLi16ELi32ELi8ELc78ELc84ELc76ELb0ELb0E19rocblas_complex_numIdES1_PKPKS1_PKPS1_EviT_T9_T10_S9_lSB_S9_lSA_T11_S9_li: ; @_ZL29rocblas_internal_gemmt_kernelIiLi16ELi32ELi8ELc78ELc84ELc76ELb0ELb0E19rocblas_complex_numIdES1_PKPKS1_PKPS1_EviT_T9_T10_S9_lSB_S9_lSA_T11_S9_li
; %bb.0:
	s_clause 0x2
	s_load_b256 s[8:15], s[0:1], 0x40
	s_load_b64 s[4:5], s[0:1], 0x0
	s_load_b128 s[16:19], s[0:1], 0x8
	s_wait_kmcnt 0x0
	v_cmp_eq_f64_e64 s2, s[10:11], 1.0
	v_cmp_eq_f64_e64 s3, s[12:13], 0
	s_and_b32 s2, s2, s3
	s_delay_alu instid0(SALU_CYCLE_1)
	s_and_not1_b32 vcc_lo, exec_lo, s2
	s_mov_b32 s2, -1
	s_cbranch_vccnz .LBB424_3
; %bb.1:
	s_cmp_lg_u32 s5, 0
	s_cbranch_scc0 .LBB424_38
; %bb.2:
	v_cmp_neq_f64_e64 s2, s[16:17], 0
	v_cmp_neq_f64_e64 s6, s[18:19], 0
	s_or_b32 s2, s2, s6
.LBB424_3:
	s_delay_alu instid0(SALU_CYCLE_1)
	s_and_b32 vcc_lo, exec_lo, s2
	s_cbranch_vccz .LBB424_39
; %bb.4:
	s_load_b32 s27, s[0:1], 0x70
	s_lshr_b32 s6, ttmp7, 16
	s_wait_kmcnt 0x0
	s_cmp_ge_u32 s6, s27
	s_cbranch_scc1 .LBB424_39
; %bb.5:
	v_cmp_neq_f64_e64 s2, s[16:17], 0
	v_cmp_neq_f64_e64 s30, s[18:19], 0
	;; [unrolled: 1-line block ×3, first 2 shown]
	s_clause 0x4
	s_load_b96 s[24:26], s[0:1], 0x18
	s_load_b128 s[20:23], s[0:1], 0x28
	s_load_b32 s34, s[0:1], 0x38
	s_load_b32 s33, s[0:1], 0x60
	s_load_b64 s[28:29], s[0:1], 0x68
	v_and_b32_e32 v1, 0x3ff, v0
	v_bfe_u32 v2, v0, 10, 10
	v_and_b32_e32 v35, 7, v0
	s_lshl_b32 s0, ttmp7, 5
	s_lshl_b32 s1, ttmp9, 5
	s_and_b32 s35, s0, 0x1fffe0
	v_lshl_add_u32 v0, v2, 4, v1
	v_lshlrev_b32_e32 v3, 4, v35
	v_lshlrev_b32_e32 v36, 4, v1
	v_add_nc_u32_e32 v5, s1, v1
	v_add_nc_u32_e32 v1, s35, v2
	v_lshl_add_u32 v37, v2, 7, 0x1000
	v_and_b32_e32 v2, 31, v0
	v_lshrrev_b32_e32 v4, 3, v0
	v_lshrrev_b32_e32 v38, 5, v0
	v_cmp_le_i32_e32 vcc_lo, v1, v5
	v_cmp_gt_i32_e64 s0, s4, v5
	v_add_nc_u32_e32 v7, 16, v5
	v_or_b32_e32 v0, s1, v2
	v_add_nc_u32_e32 v15, s35, v4
	v_lshlrev_b32_e32 v2, 4, v2
	v_lshl_or_b32 v3, v4, 7, v3
	s_wait_kmcnt 0x0
	s_ashr_i32 s37, s26, 31
	s_ashr_i32 s35, s34, 31
	v_mad_co_i64_i32 v[9:10], null, v38, s26, 0
	v_lshl_or_b32 v39, v38, 9, v2
	v_add_nc_u32_e32 v40, 0x1000, v3
	v_mad_co_i64_i32 v[2:3], null, v1, s33, 0
	v_mad_co_i64_i32 v[13:14], null, s34, v35, 0
	v_lshlrev_b64_e32 v[9:10], 4, v[9:10]
	s_mov_b32 s36, s26
	v_cmp_gt_i32_e64 s1, s4, v0
	s_or_b32 s38, s2, s30
	s_cmp_gt_i32 s5, 0
	v_cmp_gt_i32_e64 s2, s4, v15
	s_cselect_b32 s39, -1, 0
	s_xor_b32 s3, s3, -1
	s_lshl_b64 s[20:21], s[20:21], 4
	s_or_b32 s30, s31, s3
	s_and_b32 s31, vcc_lo, s0
	v_cmp_le_i32_e32 vcc_lo, v1, v7
	v_add_nc_u32_e32 v1, 16, v1
	v_cmp_gt_i32_e64 s3, s4, v7
	s_lshl_b64 s[8:9], s[8:9], 4
	v_ashrrev_i32_e32 v6, 31, v5
	v_ashrrev_i32_e32 v8, 31, v7
	v_cmp_le_i32_e64 s4, v1, v5
	s_and_b32 s26, vcc_lo, s3
	v_mad_co_i64_i32 v[11:12], null, v1, s33, 0
	v_cmp_le_i32_e32 vcc_lo, v1, v7
	v_ashrrev_i32_e32 v1, 31, v0
	s_mov_b32 s7, 0
	s_and_b32 s4, s4, s0
	s_and_b32 s33, vcc_lo, s3
	s_delay_alu instid0(VALU_DEP_1) | instskip(SKIP_1) | instid1(VALU_DEP_1)
	v_lshlrev_b64_e32 v[0:1], 4, v[0:1]
	v_add_co_u32 v4, vcc_lo, v9, s20
	v_add_co_ci_u32_e64 v16, null, s21, v10, vcc_lo
	v_lshlrev_b64_e32 v[9:10], 4, v[13:14]
	s_delay_alu instid0(VALU_DEP_3) | instskip(SKIP_1) | instid1(VALU_DEP_3)
	v_add_co_u32 v41, vcc_lo, v4, v0
	s_wait_alu 0xfffd
	v_add_co_ci_u32_e64 v42, null, v16, v1, vcc_lo
	v_lshlrev_b32_e32 v1, 4, v15
	s_delay_alu instid0(VALU_DEP_4) | instskip(SKIP_3) | instid1(VALU_DEP_3)
	v_add_co_u32 v4, vcc_lo, v9, s8
	s_wait_alu 0xfffd
	v_add_co_ci_u32_e64 v9, null, s9, v10, vcc_lo
	v_lshlrev_b64_e32 v[11:12], 4, v[11:12]
	v_add_co_u32 v43, vcc_lo, v4, v1
	s_wait_alu 0xfffd
	s_delay_alu instid0(VALU_DEP_3)
	v_add_co_ci_u32_e64 v44, null, 0, v9, vcc_lo
	v_lshlrev_b64_e32 v[9:10], 4, v[2:3]
	v_mov_b32_e32 v0, 0
	s_lshl_b64 s[20:21], s[36:37], 7
	s_wait_alu 0xfffe
	s_lshl_b64 s[8:9], s[34:35], 7
	s_and_b32 s34, s38, s39
	s_xor_b32 s35, s1, -1
	s_xor_b32 s36, s2, -1
	s_lshl_b64 s[0:1], s[28:29], 4
	s_branch .LBB424_7
.LBB424_6:                              ;   in Loop: Header=BB424_7 Depth=1
	s_wait_alu 0xfffe
	s_or_b32 exec_lo, exec_lo, s2
	s_add_co_i32 s6, s6, 0x10000
	s_delay_alu instid0(SALU_CYCLE_1)
	s_cmp_lt_u32 s6, s27
	s_cbranch_scc0 .LBB424_39
.LBB424_7:                              ; =>This Loop Header: Depth=1
                                        ;     Child Loop BB424_10 Depth 2
	s_lshl_b64 s[2:3], s[6:7], 3
	v_mov_b32_e32 v31, 0
	s_wait_alu 0xfffe
	s_add_nc_u64 s[28:29], s[14:15], s[2:3]
	v_mov_b32_e32 v27, 0
	global_load_b64 v[13:14], v0, s[28:29]
	v_mov_b32_e32 v23, 0
	v_dual_mov_b32 v21, 0 :: v_dual_mov_b32 v32, 0
	v_dual_mov_b32 v33, 0 :: v_dual_mov_b32 v28, 0
	v_dual_mov_b32 v29, 0 :: v_dual_mov_b32 v24, 0
	v_dual_mov_b32 v25, 0 :: v_dual_mov_b32 v22, 0
	v_dual_mov_b32 v19, 0 :: v_dual_mov_b32 v34, 0
	v_mov_b32_e32 v30, 0
	v_mov_b32_e32 v26, 0
	;; [unrolled: 1-line block ×3, first 2 shown]
	s_and_not1_b32 vcc_lo, exec_lo, s34
	s_wait_alu 0xfffe
	s_cbranch_vccnz .LBB424_18
; %bb.8:                                ;   in Loop: Header=BB424_7 Depth=1
	s_add_nc_u64 s[28:29], s[24:25], s[2:3]
	s_add_nc_u64 s[2:3], s[22:23], s[2:3]
	s_clause 0x1
	global_load_b64 v[1:2], v0, s[28:29]
	global_load_b64 v[3:4], v0, s[2:3]
	v_mov_b32_e32 v19, 0
	v_mov_b32_e32 v25, 0
	;; [unrolled: 1-line block ×3, first 2 shown]
	v_dual_mov_b32 v33, 0 :: v_dual_mov_b32 v20, 0
	v_dual_mov_b32 v21, 0 :: v_dual_mov_b32 v26, 0
	;; [unrolled: 1-line block ×5, first 2 shown]
	v_mov_b32_e32 v24, 0
	v_mov_b32_e32 v28, 0
	;; [unrolled: 1-line block ×3, first 2 shown]
	s_mov_b32 s2, 0
	s_wait_loadcnt 0x1
	v_add_co_u32 v15, vcc_lo, v1, v41
	s_wait_alu 0xfffd
	v_add_co_ci_u32_e64 v16, null, v2, v42, vcc_lo
	s_wait_loadcnt 0x0
	v_add_co_u32 v17, vcc_lo, v3, v43
	s_wait_alu 0xfffd
	v_add_co_ci_u32_e64 v18, null, v4, v44, vcc_lo
	s_branch .LBB424_10
.LBB424_9:                              ;   in Loop: Header=BB424_10 Depth=2
	s_wait_alu 0xfffe
	s_or_b32 exec_lo, exec_lo, s3
	s_wait_dscnt 0x0
	s_barrier_signal -1
	s_barrier_wait -1
	global_inv scope:SCOPE_SE
	ds_load_b128 v[1:4], v37
	ds_load_b128 v[45:48], v36
	ds_load_b128 v[49:52], v36 offset:256
	ds_load_b128 v[53:56], v37 offset:2048
	;; [unrolled: 1-line block ×10, first 2 shown]
	v_add_co_u32 v15, vcc_lo, v15, s20
	s_wait_alu 0xfffd
	v_add_co_ci_u32_e64 v16, null, s21, v16, vcc_lo
	v_add_co_u32 v17, vcc_lo, v17, s8
	s_wait_alu 0xfffd
	v_add_co_ci_u32_e64 v18, null, s9, v18, vcc_lo
	s_add_co_i32 s2, s2, 8
	s_wait_alu 0xfffe
	s_cmp_lt_i32 s2, s5
	s_wait_dscnt 0xa
	v_mul_f64_e32 v[89:90], v[3:4], v[47:48]
	v_mul_f64_e32 v[91:92], v[1:2], v[47:48]
	s_wait_dscnt 0x9
	v_mul_f64_e32 v[93:94], v[3:4], v[51:52]
	v_mul_f64_e32 v[95:96], v[1:2], v[51:52]
	;; [unrolled: 3-line block ×3, first 2 shown]
	v_mul_f64_e32 v[99:100], v[55:56], v[51:52]
	v_mul_f64_e32 v[51:52], v[53:54], v[51:52]
	s_wait_dscnt 0x5
	v_mul_f64_e32 v[101:102], v[59:60], v[67:68]
	v_mul_f64_e32 v[103:104], v[57:58], v[67:68]
	s_wait_dscnt 0x4
	v_mul_f64_e32 v[105:106], v[59:60], v[71:72]
	v_mul_f64_e32 v[107:108], v[57:58], v[71:72]
	;; [unrolled: 1-line block ×6, first 2 shown]
	s_wait_dscnt 0x2
	v_mul_f64_e32 v[117:118], v[75:76], v[79:80]
	v_mul_f64_e32 v[119:120], v[73:74], v[79:80]
	s_wait_dscnt 0x1
	v_mul_f64_e32 v[121:122], v[75:76], v[83:84]
	v_mul_f64_e32 v[123:124], v[73:74], v[83:84]
	;; [unrolled: 3-line block ×3, first 2 shown]
	v_mul_f64_e32 v[127:128], v[87:88], v[83:84]
	v_mul_f64_e32 v[83:84], v[85:86], v[83:84]
	v_fma_f64 v[89:90], v[1:2], v[45:46], -v[89:90]
	v_fma_f64 v[91:92], v[3:4], v[45:46], v[91:92]
	v_fma_f64 v[93:94], v[1:2], v[49:50], -v[93:94]
	v_fma_f64 v[95:96], v[3:4], v[49:50], v[95:96]
	;; [unrolled: 2-line block ×8, first 2 shown]
	ds_load_b128 v[1:4], v37 offset:48
	ds_load_b128 v[45:48], v37 offset:2096
	;; [unrolled: 1-line block ×4, first 2 shown]
	v_fma_f64 v[117:118], v[73:74], v[77:78], -v[117:118]
	v_fma_f64 v[119:120], v[75:76], v[77:78], v[119:120]
	v_fma_f64 v[73:74], v[73:74], v[81:82], -v[121:122]
	v_fma_f64 v[75:76], v[75:76], v[81:82], v[123:124]
	;; [unrolled: 2-line block ×4, first 2 shown]
	s_wait_dscnt 0x1
	v_mul_f64_e32 v[107:108], v[1:2], v[51:52]
	s_wait_dscnt 0x0
	v_mul_f64_e32 v[109:110], v[3:4], v[55:56]
	v_mul_f64_e32 v[111:112], v[1:2], v[55:56]
	v_add_f64_e32 v[67:68], v[31:32], v[89:90]
	v_add_f64_e32 v[69:70], v[91:92], v[33:34]
	;; [unrolled: 1-line block ×8, first 2 shown]
	v_mul_f64_e32 v[99:100], v[3:4], v[51:52]
	v_mul_f64_e32 v[113:114], v[47:48], v[51:52]
	v_mul_f64_e32 v[51:52], v[45:46], v[51:52]
	v_mul_f64_e32 v[115:116], v[47:48], v[55:56]
	v_mul_f64_e32 v[129:130], v[45:46], v[55:56]
	ds_load_b128 v[19:22], v37 offset:64
	ds_load_b128 v[23:26], v36 offset:2048
	;; [unrolled: 1-line block ×4, first 2 shown]
	s_wait_dscnt 0x0
	v_mul_f64_e32 v[123:124], v[33:34], v[25:26]
	v_mul_f64_e32 v[125:126], v[33:34], v[29:30]
	v_fma_f64 v[107:108], v[3:4], v[49:50], v[107:108]
	v_fma_f64 v[109:110], v[1:2], v[53:54], -v[109:110]
	v_fma_f64 v[111:112], v[3:4], v[53:54], v[111:112]
	v_add_f64_e32 v[83:84], v[67:68], v[101:102]
	v_add_f64_e32 v[85:86], v[103:104], v[69:70]
	;; [unrolled: 1-line block ×8, first 2 shown]
	v_mul_f64_e32 v[97:98], v[21:22], v[25:26]
	v_mul_f64_e32 v[101:102], v[19:20], v[25:26]
	;; [unrolled: 1-line block ×6, first 2 shown]
	v_fma_f64 v[99:100], v[1:2], v[49:50], -v[99:100]
	v_fma_f64 v[113:114], v[45:46], v[49:50], -v[113:114]
	v_fma_f64 v[127:128], v[47:48], v[49:50], v[51:52]
	v_fma_f64 v[115:116], v[45:46], v[53:54], -v[115:116]
	v_fma_f64 v[53:54], v[47:48], v[53:54], v[129:130]
	ds_load_b128 v[55:58], v37 offset:80
	ds_load_b128 v[59:62], v37 offset:2128
	;; [unrolled: 1-line block ×4, first 2 shown]
	v_fma_f64 v[123:124], v[31:32], v[23:24], -v[123:124]
	v_fma_f64 v[125:126], v[31:32], v[27:28], -v[125:126]
	v_add_f64_e32 v[83:84], v[83:84], v[117:118]
	v_add_f64_e32 v[85:86], v[119:120], v[85:86]
	;; [unrolled: 1-line block ×8, first 2 shown]
	s_wait_dscnt 0x1
	v_mul_f64_e32 v[89:90], v[57:58], v[65:66]
	v_mul_f64_e32 v[91:92], v[55:56], v[65:66]
	s_wait_dscnt 0x0
	v_mul_f64_e32 v[93:94], v[57:58], v[69:70]
	v_mul_f64_e32 v[95:96], v[55:56], v[69:70]
	;; [unrolled: 1-line block ×6, first 2 shown]
	v_fma_f64 v[97:98], v[19:20], v[23:24], -v[97:98]
	v_fma_f64 v[101:102], v[21:22], v[23:24], v[101:102]
	v_fma_f64 v[103:104], v[19:20], v[27:28], -v[103:104]
	v_fma_f64 v[105:106], v[21:22], v[27:28], v[105:106]
	v_fma_f64 v[129:130], v[33:34], v[23:24], v[25:26]
	;; [unrolled: 1-line block ×3, first 2 shown]
	ds_load_b128 v[1:4], v37 offset:96
	ds_load_b128 v[45:48], v36 offset:3072
	;; [unrolled: 1-line block ×8, first 2 shown]
	s_wait_loadcnt_dscnt 0x0
	s_barrier_signal -1
	s_barrier_wait -1
	global_inv scope:SCOPE_SE
	v_add_f64_e32 v[83:84], v[83:84], v[99:100]
	v_add_f64_e32 v[85:86], v[107:108], v[85:86]
	;; [unrolled: 1-line block ×8, first 2 shown]
	v_mul_f64_e32 v[81:82], v[3:4], v[47:48]
	v_mul_f64_e32 v[107:108], v[1:2], v[47:48]
	;; [unrolled: 1-line block ×8, first 2 shown]
	v_fma_f64 v[89:90], v[55:56], v[63:64], -v[89:90]
	v_fma_f64 v[91:92], v[57:58], v[63:64], v[91:92]
	v_fma_f64 v[55:56], v[55:56], v[67:68], -v[93:94]
	v_fma_f64 v[57:58], v[57:58], v[67:68], v[95:96]
	;; [unrolled: 2-line block ×4, first 2 shown]
	v_mul_f64_e32 v[95:96], v[21:22], v[33:34]
	v_add_f64_e32 v[65:66], v[83:84], v[97:98]
	v_add_f64_e32 v[67:68], v[101:102], v[85:86]
	v_add_f64_e32 v[69:70], v[99:100], v[103:104]
	v_add_f64_e32 v[75:76], v[105:106], v[75:76]
	v_add_f64_e32 v[83:84], v[87:88], v[123:124]
	v_add_f64_e32 v[77:78], v[129:130], v[77:78]
	v_add_f64_e32 v[79:80], v[79:80], v[125:126]
	v_add_f64_e32 v[53:54], v[131:132], v[53:54]
	v_mul_f64_e32 v[85:86], v[21:22], v[29:30]
	v_mul_f64_e32 v[87:88], v[19:20], v[29:30]
	;; [unrolled: 1-line block ×7, first 2 shown]
	v_fma_f64 v[81:82], v[1:2], v[45:46], -v[81:82]
	v_fma_f64 v[103:104], v[3:4], v[45:46], v[107:108]
	v_fma_f64 v[1:2], v[1:2], v[49:50], -v[109:110]
	v_fma_f64 v[3:4], v[3:4], v[49:50], v[111:112]
	;; [unrolled: 2-line block ×4, first 2 shown]
	v_add_f64_e32 v[51:52], v[65:66], v[89:90]
	v_add_f64_e32 v[65:66], v[91:92], v[67:68]
	v_add_f64_e32 v[55:56], v[69:70], v[55:56]
	v_add_f64_e32 v[57:58], v[57:58], v[75:76]
	v_add_f64_e32 v[67:68], v[83:84], v[93:94]
	v_add_f64_e32 v[63:64], v[63:64], v[77:78]
	v_add_f64_e32 v[59:60], v[79:80], v[59:60]
	v_add_f64_e32 v[53:54], v[61:62], v[53:54]
	v_fma_f64 v[61:62], v[19:20], v[27:28], -v[85:86]
	v_fma_f64 v[69:70], v[21:22], v[27:28], v[87:88]
	v_fma_f64 v[19:20], v[19:20], v[31:32], -v[95:96]
	v_fma_f64 v[21:22], v[21:22], v[31:32], v[97:98]
	;; [unrolled: 2-line block ×4, first 2 shown]
	v_add_f64_e32 v[23:24], v[51:52], v[81:82]
	v_add_f64_e32 v[25:26], v[103:104], v[65:66]
	;; [unrolled: 1-line block ×16, first 2 shown]
	s_cbranch_scc0 .LBB424_18
.LBB424_10:                             ;   Parent Loop BB424_7 Depth=1
                                        ; =>  This Inner Loop Header: Depth=2
	s_wait_alu 0xfffe
	v_add_nc_u32_e32 v1, s2, v38
	s_delay_alu instid0(VALU_DEP_1) | instskip(SKIP_3) | instid1(SALU_CYCLE_1)
	v_cmp_le_i32_e32 vcc_lo, s5, v1
	s_or_b32 s3, s35, vcc_lo
	s_wait_alu 0xfffe
	s_and_saveexec_b32 s28, s3
	s_xor_b32 s3, exec_lo, s28
; %bb.11:                               ;   in Loop: Header=BB424_10 Depth=2
	v_dual_mov_b32 v1, v0 :: v_dual_mov_b32 v2, v0
	v_mov_b32_e32 v3, v0
	ds_store_b128 v39, v[0:3]
; %bb.12:                               ;   in Loop: Header=BB424_10 Depth=2
	s_wait_alu 0xfffe
	s_and_not1_saveexec_b32 s3, s3
	s_cbranch_execz .LBB424_14
; %bb.13:                               ;   in Loop: Header=BB424_10 Depth=2
	flat_load_b128 v[1:4], v[15:16]
	s_wait_loadcnt_dscnt 0x0
	ds_store_2addr_b64 v39, v[1:2], v[3:4] offset1:1
.LBB424_14:                             ;   in Loop: Header=BB424_10 Depth=2
	s_wait_alu 0xfffe
	s_or_b32 exec_lo, exec_lo, s3
	v_add_nc_u32_e32 v1, s2, v35
	s_delay_alu instid0(VALU_DEP_1) | instskip(SKIP_3) | instid1(SALU_CYCLE_1)
	v_cmp_le_i32_e32 vcc_lo, s5, v1
	s_or_b32 s3, vcc_lo, s36
	s_wait_alu 0xfffe
	s_and_saveexec_b32 s28, s3
	s_xor_b32 s3, exec_lo, s28
; %bb.15:                               ;   in Loop: Header=BB424_10 Depth=2
	v_dual_mov_b32 v1, v0 :: v_dual_mov_b32 v2, v0
	v_mov_b32_e32 v3, v0
	ds_store_b128 v40, v[0:3]
; %bb.16:                               ;   in Loop: Header=BB424_10 Depth=2
	s_wait_alu 0xfffe
	s_and_not1_saveexec_b32 s3, s3
	s_cbranch_execz .LBB424_9
; %bb.17:                               ;   in Loop: Header=BB424_10 Depth=2
	flat_load_b128 v[1:4], v[17:18]
	s_wait_loadcnt_dscnt 0x0
	ds_store_2addr_b64 v40, v[1:2], v[3:4] offset1:1
	s_branch .LBB424_9
.LBB424_18:                             ;   in Loop: Header=BB424_7 Depth=1
	s_wait_loadcnt 0x0
	v_add_co_u32 v13, vcc_lo, v13, s0
	s_wait_alu 0xfffd
	v_add_co_ci_u32_e64 v14, null, s1, v14, vcc_lo
	s_delay_alu instid0(VALU_DEP_2) | instskip(SKIP_1) | instid1(VALU_DEP_2)
	v_add_co_u32 v15, vcc_lo, v13, v9
	s_wait_alu 0xfffd
	v_add_co_ci_u32_e64 v16, null, v14, v10, vcc_lo
	s_and_saveexec_b32 s2, s31
	s_cbranch_execz .LBB424_23
; %bb.19:                               ;   in Loop: Header=BB424_7 Depth=1
	v_mul_f64_e32 v[1:2], s[18:19], v[33:34]
	v_mul_f64_e32 v[3:4], s[16:17], v[33:34]
	s_and_b32 vcc_lo, exec_lo, s30
	s_mov_b32 s3, -1
	s_delay_alu instid0(VALU_DEP_2) | instskip(NEXT) | instid1(VALU_DEP_2)
	v_fma_f64 v[1:2], s[16:17], v[31:32], -v[1:2]
	v_fma_f64 v[3:4], s[18:19], v[31:32], v[3:4]
	s_wait_alu 0xfffe
	s_cbranch_vccz .LBB424_21
; %bb.20:                               ;   in Loop: Header=BB424_7 Depth=1
	v_lshlrev_b64_e32 v[17:18], 4, v[5:6]
	s_mov_b32 s3, 0
	s_delay_alu instid0(VALU_DEP_1) | instskip(SKIP_1) | instid1(VALU_DEP_2)
	v_add_co_u32 v17, vcc_lo, v15, v17
	s_wait_alu 0xfffd
	v_add_co_ci_u32_e64 v18, null, v16, v18, vcc_lo
	flat_load_b128 v[31:34], v[17:18]
	s_wait_loadcnt_dscnt 0x0
	v_mul_f64_e32 v[45:46], s[12:13], v[33:34]
	v_mul_f64_e32 v[33:34], s[10:11], v[33:34]
	s_delay_alu instid0(VALU_DEP_2) | instskip(NEXT) | instid1(VALU_DEP_2)
	v_fma_f64 v[45:46], s[10:11], v[31:32], -v[45:46]
	v_fma_f64 v[33:34], s[12:13], v[31:32], v[33:34]
	s_delay_alu instid0(VALU_DEP_2) | instskip(NEXT) | instid1(VALU_DEP_2)
	v_add_f64_e32 v[31:32], v[1:2], v[45:46]
	v_add_f64_e32 v[33:34], v[3:4], v[33:34]
	flat_store_b128 v[17:18], v[31:34]
.LBB424_21:                             ;   in Loop: Header=BB424_7 Depth=1
	s_wait_alu 0xfffe
	s_and_not1_b32 vcc_lo, exec_lo, s3
	s_wait_alu 0xfffe
	s_cbranch_vccnz .LBB424_23
; %bb.22:                               ;   in Loop: Header=BB424_7 Depth=1
	v_lshlrev_b64_e32 v[17:18], 4, v[5:6]
	s_delay_alu instid0(VALU_DEP_1) | instskip(SKIP_1) | instid1(VALU_DEP_2)
	v_add_co_u32 v17, vcc_lo, v15, v17
	s_wait_alu 0xfffd
	v_add_co_ci_u32_e64 v18, null, v16, v18, vcc_lo
	flat_store_b128 v[17:18], v[1:4]
.LBB424_23:                             ;   in Loop: Header=BB424_7 Depth=1
	s_wait_alu 0xfffe
	s_or_b32 exec_lo, exec_lo, s2
	s_and_saveexec_b32 s2, s26
	s_cbranch_execz .LBB424_28
; %bb.24:                               ;   in Loop: Header=BB424_7 Depth=1
	v_mul_f64_e32 v[1:2], s[18:19], v[29:30]
	v_mul_f64_e32 v[3:4], s[16:17], v[29:30]
	s_and_not1_b32 vcc_lo, exec_lo, s30
	s_mov_b32 s3, -1
	s_delay_alu instid0(VALU_DEP_2) | instskip(NEXT) | instid1(VALU_DEP_2)
	v_fma_f64 v[1:2], s[16:17], v[27:28], -v[1:2]
	v_fma_f64 v[3:4], s[18:19], v[27:28], v[3:4]
	s_wait_alu 0xfffe
	s_cbranch_vccnz .LBB424_26
; %bb.25:                               ;   in Loop: Header=BB424_7 Depth=1
	v_lshlrev_b64_e32 v[17:18], 4, v[7:8]
	s_mov_b32 s3, 0
	s_delay_alu instid0(VALU_DEP_1) | instskip(SKIP_1) | instid1(VALU_DEP_2)
	v_add_co_u32 v17, vcc_lo, v15, v17
	s_wait_alu 0xfffd
	v_add_co_ci_u32_e64 v18, null, v16, v18, vcc_lo
	flat_load_b128 v[27:30], v[17:18]
	s_wait_loadcnt_dscnt 0x0
	v_mul_f64_e32 v[31:32], s[12:13], v[29:30]
	v_mul_f64_e32 v[29:30], s[10:11], v[29:30]
	s_delay_alu instid0(VALU_DEP_2) | instskip(NEXT) | instid1(VALU_DEP_2)
	v_fma_f64 v[31:32], s[10:11], v[27:28], -v[31:32]
	v_fma_f64 v[29:30], s[12:13], v[27:28], v[29:30]
	s_delay_alu instid0(VALU_DEP_2) | instskip(NEXT) | instid1(VALU_DEP_2)
	v_add_f64_e32 v[27:28], v[1:2], v[31:32]
	v_add_f64_e32 v[29:30], v[3:4], v[29:30]
	flat_store_b128 v[17:18], v[27:30]
.LBB424_26:                             ;   in Loop: Header=BB424_7 Depth=1
	s_wait_alu 0xfffe
	s_and_not1_b32 vcc_lo, exec_lo, s3
	s_wait_alu 0xfffe
	s_cbranch_vccnz .LBB424_28
; %bb.27:                               ;   in Loop: Header=BB424_7 Depth=1
	v_lshlrev_b64_e32 v[17:18], 4, v[7:8]
	s_delay_alu instid0(VALU_DEP_1) | instskip(SKIP_1) | instid1(VALU_DEP_2)
	v_add_co_u32 v15, vcc_lo, v15, v17
	s_wait_alu 0xfffd
	v_add_co_ci_u32_e64 v16, null, v16, v18, vcc_lo
	flat_store_b128 v[15:16], v[1:4]
.LBB424_28:                             ;   in Loop: Header=BB424_7 Depth=1
	s_wait_alu 0xfffe
	s_or_b32 exec_lo, exec_lo, s2
	v_add_co_u32 v15, vcc_lo, v13, v11
	s_wait_alu 0xfffd
	v_add_co_ci_u32_e64 v16, null, v14, v12, vcc_lo
	s_and_saveexec_b32 s2, s4
	s_cbranch_execz .LBB424_33
; %bb.29:                               ;   in Loop: Header=BB424_7 Depth=1
	v_mul_f64_e32 v[1:2], s[18:19], v[25:26]
	v_mul_f64_e32 v[3:4], s[16:17], v[25:26]
	v_lshlrev_b64_e32 v[13:14], 4, v[5:6]
	s_and_not1_b32 vcc_lo, exec_lo, s30
	s_mov_b32 s3, -1
	s_delay_alu instid0(VALU_DEP_3) | instskip(NEXT) | instid1(VALU_DEP_3)
	v_fma_f64 v[1:2], s[16:17], v[23:24], -v[1:2]
	v_fma_f64 v[3:4], s[18:19], v[23:24], v[3:4]
	s_wait_alu 0xfffe
	s_cbranch_vccnz .LBB424_31
; %bb.30:                               ;   in Loop: Header=BB424_7 Depth=1
	v_add_co_u32 v17, vcc_lo, v15, v13
	s_wait_alu 0xfffd
	v_add_co_ci_u32_e64 v18, null, v16, v14, vcc_lo
	s_mov_b32 s3, 0
	flat_load_b128 v[23:26], v[17:18]
	s_wait_loadcnt_dscnt 0x0
	v_mul_f64_e32 v[27:28], s[12:13], v[25:26]
	v_mul_f64_e32 v[25:26], s[10:11], v[25:26]
	s_delay_alu instid0(VALU_DEP_2) | instskip(NEXT) | instid1(VALU_DEP_2)
	v_fma_f64 v[27:28], s[10:11], v[23:24], -v[27:28]
	v_fma_f64 v[25:26], s[12:13], v[23:24], v[25:26]
	s_delay_alu instid0(VALU_DEP_2) | instskip(NEXT) | instid1(VALU_DEP_2)
	v_add_f64_e32 v[23:24], v[1:2], v[27:28]
	v_add_f64_e32 v[25:26], v[3:4], v[25:26]
	flat_store_b128 v[17:18], v[23:26]
.LBB424_31:                             ;   in Loop: Header=BB424_7 Depth=1
	s_wait_alu 0xfffe
	s_and_not1_b32 vcc_lo, exec_lo, s3
	s_wait_alu 0xfffe
	s_cbranch_vccnz .LBB424_33
; %bb.32:                               ;   in Loop: Header=BB424_7 Depth=1
	v_add_co_u32 v13, vcc_lo, v15, v13
	s_wait_alu 0xfffd
	v_add_co_ci_u32_e64 v14, null, v16, v14, vcc_lo
	flat_store_b128 v[13:14], v[1:4]
.LBB424_33:                             ;   in Loop: Header=BB424_7 Depth=1
	s_wait_alu 0xfffe
	s_or_b32 exec_lo, exec_lo, s2
	s_and_saveexec_b32 s2, s33
	s_cbranch_execz .LBB424_6
; %bb.34:                               ;   in Loop: Header=BB424_7 Depth=1
	v_mul_f64_e32 v[1:2], s[18:19], v[19:20]
	v_mul_f64_e32 v[3:4], s[16:17], v[19:20]
	v_lshlrev_b64_e32 v[13:14], 4, v[7:8]
	s_and_not1_b32 vcc_lo, exec_lo, s30
	s_mov_b32 s3, -1
	s_delay_alu instid0(VALU_DEP_3) | instskip(NEXT) | instid1(VALU_DEP_3)
	v_fma_f64 v[1:2], s[16:17], v[21:22], -v[1:2]
	v_fma_f64 v[3:4], s[18:19], v[21:22], v[3:4]
	s_wait_alu 0xfffe
	s_cbranch_vccnz .LBB424_36
; %bb.35:                               ;   in Loop: Header=BB424_7 Depth=1
	v_add_co_u32 v21, vcc_lo, v15, v13
	s_wait_alu 0xfffd
	v_add_co_ci_u32_e64 v22, null, v16, v14, vcc_lo
	s_mov_b32 s3, 0
	flat_load_b128 v[17:20], v[21:22]
	s_wait_loadcnt_dscnt 0x0
	v_mul_f64_e32 v[23:24], s[12:13], v[19:20]
	v_mul_f64_e32 v[19:20], s[10:11], v[19:20]
	s_delay_alu instid0(VALU_DEP_2) | instskip(NEXT) | instid1(VALU_DEP_2)
	v_fma_f64 v[23:24], s[10:11], v[17:18], -v[23:24]
	v_fma_f64 v[19:20], s[12:13], v[17:18], v[19:20]
	s_delay_alu instid0(VALU_DEP_2) | instskip(NEXT) | instid1(VALU_DEP_2)
	v_add_f64_e32 v[17:18], v[1:2], v[23:24]
	v_add_f64_e32 v[19:20], v[3:4], v[19:20]
	flat_store_b128 v[21:22], v[17:20]
.LBB424_36:                             ;   in Loop: Header=BB424_7 Depth=1
	s_wait_alu 0xfffe
	s_and_not1_b32 vcc_lo, exec_lo, s3
	s_wait_alu 0xfffe
	s_cbranch_vccnz .LBB424_6
; %bb.37:                               ;   in Loop: Header=BB424_7 Depth=1
	v_add_co_u32 v13, vcc_lo, v15, v13
	s_wait_alu 0xfffd
	v_add_co_ci_u32_e64 v14, null, v16, v14, vcc_lo
	flat_store_b128 v[13:14], v[1:4]
	s_branch .LBB424_6
.LBB424_38:
.LBB424_39:
	s_nop 0
	s_sendmsg sendmsg(MSG_DEALLOC_VGPRS)
	s_endpgm
	.section	.rodata,"a",@progbits
	.p2align	6, 0x0
	.amdhsa_kernel _ZL29rocblas_internal_gemmt_kernelIiLi16ELi32ELi8ELc78ELc84ELc76ELb0ELb0E19rocblas_complex_numIdES1_PKPKS1_PKPS1_EviT_T9_T10_S9_lSB_S9_lSA_T11_S9_li
		.amdhsa_group_segment_fixed_size 8192
		.amdhsa_private_segment_fixed_size 0
		.amdhsa_kernarg_size 116
		.amdhsa_user_sgpr_count 2
		.amdhsa_user_sgpr_dispatch_ptr 0
		.amdhsa_user_sgpr_queue_ptr 0
		.amdhsa_user_sgpr_kernarg_segment_ptr 1
		.amdhsa_user_sgpr_dispatch_id 0
		.amdhsa_user_sgpr_private_segment_size 0
		.amdhsa_wavefront_size32 1
		.amdhsa_uses_dynamic_stack 0
		.amdhsa_enable_private_segment 0
		.amdhsa_system_sgpr_workgroup_id_x 1
		.amdhsa_system_sgpr_workgroup_id_y 1
		.amdhsa_system_sgpr_workgroup_id_z 1
		.amdhsa_system_sgpr_workgroup_info 0
		.amdhsa_system_vgpr_workitem_id 1
		.amdhsa_next_free_vgpr 133
		.amdhsa_next_free_sgpr 40
		.amdhsa_reserve_vcc 1
		.amdhsa_float_round_mode_32 0
		.amdhsa_float_round_mode_16_64 0
		.amdhsa_float_denorm_mode_32 3
		.amdhsa_float_denorm_mode_16_64 3
		.amdhsa_fp16_overflow 0
		.amdhsa_workgroup_processor_mode 1
		.amdhsa_memory_ordered 1
		.amdhsa_forward_progress 1
		.amdhsa_inst_pref_size 28
		.amdhsa_round_robin_scheduling 0
		.amdhsa_exception_fp_ieee_invalid_op 0
		.amdhsa_exception_fp_denorm_src 0
		.amdhsa_exception_fp_ieee_div_zero 0
		.amdhsa_exception_fp_ieee_overflow 0
		.amdhsa_exception_fp_ieee_underflow 0
		.amdhsa_exception_fp_ieee_inexact 0
		.amdhsa_exception_int_div_zero 0
	.end_amdhsa_kernel
	.section	.text._ZL29rocblas_internal_gemmt_kernelIiLi16ELi32ELi8ELc78ELc84ELc76ELb0ELb0E19rocblas_complex_numIdES1_PKPKS1_PKPS1_EviT_T9_T10_S9_lSB_S9_lSA_T11_S9_li,"axG",@progbits,_ZL29rocblas_internal_gemmt_kernelIiLi16ELi32ELi8ELc78ELc84ELc76ELb0ELb0E19rocblas_complex_numIdES1_PKPKS1_PKPS1_EviT_T9_T10_S9_lSB_S9_lSA_T11_S9_li,comdat
.Lfunc_end424:
	.size	_ZL29rocblas_internal_gemmt_kernelIiLi16ELi32ELi8ELc78ELc84ELc76ELb0ELb0E19rocblas_complex_numIdES1_PKPKS1_PKPS1_EviT_T9_T10_S9_lSB_S9_lSA_T11_S9_li, .Lfunc_end424-_ZL29rocblas_internal_gemmt_kernelIiLi16ELi32ELi8ELc78ELc84ELc76ELb0ELb0E19rocblas_complex_numIdES1_PKPKS1_PKPS1_EviT_T9_T10_S9_lSB_S9_lSA_T11_S9_li
                                        ; -- End function
	.set _ZL29rocblas_internal_gemmt_kernelIiLi16ELi32ELi8ELc78ELc84ELc76ELb0ELb0E19rocblas_complex_numIdES1_PKPKS1_PKPS1_EviT_T9_T10_S9_lSB_S9_lSA_T11_S9_li.num_vgpr, 133
	.set _ZL29rocblas_internal_gemmt_kernelIiLi16ELi32ELi8ELc78ELc84ELc76ELb0ELb0E19rocblas_complex_numIdES1_PKPKS1_PKPS1_EviT_T9_T10_S9_lSB_S9_lSA_T11_S9_li.num_agpr, 0
	.set _ZL29rocblas_internal_gemmt_kernelIiLi16ELi32ELi8ELc78ELc84ELc76ELb0ELb0E19rocblas_complex_numIdES1_PKPKS1_PKPS1_EviT_T9_T10_S9_lSB_S9_lSA_T11_S9_li.numbered_sgpr, 40
	.set _ZL29rocblas_internal_gemmt_kernelIiLi16ELi32ELi8ELc78ELc84ELc76ELb0ELb0E19rocblas_complex_numIdES1_PKPKS1_PKPS1_EviT_T9_T10_S9_lSB_S9_lSA_T11_S9_li.num_named_barrier, 0
	.set _ZL29rocblas_internal_gemmt_kernelIiLi16ELi32ELi8ELc78ELc84ELc76ELb0ELb0E19rocblas_complex_numIdES1_PKPKS1_PKPS1_EviT_T9_T10_S9_lSB_S9_lSA_T11_S9_li.private_seg_size, 0
	.set _ZL29rocblas_internal_gemmt_kernelIiLi16ELi32ELi8ELc78ELc84ELc76ELb0ELb0E19rocblas_complex_numIdES1_PKPKS1_PKPS1_EviT_T9_T10_S9_lSB_S9_lSA_T11_S9_li.uses_vcc, 1
	.set _ZL29rocblas_internal_gemmt_kernelIiLi16ELi32ELi8ELc78ELc84ELc76ELb0ELb0E19rocblas_complex_numIdES1_PKPKS1_PKPS1_EviT_T9_T10_S9_lSB_S9_lSA_T11_S9_li.uses_flat_scratch, 0
	.set _ZL29rocblas_internal_gemmt_kernelIiLi16ELi32ELi8ELc78ELc84ELc76ELb0ELb0E19rocblas_complex_numIdES1_PKPKS1_PKPS1_EviT_T9_T10_S9_lSB_S9_lSA_T11_S9_li.has_dyn_sized_stack, 0
	.set _ZL29rocblas_internal_gemmt_kernelIiLi16ELi32ELi8ELc78ELc84ELc76ELb0ELb0E19rocblas_complex_numIdES1_PKPKS1_PKPS1_EviT_T9_T10_S9_lSB_S9_lSA_T11_S9_li.has_recursion, 0
	.set _ZL29rocblas_internal_gemmt_kernelIiLi16ELi32ELi8ELc78ELc84ELc76ELb0ELb0E19rocblas_complex_numIdES1_PKPKS1_PKPS1_EviT_T9_T10_S9_lSB_S9_lSA_T11_S9_li.has_indirect_call, 0
	.section	.AMDGPU.csdata,"",@progbits
; Kernel info:
; codeLenInByte = 3468
; TotalNumSgprs: 42
; NumVgprs: 133
; ScratchSize: 0
; MemoryBound: 0
; FloatMode: 240
; IeeeMode: 1
; LDSByteSize: 8192 bytes/workgroup (compile time only)
; SGPRBlocks: 0
; VGPRBlocks: 16
; NumSGPRsForWavesPerEU: 42
; NumVGPRsForWavesPerEU: 133
; Occupancy: 10
; WaveLimiterHint : 1
; COMPUTE_PGM_RSRC2:SCRATCH_EN: 0
; COMPUTE_PGM_RSRC2:USER_SGPR: 2
; COMPUTE_PGM_RSRC2:TRAP_HANDLER: 0
; COMPUTE_PGM_RSRC2:TGID_X_EN: 1
; COMPUTE_PGM_RSRC2:TGID_Y_EN: 1
; COMPUTE_PGM_RSRC2:TGID_Z_EN: 1
; COMPUTE_PGM_RSRC2:TIDIG_COMP_CNT: 1
	.section	.text._ZL29rocblas_internal_gemmt_kernelIiLi16ELi32ELi8ELc78ELc67ELc76ELb0ELb1E19rocblas_complex_numIdES1_PKPKS1_PKPS1_EviT_T9_T10_S9_lSB_S9_lSA_T11_S9_li,"axG",@progbits,_ZL29rocblas_internal_gemmt_kernelIiLi16ELi32ELi8ELc78ELc67ELc76ELb0ELb1E19rocblas_complex_numIdES1_PKPKS1_PKPS1_EviT_T9_T10_S9_lSB_S9_lSA_T11_S9_li,comdat
	.globl	_ZL29rocblas_internal_gemmt_kernelIiLi16ELi32ELi8ELc78ELc67ELc76ELb0ELb1E19rocblas_complex_numIdES1_PKPKS1_PKPS1_EviT_T9_T10_S9_lSB_S9_lSA_T11_S9_li ; -- Begin function _ZL29rocblas_internal_gemmt_kernelIiLi16ELi32ELi8ELc78ELc67ELc76ELb0ELb1E19rocblas_complex_numIdES1_PKPKS1_PKPS1_EviT_T9_T10_S9_lSB_S9_lSA_T11_S9_li
	.p2align	8
	.type	_ZL29rocblas_internal_gemmt_kernelIiLi16ELi32ELi8ELc78ELc67ELc76ELb0ELb1E19rocblas_complex_numIdES1_PKPKS1_PKPS1_EviT_T9_T10_S9_lSB_S9_lSA_T11_S9_li,@function
_ZL29rocblas_internal_gemmt_kernelIiLi16ELi32ELi8ELc78ELc67ELc76ELb0ELb1E19rocblas_complex_numIdES1_PKPKS1_PKPS1_EviT_T9_T10_S9_lSB_S9_lSA_T11_S9_li: ; @_ZL29rocblas_internal_gemmt_kernelIiLi16ELi32ELi8ELc78ELc67ELc76ELb0ELb1E19rocblas_complex_numIdES1_PKPKS1_PKPS1_EviT_T9_T10_S9_lSB_S9_lSA_T11_S9_li
; %bb.0:
	s_clause 0x2
	s_load_b256 s[8:15], s[0:1], 0x40
	s_load_b64 s[4:5], s[0:1], 0x0
	s_load_b128 s[16:19], s[0:1], 0x8
	s_wait_kmcnt 0x0
	v_cmp_eq_f64_e64 s2, s[10:11], 1.0
	v_cmp_eq_f64_e64 s27, s[12:13], 0
	s_and_b32 s2, s2, s27
	s_delay_alu instid0(SALU_CYCLE_1)
	s_and_not1_b32 vcc_lo, exec_lo, s2
	s_mov_b32 s2, -1
	s_cbranch_vccnz .LBB425_3
; %bb.1:
	s_cmp_lg_u32 s5, 0
	s_cbranch_scc0 .LBB425_36
; %bb.2:
	v_cmp_neq_f64_e64 s2, s[16:17], 0
	v_cmp_neq_f64_e64 s3, s[18:19], 0
	s_or_b32 s2, s2, s3
.LBB425_3:
	s_delay_alu instid0(SALU_CYCLE_1)
	s_and_b32 vcc_lo, exec_lo, s2
	s_cbranch_vccz .LBB425_37
; %bb.4:
	s_load_b32 s33, s[0:1], 0x70
	s_lshr_b32 s6, ttmp7, 16
	s_wait_kmcnt 0x0
	s_cmp_ge_u32 s6, s33
	s_cbranch_scc1 .LBB425_37
; %bb.5:
	v_cmp_neq_f64_e64 s34, s[16:17], 0
	v_cmp_neq_f64_e64 s35, s[18:19], 0
	;; [unrolled: 1-line block ×3, first 2 shown]
	v_and_b32_e32 v1, 0x3ff, v0
	v_bfe_u32 v2, v0, 10, 10
	s_clause 0x4
	s_load_b96 s[24:26], s[0:1], 0x18
	s_load_b128 s[20:23], s[0:1], 0x28
	s_load_b32 s28, s[0:1], 0x38
	s_load_b32 s37, s[0:1], 0x60
	s_load_b64 s[30:31], s[0:1], 0x68
	v_and_b32_e32 v35, 7, v0
	s_lshl_b32 s1, ttmp7, 5
	s_lshl_b32 s0, ttmp9, 5
	v_lshl_add_u32 v0, v2, 4, v1
	s_and_b32 s2, s1, 0x1fffe0
	v_lshlrev_b32_e32 v3, 4, v35
	v_lshlrev_b32_e32 v36, 4, v1
	v_add_nc_u32_e32 v5, s0, v1
	v_add_nc_u32_e32 v1, s2, v2
	v_lshl_add_u32 v37, v2, 7, 0x1000
	v_and_b32_e32 v2, 31, v0
	v_lshrrev_b32_e32 v4, 3, v0
	v_lshrrev_b32_e32 v38, 5, v0
	v_add_nc_u32_e32 v7, 16, v5
	v_cmp_le_i32_e32 vcc_lo, v1, v5
	v_or_b32_e32 v0, s0, v2
	v_add_nc_u32_e32 v15, s2, v4
	v_lshlrev_b32_e32 v2, 4, v2
	v_lshl_or_b32 v3, v4, 7, v3
	s_wait_kmcnt 0x0
	v_mad_co_i64_i32 v[9:10], null, v38, s26, 0
	v_mad_co_i64_i32 v[11:12], null, s28, v35, 0
	v_cmp_gt_i32_e64 s1, s4, v5
	v_cmp_le_i32_e64 s2, v1, v7
	s_ashr_i32 s39, s26, 31
	s_ashr_i32 s29, s28, 31
	v_cmp_gt_i32_e64 s3, s4, v0
	v_lshl_or_b32 v39, v38, 9, v2
	v_cmp_gt_i32_e64 s0, s4, v15
	v_add_nc_u32_e32 v40, 0x1000, v3
	v_cmp_gt_i32_e64 s4, s4, v7
	v_mad_co_i64_i32 v[2:3], null, v1, s37, 0
	s_or_b32 s40, s34, s35
	v_add_nc_u32_e32 v1, 16, v1
	s_cmp_gt_i32 s5, 0
	v_lshlrev_b64_e32 v[9:10], 4, v[9:10]
	s_cselect_b32 s41, -1, 0
	s_xor_b32 s27, s27, -1
	s_and_b32 s35, vcc_lo, s1
	s_wait_alu 0xfffe
	s_or_b32 s34, s36, s27
	s_and_b32 s36, s2, s4
	v_cmp_le_i32_e32 vcc_lo, v1, v5
	v_cmp_le_i32_e64 s2, v1, v7
	v_mad_co_i64_i32 v[13:14], null, v1, s37, 0
	v_ashrrev_i32_e32 v1, 31, v0
	v_lshlrev_b64_e32 v[11:12], 4, v[11:12]
	s_lshl_b64 s[20:21], s[20:21], 4
	s_and_b32 s37, vcc_lo, s1
	v_add_co_u32 v4, vcc_lo, v9, s20
	v_lshlrev_b64_e32 v[0:1], 4, v[0:1]
	s_lshl_b64 s[8:9], s[8:9], 4
	v_add_co_ci_u32_e64 v9, null, s21, v10, vcc_lo
	v_add_co_u32 v10, vcc_lo, v11, s8
	v_lshlrev_b32_e32 v11, 4, v15
	s_delay_alu instid0(VALU_DEP_4)
	v_add_co_u32 v41, s1, v4, v0
	s_wait_alu 0xf1ff
	v_add_co_ci_u32_e64 v42, null, v9, v1, s1
	s_wait_alu 0xfffd
	v_add_co_ci_u32_e64 v1, null, s9, v12, vcc_lo
	v_add_co_u32 v4, vcc_lo, v10, v11
	v_lshlrev_b64_e32 v[9:10], 4, v[2:3]
	v_lshlrev_b64_e32 v[11:12], 4, v[13:14]
	v_ashrrev_i32_e32 v6, 31, v5
	v_ashrrev_i32_e32 v8, 31, v7
	v_mov_b32_e32 v0, 0
	s_wait_alu 0xfffd
	v_add_co_ci_u32_e64 v43, null, 0, v1, vcc_lo
	v_or_b32_e32 v44, 8, v4
	s_mov_b32 s38, s26
	s_mov_b32 s7, 0
	s_and_b32 s4, s2, s4
	s_lshl_b64 s[8:9], s[38:39], 7
	s_and_b32 s1, s40, s41
	s_lshl_b64 s[20:21], s[28:29], 7
	s_xor_b32 s28, s3, -1
	s_lshl_b64 s[2:3], s[30:31], 4
	s_branch .LBB425_7
.LBB425_6:                              ;   in Loop: Header=BB425_7 Depth=1
	s_wait_alu 0xfffe
	s_or_b32 exec_lo, exec_lo, s26
	s_add_co_i32 s6, s6, 0x10000
	s_delay_alu instid0(SALU_CYCLE_1)
	s_cmp_lt_u32 s6, s33
	s_cbranch_scc0 .LBB425_37
.LBB425_7:                              ; =>This Loop Header: Depth=1
                                        ;     Child Loop BB425_10 Depth 2
	s_lshl_b64 s[26:27], s[6:7], 3
	v_mov_b32_e32 v31, 0
	s_wait_alu 0xfffe
	s_add_nc_u64 s[30:31], s[14:15], s[26:27]
	v_mov_b32_e32 v27, 0
	global_load_b64 v[13:14], v0, s[30:31]
	v_mov_b32_e32 v23, 0
	v_dual_mov_b32 v21, 0 :: v_dual_mov_b32 v32, 0
	v_dual_mov_b32 v33, 0 :: v_dual_mov_b32 v28, 0
	;; [unrolled: 1-line block ×5, first 2 shown]
	v_mov_b32_e32 v30, 0
	v_mov_b32_e32 v26, 0
	;; [unrolled: 1-line block ×3, first 2 shown]
	s_and_not1_b32 vcc_lo, exec_lo, s1
	s_wait_alu 0xfffe
	s_cbranch_vccnz .LBB425_16
; %bb.8:                                ;   in Loop: Header=BB425_7 Depth=1
	s_add_nc_u64 s[30:31], s[24:25], s[26:27]
	s_add_nc_u64 s[26:27], s[22:23], s[26:27]
	s_clause 0x1
	global_load_b64 v[1:2], v0, s[30:31]
	global_load_b64 v[3:4], v0, s[26:27]
	v_mov_b32_e32 v19, 0
	v_mov_b32_e32 v25, 0
	;; [unrolled: 1-line block ×3, first 2 shown]
	v_dual_mov_b32 v33, 0 :: v_dual_mov_b32 v20, 0
	v_dual_mov_b32 v21, 0 :: v_dual_mov_b32 v26, 0
	v_dual_mov_b32 v23, 0 :: v_dual_mov_b32 v30, 0
	v_dual_mov_b32 v27, 0 :: v_dual_mov_b32 v34, 0
	v_dual_mov_b32 v31, 0 :: v_dual_mov_b32 v22, 0
	v_mov_b32_e32 v24, 0
	v_mov_b32_e32 v28, 0
	;; [unrolled: 1-line block ×3, first 2 shown]
	s_mov_b32 s26, 0
	s_wait_loadcnt 0x1
	v_add_co_u32 v15, vcc_lo, v1, v41
	s_wait_alu 0xfffd
	v_add_co_ci_u32_e64 v16, null, v2, v42, vcc_lo
	s_wait_loadcnt 0x0
	v_add_co_u32 v17, vcc_lo, v3, v44
	s_wait_alu 0xfffd
	v_add_co_ci_u32_e64 v18, null, v4, v43, vcc_lo
	s_branch .LBB425_10
.LBB425_9:                              ;   in Loop: Header=BB425_10 Depth=2
	s_wait_alu 0xfffe
	s_or_b32 exec_lo, exec_lo, s27
	ds_store_b128 v40, v[1:4]
	s_wait_dscnt 0x0
	s_barrier_signal -1
	s_barrier_wait -1
	global_inv scope:SCOPE_SE
	ds_load_b128 v[1:4], v37
	ds_load_b128 v[45:48], v36
	ds_load_b128 v[49:52], v36 offset:256
	ds_load_b128 v[53:56], v37 offset:2048
	;; [unrolled: 1-line block ×10, first 2 shown]
	v_add_co_u32 v15, vcc_lo, v15, s8
	s_wait_alu 0xfffd
	v_add_co_ci_u32_e64 v16, null, s9, v16, vcc_lo
	v_add_co_u32 v17, vcc_lo, v17, s20
	s_wait_alu 0xfffd
	v_add_co_ci_u32_e64 v18, null, s21, v18, vcc_lo
	s_add_co_i32 s26, s26, 8
	s_wait_alu 0xfffe
	s_cmp_lt_i32 s26, s5
	s_wait_dscnt 0xa
	v_mul_f64_e32 v[89:90], v[3:4], v[47:48]
	v_mul_f64_e32 v[91:92], v[1:2], v[47:48]
	s_wait_dscnt 0x9
	v_mul_f64_e32 v[93:94], v[3:4], v[51:52]
	v_mul_f64_e32 v[95:96], v[1:2], v[51:52]
	;; [unrolled: 3-line block ×3, first 2 shown]
	v_mul_f64_e32 v[99:100], v[55:56], v[51:52]
	v_mul_f64_e32 v[51:52], v[53:54], v[51:52]
	s_wait_dscnt 0x5
	v_mul_f64_e32 v[101:102], v[59:60], v[67:68]
	v_mul_f64_e32 v[103:104], v[57:58], v[67:68]
	s_wait_dscnt 0x4
	v_mul_f64_e32 v[105:106], v[59:60], v[71:72]
	v_mul_f64_e32 v[107:108], v[57:58], v[71:72]
	;; [unrolled: 1-line block ×6, first 2 shown]
	s_wait_dscnt 0x2
	v_mul_f64_e32 v[117:118], v[75:76], v[79:80]
	v_mul_f64_e32 v[119:120], v[73:74], v[79:80]
	s_wait_dscnt 0x1
	v_mul_f64_e32 v[121:122], v[75:76], v[83:84]
	v_mul_f64_e32 v[123:124], v[73:74], v[83:84]
	;; [unrolled: 3-line block ×3, first 2 shown]
	v_mul_f64_e32 v[127:128], v[87:88], v[83:84]
	v_mul_f64_e32 v[83:84], v[85:86], v[83:84]
	v_fma_f64 v[89:90], v[1:2], v[45:46], -v[89:90]
	v_fma_f64 v[91:92], v[3:4], v[45:46], v[91:92]
	v_fma_f64 v[93:94], v[1:2], v[49:50], -v[93:94]
	v_fma_f64 v[95:96], v[3:4], v[49:50], v[95:96]
	v_fma_f64 v[97:98], v[53:54], v[45:46], -v[97:98]
	v_fma_f64 v[113:114], v[55:56], v[45:46], v[47:48]
	v_fma_f64 v[99:100], v[53:54], v[49:50], -v[99:100]
	v_fma_f64 v[115:116], v[55:56], v[49:50], v[51:52]
	v_fma_f64 v[101:102], v[57:58], v[65:66], -v[101:102]
	v_fma_f64 v[103:104], v[59:60], v[65:66], v[103:104]
	v_fma_f64 v[57:58], v[57:58], v[69:70], -v[105:106]
	v_fma_f64 v[59:60], v[59:60], v[69:70], v[107:108]
	v_fma_f64 v[105:106], v[61:62], v[65:66], -v[109:110]
	v_fma_f64 v[65:66], v[63:64], v[65:66], v[67:68]
	v_fma_f64 v[61:62], v[61:62], v[69:70], -v[111:112]
	v_fma_f64 v[63:64], v[63:64], v[69:70], v[71:72]
	ds_load_b128 v[1:4], v37 offset:48
	ds_load_b128 v[45:48], v37 offset:2096
	;; [unrolled: 1-line block ×4, first 2 shown]
	v_fma_f64 v[117:118], v[73:74], v[77:78], -v[117:118]
	v_fma_f64 v[119:120], v[75:76], v[77:78], v[119:120]
	v_fma_f64 v[73:74], v[73:74], v[81:82], -v[121:122]
	v_fma_f64 v[75:76], v[75:76], v[81:82], v[123:124]
	;; [unrolled: 2-line block ×4, first 2 shown]
	s_wait_dscnt 0x1
	v_mul_f64_e32 v[107:108], v[1:2], v[51:52]
	s_wait_dscnt 0x0
	v_mul_f64_e32 v[109:110], v[3:4], v[55:56]
	v_mul_f64_e32 v[111:112], v[1:2], v[55:56]
	v_add_f64_e32 v[67:68], v[31:32], v[89:90]
	v_add_f64_e32 v[69:70], v[91:92], v[33:34]
	;; [unrolled: 1-line block ×8, first 2 shown]
	v_mul_f64_e32 v[99:100], v[3:4], v[51:52]
	v_mul_f64_e32 v[113:114], v[47:48], v[51:52]
	;; [unrolled: 1-line block ×5, first 2 shown]
	ds_load_b128 v[19:22], v37 offset:64
	ds_load_b128 v[23:26], v36 offset:2048
	;; [unrolled: 1-line block ×4, first 2 shown]
	s_wait_dscnt 0x0
	v_mul_f64_e32 v[123:124], v[33:34], v[25:26]
	v_mul_f64_e32 v[125:126], v[33:34], v[29:30]
	v_fma_f64 v[107:108], v[3:4], v[49:50], v[107:108]
	v_fma_f64 v[109:110], v[1:2], v[53:54], -v[109:110]
	v_fma_f64 v[111:112], v[3:4], v[53:54], v[111:112]
	v_add_f64_e32 v[83:84], v[67:68], v[101:102]
	v_add_f64_e32 v[85:86], v[103:104], v[69:70]
	;; [unrolled: 1-line block ×8, first 2 shown]
	v_mul_f64_e32 v[97:98], v[21:22], v[25:26]
	v_mul_f64_e32 v[101:102], v[19:20], v[25:26]
	;; [unrolled: 1-line block ×6, first 2 shown]
	v_fma_f64 v[99:100], v[1:2], v[49:50], -v[99:100]
	v_fma_f64 v[113:114], v[45:46], v[49:50], -v[113:114]
	v_fma_f64 v[127:128], v[47:48], v[49:50], v[51:52]
	v_fma_f64 v[115:116], v[45:46], v[53:54], -v[115:116]
	v_fma_f64 v[53:54], v[47:48], v[53:54], v[129:130]
	ds_load_b128 v[55:58], v37 offset:80
	ds_load_b128 v[59:62], v37 offset:2128
	;; [unrolled: 1-line block ×4, first 2 shown]
	v_fma_f64 v[123:124], v[31:32], v[23:24], -v[123:124]
	v_fma_f64 v[125:126], v[31:32], v[27:28], -v[125:126]
	v_add_f64_e32 v[83:84], v[83:84], v[117:118]
	v_add_f64_e32 v[85:86], v[119:120], v[85:86]
	;; [unrolled: 1-line block ×8, first 2 shown]
	s_wait_dscnt 0x1
	v_mul_f64_e32 v[89:90], v[57:58], v[65:66]
	v_mul_f64_e32 v[91:92], v[55:56], v[65:66]
	s_wait_dscnt 0x0
	v_mul_f64_e32 v[93:94], v[57:58], v[69:70]
	v_mul_f64_e32 v[95:96], v[55:56], v[69:70]
	;; [unrolled: 1-line block ×6, first 2 shown]
	v_fma_f64 v[97:98], v[19:20], v[23:24], -v[97:98]
	v_fma_f64 v[101:102], v[21:22], v[23:24], v[101:102]
	v_fma_f64 v[103:104], v[19:20], v[27:28], -v[103:104]
	v_fma_f64 v[105:106], v[21:22], v[27:28], v[105:106]
	v_fma_f64 v[129:130], v[33:34], v[23:24], v[25:26]
	;; [unrolled: 1-line block ×3, first 2 shown]
	ds_load_b128 v[1:4], v37 offset:96
	ds_load_b128 v[45:48], v36 offset:3072
	;; [unrolled: 1-line block ×8, first 2 shown]
	s_wait_loadcnt_dscnt 0x0
	s_barrier_signal -1
	s_barrier_wait -1
	global_inv scope:SCOPE_SE
	v_add_f64_e32 v[83:84], v[83:84], v[99:100]
	v_add_f64_e32 v[85:86], v[107:108], v[85:86]
	;; [unrolled: 1-line block ×8, first 2 shown]
	v_mul_f64_e32 v[81:82], v[3:4], v[47:48]
	v_mul_f64_e32 v[107:108], v[1:2], v[47:48]
	;; [unrolled: 1-line block ×8, first 2 shown]
	v_fma_f64 v[89:90], v[55:56], v[63:64], -v[89:90]
	v_fma_f64 v[91:92], v[57:58], v[63:64], v[91:92]
	v_fma_f64 v[55:56], v[55:56], v[67:68], -v[93:94]
	v_fma_f64 v[57:58], v[57:58], v[67:68], v[95:96]
	;; [unrolled: 2-line block ×4, first 2 shown]
	v_mul_f64_e32 v[95:96], v[21:22], v[33:34]
	v_add_f64_e32 v[65:66], v[83:84], v[97:98]
	v_add_f64_e32 v[67:68], v[101:102], v[85:86]
	;; [unrolled: 1-line block ×8, first 2 shown]
	v_mul_f64_e32 v[85:86], v[21:22], v[29:30]
	v_mul_f64_e32 v[87:88], v[19:20], v[29:30]
	;; [unrolled: 1-line block ×7, first 2 shown]
	v_fma_f64 v[81:82], v[1:2], v[45:46], -v[81:82]
	v_fma_f64 v[103:104], v[3:4], v[45:46], v[107:108]
	v_fma_f64 v[1:2], v[1:2], v[49:50], -v[109:110]
	v_fma_f64 v[3:4], v[3:4], v[49:50], v[111:112]
	v_fma_f64 v[105:106], v[71:72], v[45:46], -v[113:114]
	v_fma_f64 v[45:46], v[73:74], v[45:46], v[47:48]
	v_fma_f64 v[47:48], v[71:72], v[49:50], -v[115:116]
	v_fma_f64 v[49:50], v[73:74], v[49:50], v[51:52]
	v_add_f64_e32 v[51:52], v[65:66], v[89:90]
	v_add_f64_e32 v[65:66], v[91:92], v[67:68]
	;; [unrolled: 1-line block ×8, first 2 shown]
	v_fma_f64 v[61:62], v[19:20], v[27:28], -v[85:86]
	v_fma_f64 v[69:70], v[21:22], v[27:28], v[87:88]
	v_fma_f64 v[19:20], v[19:20], v[31:32], -v[95:96]
	v_fma_f64 v[21:22], v[21:22], v[31:32], v[97:98]
	;; [unrolled: 2-line block ×4, first 2 shown]
	v_add_f64_e32 v[23:24], v[51:52], v[81:82]
	v_add_f64_e32 v[25:26], v[103:104], v[65:66]
	;; [unrolled: 1-line block ×16, first 2 shown]
	s_cbranch_scc0 .LBB425_16
.LBB425_10:                             ;   Parent Loop BB425_7 Depth=1
                                        ; =>  This Inner Loop Header: Depth=2
	s_wait_alu 0xfffe
	v_add_nc_u32_e32 v1, s26, v38
	s_delay_alu instid0(VALU_DEP_1)
	v_cmp_le_i32_e32 vcc_lo, s5, v1
	s_or_b32 s27, s28, vcc_lo
	s_wait_alu 0xfffe
	s_and_saveexec_b32 s29, s27
	s_wait_alu 0xfffe
	s_xor_b32 s27, exec_lo, s29
; %bb.11:                               ;   in Loop: Header=BB425_10 Depth=2
	v_dual_mov_b32 v1, v0 :: v_dual_mov_b32 v2, v0
	v_mov_b32_e32 v3, v0
	ds_store_b128 v39, v[0:3]
; %bb.12:                               ;   in Loop: Header=BB425_10 Depth=2
	s_wait_alu 0xfffe
	s_and_not1_saveexec_b32 s27, s27
	s_cbranch_execz .LBB425_14
; %bb.13:                               ;   in Loop: Header=BB425_10 Depth=2
	flat_load_b128 v[1:4], v[15:16]
	s_wait_loadcnt_dscnt 0x0
	ds_store_2addr_b64 v39, v[1:2], v[3:4] offset1:1
.LBB425_14:                             ;   in Loop: Header=BB425_10 Depth=2
	s_wait_alu 0xfffe
	s_or_b32 exec_lo, exec_lo, s27
	v_add_nc_u32_e32 v1, s26, v35
	v_mov_b32_e32 v3, 0
	v_mov_b32_e32 v4, 0
	s_delay_alu instid0(VALU_DEP_3)
	v_cmp_gt_i32_e32 vcc_lo, s5, v1
	v_mov_b32_e32 v1, 0
	v_mov_b32_e32 v2, 0
	s_and_b32 s29, vcc_lo, s0
	s_wait_alu 0xfffe
	s_and_saveexec_b32 s27, s29
	s_cbranch_execz .LBB425_9
; %bb.15:                               ;   in Loop: Header=BB425_10 Depth=2
	flat_load_b128 v[1:4], v[17:18] offset:-8
	s_wait_loadcnt_dscnt 0x0
	v_xor_b32_e32 v4, 0x80000000, v4
	s_branch .LBB425_9
.LBB425_16:                             ;   in Loop: Header=BB425_7 Depth=1
	s_wait_loadcnt 0x0
	v_add_co_u32 v13, vcc_lo, v13, s2
	s_wait_alu 0xfffd
	v_add_co_ci_u32_e64 v14, null, s3, v14, vcc_lo
	s_delay_alu instid0(VALU_DEP_2) | instskip(SKIP_1) | instid1(VALU_DEP_2)
	v_add_co_u32 v15, vcc_lo, v13, v9
	s_wait_alu 0xfffd
	v_add_co_ci_u32_e64 v16, null, v14, v10, vcc_lo
	s_and_saveexec_b32 s26, s35
	s_cbranch_execz .LBB425_21
; %bb.17:                               ;   in Loop: Header=BB425_7 Depth=1
	v_mul_f64_e32 v[1:2], s[18:19], v[33:34]
	v_mul_f64_e32 v[3:4], s[16:17], v[33:34]
	s_and_b32 vcc_lo, exec_lo, s34
	s_mov_b32 s27, -1
	s_delay_alu instid0(VALU_DEP_2) | instskip(NEXT) | instid1(VALU_DEP_2)
	v_fma_f64 v[1:2], s[16:17], v[31:32], -v[1:2]
	v_fma_f64 v[3:4], s[18:19], v[31:32], v[3:4]
	s_wait_alu 0xfffe
	s_cbranch_vccz .LBB425_19
; %bb.18:                               ;   in Loop: Header=BB425_7 Depth=1
	v_lshlrev_b64_e32 v[17:18], 4, v[5:6]
	s_mov_b32 s27, 0
	s_delay_alu instid0(VALU_DEP_1) | instskip(SKIP_1) | instid1(VALU_DEP_2)
	v_add_co_u32 v17, vcc_lo, v15, v17
	s_wait_alu 0xfffd
	v_add_co_ci_u32_e64 v18, null, v16, v18, vcc_lo
	flat_load_b128 v[31:34], v[17:18]
	s_wait_loadcnt_dscnt 0x0
	v_mul_f64_e32 v[45:46], s[12:13], v[33:34]
	v_mul_f64_e32 v[33:34], s[10:11], v[33:34]
	s_delay_alu instid0(VALU_DEP_2) | instskip(NEXT) | instid1(VALU_DEP_2)
	v_fma_f64 v[45:46], s[10:11], v[31:32], -v[45:46]
	v_fma_f64 v[33:34], s[12:13], v[31:32], v[33:34]
	s_delay_alu instid0(VALU_DEP_2) | instskip(NEXT) | instid1(VALU_DEP_2)
	v_add_f64_e32 v[31:32], v[1:2], v[45:46]
	v_add_f64_e32 v[33:34], v[3:4], v[33:34]
	flat_store_b128 v[17:18], v[31:34]
.LBB425_19:                             ;   in Loop: Header=BB425_7 Depth=1
	s_wait_alu 0xfffe
	s_and_not1_b32 vcc_lo, exec_lo, s27
	s_wait_alu 0xfffe
	s_cbranch_vccnz .LBB425_21
; %bb.20:                               ;   in Loop: Header=BB425_7 Depth=1
	v_lshlrev_b64_e32 v[17:18], 4, v[5:6]
	s_delay_alu instid0(VALU_DEP_1) | instskip(SKIP_1) | instid1(VALU_DEP_2)
	v_add_co_u32 v17, vcc_lo, v15, v17
	s_wait_alu 0xfffd
	v_add_co_ci_u32_e64 v18, null, v16, v18, vcc_lo
	flat_store_b128 v[17:18], v[1:4]
.LBB425_21:                             ;   in Loop: Header=BB425_7 Depth=1
	s_wait_alu 0xfffe
	s_or_b32 exec_lo, exec_lo, s26
	s_and_saveexec_b32 s26, s36
	s_cbranch_execz .LBB425_26
; %bb.22:                               ;   in Loop: Header=BB425_7 Depth=1
	v_mul_f64_e32 v[1:2], s[18:19], v[29:30]
	v_mul_f64_e32 v[3:4], s[16:17], v[29:30]
	s_and_not1_b32 vcc_lo, exec_lo, s34
	s_mov_b32 s27, -1
	s_delay_alu instid0(VALU_DEP_2) | instskip(NEXT) | instid1(VALU_DEP_2)
	v_fma_f64 v[1:2], s[16:17], v[27:28], -v[1:2]
	v_fma_f64 v[3:4], s[18:19], v[27:28], v[3:4]
	s_wait_alu 0xfffe
	s_cbranch_vccnz .LBB425_24
; %bb.23:                               ;   in Loop: Header=BB425_7 Depth=1
	v_lshlrev_b64_e32 v[17:18], 4, v[7:8]
	s_mov_b32 s27, 0
	s_delay_alu instid0(VALU_DEP_1) | instskip(SKIP_1) | instid1(VALU_DEP_2)
	v_add_co_u32 v17, vcc_lo, v15, v17
	s_wait_alu 0xfffd
	v_add_co_ci_u32_e64 v18, null, v16, v18, vcc_lo
	flat_load_b128 v[27:30], v[17:18]
	s_wait_loadcnt_dscnt 0x0
	v_mul_f64_e32 v[31:32], s[12:13], v[29:30]
	v_mul_f64_e32 v[29:30], s[10:11], v[29:30]
	s_delay_alu instid0(VALU_DEP_2) | instskip(NEXT) | instid1(VALU_DEP_2)
	v_fma_f64 v[31:32], s[10:11], v[27:28], -v[31:32]
	v_fma_f64 v[29:30], s[12:13], v[27:28], v[29:30]
	s_delay_alu instid0(VALU_DEP_2) | instskip(NEXT) | instid1(VALU_DEP_2)
	v_add_f64_e32 v[27:28], v[1:2], v[31:32]
	v_add_f64_e32 v[29:30], v[3:4], v[29:30]
	flat_store_b128 v[17:18], v[27:30]
.LBB425_24:                             ;   in Loop: Header=BB425_7 Depth=1
	s_wait_alu 0xfffe
	s_and_not1_b32 vcc_lo, exec_lo, s27
	s_wait_alu 0xfffe
	s_cbranch_vccnz .LBB425_26
; %bb.25:                               ;   in Loop: Header=BB425_7 Depth=1
	v_lshlrev_b64_e32 v[17:18], 4, v[7:8]
	s_delay_alu instid0(VALU_DEP_1) | instskip(SKIP_1) | instid1(VALU_DEP_2)
	v_add_co_u32 v15, vcc_lo, v15, v17
	s_wait_alu 0xfffd
	v_add_co_ci_u32_e64 v16, null, v16, v18, vcc_lo
	flat_store_b128 v[15:16], v[1:4]
.LBB425_26:                             ;   in Loop: Header=BB425_7 Depth=1
	s_wait_alu 0xfffe
	s_or_b32 exec_lo, exec_lo, s26
	v_add_co_u32 v15, vcc_lo, v13, v11
	s_wait_alu 0xfffd
	v_add_co_ci_u32_e64 v16, null, v14, v12, vcc_lo
	s_and_saveexec_b32 s26, s37
	s_cbranch_execz .LBB425_31
; %bb.27:                               ;   in Loop: Header=BB425_7 Depth=1
	v_mul_f64_e32 v[1:2], s[18:19], v[25:26]
	v_mul_f64_e32 v[3:4], s[16:17], v[25:26]
	v_lshlrev_b64_e32 v[13:14], 4, v[5:6]
	s_and_not1_b32 vcc_lo, exec_lo, s34
	s_mov_b32 s27, -1
	s_delay_alu instid0(VALU_DEP_3) | instskip(NEXT) | instid1(VALU_DEP_3)
	v_fma_f64 v[1:2], s[16:17], v[23:24], -v[1:2]
	v_fma_f64 v[3:4], s[18:19], v[23:24], v[3:4]
	s_wait_alu 0xfffe
	s_cbranch_vccnz .LBB425_29
; %bb.28:                               ;   in Loop: Header=BB425_7 Depth=1
	v_add_co_u32 v17, vcc_lo, v15, v13
	s_wait_alu 0xfffd
	v_add_co_ci_u32_e64 v18, null, v16, v14, vcc_lo
	s_mov_b32 s27, 0
	flat_load_b128 v[23:26], v[17:18]
	s_wait_loadcnt_dscnt 0x0
	v_mul_f64_e32 v[27:28], s[12:13], v[25:26]
	v_mul_f64_e32 v[25:26], s[10:11], v[25:26]
	s_delay_alu instid0(VALU_DEP_2) | instskip(NEXT) | instid1(VALU_DEP_2)
	v_fma_f64 v[27:28], s[10:11], v[23:24], -v[27:28]
	v_fma_f64 v[25:26], s[12:13], v[23:24], v[25:26]
	s_delay_alu instid0(VALU_DEP_2) | instskip(NEXT) | instid1(VALU_DEP_2)
	v_add_f64_e32 v[23:24], v[1:2], v[27:28]
	v_add_f64_e32 v[25:26], v[3:4], v[25:26]
	flat_store_b128 v[17:18], v[23:26]
.LBB425_29:                             ;   in Loop: Header=BB425_7 Depth=1
	s_wait_alu 0xfffe
	s_and_not1_b32 vcc_lo, exec_lo, s27
	s_wait_alu 0xfffe
	s_cbranch_vccnz .LBB425_31
; %bb.30:                               ;   in Loop: Header=BB425_7 Depth=1
	v_add_co_u32 v13, vcc_lo, v15, v13
	s_wait_alu 0xfffd
	v_add_co_ci_u32_e64 v14, null, v16, v14, vcc_lo
	flat_store_b128 v[13:14], v[1:4]
.LBB425_31:                             ;   in Loop: Header=BB425_7 Depth=1
	s_wait_alu 0xfffe
	s_or_b32 exec_lo, exec_lo, s26
	s_and_saveexec_b32 s26, s4
	s_cbranch_execz .LBB425_6
; %bb.32:                               ;   in Loop: Header=BB425_7 Depth=1
	v_mul_f64_e32 v[1:2], s[18:19], v[19:20]
	v_mul_f64_e32 v[3:4], s[16:17], v[19:20]
	v_lshlrev_b64_e32 v[13:14], 4, v[7:8]
	s_and_not1_b32 vcc_lo, exec_lo, s34
	s_mov_b32 s27, -1
	s_delay_alu instid0(VALU_DEP_3) | instskip(NEXT) | instid1(VALU_DEP_3)
	v_fma_f64 v[1:2], s[16:17], v[21:22], -v[1:2]
	v_fma_f64 v[3:4], s[18:19], v[21:22], v[3:4]
	s_wait_alu 0xfffe
	s_cbranch_vccnz .LBB425_34
; %bb.33:                               ;   in Loop: Header=BB425_7 Depth=1
	v_add_co_u32 v21, vcc_lo, v15, v13
	s_wait_alu 0xfffd
	v_add_co_ci_u32_e64 v22, null, v16, v14, vcc_lo
	s_mov_b32 s27, 0
	flat_load_b128 v[17:20], v[21:22]
	s_wait_loadcnt_dscnt 0x0
	v_mul_f64_e32 v[23:24], s[12:13], v[19:20]
	v_mul_f64_e32 v[19:20], s[10:11], v[19:20]
	s_delay_alu instid0(VALU_DEP_2) | instskip(NEXT) | instid1(VALU_DEP_2)
	v_fma_f64 v[23:24], s[10:11], v[17:18], -v[23:24]
	v_fma_f64 v[19:20], s[12:13], v[17:18], v[19:20]
	s_delay_alu instid0(VALU_DEP_2) | instskip(NEXT) | instid1(VALU_DEP_2)
	v_add_f64_e32 v[17:18], v[1:2], v[23:24]
	v_add_f64_e32 v[19:20], v[3:4], v[19:20]
	flat_store_b128 v[21:22], v[17:20]
.LBB425_34:                             ;   in Loop: Header=BB425_7 Depth=1
	s_wait_alu 0xfffe
	s_and_not1_b32 vcc_lo, exec_lo, s27
	s_wait_alu 0xfffe
	s_cbranch_vccnz .LBB425_6
; %bb.35:                               ;   in Loop: Header=BB425_7 Depth=1
	v_add_co_u32 v13, vcc_lo, v15, v13
	s_wait_alu 0xfffd
	v_add_co_ci_u32_e64 v14, null, v16, v14, vcc_lo
	flat_store_b128 v[13:14], v[1:4]
	s_branch .LBB425_6
.LBB425_36:
.LBB425_37:
	s_nop 0
	s_sendmsg sendmsg(MSG_DEALLOC_VGPRS)
	s_endpgm
	.section	.rodata,"a",@progbits
	.p2align	6, 0x0
	.amdhsa_kernel _ZL29rocblas_internal_gemmt_kernelIiLi16ELi32ELi8ELc78ELc67ELc76ELb0ELb1E19rocblas_complex_numIdES1_PKPKS1_PKPS1_EviT_T9_T10_S9_lSB_S9_lSA_T11_S9_li
		.amdhsa_group_segment_fixed_size 8192
		.amdhsa_private_segment_fixed_size 0
		.amdhsa_kernarg_size 116
		.amdhsa_user_sgpr_count 2
		.amdhsa_user_sgpr_dispatch_ptr 0
		.amdhsa_user_sgpr_queue_ptr 0
		.amdhsa_user_sgpr_kernarg_segment_ptr 1
		.amdhsa_user_sgpr_dispatch_id 0
		.amdhsa_user_sgpr_private_segment_size 0
		.amdhsa_wavefront_size32 1
		.amdhsa_uses_dynamic_stack 0
		.amdhsa_enable_private_segment 0
		.amdhsa_system_sgpr_workgroup_id_x 1
		.amdhsa_system_sgpr_workgroup_id_y 1
		.amdhsa_system_sgpr_workgroup_id_z 1
		.amdhsa_system_sgpr_workgroup_info 0
		.amdhsa_system_vgpr_workitem_id 1
		.amdhsa_next_free_vgpr 133
		.amdhsa_next_free_sgpr 42
		.amdhsa_reserve_vcc 1
		.amdhsa_float_round_mode_32 0
		.amdhsa_float_round_mode_16_64 0
		.amdhsa_float_denorm_mode_32 3
		.amdhsa_float_denorm_mode_16_64 3
		.amdhsa_fp16_overflow 0
		.amdhsa_workgroup_processor_mode 1
		.amdhsa_memory_ordered 1
		.amdhsa_forward_progress 1
		.amdhsa_inst_pref_size 27
		.amdhsa_round_robin_scheduling 0
		.amdhsa_exception_fp_ieee_invalid_op 0
		.amdhsa_exception_fp_denorm_src 0
		.amdhsa_exception_fp_ieee_div_zero 0
		.amdhsa_exception_fp_ieee_overflow 0
		.amdhsa_exception_fp_ieee_underflow 0
		.amdhsa_exception_fp_ieee_inexact 0
		.amdhsa_exception_int_div_zero 0
	.end_amdhsa_kernel
	.section	.text._ZL29rocblas_internal_gemmt_kernelIiLi16ELi32ELi8ELc78ELc67ELc76ELb0ELb1E19rocblas_complex_numIdES1_PKPKS1_PKPS1_EviT_T9_T10_S9_lSB_S9_lSA_T11_S9_li,"axG",@progbits,_ZL29rocblas_internal_gemmt_kernelIiLi16ELi32ELi8ELc78ELc67ELc76ELb0ELb1E19rocblas_complex_numIdES1_PKPKS1_PKPS1_EviT_T9_T10_S9_lSB_S9_lSA_T11_S9_li,comdat
.Lfunc_end425:
	.size	_ZL29rocblas_internal_gemmt_kernelIiLi16ELi32ELi8ELc78ELc67ELc76ELb0ELb1E19rocblas_complex_numIdES1_PKPKS1_PKPS1_EviT_T9_T10_S9_lSB_S9_lSA_T11_S9_li, .Lfunc_end425-_ZL29rocblas_internal_gemmt_kernelIiLi16ELi32ELi8ELc78ELc67ELc76ELb0ELb1E19rocblas_complex_numIdES1_PKPKS1_PKPS1_EviT_T9_T10_S9_lSB_S9_lSA_T11_S9_li
                                        ; -- End function
	.set _ZL29rocblas_internal_gemmt_kernelIiLi16ELi32ELi8ELc78ELc67ELc76ELb0ELb1E19rocblas_complex_numIdES1_PKPKS1_PKPS1_EviT_T9_T10_S9_lSB_S9_lSA_T11_S9_li.num_vgpr, 133
	.set _ZL29rocblas_internal_gemmt_kernelIiLi16ELi32ELi8ELc78ELc67ELc76ELb0ELb1E19rocblas_complex_numIdES1_PKPKS1_PKPS1_EviT_T9_T10_S9_lSB_S9_lSA_T11_S9_li.num_agpr, 0
	.set _ZL29rocblas_internal_gemmt_kernelIiLi16ELi32ELi8ELc78ELc67ELc76ELb0ELb1E19rocblas_complex_numIdES1_PKPKS1_PKPS1_EviT_T9_T10_S9_lSB_S9_lSA_T11_S9_li.numbered_sgpr, 42
	.set _ZL29rocblas_internal_gemmt_kernelIiLi16ELi32ELi8ELc78ELc67ELc76ELb0ELb1E19rocblas_complex_numIdES1_PKPKS1_PKPS1_EviT_T9_T10_S9_lSB_S9_lSA_T11_S9_li.num_named_barrier, 0
	.set _ZL29rocblas_internal_gemmt_kernelIiLi16ELi32ELi8ELc78ELc67ELc76ELb0ELb1E19rocblas_complex_numIdES1_PKPKS1_PKPS1_EviT_T9_T10_S9_lSB_S9_lSA_T11_S9_li.private_seg_size, 0
	.set _ZL29rocblas_internal_gemmt_kernelIiLi16ELi32ELi8ELc78ELc67ELc76ELb0ELb1E19rocblas_complex_numIdES1_PKPKS1_PKPS1_EviT_T9_T10_S9_lSB_S9_lSA_T11_S9_li.uses_vcc, 1
	.set _ZL29rocblas_internal_gemmt_kernelIiLi16ELi32ELi8ELc78ELc67ELc76ELb0ELb1E19rocblas_complex_numIdES1_PKPKS1_PKPS1_EviT_T9_T10_S9_lSB_S9_lSA_T11_S9_li.uses_flat_scratch, 0
	.set _ZL29rocblas_internal_gemmt_kernelIiLi16ELi32ELi8ELc78ELc67ELc76ELb0ELb1E19rocblas_complex_numIdES1_PKPKS1_PKPS1_EviT_T9_T10_S9_lSB_S9_lSA_T11_S9_li.has_dyn_sized_stack, 0
	.set _ZL29rocblas_internal_gemmt_kernelIiLi16ELi32ELi8ELc78ELc67ELc76ELb0ELb1E19rocblas_complex_numIdES1_PKPKS1_PKPS1_EviT_T9_T10_S9_lSB_S9_lSA_T11_S9_li.has_recursion, 0
	.set _ZL29rocblas_internal_gemmt_kernelIiLi16ELi32ELi8ELc78ELc67ELc76ELb0ELb1E19rocblas_complex_numIdES1_PKPKS1_PKPS1_EviT_T9_T10_S9_lSB_S9_lSA_T11_S9_li.has_indirect_call, 0
	.section	.AMDGPU.csdata,"",@progbits
; Kernel info:
; codeLenInByte = 3456
; TotalNumSgprs: 44
; NumVgprs: 133
; ScratchSize: 0
; MemoryBound: 1
; FloatMode: 240
; IeeeMode: 1
; LDSByteSize: 8192 bytes/workgroup (compile time only)
; SGPRBlocks: 0
; VGPRBlocks: 16
; NumSGPRsForWavesPerEU: 44
; NumVGPRsForWavesPerEU: 133
; Occupancy: 10
; WaveLimiterHint : 1
; COMPUTE_PGM_RSRC2:SCRATCH_EN: 0
; COMPUTE_PGM_RSRC2:USER_SGPR: 2
; COMPUTE_PGM_RSRC2:TRAP_HANDLER: 0
; COMPUTE_PGM_RSRC2:TGID_X_EN: 1
; COMPUTE_PGM_RSRC2:TGID_Y_EN: 1
; COMPUTE_PGM_RSRC2:TGID_Z_EN: 1
; COMPUTE_PGM_RSRC2:TIDIG_COMP_CNT: 1
	.section	.text._ZL29rocblas_internal_gemmt_kernelIiLi16ELi32ELi8ELc84ELc78ELc76ELb0ELb0E19rocblas_complex_numIdES1_PKPKS1_PKPS1_EviT_T9_T10_S9_lSB_S9_lSA_T11_S9_li,"axG",@progbits,_ZL29rocblas_internal_gemmt_kernelIiLi16ELi32ELi8ELc84ELc78ELc76ELb0ELb0E19rocblas_complex_numIdES1_PKPKS1_PKPS1_EviT_T9_T10_S9_lSB_S9_lSA_T11_S9_li,comdat
	.globl	_ZL29rocblas_internal_gemmt_kernelIiLi16ELi32ELi8ELc84ELc78ELc76ELb0ELb0E19rocblas_complex_numIdES1_PKPKS1_PKPS1_EviT_T9_T10_S9_lSB_S9_lSA_T11_S9_li ; -- Begin function _ZL29rocblas_internal_gemmt_kernelIiLi16ELi32ELi8ELc84ELc78ELc76ELb0ELb0E19rocblas_complex_numIdES1_PKPKS1_PKPS1_EviT_T9_T10_S9_lSB_S9_lSA_T11_S9_li
	.p2align	8
	.type	_ZL29rocblas_internal_gemmt_kernelIiLi16ELi32ELi8ELc84ELc78ELc76ELb0ELb0E19rocblas_complex_numIdES1_PKPKS1_PKPS1_EviT_T9_T10_S9_lSB_S9_lSA_T11_S9_li,@function
_ZL29rocblas_internal_gemmt_kernelIiLi16ELi32ELi8ELc84ELc78ELc76ELb0ELb0E19rocblas_complex_numIdES1_PKPKS1_PKPS1_EviT_T9_T10_S9_lSB_S9_lSA_T11_S9_li: ; @_ZL29rocblas_internal_gemmt_kernelIiLi16ELi32ELi8ELc84ELc78ELc76ELb0ELb0E19rocblas_complex_numIdES1_PKPKS1_PKPS1_EviT_T9_T10_S9_lSB_S9_lSA_T11_S9_li
; %bb.0:
	s_clause 0x2
	s_load_b256 s[8:15], s[0:1], 0x40
	s_load_b64 s[4:5], s[0:1], 0x0
	s_load_b128 s[16:19], s[0:1], 0x8
	s_wait_kmcnt 0x0
	v_cmp_eq_f64_e64 s2, s[10:11], 1.0
	v_cmp_eq_f64_e64 s28, s[12:13], 0
	s_and_b32 s2, s2, s28
	s_delay_alu instid0(SALU_CYCLE_1)
	s_and_not1_b32 vcc_lo, exec_lo, s2
	s_mov_b32 s2, -1
	s_cbranch_vccnz .LBB426_3
; %bb.1:
	s_cmp_lg_u32 s5, 0
	s_cbranch_scc0 .LBB426_38
; %bb.2:
	v_cmp_neq_f64_e64 s2, s[16:17], 0
	v_cmp_neq_f64_e64 s3, s[18:19], 0
	s_or_b32 s2, s2, s3
.LBB426_3:
	s_delay_alu instid0(SALU_CYCLE_1)
	s_and_b32 vcc_lo, exec_lo, s2
	s_cbranch_vccz .LBB426_39
; %bb.4:
	s_load_b32 s27, s[0:1], 0x70
	s_lshr_b32 s6, ttmp7, 16
	s_wait_kmcnt 0x0
	s_cmp_ge_u32 s6, s27
	s_cbranch_scc1 .LBB426_39
; %bb.5:
	v_cmp_neq_f64_e64 s29, s[16:17], 0
	v_cmp_neq_f64_e64 s30, s[18:19], 0
	;; [unrolled: 1-line block ×3, first 2 shown]
	v_and_b32_e32 v1, 0x3ff, v0
	v_bfe_u32 v2, v0, 10, 10
	s_clause 0x4
	s_load_b96 s[24:26], s[0:1], 0x18
	s_load_b128 s[20:23], s[0:1], 0x28
	s_load_b32 s33, s[0:1], 0x38
	s_load_b32 s36, s[0:1], 0x60
	s_load_b64 s[34:35], s[0:1], 0x68
	v_and_b32_e32 v35, 7, v0
	s_lshl_b32 s1, ttmp9, 5
	v_lshlrev_b32_e32 v36, 4, v1
	v_lshl_add_u32 v0, v2, 4, v1
	v_add_nc_u32_e32 v5, s1, v1
	v_lshlrev_b32_e32 v13, 4, v35
	s_lshl_b32 s0, ttmp7, 5
	v_lshl_add_u32 v37, v2, 7, 0x1000
	v_lshrrev_b32_e32 v38, 5, v0
	v_and_b32_e32 v1, 31, v0
	v_lshrrev_b32_e32 v0, 3, v0
	s_wait_alu 0xfffe
	s_and_b32 s2, s0, 0x1fffe0
	v_add_nc_u32_e32 v7, 16, v5
	v_add_nc_u32_e32 v3, s2, v2
	v_or_b32_e32 v4, s1, v1
	v_add_nc_u32_e32 v9, s2, v0
	v_lshlrev_b32_e32 v1, 4, v1
	v_lshl_or_b32 v0, v0, 7, v13
	v_cmp_le_i32_e32 vcc_lo, v3, v5
	v_cmp_le_i32_e64 s1, v3, v7
	v_cmp_gt_i32_e64 s3, s4, v4
	v_lshl_or_b32 v39, v38, 9, v1
	v_add_nc_u32_e32 v40, 0x1000, v0
	s_wait_kmcnt 0x0
	v_mad_co_i64_i32 v[1:2], null, v3, s36, 0
	v_add_nc_u32_e32 v0, 16, v3
	v_mad_co_i64_i32 v[3:4], null, s26, v4, 0
	v_cmp_gt_i32_e64 s0, s4, v5
	v_cmp_gt_i32_e64 s2, s4, v7
	;; [unrolled: 1-line block ×3, first 2 shown]
	v_mad_co_i64_i32 v[9:10], null, s33, v9, 0
	s_or_b32 s37, s29, s30
	s_cmp_gt_i32 s5, 0
	v_lshlrev_b64_e32 v[3:4], 4, v[3:4]
	s_cselect_b32 s38, -1, 0
	s_and_b32 s29, vcc_lo, s0
	s_and_b32 s30, s1, s2
	v_cmp_le_i32_e32 vcc_lo, v0, v5
	v_cmp_le_i32_e64 s1, v0, v7
	s_xor_b32 s28, s28, -1
	v_lshlrev_b64_e32 v[9:10], 4, v[9:10]
	s_or_b32 s28, s31, s28
	s_and_b32 s26, vcc_lo, s0
	s_and_b32 s31, s1, s2
	s_lshl_b64 s[0:1], s[20:21], 4
	v_lshlrev_b32_e32 v14, 4, v38
	s_wait_alu 0xfffe
	v_add_co_u32 v3, vcc_lo, v3, s0
	s_delay_alu instid0(VALU_DEP_1)
	v_add_co_ci_u32_e64 v4, null, s1, v4, vcc_lo
	s_lshl_b64 s[0:1], s[8:9], 4
	v_mad_co_i64_i32 v[11:12], null, v0, s36, 0
	s_wait_alu 0xfffe
	v_add_co_u32 v9, vcc_lo, v9, s0
	s_wait_alu 0xfffd
	v_add_co_ci_u32_e64 v10, null, s1, v10, vcc_lo
	v_add_co_u32 v41, vcc_lo, v3, v14
	s_wait_alu 0xfffd
	v_add_co_ci_u32_e64 v42, null, 0, v4, vcc_lo
	;; [unrolled: 3-line block ×3, first 2 shown]
	v_lshlrev_b64_e32 v[9:10], 4, v[1:2]
	v_lshlrev_b64_e32 v[11:12], 4, v[11:12]
	v_ashrrev_i32_e32 v6, 31, v5
	v_ashrrev_i32_e32 v8, 31, v7
	v_mov_b32_e32 v0, 0
	s_mov_b32 s7, 0
	s_and_b32 s8, s37, s38
	s_xor_b32 s9, s3, -1
	s_xor_b32 s4, s4, -1
	s_lshl_b64 s[0:1], s[34:35], 4
	s_branch .LBB426_7
.LBB426_6:                              ;   in Loop: Header=BB426_7 Depth=1
	s_wait_alu 0xfffe
	s_or_b32 exec_lo, exec_lo, s2
	s_add_co_i32 s6, s6, 0x10000
	s_delay_alu instid0(SALU_CYCLE_1)
	s_cmp_lt_u32 s6, s27
	s_cbranch_scc0 .LBB426_39
.LBB426_7:                              ; =>This Loop Header: Depth=1
                                        ;     Child Loop BB426_10 Depth 2
	s_lshl_b64 s[2:3], s[6:7], 3
	v_mov_b32_e32 v31, 0
	s_wait_alu 0xfffe
	s_add_nc_u64 s[20:21], s[14:15], s[2:3]
	v_mov_b32_e32 v27, 0
	global_load_b64 v[13:14], v0, s[20:21]
	v_mov_b32_e32 v23, 0
	v_dual_mov_b32 v21, 0 :: v_dual_mov_b32 v32, 0
	v_dual_mov_b32 v33, 0 :: v_dual_mov_b32 v28, 0
	;; [unrolled: 1-line block ×5, first 2 shown]
	v_mov_b32_e32 v30, 0
	v_mov_b32_e32 v26, 0
	;; [unrolled: 1-line block ×3, first 2 shown]
	s_and_not1_b32 vcc_lo, exec_lo, s8
	s_wait_alu 0xfffe
	s_cbranch_vccnz .LBB426_18
; %bb.8:                                ;   in Loop: Header=BB426_7 Depth=1
	s_add_nc_u64 s[20:21], s[24:25], s[2:3]
	s_add_nc_u64 s[2:3], s[22:23], s[2:3]
	s_clause 0x1
	global_load_b64 v[1:2], v0, s[20:21]
	global_load_b64 v[3:4], v0, s[2:3]
	v_mov_b32_e32 v19, 0
	v_mov_b32_e32 v25, 0
	;; [unrolled: 1-line block ×3, first 2 shown]
	v_dual_mov_b32 v33, 0 :: v_dual_mov_b32 v20, 0
	v_dual_mov_b32 v21, 0 :: v_dual_mov_b32 v26, 0
	v_dual_mov_b32 v23, 0 :: v_dual_mov_b32 v30, 0
	v_dual_mov_b32 v27, 0 :: v_dual_mov_b32 v34, 0
	v_dual_mov_b32 v31, 0 :: v_dual_mov_b32 v22, 0
	v_mov_b32_e32 v24, 0
	v_mov_b32_e32 v28, 0
	;; [unrolled: 1-line block ×3, first 2 shown]
	s_mov_b32 s2, 0
	s_wait_loadcnt 0x1
	v_add_co_u32 v15, vcc_lo, v1, v41
	s_wait_alu 0xfffd
	v_add_co_ci_u32_e64 v16, null, v2, v42, vcc_lo
	s_wait_loadcnt 0x0
	v_add_co_u32 v17, vcc_lo, v3, v43
	s_wait_alu 0xfffd
	v_add_co_ci_u32_e64 v18, null, v4, v44, vcc_lo
	s_branch .LBB426_10
.LBB426_9:                              ;   in Loop: Header=BB426_10 Depth=2
	s_wait_alu 0xfffe
	s_or_b32 exec_lo, exec_lo, s3
	s_wait_dscnt 0x0
	s_barrier_signal -1
	s_barrier_wait -1
	global_inv scope:SCOPE_SE
	ds_load_b128 v[1:4], v37
	ds_load_b128 v[45:48], v36
	ds_load_b128 v[49:52], v36 offset:256
	ds_load_b128 v[53:56], v37 offset:2048
	;; [unrolled: 1-line block ×10, first 2 shown]
	v_add_co_u32 v15, vcc_lo, 0x80, v15
	s_wait_alu 0xfffd
	v_add_co_ci_u32_e64 v16, null, 0, v16, vcc_lo
	v_add_co_u32 v17, vcc_lo, 0x80, v17
	s_wait_alu 0xfffd
	v_add_co_ci_u32_e64 v18, null, 0, v18, vcc_lo
	s_add_co_i32 s2, s2, 8
	s_wait_alu 0xfffe
	s_cmp_lt_i32 s2, s5
	s_wait_dscnt 0xa
	v_mul_f64_e32 v[89:90], v[3:4], v[47:48]
	v_mul_f64_e32 v[91:92], v[1:2], v[47:48]
	s_wait_dscnt 0x9
	v_mul_f64_e32 v[93:94], v[3:4], v[51:52]
	v_mul_f64_e32 v[95:96], v[1:2], v[51:52]
	;; [unrolled: 3-line block ×3, first 2 shown]
	v_mul_f64_e32 v[99:100], v[55:56], v[51:52]
	v_mul_f64_e32 v[51:52], v[53:54], v[51:52]
	s_wait_dscnt 0x5
	v_mul_f64_e32 v[101:102], v[59:60], v[67:68]
	v_mul_f64_e32 v[103:104], v[57:58], v[67:68]
	s_wait_dscnt 0x4
	v_mul_f64_e32 v[105:106], v[59:60], v[71:72]
	v_mul_f64_e32 v[107:108], v[57:58], v[71:72]
	;; [unrolled: 1-line block ×6, first 2 shown]
	s_wait_dscnt 0x2
	v_mul_f64_e32 v[117:118], v[75:76], v[79:80]
	v_mul_f64_e32 v[119:120], v[73:74], v[79:80]
	s_wait_dscnt 0x1
	v_mul_f64_e32 v[121:122], v[75:76], v[83:84]
	v_mul_f64_e32 v[123:124], v[73:74], v[83:84]
	;; [unrolled: 3-line block ×3, first 2 shown]
	v_mul_f64_e32 v[127:128], v[87:88], v[83:84]
	v_mul_f64_e32 v[83:84], v[85:86], v[83:84]
	v_fma_f64 v[89:90], v[1:2], v[45:46], -v[89:90]
	v_fma_f64 v[91:92], v[3:4], v[45:46], v[91:92]
	v_fma_f64 v[93:94], v[1:2], v[49:50], -v[93:94]
	v_fma_f64 v[95:96], v[3:4], v[49:50], v[95:96]
	;; [unrolled: 2-line block ×8, first 2 shown]
	ds_load_b128 v[1:4], v37 offset:48
	ds_load_b128 v[45:48], v37 offset:2096
	ds_load_b128 v[49:52], v36 offset:1536
	ds_load_b128 v[53:56], v36 offset:1792
	v_fma_f64 v[117:118], v[73:74], v[77:78], -v[117:118]
	v_fma_f64 v[119:120], v[75:76], v[77:78], v[119:120]
	v_fma_f64 v[73:74], v[73:74], v[81:82], -v[121:122]
	v_fma_f64 v[75:76], v[75:76], v[81:82], v[123:124]
	;; [unrolled: 2-line block ×4, first 2 shown]
	s_wait_dscnt 0x1
	v_mul_f64_e32 v[107:108], v[1:2], v[51:52]
	s_wait_dscnt 0x0
	v_mul_f64_e32 v[109:110], v[3:4], v[55:56]
	v_mul_f64_e32 v[111:112], v[1:2], v[55:56]
	v_add_f64_e32 v[67:68], v[31:32], v[89:90]
	v_add_f64_e32 v[69:70], v[91:92], v[33:34]
	;; [unrolled: 1-line block ×8, first 2 shown]
	v_mul_f64_e32 v[99:100], v[3:4], v[51:52]
	v_mul_f64_e32 v[113:114], v[47:48], v[51:52]
	;; [unrolled: 1-line block ×5, first 2 shown]
	ds_load_b128 v[19:22], v37 offset:64
	ds_load_b128 v[23:26], v36 offset:2048
	;; [unrolled: 1-line block ×4, first 2 shown]
	s_wait_dscnt 0x0
	v_mul_f64_e32 v[123:124], v[33:34], v[25:26]
	v_mul_f64_e32 v[125:126], v[33:34], v[29:30]
	v_fma_f64 v[107:108], v[3:4], v[49:50], v[107:108]
	v_fma_f64 v[109:110], v[1:2], v[53:54], -v[109:110]
	v_fma_f64 v[111:112], v[3:4], v[53:54], v[111:112]
	v_add_f64_e32 v[83:84], v[67:68], v[101:102]
	v_add_f64_e32 v[85:86], v[103:104], v[69:70]
	;; [unrolled: 1-line block ×8, first 2 shown]
	v_mul_f64_e32 v[97:98], v[21:22], v[25:26]
	v_mul_f64_e32 v[101:102], v[19:20], v[25:26]
	;; [unrolled: 1-line block ×6, first 2 shown]
	v_fma_f64 v[99:100], v[1:2], v[49:50], -v[99:100]
	v_fma_f64 v[113:114], v[45:46], v[49:50], -v[113:114]
	v_fma_f64 v[127:128], v[47:48], v[49:50], v[51:52]
	v_fma_f64 v[115:116], v[45:46], v[53:54], -v[115:116]
	v_fma_f64 v[53:54], v[47:48], v[53:54], v[129:130]
	ds_load_b128 v[55:58], v37 offset:80
	ds_load_b128 v[59:62], v37 offset:2128
	;; [unrolled: 1-line block ×4, first 2 shown]
	v_fma_f64 v[123:124], v[31:32], v[23:24], -v[123:124]
	v_fma_f64 v[125:126], v[31:32], v[27:28], -v[125:126]
	v_add_f64_e32 v[83:84], v[83:84], v[117:118]
	v_add_f64_e32 v[85:86], v[119:120], v[85:86]
	;; [unrolled: 1-line block ×8, first 2 shown]
	s_wait_dscnt 0x1
	v_mul_f64_e32 v[89:90], v[57:58], v[65:66]
	v_mul_f64_e32 v[91:92], v[55:56], v[65:66]
	s_wait_dscnt 0x0
	v_mul_f64_e32 v[93:94], v[57:58], v[69:70]
	v_mul_f64_e32 v[95:96], v[55:56], v[69:70]
	;; [unrolled: 1-line block ×6, first 2 shown]
	v_fma_f64 v[97:98], v[19:20], v[23:24], -v[97:98]
	v_fma_f64 v[101:102], v[21:22], v[23:24], v[101:102]
	v_fma_f64 v[103:104], v[19:20], v[27:28], -v[103:104]
	v_fma_f64 v[105:106], v[21:22], v[27:28], v[105:106]
	v_fma_f64 v[129:130], v[33:34], v[23:24], v[25:26]
	;; [unrolled: 1-line block ×3, first 2 shown]
	ds_load_b128 v[1:4], v37 offset:96
	ds_load_b128 v[45:48], v36 offset:3072
	;; [unrolled: 1-line block ×8, first 2 shown]
	s_wait_loadcnt_dscnt 0x0
	s_barrier_signal -1
	s_barrier_wait -1
	global_inv scope:SCOPE_SE
	v_add_f64_e32 v[83:84], v[83:84], v[99:100]
	v_add_f64_e32 v[85:86], v[107:108], v[85:86]
	;; [unrolled: 1-line block ×8, first 2 shown]
	v_mul_f64_e32 v[81:82], v[3:4], v[47:48]
	v_mul_f64_e32 v[107:108], v[1:2], v[47:48]
	;; [unrolled: 1-line block ×8, first 2 shown]
	v_fma_f64 v[89:90], v[55:56], v[63:64], -v[89:90]
	v_fma_f64 v[91:92], v[57:58], v[63:64], v[91:92]
	v_fma_f64 v[55:56], v[55:56], v[67:68], -v[93:94]
	v_fma_f64 v[57:58], v[57:58], v[67:68], v[95:96]
	;; [unrolled: 2-line block ×4, first 2 shown]
	v_mul_f64_e32 v[95:96], v[21:22], v[33:34]
	v_add_f64_e32 v[65:66], v[83:84], v[97:98]
	v_add_f64_e32 v[67:68], v[101:102], v[85:86]
	;; [unrolled: 1-line block ×8, first 2 shown]
	v_mul_f64_e32 v[85:86], v[21:22], v[29:30]
	v_mul_f64_e32 v[87:88], v[19:20], v[29:30]
	;; [unrolled: 1-line block ×7, first 2 shown]
	v_fma_f64 v[81:82], v[1:2], v[45:46], -v[81:82]
	v_fma_f64 v[103:104], v[3:4], v[45:46], v[107:108]
	v_fma_f64 v[1:2], v[1:2], v[49:50], -v[109:110]
	v_fma_f64 v[3:4], v[3:4], v[49:50], v[111:112]
	;; [unrolled: 2-line block ×4, first 2 shown]
	v_add_f64_e32 v[51:52], v[65:66], v[89:90]
	v_add_f64_e32 v[65:66], v[91:92], v[67:68]
	;; [unrolled: 1-line block ×8, first 2 shown]
	v_fma_f64 v[61:62], v[19:20], v[27:28], -v[85:86]
	v_fma_f64 v[69:70], v[21:22], v[27:28], v[87:88]
	v_fma_f64 v[19:20], v[19:20], v[31:32], -v[95:96]
	v_fma_f64 v[21:22], v[21:22], v[31:32], v[97:98]
	;; [unrolled: 2-line block ×4, first 2 shown]
	v_add_f64_e32 v[23:24], v[51:52], v[81:82]
	v_add_f64_e32 v[25:26], v[103:104], v[65:66]
	;; [unrolled: 1-line block ×16, first 2 shown]
	s_cbranch_scc0 .LBB426_18
.LBB426_10:                             ;   Parent Loop BB426_7 Depth=1
                                        ; =>  This Inner Loop Header: Depth=2
	s_wait_alu 0xfffe
	v_add_nc_u32_e32 v1, s2, v38
	s_delay_alu instid0(VALU_DEP_1) | instskip(SKIP_3) | instid1(SALU_CYCLE_1)
	v_cmp_le_i32_e32 vcc_lo, s5, v1
	s_or_b32 s3, s9, vcc_lo
	s_wait_alu 0xfffe
	s_and_saveexec_b32 s20, s3
	s_xor_b32 s3, exec_lo, s20
; %bb.11:                               ;   in Loop: Header=BB426_10 Depth=2
	v_dual_mov_b32 v1, v0 :: v_dual_mov_b32 v2, v0
	v_mov_b32_e32 v3, v0
	ds_store_b128 v39, v[0:3]
; %bb.12:                               ;   in Loop: Header=BB426_10 Depth=2
	s_wait_alu 0xfffe
	s_and_not1_saveexec_b32 s3, s3
	s_cbranch_execz .LBB426_14
; %bb.13:                               ;   in Loop: Header=BB426_10 Depth=2
	flat_load_b128 v[1:4], v[15:16]
	s_wait_loadcnt_dscnt 0x0
	ds_store_2addr_b64 v39, v[1:2], v[3:4] offset1:1
.LBB426_14:                             ;   in Loop: Header=BB426_10 Depth=2
	s_wait_alu 0xfffe
	s_or_b32 exec_lo, exec_lo, s3
	v_add_nc_u32_e32 v1, s2, v35
	s_delay_alu instid0(VALU_DEP_1) | instskip(SKIP_3) | instid1(SALU_CYCLE_1)
	v_cmp_le_i32_e32 vcc_lo, s5, v1
	s_or_b32 s3, vcc_lo, s4
	s_wait_alu 0xfffe
	s_and_saveexec_b32 s20, s3
	s_xor_b32 s3, exec_lo, s20
; %bb.15:                               ;   in Loop: Header=BB426_10 Depth=2
	v_dual_mov_b32 v1, v0 :: v_dual_mov_b32 v2, v0
	v_mov_b32_e32 v3, v0
	ds_store_b128 v40, v[0:3]
; %bb.16:                               ;   in Loop: Header=BB426_10 Depth=2
	s_wait_alu 0xfffe
	s_and_not1_saveexec_b32 s3, s3
	s_cbranch_execz .LBB426_9
; %bb.17:                               ;   in Loop: Header=BB426_10 Depth=2
	flat_load_b128 v[1:4], v[17:18]
	s_wait_loadcnt_dscnt 0x0
	ds_store_2addr_b64 v40, v[1:2], v[3:4] offset1:1
	s_branch .LBB426_9
.LBB426_18:                             ;   in Loop: Header=BB426_7 Depth=1
	s_wait_loadcnt 0x0
	v_add_co_u32 v13, vcc_lo, v13, s0
	s_wait_alu 0xfffd
	v_add_co_ci_u32_e64 v14, null, s1, v14, vcc_lo
	s_delay_alu instid0(VALU_DEP_2) | instskip(SKIP_1) | instid1(VALU_DEP_2)
	v_add_co_u32 v15, vcc_lo, v13, v9
	s_wait_alu 0xfffd
	v_add_co_ci_u32_e64 v16, null, v14, v10, vcc_lo
	s_and_saveexec_b32 s2, s29
	s_cbranch_execz .LBB426_23
; %bb.19:                               ;   in Loop: Header=BB426_7 Depth=1
	v_mul_f64_e32 v[1:2], s[18:19], v[33:34]
	v_mul_f64_e32 v[3:4], s[16:17], v[33:34]
	s_and_b32 vcc_lo, exec_lo, s28
	s_mov_b32 s3, -1
	s_delay_alu instid0(VALU_DEP_2) | instskip(NEXT) | instid1(VALU_DEP_2)
	v_fma_f64 v[1:2], s[16:17], v[31:32], -v[1:2]
	v_fma_f64 v[3:4], s[18:19], v[31:32], v[3:4]
	s_wait_alu 0xfffe
	s_cbranch_vccz .LBB426_21
; %bb.20:                               ;   in Loop: Header=BB426_7 Depth=1
	v_lshlrev_b64_e32 v[17:18], 4, v[5:6]
	s_mov_b32 s3, 0
	s_delay_alu instid0(VALU_DEP_1) | instskip(SKIP_1) | instid1(VALU_DEP_2)
	v_add_co_u32 v17, vcc_lo, v15, v17
	s_wait_alu 0xfffd
	v_add_co_ci_u32_e64 v18, null, v16, v18, vcc_lo
	flat_load_b128 v[31:34], v[17:18]
	s_wait_loadcnt_dscnt 0x0
	v_mul_f64_e32 v[45:46], s[12:13], v[33:34]
	v_mul_f64_e32 v[33:34], s[10:11], v[33:34]
	s_delay_alu instid0(VALU_DEP_2) | instskip(NEXT) | instid1(VALU_DEP_2)
	v_fma_f64 v[45:46], s[10:11], v[31:32], -v[45:46]
	v_fma_f64 v[33:34], s[12:13], v[31:32], v[33:34]
	s_delay_alu instid0(VALU_DEP_2) | instskip(NEXT) | instid1(VALU_DEP_2)
	v_add_f64_e32 v[31:32], v[1:2], v[45:46]
	v_add_f64_e32 v[33:34], v[3:4], v[33:34]
	flat_store_b128 v[17:18], v[31:34]
.LBB426_21:                             ;   in Loop: Header=BB426_7 Depth=1
	s_wait_alu 0xfffe
	s_and_not1_b32 vcc_lo, exec_lo, s3
	s_wait_alu 0xfffe
	s_cbranch_vccnz .LBB426_23
; %bb.22:                               ;   in Loop: Header=BB426_7 Depth=1
	v_lshlrev_b64_e32 v[17:18], 4, v[5:6]
	s_delay_alu instid0(VALU_DEP_1) | instskip(SKIP_1) | instid1(VALU_DEP_2)
	v_add_co_u32 v17, vcc_lo, v15, v17
	s_wait_alu 0xfffd
	v_add_co_ci_u32_e64 v18, null, v16, v18, vcc_lo
	flat_store_b128 v[17:18], v[1:4]
.LBB426_23:                             ;   in Loop: Header=BB426_7 Depth=1
	s_wait_alu 0xfffe
	s_or_b32 exec_lo, exec_lo, s2
	s_and_saveexec_b32 s2, s30
	s_cbranch_execz .LBB426_28
; %bb.24:                               ;   in Loop: Header=BB426_7 Depth=1
	v_mul_f64_e32 v[1:2], s[18:19], v[29:30]
	v_mul_f64_e32 v[3:4], s[16:17], v[29:30]
	s_and_not1_b32 vcc_lo, exec_lo, s28
	s_mov_b32 s3, -1
	s_delay_alu instid0(VALU_DEP_2) | instskip(NEXT) | instid1(VALU_DEP_2)
	v_fma_f64 v[1:2], s[16:17], v[27:28], -v[1:2]
	v_fma_f64 v[3:4], s[18:19], v[27:28], v[3:4]
	s_wait_alu 0xfffe
	s_cbranch_vccnz .LBB426_26
; %bb.25:                               ;   in Loop: Header=BB426_7 Depth=1
	v_lshlrev_b64_e32 v[17:18], 4, v[7:8]
	s_mov_b32 s3, 0
	s_delay_alu instid0(VALU_DEP_1) | instskip(SKIP_1) | instid1(VALU_DEP_2)
	v_add_co_u32 v17, vcc_lo, v15, v17
	s_wait_alu 0xfffd
	v_add_co_ci_u32_e64 v18, null, v16, v18, vcc_lo
	flat_load_b128 v[27:30], v[17:18]
	s_wait_loadcnt_dscnt 0x0
	v_mul_f64_e32 v[31:32], s[12:13], v[29:30]
	v_mul_f64_e32 v[29:30], s[10:11], v[29:30]
	s_delay_alu instid0(VALU_DEP_2) | instskip(NEXT) | instid1(VALU_DEP_2)
	v_fma_f64 v[31:32], s[10:11], v[27:28], -v[31:32]
	v_fma_f64 v[29:30], s[12:13], v[27:28], v[29:30]
	s_delay_alu instid0(VALU_DEP_2) | instskip(NEXT) | instid1(VALU_DEP_2)
	v_add_f64_e32 v[27:28], v[1:2], v[31:32]
	v_add_f64_e32 v[29:30], v[3:4], v[29:30]
	flat_store_b128 v[17:18], v[27:30]
.LBB426_26:                             ;   in Loop: Header=BB426_7 Depth=1
	s_wait_alu 0xfffe
	s_and_not1_b32 vcc_lo, exec_lo, s3
	s_wait_alu 0xfffe
	s_cbranch_vccnz .LBB426_28
; %bb.27:                               ;   in Loop: Header=BB426_7 Depth=1
	v_lshlrev_b64_e32 v[17:18], 4, v[7:8]
	s_delay_alu instid0(VALU_DEP_1) | instskip(SKIP_1) | instid1(VALU_DEP_2)
	v_add_co_u32 v15, vcc_lo, v15, v17
	s_wait_alu 0xfffd
	v_add_co_ci_u32_e64 v16, null, v16, v18, vcc_lo
	flat_store_b128 v[15:16], v[1:4]
.LBB426_28:                             ;   in Loop: Header=BB426_7 Depth=1
	s_wait_alu 0xfffe
	s_or_b32 exec_lo, exec_lo, s2
	v_add_co_u32 v15, vcc_lo, v13, v11
	s_wait_alu 0xfffd
	v_add_co_ci_u32_e64 v16, null, v14, v12, vcc_lo
	s_and_saveexec_b32 s2, s26
	s_cbranch_execz .LBB426_33
; %bb.29:                               ;   in Loop: Header=BB426_7 Depth=1
	v_mul_f64_e32 v[1:2], s[18:19], v[25:26]
	v_mul_f64_e32 v[3:4], s[16:17], v[25:26]
	v_lshlrev_b64_e32 v[13:14], 4, v[5:6]
	s_and_not1_b32 vcc_lo, exec_lo, s28
	s_mov_b32 s3, -1
	s_delay_alu instid0(VALU_DEP_3) | instskip(NEXT) | instid1(VALU_DEP_3)
	v_fma_f64 v[1:2], s[16:17], v[23:24], -v[1:2]
	v_fma_f64 v[3:4], s[18:19], v[23:24], v[3:4]
	s_wait_alu 0xfffe
	s_cbranch_vccnz .LBB426_31
; %bb.30:                               ;   in Loop: Header=BB426_7 Depth=1
	v_add_co_u32 v17, vcc_lo, v15, v13
	s_wait_alu 0xfffd
	v_add_co_ci_u32_e64 v18, null, v16, v14, vcc_lo
	s_mov_b32 s3, 0
	flat_load_b128 v[23:26], v[17:18]
	s_wait_loadcnt_dscnt 0x0
	v_mul_f64_e32 v[27:28], s[12:13], v[25:26]
	v_mul_f64_e32 v[25:26], s[10:11], v[25:26]
	s_delay_alu instid0(VALU_DEP_2) | instskip(NEXT) | instid1(VALU_DEP_2)
	v_fma_f64 v[27:28], s[10:11], v[23:24], -v[27:28]
	v_fma_f64 v[25:26], s[12:13], v[23:24], v[25:26]
	s_delay_alu instid0(VALU_DEP_2) | instskip(NEXT) | instid1(VALU_DEP_2)
	v_add_f64_e32 v[23:24], v[1:2], v[27:28]
	v_add_f64_e32 v[25:26], v[3:4], v[25:26]
	flat_store_b128 v[17:18], v[23:26]
.LBB426_31:                             ;   in Loop: Header=BB426_7 Depth=1
	s_wait_alu 0xfffe
	s_and_not1_b32 vcc_lo, exec_lo, s3
	s_wait_alu 0xfffe
	s_cbranch_vccnz .LBB426_33
; %bb.32:                               ;   in Loop: Header=BB426_7 Depth=1
	v_add_co_u32 v13, vcc_lo, v15, v13
	s_wait_alu 0xfffd
	v_add_co_ci_u32_e64 v14, null, v16, v14, vcc_lo
	flat_store_b128 v[13:14], v[1:4]
.LBB426_33:                             ;   in Loop: Header=BB426_7 Depth=1
	s_wait_alu 0xfffe
	s_or_b32 exec_lo, exec_lo, s2
	s_and_saveexec_b32 s2, s31
	s_cbranch_execz .LBB426_6
; %bb.34:                               ;   in Loop: Header=BB426_7 Depth=1
	v_mul_f64_e32 v[1:2], s[18:19], v[19:20]
	v_mul_f64_e32 v[3:4], s[16:17], v[19:20]
	v_lshlrev_b64_e32 v[13:14], 4, v[7:8]
	s_and_not1_b32 vcc_lo, exec_lo, s28
	s_mov_b32 s3, -1
	s_delay_alu instid0(VALU_DEP_3) | instskip(NEXT) | instid1(VALU_DEP_3)
	v_fma_f64 v[1:2], s[16:17], v[21:22], -v[1:2]
	v_fma_f64 v[3:4], s[18:19], v[21:22], v[3:4]
	s_wait_alu 0xfffe
	s_cbranch_vccnz .LBB426_36
; %bb.35:                               ;   in Loop: Header=BB426_7 Depth=1
	v_add_co_u32 v21, vcc_lo, v15, v13
	s_wait_alu 0xfffd
	v_add_co_ci_u32_e64 v22, null, v16, v14, vcc_lo
	s_mov_b32 s3, 0
	flat_load_b128 v[17:20], v[21:22]
	s_wait_loadcnt_dscnt 0x0
	v_mul_f64_e32 v[23:24], s[12:13], v[19:20]
	v_mul_f64_e32 v[19:20], s[10:11], v[19:20]
	s_delay_alu instid0(VALU_DEP_2) | instskip(NEXT) | instid1(VALU_DEP_2)
	v_fma_f64 v[23:24], s[10:11], v[17:18], -v[23:24]
	v_fma_f64 v[19:20], s[12:13], v[17:18], v[19:20]
	s_delay_alu instid0(VALU_DEP_2) | instskip(NEXT) | instid1(VALU_DEP_2)
	v_add_f64_e32 v[17:18], v[1:2], v[23:24]
	v_add_f64_e32 v[19:20], v[3:4], v[19:20]
	flat_store_b128 v[21:22], v[17:20]
.LBB426_36:                             ;   in Loop: Header=BB426_7 Depth=1
	s_wait_alu 0xfffe
	s_and_not1_b32 vcc_lo, exec_lo, s3
	s_wait_alu 0xfffe
	s_cbranch_vccnz .LBB426_6
; %bb.37:                               ;   in Loop: Header=BB426_7 Depth=1
	v_add_co_u32 v13, vcc_lo, v15, v13
	s_wait_alu 0xfffd
	v_add_co_ci_u32_e64 v14, null, v16, v14, vcc_lo
	flat_store_b128 v[13:14], v[1:4]
	s_branch .LBB426_6
.LBB426_38:
.LBB426_39:
	s_nop 0
	s_sendmsg sendmsg(MSG_DEALLOC_VGPRS)
	s_endpgm
	.section	.rodata,"a",@progbits
	.p2align	6, 0x0
	.amdhsa_kernel _ZL29rocblas_internal_gemmt_kernelIiLi16ELi32ELi8ELc84ELc78ELc76ELb0ELb0E19rocblas_complex_numIdES1_PKPKS1_PKPS1_EviT_T9_T10_S9_lSB_S9_lSA_T11_S9_li
		.amdhsa_group_segment_fixed_size 8192
		.amdhsa_private_segment_fixed_size 0
		.amdhsa_kernarg_size 116
		.amdhsa_user_sgpr_count 2
		.amdhsa_user_sgpr_dispatch_ptr 0
		.amdhsa_user_sgpr_queue_ptr 0
		.amdhsa_user_sgpr_kernarg_segment_ptr 1
		.amdhsa_user_sgpr_dispatch_id 0
		.amdhsa_user_sgpr_private_segment_size 0
		.amdhsa_wavefront_size32 1
		.amdhsa_uses_dynamic_stack 0
		.amdhsa_enable_private_segment 0
		.amdhsa_system_sgpr_workgroup_id_x 1
		.amdhsa_system_sgpr_workgroup_id_y 1
		.amdhsa_system_sgpr_workgroup_id_z 1
		.amdhsa_system_sgpr_workgroup_info 0
		.amdhsa_system_vgpr_workitem_id 1
		.amdhsa_next_free_vgpr 133
		.amdhsa_next_free_sgpr 39
		.amdhsa_reserve_vcc 1
		.amdhsa_float_round_mode_32 0
		.amdhsa_float_round_mode_16_64 0
		.amdhsa_float_denorm_mode_32 3
		.amdhsa_float_denorm_mode_16_64 3
		.amdhsa_fp16_overflow 0
		.amdhsa_workgroup_processor_mode 1
		.amdhsa_memory_ordered 1
		.amdhsa_forward_progress 1
		.amdhsa_inst_pref_size 27
		.amdhsa_round_robin_scheduling 0
		.amdhsa_exception_fp_ieee_invalid_op 0
		.amdhsa_exception_fp_denorm_src 0
		.amdhsa_exception_fp_ieee_div_zero 0
		.amdhsa_exception_fp_ieee_overflow 0
		.amdhsa_exception_fp_ieee_underflow 0
		.amdhsa_exception_fp_ieee_inexact 0
		.amdhsa_exception_int_div_zero 0
	.end_amdhsa_kernel
	.section	.text._ZL29rocblas_internal_gemmt_kernelIiLi16ELi32ELi8ELc84ELc78ELc76ELb0ELb0E19rocblas_complex_numIdES1_PKPKS1_PKPS1_EviT_T9_T10_S9_lSB_S9_lSA_T11_S9_li,"axG",@progbits,_ZL29rocblas_internal_gemmt_kernelIiLi16ELi32ELi8ELc84ELc78ELc76ELb0ELb0E19rocblas_complex_numIdES1_PKPKS1_PKPS1_EviT_T9_T10_S9_lSB_S9_lSA_T11_S9_li,comdat
.Lfunc_end426:
	.size	_ZL29rocblas_internal_gemmt_kernelIiLi16ELi32ELi8ELc84ELc78ELc76ELb0ELb0E19rocblas_complex_numIdES1_PKPKS1_PKPS1_EviT_T9_T10_S9_lSB_S9_lSA_T11_S9_li, .Lfunc_end426-_ZL29rocblas_internal_gemmt_kernelIiLi16ELi32ELi8ELc84ELc78ELc76ELb0ELb0E19rocblas_complex_numIdES1_PKPKS1_PKPS1_EviT_T9_T10_S9_lSB_S9_lSA_T11_S9_li
                                        ; -- End function
	.set _ZL29rocblas_internal_gemmt_kernelIiLi16ELi32ELi8ELc84ELc78ELc76ELb0ELb0E19rocblas_complex_numIdES1_PKPKS1_PKPS1_EviT_T9_T10_S9_lSB_S9_lSA_T11_S9_li.num_vgpr, 133
	.set _ZL29rocblas_internal_gemmt_kernelIiLi16ELi32ELi8ELc84ELc78ELc76ELb0ELb0E19rocblas_complex_numIdES1_PKPKS1_PKPS1_EviT_T9_T10_S9_lSB_S9_lSA_T11_S9_li.num_agpr, 0
	.set _ZL29rocblas_internal_gemmt_kernelIiLi16ELi32ELi8ELc84ELc78ELc76ELb0ELb0E19rocblas_complex_numIdES1_PKPKS1_PKPS1_EviT_T9_T10_S9_lSB_S9_lSA_T11_S9_li.numbered_sgpr, 39
	.set _ZL29rocblas_internal_gemmt_kernelIiLi16ELi32ELi8ELc84ELc78ELc76ELb0ELb0E19rocblas_complex_numIdES1_PKPKS1_PKPS1_EviT_T9_T10_S9_lSB_S9_lSA_T11_S9_li.num_named_barrier, 0
	.set _ZL29rocblas_internal_gemmt_kernelIiLi16ELi32ELi8ELc84ELc78ELc76ELb0ELb0E19rocblas_complex_numIdES1_PKPKS1_PKPS1_EviT_T9_T10_S9_lSB_S9_lSA_T11_S9_li.private_seg_size, 0
	.set _ZL29rocblas_internal_gemmt_kernelIiLi16ELi32ELi8ELc84ELc78ELc76ELb0ELb0E19rocblas_complex_numIdES1_PKPKS1_PKPS1_EviT_T9_T10_S9_lSB_S9_lSA_T11_S9_li.uses_vcc, 1
	.set _ZL29rocblas_internal_gemmt_kernelIiLi16ELi32ELi8ELc84ELc78ELc76ELb0ELb0E19rocblas_complex_numIdES1_PKPKS1_PKPS1_EviT_T9_T10_S9_lSB_S9_lSA_T11_S9_li.uses_flat_scratch, 0
	.set _ZL29rocblas_internal_gemmt_kernelIiLi16ELi32ELi8ELc84ELc78ELc76ELb0ELb0E19rocblas_complex_numIdES1_PKPKS1_PKPS1_EviT_T9_T10_S9_lSB_S9_lSA_T11_S9_li.has_dyn_sized_stack, 0
	.set _ZL29rocblas_internal_gemmt_kernelIiLi16ELi32ELi8ELc84ELc78ELc76ELb0ELb0E19rocblas_complex_numIdES1_PKPKS1_PKPS1_EviT_T9_T10_S9_lSB_S9_lSA_T11_S9_li.has_recursion, 0
	.set _ZL29rocblas_internal_gemmt_kernelIiLi16ELi32ELi8ELc84ELc78ELc76ELb0ELb0E19rocblas_complex_numIdES1_PKPKS1_PKPS1_EviT_T9_T10_S9_lSB_S9_lSA_T11_S9_li.has_indirect_call, 0
	.section	.AMDGPU.csdata,"",@progbits
; Kernel info:
; codeLenInByte = 3448
; TotalNumSgprs: 41
; NumVgprs: 133
; ScratchSize: 0
; MemoryBound: 0
; FloatMode: 240
; IeeeMode: 1
; LDSByteSize: 8192 bytes/workgroup (compile time only)
; SGPRBlocks: 0
; VGPRBlocks: 16
; NumSGPRsForWavesPerEU: 41
; NumVGPRsForWavesPerEU: 133
; Occupancy: 10
; WaveLimiterHint : 1
; COMPUTE_PGM_RSRC2:SCRATCH_EN: 0
; COMPUTE_PGM_RSRC2:USER_SGPR: 2
; COMPUTE_PGM_RSRC2:TRAP_HANDLER: 0
; COMPUTE_PGM_RSRC2:TGID_X_EN: 1
; COMPUTE_PGM_RSRC2:TGID_Y_EN: 1
; COMPUTE_PGM_RSRC2:TGID_Z_EN: 1
; COMPUTE_PGM_RSRC2:TIDIG_COMP_CNT: 1
	.section	.text._ZL29rocblas_internal_gemmt_kernelIiLi16ELi32ELi8ELc84ELc84ELc76ELb0ELb0E19rocblas_complex_numIdES1_PKPKS1_PKPS1_EviT_T9_T10_S9_lSB_S9_lSA_T11_S9_li,"axG",@progbits,_ZL29rocblas_internal_gemmt_kernelIiLi16ELi32ELi8ELc84ELc84ELc76ELb0ELb0E19rocblas_complex_numIdES1_PKPKS1_PKPS1_EviT_T9_T10_S9_lSB_S9_lSA_T11_S9_li,comdat
	.globl	_ZL29rocblas_internal_gemmt_kernelIiLi16ELi32ELi8ELc84ELc84ELc76ELb0ELb0E19rocblas_complex_numIdES1_PKPKS1_PKPS1_EviT_T9_T10_S9_lSB_S9_lSA_T11_S9_li ; -- Begin function _ZL29rocblas_internal_gemmt_kernelIiLi16ELi32ELi8ELc84ELc84ELc76ELb0ELb0E19rocblas_complex_numIdES1_PKPKS1_PKPS1_EviT_T9_T10_S9_lSB_S9_lSA_T11_S9_li
	.p2align	8
	.type	_ZL29rocblas_internal_gemmt_kernelIiLi16ELi32ELi8ELc84ELc84ELc76ELb0ELb0E19rocblas_complex_numIdES1_PKPKS1_PKPS1_EviT_T9_T10_S9_lSB_S9_lSA_T11_S9_li,@function
_ZL29rocblas_internal_gemmt_kernelIiLi16ELi32ELi8ELc84ELc84ELc76ELb0ELb0E19rocblas_complex_numIdES1_PKPKS1_PKPS1_EviT_T9_T10_S9_lSB_S9_lSA_T11_S9_li: ; @_ZL29rocblas_internal_gemmt_kernelIiLi16ELi32ELi8ELc84ELc84ELc76ELb0ELb0E19rocblas_complex_numIdES1_PKPKS1_PKPS1_EviT_T9_T10_S9_lSB_S9_lSA_T11_S9_li
; %bb.0:
	s_clause 0x2
	s_load_b256 s[8:15], s[0:1], 0x40
	s_load_b64 s[4:5], s[0:1], 0x0
	s_load_b128 s[16:19], s[0:1], 0x8
	s_wait_kmcnt 0x0
	v_cmp_eq_f64_e64 s2, s[10:11], 1.0
	v_cmp_eq_f64_e64 s30, s[12:13], 0
	s_and_b32 s2, s2, s30
	s_delay_alu instid0(SALU_CYCLE_1)
	s_and_not1_b32 vcc_lo, exec_lo, s2
	s_mov_b32 s2, -1
	s_cbranch_vccnz .LBB427_3
; %bb.1:
	s_cmp_lg_u32 s5, 0
	s_cbranch_scc0 .LBB427_38
; %bb.2:
	v_cmp_neq_f64_e64 s2, s[16:17], 0
	v_cmp_neq_f64_e64 s3, s[18:19], 0
	s_or_b32 s2, s2, s3
.LBB427_3:
	s_delay_alu instid0(SALU_CYCLE_1)
	s_and_b32 vcc_lo, exec_lo, s2
	s_cbranch_vccz .LBB427_39
; %bb.4:
	s_load_b32 s27, s[0:1], 0x70
	s_lshr_b32 s6, ttmp7, 16
	s_wait_kmcnt 0x0
	s_cmp_ge_u32 s6, s27
	s_cbranch_scc1 .LBB427_39
; %bb.5:
	v_cmp_neq_f64_e64 s31, s[16:17], 0
	v_cmp_neq_f64_e64 s33, s[18:19], 0
	;; [unrolled: 1-line block ×3, first 2 shown]
	v_and_b32_e32 v1, 0x3ff, v0
	v_bfe_u32 v2, v0, 10, 10
	s_clause 0x4
	s_load_b96 s[24:26], s[0:1], 0x18
	s_load_b128 s[20:23], s[0:1], 0x28
	s_load_b32 s36, s[0:1], 0x38
	s_load_b32 s35, s[0:1], 0x60
	s_load_b64 s[28:29], s[0:1], 0x68
	v_and_b32_e32 v35, 7, v0
	s_lshl_b32 s1, ttmp9, 5
	v_lshlrev_b32_e32 v36, 4, v1
	v_lshl_add_u32 v0, v2, 4, v1
	v_add_nc_u32_e32 v5, s1, v1
	v_lshlrev_b32_e32 v3, 4, v35
	s_lshl_b32 s0, ttmp7, 5
	v_lshl_add_u32 v37, v2, 7, 0x1000
	v_lshrrev_b32_e32 v38, 5, v0
	v_and_b32_e32 v1, 31, v0
	v_lshrrev_b32_e32 v0, 3, v0
	s_wait_alu 0xfffe
	s_and_b32 s2, s0, 0x1fffe0
	v_add_nc_u32_e32 v7, 16, v5
	v_add_nc_u32_e32 v4, s2, v2
	v_or_b32_e32 v8, s1, v1
	v_add_nc_u32_e32 v13, s2, v0
	v_lshlrev_b32_e32 v1, 4, v1
	v_lshl_or_b32 v0, v0, 7, v3
	v_cmp_le_i32_e32 vcc_lo, v4, v5
	v_cmp_le_i32_e64 s1, v4, v7
	v_cmp_gt_i32_e64 s0, s4, v5
	v_lshl_or_b32 v39, v38, 9, v1
	v_add_nc_u32_e32 v40, 0x1000, v0
	s_wait_kmcnt 0x0
	v_mad_co_i64_i32 v[1:2], null, v4, s35, 0
	v_add_nc_u32_e32 v0, 16, v4
	v_mad_co_i64_i32 v[3:4], null, s26, v8, 0
	v_cmp_gt_i32_e64 s2, s4, v7
	s_ashr_i32 s37, s36, 31
	v_mad_co_i64_i32 v[9:10], null, s36, v35, 0
	v_lshlrev_b32_e32 v14, 4, v38
	s_or_b32 s38, s31, s33
	s_cmp_gt_i32 s5, 0
	v_lshlrev_b64_e32 v[3:4], 4, v[3:4]
	s_cselect_b32 s39, -1, 0
	s_and_b32 s31, vcc_lo, s0
	s_and_b32 s33, s1, s2
	v_cmp_le_i32_e32 vcc_lo, v0, v5
	v_cmp_le_i32_e64 s1, v0, v7
	s_xor_b32 s30, s30, -1
	v_lshlrev_b64_e32 v[9:10], 4, v[9:10]
	s_or_b32 s30, s34, s30
	s_and_b32 s26, vcc_lo, s0
	s_and_b32 s34, s1, s2
	s_lshl_b64 s[0:1], s[20:21], 4
	v_mad_co_i64_i32 v[11:12], null, v0, s35, 0
	s_wait_alu 0xfffe
	v_add_co_u32 v3, vcc_lo, v3, s0
	s_delay_alu instid0(VALU_DEP_1)
	v_add_co_ci_u32_e64 v4, null, s1, v4, vcc_lo
	s_lshl_b64 s[0:1], s[8:9], 4
	v_cmp_gt_i32_e64 s3, s4, v8
	v_cmp_gt_i32_e64 s4, s4, v13
	s_wait_alu 0xfffe
	v_add_co_u32 v9, vcc_lo, v9, s0
	v_lshlrev_b32_e32 v13, 4, v13
	s_wait_alu 0xfffd
	v_add_co_ci_u32_e64 v10, null, s1, v10, vcc_lo
	v_add_co_u32 v41, vcc_lo, v3, v14
	s_wait_alu 0xfffd
	v_add_co_ci_u32_e64 v42, null, 0, v4, vcc_lo
	v_add_co_u32 v43, vcc_lo, v9, v13
	s_wait_alu 0xfffd
	v_add_co_ci_u32_e64 v44, null, 0, v10, vcc_lo
	v_lshlrev_b64_e32 v[9:10], 4, v[1:2]
	v_lshlrev_b64_e32 v[11:12], 4, v[11:12]
	v_ashrrev_i32_e32 v6, 31, v5
	v_ashrrev_i32_e32 v8, 31, v7
	v_mov_b32_e32 v0, 0
	s_mov_b32 s7, 0
	s_lshl_b64 s[0:1], s[36:37], 7
	s_and_b32 s20, s38, s39
	s_xor_b32 s21, s3, -1
	s_xor_b32 s4, s4, -1
	s_lshl_b64 s[2:3], s[28:29], 4
	s_branch .LBB427_7
.LBB427_6:                              ;   in Loop: Header=BB427_7 Depth=1
	s_wait_alu 0xfffe
	s_or_b32 exec_lo, exec_lo, s8
	s_add_co_i32 s6, s6, 0x10000
	s_delay_alu instid0(SALU_CYCLE_1)
	s_cmp_lt_u32 s6, s27
	s_cbranch_scc0 .LBB427_39
.LBB427_7:                              ; =>This Loop Header: Depth=1
                                        ;     Child Loop BB427_10 Depth 2
	s_lshl_b64 s[8:9], s[6:7], 3
	v_mov_b32_e32 v31, 0
	s_wait_alu 0xfffe
	s_add_nc_u64 s[28:29], s[14:15], s[8:9]
	v_mov_b32_e32 v27, 0
	global_load_b64 v[13:14], v0, s[28:29]
	v_mov_b32_e32 v23, 0
	v_dual_mov_b32 v21, 0 :: v_dual_mov_b32 v32, 0
	v_dual_mov_b32 v33, 0 :: v_dual_mov_b32 v28, 0
	;; [unrolled: 1-line block ×5, first 2 shown]
	v_mov_b32_e32 v30, 0
	v_mov_b32_e32 v26, 0
	v_mov_b32_e32 v20, 0
	s_and_not1_b32 vcc_lo, exec_lo, s20
	s_wait_alu 0xfffe
	s_cbranch_vccnz .LBB427_18
; %bb.8:                                ;   in Loop: Header=BB427_7 Depth=1
	s_add_nc_u64 s[28:29], s[24:25], s[8:9]
	s_add_nc_u64 s[8:9], s[22:23], s[8:9]
	s_clause 0x1
	global_load_b64 v[1:2], v0, s[28:29]
	global_load_b64 v[3:4], v0, s[8:9]
	v_mov_b32_e32 v19, 0
	v_mov_b32_e32 v25, 0
	;; [unrolled: 1-line block ×3, first 2 shown]
	v_dual_mov_b32 v33, 0 :: v_dual_mov_b32 v20, 0
	v_dual_mov_b32 v21, 0 :: v_dual_mov_b32 v26, 0
	;; [unrolled: 1-line block ×5, first 2 shown]
	v_mov_b32_e32 v24, 0
	v_mov_b32_e32 v28, 0
	;; [unrolled: 1-line block ×3, first 2 shown]
	s_mov_b32 s8, 0
	s_wait_loadcnt 0x1
	v_add_co_u32 v15, vcc_lo, v1, v41
	s_wait_alu 0xfffd
	v_add_co_ci_u32_e64 v16, null, v2, v42, vcc_lo
	s_wait_loadcnt 0x0
	v_add_co_u32 v17, vcc_lo, v3, v43
	s_wait_alu 0xfffd
	v_add_co_ci_u32_e64 v18, null, v4, v44, vcc_lo
	s_branch .LBB427_10
.LBB427_9:                              ;   in Loop: Header=BB427_10 Depth=2
	s_wait_alu 0xfffe
	s_or_b32 exec_lo, exec_lo, s9
	s_wait_dscnt 0x0
	s_barrier_signal -1
	s_barrier_wait -1
	global_inv scope:SCOPE_SE
	ds_load_b128 v[1:4], v37
	ds_load_b128 v[45:48], v36
	ds_load_b128 v[49:52], v36 offset:256
	ds_load_b128 v[53:56], v37 offset:2048
	;; [unrolled: 1-line block ×10, first 2 shown]
	v_add_co_u32 v15, vcc_lo, 0x80, v15
	s_wait_alu 0xfffd
	v_add_co_ci_u32_e64 v16, null, 0, v16, vcc_lo
	v_add_co_u32 v17, vcc_lo, v17, s0
	s_wait_alu 0xfffd
	v_add_co_ci_u32_e64 v18, null, s1, v18, vcc_lo
	s_add_co_i32 s8, s8, 8
	s_wait_alu 0xfffe
	s_cmp_lt_i32 s8, s5
	s_wait_dscnt 0xa
	v_mul_f64_e32 v[89:90], v[3:4], v[47:48]
	v_mul_f64_e32 v[91:92], v[1:2], v[47:48]
	s_wait_dscnt 0x9
	v_mul_f64_e32 v[93:94], v[3:4], v[51:52]
	v_mul_f64_e32 v[95:96], v[1:2], v[51:52]
	s_wait_dscnt 0x8
	v_mul_f64_e32 v[97:98], v[55:56], v[47:48]
	v_mul_f64_e32 v[47:48], v[53:54], v[47:48]
	v_mul_f64_e32 v[99:100], v[55:56], v[51:52]
	v_mul_f64_e32 v[51:52], v[53:54], v[51:52]
	s_wait_dscnt 0x5
	v_mul_f64_e32 v[101:102], v[59:60], v[67:68]
	v_mul_f64_e32 v[103:104], v[57:58], v[67:68]
	s_wait_dscnt 0x4
	v_mul_f64_e32 v[105:106], v[59:60], v[71:72]
	v_mul_f64_e32 v[107:108], v[57:58], v[71:72]
	;; [unrolled: 1-line block ×6, first 2 shown]
	s_wait_dscnt 0x2
	v_mul_f64_e32 v[117:118], v[75:76], v[79:80]
	v_mul_f64_e32 v[119:120], v[73:74], v[79:80]
	s_wait_dscnt 0x1
	v_mul_f64_e32 v[121:122], v[75:76], v[83:84]
	v_mul_f64_e32 v[123:124], v[73:74], v[83:84]
	;; [unrolled: 3-line block ×3, first 2 shown]
	v_mul_f64_e32 v[127:128], v[87:88], v[83:84]
	v_mul_f64_e32 v[83:84], v[85:86], v[83:84]
	v_fma_f64 v[89:90], v[1:2], v[45:46], -v[89:90]
	v_fma_f64 v[91:92], v[3:4], v[45:46], v[91:92]
	v_fma_f64 v[93:94], v[1:2], v[49:50], -v[93:94]
	v_fma_f64 v[95:96], v[3:4], v[49:50], v[95:96]
	;; [unrolled: 2-line block ×8, first 2 shown]
	ds_load_b128 v[1:4], v37 offset:48
	ds_load_b128 v[45:48], v37 offset:2096
	;; [unrolled: 1-line block ×4, first 2 shown]
	v_fma_f64 v[117:118], v[73:74], v[77:78], -v[117:118]
	v_fma_f64 v[119:120], v[75:76], v[77:78], v[119:120]
	v_fma_f64 v[73:74], v[73:74], v[81:82], -v[121:122]
	v_fma_f64 v[75:76], v[75:76], v[81:82], v[123:124]
	;; [unrolled: 2-line block ×4, first 2 shown]
	s_wait_dscnt 0x1
	v_mul_f64_e32 v[107:108], v[1:2], v[51:52]
	s_wait_dscnt 0x0
	v_mul_f64_e32 v[109:110], v[3:4], v[55:56]
	v_mul_f64_e32 v[111:112], v[1:2], v[55:56]
	v_add_f64_e32 v[67:68], v[31:32], v[89:90]
	v_add_f64_e32 v[69:70], v[91:92], v[33:34]
	;; [unrolled: 1-line block ×8, first 2 shown]
	v_mul_f64_e32 v[99:100], v[3:4], v[51:52]
	v_mul_f64_e32 v[113:114], v[47:48], v[51:52]
	;; [unrolled: 1-line block ×5, first 2 shown]
	ds_load_b128 v[19:22], v37 offset:64
	ds_load_b128 v[23:26], v36 offset:2048
	;; [unrolled: 1-line block ×4, first 2 shown]
	s_wait_dscnt 0x0
	v_mul_f64_e32 v[123:124], v[33:34], v[25:26]
	v_mul_f64_e32 v[125:126], v[33:34], v[29:30]
	v_fma_f64 v[107:108], v[3:4], v[49:50], v[107:108]
	v_fma_f64 v[109:110], v[1:2], v[53:54], -v[109:110]
	v_fma_f64 v[111:112], v[3:4], v[53:54], v[111:112]
	v_add_f64_e32 v[83:84], v[67:68], v[101:102]
	v_add_f64_e32 v[85:86], v[103:104], v[69:70]
	;; [unrolled: 1-line block ×8, first 2 shown]
	v_mul_f64_e32 v[97:98], v[21:22], v[25:26]
	v_mul_f64_e32 v[101:102], v[19:20], v[25:26]
	;; [unrolled: 1-line block ×6, first 2 shown]
	v_fma_f64 v[99:100], v[1:2], v[49:50], -v[99:100]
	v_fma_f64 v[113:114], v[45:46], v[49:50], -v[113:114]
	v_fma_f64 v[127:128], v[47:48], v[49:50], v[51:52]
	v_fma_f64 v[115:116], v[45:46], v[53:54], -v[115:116]
	v_fma_f64 v[53:54], v[47:48], v[53:54], v[129:130]
	ds_load_b128 v[55:58], v37 offset:80
	ds_load_b128 v[59:62], v37 offset:2128
	;; [unrolled: 1-line block ×4, first 2 shown]
	v_fma_f64 v[123:124], v[31:32], v[23:24], -v[123:124]
	v_fma_f64 v[125:126], v[31:32], v[27:28], -v[125:126]
	v_add_f64_e32 v[83:84], v[83:84], v[117:118]
	v_add_f64_e32 v[85:86], v[119:120], v[85:86]
	;; [unrolled: 1-line block ×8, first 2 shown]
	s_wait_dscnt 0x1
	v_mul_f64_e32 v[89:90], v[57:58], v[65:66]
	v_mul_f64_e32 v[91:92], v[55:56], v[65:66]
	s_wait_dscnt 0x0
	v_mul_f64_e32 v[93:94], v[57:58], v[69:70]
	v_mul_f64_e32 v[95:96], v[55:56], v[69:70]
	;; [unrolled: 1-line block ×6, first 2 shown]
	v_fma_f64 v[97:98], v[19:20], v[23:24], -v[97:98]
	v_fma_f64 v[101:102], v[21:22], v[23:24], v[101:102]
	v_fma_f64 v[103:104], v[19:20], v[27:28], -v[103:104]
	v_fma_f64 v[105:106], v[21:22], v[27:28], v[105:106]
	v_fma_f64 v[129:130], v[33:34], v[23:24], v[25:26]
	v_fma_f64 v[131:132], v[33:34], v[27:28], v[29:30]
	ds_load_b128 v[1:4], v37 offset:96
	ds_load_b128 v[45:48], v36 offset:3072
	;; [unrolled: 1-line block ×8, first 2 shown]
	s_wait_loadcnt_dscnt 0x0
	s_barrier_signal -1
	s_barrier_wait -1
	global_inv scope:SCOPE_SE
	v_add_f64_e32 v[83:84], v[83:84], v[99:100]
	v_add_f64_e32 v[85:86], v[107:108], v[85:86]
	v_add_f64_e32 v[99:100], v[117:118], v[109:110]
	v_add_f64_e32 v[75:76], v[111:112], v[75:76]
	v_add_f64_e32 v[87:88], v[87:88], v[113:114]
	v_add_f64_e32 v[77:78], v[127:128], v[77:78]
	v_add_f64_e32 v[79:80], v[79:80], v[115:116]
	v_add_f64_e32 v[53:54], v[53:54], v[81:82]
	v_mul_f64_e32 v[81:82], v[3:4], v[47:48]
	v_mul_f64_e32 v[107:108], v[1:2], v[47:48]
	;; [unrolled: 1-line block ×8, first 2 shown]
	v_fma_f64 v[89:90], v[55:56], v[63:64], -v[89:90]
	v_fma_f64 v[91:92], v[57:58], v[63:64], v[91:92]
	v_fma_f64 v[55:56], v[55:56], v[67:68], -v[93:94]
	v_fma_f64 v[57:58], v[57:58], v[67:68], v[95:96]
	;; [unrolled: 2-line block ×4, first 2 shown]
	v_mul_f64_e32 v[95:96], v[21:22], v[33:34]
	v_add_f64_e32 v[65:66], v[83:84], v[97:98]
	v_add_f64_e32 v[67:68], v[101:102], v[85:86]
	;; [unrolled: 1-line block ×8, first 2 shown]
	v_mul_f64_e32 v[85:86], v[21:22], v[29:30]
	v_mul_f64_e32 v[87:88], v[19:20], v[29:30]
	;; [unrolled: 1-line block ×7, first 2 shown]
	v_fma_f64 v[81:82], v[1:2], v[45:46], -v[81:82]
	v_fma_f64 v[103:104], v[3:4], v[45:46], v[107:108]
	v_fma_f64 v[1:2], v[1:2], v[49:50], -v[109:110]
	v_fma_f64 v[3:4], v[3:4], v[49:50], v[111:112]
	;; [unrolled: 2-line block ×4, first 2 shown]
	v_add_f64_e32 v[51:52], v[65:66], v[89:90]
	v_add_f64_e32 v[65:66], v[91:92], v[67:68]
	v_add_f64_e32 v[55:56], v[69:70], v[55:56]
	v_add_f64_e32 v[57:58], v[57:58], v[75:76]
	v_add_f64_e32 v[67:68], v[83:84], v[93:94]
	v_add_f64_e32 v[63:64], v[63:64], v[77:78]
	v_add_f64_e32 v[59:60], v[79:80], v[59:60]
	v_add_f64_e32 v[53:54], v[61:62], v[53:54]
	v_fma_f64 v[61:62], v[19:20], v[27:28], -v[85:86]
	v_fma_f64 v[69:70], v[21:22], v[27:28], v[87:88]
	v_fma_f64 v[19:20], v[19:20], v[31:32], -v[95:96]
	v_fma_f64 v[21:22], v[21:22], v[31:32], v[97:98]
	;; [unrolled: 2-line block ×4, first 2 shown]
	v_add_f64_e32 v[23:24], v[51:52], v[81:82]
	v_add_f64_e32 v[25:26], v[103:104], v[65:66]
	;; [unrolled: 1-line block ×16, first 2 shown]
	s_cbranch_scc0 .LBB427_18
.LBB427_10:                             ;   Parent Loop BB427_7 Depth=1
                                        ; =>  This Inner Loop Header: Depth=2
	s_wait_alu 0xfffe
	v_add_nc_u32_e32 v1, s8, v38
	s_delay_alu instid0(VALU_DEP_1) | instskip(SKIP_3) | instid1(SALU_CYCLE_1)
	v_cmp_le_i32_e32 vcc_lo, s5, v1
	s_or_b32 s9, s21, vcc_lo
	s_wait_alu 0xfffe
	s_and_saveexec_b32 s28, s9
	s_xor_b32 s9, exec_lo, s28
; %bb.11:                               ;   in Loop: Header=BB427_10 Depth=2
	v_dual_mov_b32 v1, v0 :: v_dual_mov_b32 v2, v0
	v_mov_b32_e32 v3, v0
	ds_store_b128 v39, v[0:3]
; %bb.12:                               ;   in Loop: Header=BB427_10 Depth=2
	s_wait_alu 0xfffe
	s_and_not1_saveexec_b32 s9, s9
	s_cbranch_execz .LBB427_14
; %bb.13:                               ;   in Loop: Header=BB427_10 Depth=2
	flat_load_b128 v[1:4], v[15:16]
	s_wait_loadcnt_dscnt 0x0
	ds_store_2addr_b64 v39, v[1:2], v[3:4] offset1:1
.LBB427_14:                             ;   in Loop: Header=BB427_10 Depth=2
	s_wait_alu 0xfffe
	s_or_b32 exec_lo, exec_lo, s9
	v_add_nc_u32_e32 v1, s8, v35
	s_delay_alu instid0(VALU_DEP_1) | instskip(SKIP_3) | instid1(SALU_CYCLE_1)
	v_cmp_le_i32_e32 vcc_lo, s5, v1
	s_or_b32 s9, vcc_lo, s4
	s_wait_alu 0xfffe
	s_and_saveexec_b32 s28, s9
	s_xor_b32 s9, exec_lo, s28
; %bb.15:                               ;   in Loop: Header=BB427_10 Depth=2
	v_dual_mov_b32 v1, v0 :: v_dual_mov_b32 v2, v0
	v_mov_b32_e32 v3, v0
	ds_store_b128 v40, v[0:3]
; %bb.16:                               ;   in Loop: Header=BB427_10 Depth=2
	s_wait_alu 0xfffe
	s_and_not1_saveexec_b32 s9, s9
	s_cbranch_execz .LBB427_9
; %bb.17:                               ;   in Loop: Header=BB427_10 Depth=2
	flat_load_b128 v[1:4], v[17:18]
	s_wait_loadcnt_dscnt 0x0
	ds_store_2addr_b64 v40, v[1:2], v[3:4] offset1:1
	s_branch .LBB427_9
.LBB427_18:                             ;   in Loop: Header=BB427_7 Depth=1
	s_wait_loadcnt 0x0
	v_add_co_u32 v13, vcc_lo, v13, s2
	s_wait_alu 0xfffd
	v_add_co_ci_u32_e64 v14, null, s3, v14, vcc_lo
	s_delay_alu instid0(VALU_DEP_2) | instskip(SKIP_1) | instid1(VALU_DEP_2)
	v_add_co_u32 v15, vcc_lo, v13, v9
	s_wait_alu 0xfffd
	v_add_co_ci_u32_e64 v16, null, v14, v10, vcc_lo
	s_and_saveexec_b32 s8, s31
	s_cbranch_execz .LBB427_23
; %bb.19:                               ;   in Loop: Header=BB427_7 Depth=1
	v_mul_f64_e32 v[1:2], s[18:19], v[33:34]
	v_mul_f64_e32 v[3:4], s[16:17], v[33:34]
	s_and_b32 vcc_lo, exec_lo, s30
	s_mov_b32 s9, -1
	s_delay_alu instid0(VALU_DEP_2) | instskip(NEXT) | instid1(VALU_DEP_2)
	v_fma_f64 v[1:2], s[16:17], v[31:32], -v[1:2]
	v_fma_f64 v[3:4], s[18:19], v[31:32], v[3:4]
	s_wait_alu 0xfffe
	s_cbranch_vccz .LBB427_21
; %bb.20:                               ;   in Loop: Header=BB427_7 Depth=1
	v_lshlrev_b64_e32 v[17:18], 4, v[5:6]
	s_mov_b32 s9, 0
	s_delay_alu instid0(VALU_DEP_1) | instskip(SKIP_1) | instid1(VALU_DEP_2)
	v_add_co_u32 v17, vcc_lo, v15, v17
	s_wait_alu 0xfffd
	v_add_co_ci_u32_e64 v18, null, v16, v18, vcc_lo
	flat_load_b128 v[31:34], v[17:18]
	s_wait_loadcnt_dscnt 0x0
	v_mul_f64_e32 v[45:46], s[12:13], v[33:34]
	v_mul_f64_e32 v[33:34], s[10:11], v[33:34]
	s_delay_alu instid0(VALU_DEP_2) | instskip(NEXT) | instid1(VALU_DEP_2)
	v_fma_f64 v[45:46], s[10:11], v[31:32], -v[45:46]
	v_fma_f64 v[33:34], s[12:13], v[31:32], v[33:34]
	s_delay_alu instid0(VALU_DEP_2) | instskip(NEXT) | instid1(VALU_DEP_2)
	v_add_f64_e32 v[31:32], v[1:2], v[45:46]
	v_add_f64_e32 v[33:34], v[3:4], v[33:34]
	flat_store_b128 v[17:18], v[31:34]
.LBB427_21:                             ;   in Loop: Header=BB427_7 Depth=1
	s_wait_alu 0xfffe
	s_and_not1_b32 vcc_lo, exec_lo, s9
	s_wait_alu 0xfffe
	s_cbranch_vccnz .LBB427_23
; %bb.22:                               ;   in Loop: Header=BB427_7 Depth=1
	v_lshlrev_b64_e32 v[17:18], 4, v[5:6]
	s_delay_alu instid0(VALU_DEP_1) | instskip(SKIP_1) | instid1(VALU_DEP_2)
	v_add_co_u32 v17, vcc_lo, v15, v17
	s_wait_alu 0xfffd
	v_add_co_ci_u32_e64 v18, null, v16, v18, vcc_lo
	flat_store_b128 v[17:18], v[1:4]
.LBB427_23:                             ;   in Loop: Header=BB427_7 Depth=1
	s_wait_alu 0xfffe
	s_or_b32 exec_lo, exec_lo, s8
	s_and_saveexec_b32 s8, s33
	s_cbranch_execz .LBB427_28
; %bb.24:                               ;   in Loop: Header=BB427_7 Depth=1
	v_mul_f64_e32 v[1:2], s[18:19], v[29:30]
	v_mul_f64_e32 v[3:4], s[16:17], v[29:30]
	s_and_not1_b32 vcc_lo, exec_lo, s30
	s_mov_b32 s9, -1
	s_delay_alu instid0(VALU_DEP_2) | instskip(NEXT) | instid1(VALU_DEP_2)
	v_fma_f64 v[1:2], s[16:17], v[27:28], -v[1:2]
	v_fma_f64 v[3:4], s[18:19], v[27:28], v[3:4]
	s_wait_alu 0xfffe
	s_cbranch_vccnz .LBB427_26
; %bb.25:                               ;   in Loop: Header=BB427_7 Depth=1
	v_lshlrev_b64_e32 v[17:18], 4, v[7:8]
	s_mov_b32 s9, 0
	s_delay_alu instid0(VALU_DEP_1) | instskip(SKIP_1) | instid1(VALU_DEP_2)
	v_add_co_u32 v17, vcc_lo, v15, v17
	s_wait_alu 0xfffd
	v_add_co_ci_u32_e64 v18, null, v16, v18, vcc_lo
	flat_load_b128 v[27:30], v[17:18]
	s_wait_loadcnt_dscnt 0x0
	v_mul_f64_e32 v[31:32], s[12:13], v[29:30]
	v_mul_f64_e32 v[29:30], s[10:11], v[29:30]
	s_delay_alu instid0(VALU_DEP_2) | instskip(NEXT) | instid1(VALU_DEP_2)
	v_fma_f64 v[31:32], s[10:11], v[27:28], -v[31:32]
	v_fma_f64 v[29:30], s[12:13], v[27:28], v[29:30]
	s_delay_alu instid0(VALU_DEP_2) | instskip(NEXT) | instid1(VALU_DEP_2)
	v_add_f64_e32 v[27:28], v[1:2], v[31:32]
	v_add_f64_e32 v[29:30], v[3:4], v[29:30]
	flat_store_b128 v[17:18], v[27:30]
.LBB427_26:                             ;   in Loop: Header=BB427_7 Depth=1
	s_wait_alu 0xfffe
	s_and_not1_b32 vcc_lo, exec_lo, s9
	s_wait_alu 0xfffe
	s_cbranch_vccnz .LBB427_28
; %bb.27:                               ;   in Loop: Header=BB427_7 Depth=1
	v_lshlrev_b64_e32 v[17:18], 4, v[7:8]
	s_delay_alu instid0(VALU_DEP_1) | instskip(SKIP_1) | instid1(VALU_DEP_2)
	v_add_co_u32 v15, vcc_lo, v15, v17
	s_wait_alu 0xfffd
	v_add_co_ci_u32_e64 v16, null, v16, v18, vcc_lo
	flat_store_b128 v[15:16], v[1:4]
.LBB427_28:                             ;   in Loop: Header=BB427_7 Depth=1
	s_wait_alu 0xfffe
	s_or_b32 exec_lo, exec_lo, s8
	v_add_co_u32 v15, vcc_lo, v13, v11
	s_wait_alu 0xfffd
	v_add_co_ci_u32_e64 v16, null, v14, v12, vcc_lo
	s_and_saveexec_b32 s8, s26
	s_cbranch_execz .LBB427_33
; %bb.29:                               ;   in Loop: Header=BB427_7 Depth=1
	v_mul_f64_e32 v[1:2], s[18:19], v[25:26]
	v_mul_f64_e32 v[3:4], s[16:17], v[25:26]
	v_lshlrev_b64_e32 v[13:14], 4, v[5:6]
	s_and_not1_b32 vcc_lo, exec_lo, s30
	s_mov_b32 s9, -1
	s_delay_alu instid0(VALU_DEP_3) | instskip(NEXT) | instid1(VALU_DEP_3)
	v_fma_f64 v[1:2], s[16:17], v[23:24], -v[1:2]
	v_fma_f64 v[3:4], s[18:19], v[23:24], v[3:4]
	s_wait_alu 0xfffe
	s_cbranch_vccnz .LBB427_31
; %bb.30:                               ;   in Loop: Header=BB427_7 Depth=1
	v_add_co_u32 v17, vcc_lo, v15, v13
	s_wait_alu 0xfffd
	v_add_co_ci_u32_e64 v18, null, v16, v14, vcc_lo
	s_mov_b32 s9, 0
	flat_load_b128 v[23:26], v[17:18]
	s_wait_loadcnt_dscnt 0x0
	v_mul_f64_e32 v[27:28], s[12:13], v[25:26]
	v_mul_f64_e32 v[25:26], s[10:11], v[25:26]
	s_delay_alu instid0(VALU_DEP_2) | instskip(NEXT) | instid1(VALU_DEP_2)
	v_fma_f64 v[27:28], s[10:11], v[23:24], -v[27:28]
	v_fma_f64 v[25:26], s[12:13], v[23:24], v[25:26]
	s_delay_alu instid0(VALU_DEP_2) | instskip(NEXT) | instid1(VALU_DEP_2)
	v_add_f64_e32 v[23:24], v[1:2], v[27:28]
	v_add_f64_e32 v[25:26], v[3:4], v[25:26]
	flat_store_b128 v[17:18], v[23:26]
.LBB427_31:                             ;   in Loop: Header=BB427_7 Depth=1
	s_wait_alu 0xfffe
	s_and_not1_b32 vcc_lo, exec_lo, s9
	s_wait_alu 0xfffe
	s_cbranch_vccnz .LBB427_33
; %bb.32:                               ;   in Loop: Header=BB427_7 Depth=1
	v_add_co_u32 v13, vcc_lo, v15, v13
	s_wait_alu 0xfffd
	v_add_co_ci_u32_e64 v14, null, v16, v14, vcc_lo
	flat_store_b128 v[13:14], v[1:4]
.LBB427_33:                             ;   in Loop: Header=BB427_7 Depth=1
	s_wait_alu 0xfffe
	s_or_b32 exec_lo, exec_lo, s8
	s_and_saveexec_b32 s8, s34
	s_cbranch_execz .LBB427_6
; %bb.34:                               ;   in Loop: Header=BB427_7 Depth=1
	v_mul_f64_e32 v[1:2], s[18:19], v[19:20]
	v_mul_f64_e32 v[3:4], s[16:17], v[19:20]
	v_lshlrev_b64_e32 v[13:14], 4, v[7:8]
	s_and_not1_b32 vcc_lo, exec_lo, s30
	s_mov_b32 s9, -1
	s_delay_alu instid0(VALU_DEP_3) | instskip(NEXT) | instid1(VALU_DEP_3)
	v_fma_f64 v[1:2], s[16:17], v[21:22], -v[1:2]
	v_fma_f64 v[3:4], s[18:19], v[21:22], v[3:4]
	s_wait_alu 0xfffe
	s_cbranch_vccnz .LBB427_36
; %bb.35:                               ;   in Loop: Header=BB427_7 Depth=1
	v_add_co_u32 v21, vcc_lo, v15, v13
	s_wait_alu 0xfffd
	v_add_co_ci_u32_e64 v22, null, v16, v14, vcc_lo
	s_mov_b32 s9, 0
	flat_load_b128 v[17:20], v[21:22]
	s_wait_loadcnt_dscnt 0x0
	v_mul_f64_e32 v[23:24], s[12:13], v[19:20]
	v_mul_f64_e32 v[19:20], s[10:11], v[19:20]
	s_delay_alu instid0(VALU_DEP_2) | instskip(NEXT) | instid1(VALU_DEP_2)
	v_fma_f64 v[23:24], s[10:11], v[17:18], -v[23:24]
	v_fma_f64 v[19:20], s[12:13], v[17:18], v[19:20]
	s_delay_alu instid0(VALU_DEP_2) | instskip(NEXT) | instid1(VALU_DEP_2)
	v_add_f64_e32 v[17:18], v[1:2], v[23:24]
	v_add_f64_e32 v[19:20], v[3:4], v[19:20]
	flat_store_b128 v[21:22], v[17:20]
.LBB427_36:                             ;   in Loop: Header=BB427_7 Depth=1
	s_wait_alu 0xfffe
	s_and_not1_b32 vcc_lo, exec_lo, s9
	s_wait_alu 0xfffe
	s_cbranch_vccnz .LBB427_6
; %bb.37:                               ;   in Loop: Header=BB427_7 Depth=1
	v_add_co_u32 v13, vcc_lo, v15, v13
	s_wait_alu 0xfffd
	v_add_co_ci_u32_e64 v14, null, v16, v14, vcc_lo
	flat_store_b128 v[13:14], v[1:4]
	s_branch .LBB427_6
.LBB427_38:
.LBB427_39:
	s_nop 0
	s_sendmsg sendmsg(MSG_DEALLOC_VGPRS)
	s_endpgm
	.section	.rodata,"a",@progbits
	.p2align	6, 0x0
	.amdhsa_kernel _ZL29rocblas_internal_gemmt_kernelIiLi16ELi32ELi8ELc84ELc84ELc76ELb0ELb0E19rocblas_complex_numIdES1_PKPKS1_PKPS1_EviT_T9_T10_S9_lSB_S9_lSA_T11_S9_li
		.amdhsa_group_segment_fixed_size 8192
		.amdhsa_private_segment_fixed_size 0
		.amdhsa_kernarg_size 116
		.amdhsa_user_sgpr_count 2
		.amdhsa_user_sgpr_dispatch_ptr 0
		.amdhsa_user_sgpr_queue_ptr 0
		.amdhsa_user_sgpr_kernarg_segment_ptr 1
		.amdhsa_user_sgpr_dispatch_id 0
		.amdhsa_user_sgpr_private_segment_size 0
		.amdhsa_wavefront_size32 1
		.amdhsa_uses_dynamic_stack 0
		.amdhsa_enable_private_segment 0
		.amdhsa_system_sgpr_workgroup_id_x 1
		.amdhsa_system_sgpr_workgroup_id_y 1
		.amdhsa_system_sgpr_workgroup_id_z 1
		.amdhsa_system_sgpr_workgroup_info 0
		.amdhsa_system_vgpr_workitem_id 1
		.amdhsa_next_free_vgpr 133
		.amdhsa_next_free_sgpr 40
		.amdhsa_reserve_vcc 1
		.amdhsa_float_round_mode_32 0
		.amdhsa_float_round_mode_16_64 0
		.amdhsa_float_denorm_mode_32 3
		.amdhsa_float_denorm_mode_16_64 3
		.amdhsa_fp16_overflow 0
		.amdhsa_workgroup_processor_mode 1
		.amdhsa_memory_ordered 1
		.amdhsa_forward_progress 1
		.amdhsa_inst_pref_size 27
		.amdhsa_round_robin_scheduling 0
		.amdhsa_exception_fp_ieee_invalid_op 0
		.amdhsa_exception_fp_denorm_src 0
		.amdhsa_exception_fp_ieee_div_zero 0
		.amdhsa_exception_fp_ieee_overflow 0
		.amdhsa_exception_fp_ieee_underflow 0
		.amdhsa_exception_fp_ieee_inexact 0
		.amdhsa_exception_int_div_zero 0
	.end_amdhsa_kernel
	.section	.text._ZL29rocblas_internal_gemmt_kernelIiLi16ELi32ELi8ELc84ELc84ELc76ELb0ELb0E19rocblas_complex_numIdES1_PKPKS1_PKPS1_EviT_T9_T10_S9_lSB_S9_lSA_T11_S9_li,"axG",@progbits,_ZL29rocblas_internal_gemmt_kernelIiLi16ELi32ELi8ELc84ELc84ELc76ELb0ELb0E19rocblas_complex_numIdES1_PKPKS1_PKPS1_EviT_T9_T10_S9_lSB_S9_lSA_T11_S9_li,comdat
.Lfunc_end427:
	.size	_ZL29rocblas_internal_gemmt_kernelIiLi16ELi32ELi8ELc84ELc84ELc76ELb0ELb0E19rocblas_complex_numIdES1_PKPKS1_PKPS1_EviT_T9_T10_S9_lSB_S9_lSA_T11_S9_li, .Lfunc_end427-_ZL29rocblas_internal_gemmt_kernelIiLi16ELi32ELi8ELc84ELc84ELc76ELb0ELb0E19rocblas_complex_numIdES1_PKPKS1_PKPS1_EviT_T9_T10_S9_lSB_S9_lSA_T11_S9_li
                                        ; -- End function
	.set _ZL29rocblas_internal_gemmt_kernelIiLi16ELi32ELi8ELc84ELc84ELc76ELb0ELb0E19rocblas_complex_numIdES1_PKPKS1_PKPS1_EviT_T9_T10_S9_lSB_S9_lSA_T11_S9_li.num_vgpr, 133
	.set _ZL29rocblas_internal_gemmt_kernelIiLi16ELi32ELi8ELc84ELc84ELc76ELb0ELb0E19rocblas_complex_numIdES1_PKPKS1_PKPS1_EviT_T9_T10_S9_lSB_S9_lSA_T11_S9_li.num_agpr, 0
	.set _ZL29rocblas_internal_gemmt_kernelIiLi16ELi32ELi8ELc84ELc84ELc76ELb0ELb0E19rocblas_complex_numIdES1_PKPKS1_PKPS1_EviT_T9_T10_S9_lSB_S9_lSA_T11_S9_li.numbered_sgpr, 40
	.set _ZL29rocblas_internal_gemmt_kernelIiLi16ELi32ELi8ELc84ELc84ELc76ELb0ELb0E19rocblas_complex_numIdES1_PKPKS1_PKPS1_EviT_T9_T10_S9_lSB_S9_lSA_T11_S9_li.num_named_barrier, 0
	.set _ZL29rocblas_internal_gemmt_kernelIiLi16ELi32ELi8ELc84ELc84ELc76ELb0ELb0E19rocblas_complex_numIdES1_PKPKS1_PKPS1_EviT_T9_T10_S9_lSB_S9_lSA_T11_S9_li.private_seg_size, 0
	.set _ZL29rocblas_internal_gemmt_kernelIiLi16ELi32ELi8ELc84ELc84ELc76ELb0ELb0E19rocblas_complex_numIdES1_PKPKS1_PKPS1_EviT_T9_T10_S9_lSB_S9_lSA_T11_S9_li.uses_vcc, 1
	.set _ZL29rocblas_internal_gemmt_kernelIiLi16ELi32ELi8ELc84ELc84ELc76ELb0ELb0E19rocblas_complex_numIdES1_PKPKS1_PKPS1_EviT_T9_T10_S9_lSB_S9_lSA_T11_S9_li.uses_flat_scratch, 0
	.set _ZL29rocblas_internal_gemmt_kernelIiLi16ELi32ELi8ELc84ELc84ELc76ELb0ELb0E19rocblas_complex_numIdES1_PKPKS1_PKPS1_EviT_T9_T10_S9_lSB_S9_lSA_T11_S9_li.has_dyn_sized_stack, 0
	.set _ZL29rocblas_internal_gemmt_kernelIiLi16ELi32ELi8ELc84ELc84ELc76ELb0ELb0E19rocblas_complex_numIdES1_PKPKS1_PKPS1_EviT_T9_T10_S9_lSB_S9_lSA_T11_S9_li.has_recursion, 0
	.set _ZL29rocblas_internal_gemmt_kernelIiLi16ELi32ELi8ELc84ELc84ELc76ELb0ELb0E19rocblas_complex_numIdES1_PKPKS1_PKPS1_EviT_T9_T10_S9_lSB_S9_lSA_T11_S9_li.has_indirect_call, 0
	.section	.AMDGPU.csdata,"",@progbits
; Kernel info:
; codeLenInByte = 3456
; TotalNumSgprs: 42
; NumVgprs: 133
; ScratchSize: 0
; MemoryBound: 0
; FloatMode: 240
; IeeeMode: 1
; LDSByteSize: 8192 bytes/workgroup (compile time only)
; SGPRBlocks: 0
; VGPRBlocks: 16
; NumSGPRsForWavesPerEU: 42
; NumVGPRsForWavesPerEU: 133
; Occupancy: 10
; WaveLimiterHint : 1
; COMPUTE_PGM_RSRC2:SCRATCH_EN: 0
; COMPUTE_PGM_RSRC2:USER_SGPR: 2
; COMPUTE_PGM_RSRC2:TRAP_HANDLER: 0
; COMPUTE_PGM_RSRC2:TGID_X_EN: 1
; COMPUTE_PGM_RSRC2:TGID_Y_EN: 1
; COMPUTE_PGM_RSRC2:TGID_Z_EN: 1
; COMPUTE_PGM_RSRC2:TIDIG_COMP_CNT: 1
	.section	.text._ZL29rocblas_internal_gemmt_kernelIiLi16ELi32ELi8ELc84ELc67ELc76ELb0ELb1E19rocblas_complex_numIdES1_PKPKS1_PKPS1_EviT_T9_T10_S9_lSB_S9_lSA_T11_S9_li,"axG",@progbits,_ZL29rocblas_internal_gemmt_kernelIiLi16ELi32ELi8ELc84ELc67ELc76ELb0ELb1E19rocblas_complex_numIdES1_PKPKS1_PKPS1_EviT_T9_T10_S9_lSB_S9_lSA_T11_S9_li,comdat
	.globl	_ZL29rocblas_internal_gemmt_kernelIiLi16ELi32ELi8ELc84ELc67ELc76ELb0ELb1E19rocblas_complex_numIdES1_PKPKS1_PKPS1_EviT_T9_T10_S9_lSB_S9_lSA_T11_S9_li ; -- Begin function _ZL29rocblas_internal_gemmt_kernelIiLi16ELi32ELi8ELc84ELc67ELc76ELb0ELb1E19rocblas_complex_numIdES1_PKPKS1_PKPS1_EviT_T9_T10_S9_lSB_S9_lSA_T11_S9_li
	.p2align	8
	.type	_ZL29rocblas_internal_gemmt_kernelIiLi16ELi32ELi8ELc84ELc67ELc76ELb0ELb1E19rocblas_complex_numIdES1_PKPKS1_PKPS1_EviT_T9_T10_S9_lSB_S9_lSA_T11_S9_li,@function
_ZL29rocblas_internal_gemmt_kernelIiLi16ELi32ELi8ELc84ELc67ELc76ELb0ELb1E19rocblas_complex_numIdES1_PKPKS1_PKPS1_EviT_T9_T10_S9_lSB_S9_lSA_T11_S9_li: ; @_ZL29rocblas_internal_gemmt_kernelIiLi16ELi32ELi8ELc84ELc67ELc76ELb0ELb1E19rocblas_complex_numIdES1_PKPKS1_PKPS1_EviT_T9_T10_S9_lSB_S9_lSA_T11_S9_li
; %bb.0:
	s_clause 0x2
	s_load_b256 s[8:15], s[0:1], 0x40
	s_load_b64 s[6:7], s[0:1], 0x0
	s_load_b128 s[16:19], s[0:1], 0x8
	s_wait_kmcnt 0x0
	v_cmp_eq_f64_e64 s2, s[10:11], 1.0
	v_cmp_eq_f64_e64 s5, s[12:13], 0
	s_and_b32 s2, s2, s5
	s_delay_alu instid0(SALU_CYCLE_1)
	s_and_not1_b32 vcc_lo, exec_lo, s2
	s_mov_b32 s2, -1
	s_cbranch_vccnz .LBB428_3
; %bb.1:
	s_cmp_lg_u32 s7, 0
	s_cbranch_scc0 .LBB428_36
; %bb.2:
	v_cmp_neq_f64_e64 s2, s[16:17], 0
	v_cmp_neq_f64_e64 s3, s[18:19], 0
	s_or_b32 s2, s2, s3
.LBB428_3:
	s_delay_alu instid0(SALU_CYCLE_1)
	s_and_b32 vcc_lo, exec_lo, s2
	s_cbranch_vccz .LBB428_37
; %bb.4:
	s_load_b32 s27, s[0:1], 0x70
	s_lshr_b32 s28, ttmp7, 16
	s_wait_kmcnt 0x0
	s_cmp_ge_u32 s28, s27
	s_cbranch_scc1 .LBB428_37
; %bb.5:
	v_cmp_neq_f64_e64 s33, s[16:17], 0
	v_cmp_neq_f64_e64 s36, s[18:19], 0
	;; [unrolled: 1-line block ×3, first 2 shown]
	v_and_b32_e32 v1, 0x3ff, v0
	v_bfe_u32 v2, v0, 10, 10
	s_clause 0x4
	s_load_b96 s[24:26], s[0:1], 0x18
	s_load_b128 s[20:23], s[0:1], 0x28
	s_load_b32 s30, s[0:1], 0x38
	s_load_b32 s38, s[0:1], 0x60
	s_load_b64 s[34:35], s[0:1], 0x68
	v_and_b32_e32 v35, 7, v0
	s_lshl_b32 s0, ttmp9, 5
	v_lshlrev_b32_e32 v36, 4, v1
	v_lshl_add_u32 v0, v2, 4, v1
	v_add_nc_u32_e32 v5, s0, v1
	v_lshlrev_b32_e32 v3, 4, v35
	s_lshl_b32 s1, ttmp7, 5
	v_lshl_add_u32 v37, v2, 7, 0x1000
	v_lshrrev_b32_e32 v38, 5, v0
	v_and_b32_e32 v1, 31, v0
	v_lshrrev_b32_e32 v0, 3, v0
	s_wait_alu 0xfffe
	s_and_b32 s2, s1, 0x1fffe0
	v_add_nc_u32_e32 v7, 16, v5
	v_add_nc_u32_e32 v4, s2, v2
	v_or_b32_e32 v8, s0, v1
	v_add_nc_u32_e32 v13, s2, v0
	v_lshlrev_b32_e32 v1, 4, v1
	v_lshl_or_b32 v0, v0, 7, v3
	v_cmp_le_i32_e32 vcc_lo, v4, v5
	v_cmp_le_i32_e64 s2, v4, v7
	v_cmp_gt_i32_e64 s3, s6, v7
	v_lshl_or_b32 v39, v38, 9, v1
	v_add_nc_u32_e32 v40, 0x1000, v0
	s_wait_kmcnt 0x0
	v_mad_co_i64_i32 v[1:2], null, v4, s38, 0
	v_add_nc_u32_e32 v0, 16, v4
	v_mad_co_i64_i32 v[3:4], null, s26, v8, 0
	v_cmp_gt_i32_e64 s1, s6, v5
	s_ashr_i32 s31, s30, 31
	v_mad_co_i64_i32 v[9:10], null, s30, v35, 0
	v_cmp_gt_i32_e64 s4, s6, v8
	s_or_b32 s39, s33, s36
	s_cmp_gt_i32 s7, 0
	v_lshlrev_b64_e32 v[3:4], 4, v[3:4]
	s_cselect_b32 s40, -1, 0
	s_and_b32 s36, s2, s3
	v_cmp_le_i32_e64 s2, v0, v7
	s_and_b32 s33, vcc_lo, s1
	v_cmp_le_i32_e32 vcc_lo, v0, v5
	s_xor_b32 s5, s5, -1
	v_cmp_gt_i32_e64 s0, s6, v13
	s_or_b32 s6, s37, s5
	s_and_b32 s37, s2, s3
	s_lshl_b64 s[2:3], s[20:21], 4
	v_lshlrev_b64_e32 v[9:10], 4, v[9:10]
	s_and_b32 s26, vcc_lo, s1
	s_wait_alu 0xfffe
	v_add_co_u32 v3, vcc_lo, v3, s2
	s_delay_alu instid0(VALU_DEP_1)
	v_add_co_ci_u32_e64 v4, null, s3, v4, vcc_lo
	s_lshl_b64 s[2:3], s[8:9], 4
	v_lshlrev_b32_e32 v13, 4, v13
	s_wait_alu 0xfffe
	v_add_co_u32 v9, vcc_lo, v9, s2
	v_mad_co_i64_i32 v[11:12], null, v0, s38, 0
	v_lshlrev_b32_e32 v14, 4, v38
	s_wait_alu 0xfffd
	v_add_co_ci_u32_e64 v10, null, s3, v10, vcc_lo
	v_add_co_u32 v9, vcc_lo, v9, v13
	s_delay_alu instid0(VALU_DEP_3) | instskip(SKIP_1) | instid1(VALU_DEP_3)
	v_add_co_u32 v41, s1, v3, v14
	s_wait_alu 0xfffd
	v_add_co_ci_u32_e64 v43, null, 0, v10, vcc_lo
	s_delay_alu instid0(VALU_DEP_3)
	v_or_b32_e32 v44, 8, v9
	v_lshlrev_b64_e32 v[9:10], 4, v[1:2]
	v_lshlrev_b64_e32 v[11:12], 4, v[11:12]
	v_ashrrev_i32_e32 v6, 31, v5
	v_ashrrev_i32_e32 v8, 31, v7
	v_mov_b32_e32 v0, 0
	s_wait_alu 0xf1ff
	v_add_co_ci_u32_e64 v42, null, 0, v4, s1
	s_mov_b32 s29, 0
	s_and_b32 s1, s39, s40
	s_lshl_b64 s[2:3], s[30:31], 7
	s_xor_b32 s20, s4, -1
	s_lshl_b64 s[4:5], s[34:35], 4
	s_branch .LBB428_7
.LBB428_6:                              ;   in Loop: Header=BB428_7 Depth=1
	s_wait_alu 0xfffe
	s_or_b32 exec_lo, exec_lo, s8
	s_add_co_i32 s28, s28, 0x10000
	s_delay_alu instid0(SALU_CYCLE_1)
	s_cmp_lt_u32 s28, s27
	s_cbranch_scc0 .LBB428_37
.LBB428_7:                              ; =>This Loop Header: Depth=1
                                        ;     Child Loop BB428_10 Depth 2
	s_lshl_b64 s[8:9], s[28:29], 3
	v_mov_b32_e32 v31, 0
	s_wait_alu 0xfffe
	s_add_nc_u64 s[30:31], s[14:15], s[8:9]
	v_mov_b32_e32 v27, 0
	global_load_b64 v[13:14], v0, s[30:31]
	v_mov_b32_e32 v23, 0
	v_dual_mov_b32 v21, 0 :: v_dual_mov_b32 v32, 0
	v_dual_mov_b32 v33, 0 :: v_dual_mov_b32 v28, 0
	;; [unrolled: 1-line block ×5, first 2 shown]
	v_mov_b32_e32 v30, 0
	v_mov_b32_e32 v26, 0
	;; [unrolled: 1-line block ×3, first 2 shown]
	s_and_not1_b32 vcc_lo, exec_lo, s1
	s_wait_alu 0xfffe
	s_cbranch_vccnz .LBB428_16
; %bb.8:                                ;   in Loop: Header=BB428_7 Depth=1
	s_add_nc_u64 s[30:31], s[24:25], s[8:9]
	s_add_nc_u64 s[8:9], s[22:23], s[8:9]
	s_clause 0x1
	global_load_b64 v[1:2], v0, s[30:31]
	global_load_b64 v[3:4], v0, s[8:9]
	v_mov_b32_e32 v19, 0
	v_mov_b32_e32 v25, 0
	v_mov_b32_e32 v29, 0
	v_dual_mov_b32 v33, 0 :: v_dual_mov_b32 v20, 0
	v_dual_mov_b32 v21, 0 :: v_dual_mov_b32 v26, 0
	;; [unrolled: 1-line block ×5, first 2 shown]
	v_mov_b32_e32 v24, 0
	v_mov_b32_e32 v28, 0
	;; [unrolled: 1-line block ×3, first 2 shown]
	s_mov_b32 s8, 0
	s_wait_loadcnt 0x1
	v_add_co_u32 v15, vcc_lo, v1, v41
	s_wait_alu 0xfffd
	v_add_co_ci_u32_e64 v16, null, v2, v42, vcc_lo
	s_wait_loadcnt 0x0
	v_add_co_u32 v17, vcc_lo, v3, v44
	s_wait_alu 0xfffd
	v_add_co_ci_u32_e64 v18, null, v4, v43, vcc_lo
	s_branch .LBB428_10
.LBB428_9:                              ;   in Loop: Header=BB428_10 Depth=2
	s_wait_alu 0xfffe
	s_or_b32 exec_lo, exec_lo, s9
	ds_store_b128 v40, v[1:4]
	s_wait_dscnt 0x0
	s_barrier_signal -1
	s_barrier_wait -1
	global_inv scope:SCOPE_SE
	ds_load_b128 v[1:4], v37
	ds_load_b128 v[45:48], v36
	ds_load_b128 v[49:52], v36 offset:256
	ds_load_b128 v[53:56], v37 offset:2048
	;; [unrolled: 1-line block ×10, first 2 shown]
	v_add_co_u32 v15, vcc_lo, 0x80, v15
	s_wait_alu 0xfffd
	v_add_co_ci_u32_e64 v16, null, 0, v16, vcc_lo
	v_add_co_u32 v17, vcc_lo, v17, s2
	s_wait_alu 0xfffd
	v_add_co_ci_u32_e64 v18, null, s3, v18, vcc_lo
	s_add_co_i32 s8, s8, 8
	s_wait_alu 0xfffe
	s_cmp_lt_i32 s8, s7
	s_wait_dscnt 0xa
	v_mul_f64_e32 v[89:90], v[3:4], v[47:48]
	v_mul_f64_e32 v[91:92], v[1:2], v[47:48]
	s_wait_dscnt 0x9
	v_mul_f64_e32 v[93:94], v[3:4], v[51:52]
	v_mul_f64_e32 v[95:96], v[1:2], v[51:52]
	;; [unrolled: 3-line block ×3, first 2 shown]
	v_mul_f64_e32 v[99:100], v[55:56], v[51:52]
	v_mul_f64_e32 v[51:52], v[53:54], v[51:52]
	s_wait_dscnt 0x5
	v_mul_f64_e32 v[101:102], v[59:60], v[67:68]
	v_mul_f64_e32 v[103:104], v[57:58], v[67:68]
	s_wait_dscnt 0x4
	v_mul_f64_e32 v[105:106], v[59:60], v[71:72]
	v_mul_f64_e32 v[107:108], v[57:58], v[71:72]
	;; [unrolled: 1-line block ×6, first 2 shown]
	s_wait_dscnt 0x2
	v_mul_f64_e32 v[117:118], v[75:76], v[79:80]
	v_mul_f64_e32 v[119:120], v[73:74], v[79:80]
	s_wait_dscnt 0x1
	v_mul_f64_e32 v[121:122], v[75:76], v[83:84]
	v_mul_f64_e32 v[123:124], v[73:74], v[83:84]
	;; [unrolled: 3-line block ×3, first 2 shown]
	v_mul_f64_e32 v[127:128], v[87:88], v[83:84]
	v_mul_f64_e32 v[83:84], v[85:86], v[83:84]
	v_fma_f64 v[89:90], v[1:2], v[45:46], -v[89:90]
	v_fma_f64 v[91:92], v[3:4], v[45:46], v[91:92]
	v_fma_f64 v[93:94], v[1:2], v[49:50], -v[93:94]
	v_fma_f64 v[95:96], v[3:4], v[49:50], v[95:96]
	;; [unrolled: 2-line block ×8, first 2 shown]
	ds_load_b128 v[1:4], v37 offset:48
	ds_load_b128 v[45:48], v37 offset:2096
	;; [unrolled: 1-line block ×4, first 2 shown]
	v_fma_f64 v[117:118], v[73:74], v[77:78], -v[117:118]
	v_fma_f64 v[119:120], v[75:76], v[77:78], v[119:120]
	v_fma_f64 v[73:74], v[73:74], v[81:82], -v[121:122]
	v_fma_f64 v[75:76], v[75:76], v[81:82], v[123:124]
	v_fma_f64 v[121:122], v[85:86], v[77:78], -v[125:126]
	v_fma_f64 v[77:78], v[87:88], v[77:78], v[79:80]
	v_fma_f64 v[79:80], v[85:86], v[81:82], -v[127:128]
	v_fma_f64 v[81:82], v[87:88], v[81:82], v[83:84]
	s_wait_dscnt 0x1
	v_mul_f64_e32 v[107:108], v[1:2], v[51:52]
	s_wait_dscnt 0x0
	v_mul_f64_e32 v[109:110], v[3:4], v[55:56]
	v_mul_f64_e32 v[111:112], v[1:2], v[55:56]
	v_add_f64_e32 v[67:68], v[31:32], v[89:90]
	v_add_f64_e32 v[69:70], v[91:92], v[33:34]
	;; [unrolled: 1-line block ×8, first 2 shown]
	v_mul_f64_e32 v[99:100], v[3:4], v[51:52]
	v_mul_f64_e32 v[113:114], v[47:48], v[51:52]
	;; [unrolled: 1-line block ×5, first 2 shown]
	ds_load_b128 v[19:22], v37 offset:64
	ds_load_b128 v[23:26], v36 offset:2048
	;; [unrolled: 1-line block ×4, first 2 shown]
	s_wait_dscnt 0x0
	v_mul_f64_e32 v[123:124], v[33:34], v[25:26]
	v_mul_f64_e32 v[125:126], v[33:34], v[29:30]
	v_fma_f64 v[107:108], v[3:4], v[49:50], v[107:108]
	v_fma_f64 v[109:110], v[1:2], v[53:54], -v[109:110]
	v_fma_f64 v[111:112], v[3:4], v[53:54], v[111:112]
	v_add_f64_e32 v[83:84], v[67:68], v[101:102]
	v_add_f64_e32 v[85:86], v[103:104], v[69:70]
	;; [unrolled: 1-line block ×8, first 2 shown]
	v_mul_f64_e32 v[97:98], v[21:22], v[25:26]
	v_mul_f64_e32 v[101:102], v[19:20], v[25:26]
	;; [unrolled: 1-line block ×6, first 2 shown]
	v_fma_f64 v[99:100], v[1:2], v[49:50], -v[99:100]
	v_fma_f64 v[113:114], v[45:46], v[49:50], -v[113:114]
	v_fma_f64 v[127:128], v[47:48], v[49:50], v[51:52]
	v_fma_f64 v[115:116], v[45:46], v[53:54], -v[115:116]
	v_fma_f64 v[53:54], v[47:48], v[53:54], v[129:130]
	ds_load_b128 v[55:58], v37 offset:80
	ds_load_b128 v[59:62], v37 offset:2128
	;; [unrolled: 1-line block ×4, first 2 shown]
	v_fma_f64 v[123:124], v[31:32], v[23:24], -v[123:124]
	v_fma_f64 v[125:126], v[31:32], v[27:28], -v[125:126]
	v_add_f64_e32 v[83:84], v[83:84], v[117:118]
	v_add_f64_e32 v[85:86], v[119:120], v[85:86]
	;; [unrolled: 1-line block ×8, first 2 shown]
	s_wait_dscnt 0x1
	v_mul_f64_e32 v[89:90], v[57:58], v[65:66]
	v_mul_f64_e32 v[91:92], v[55:56], v[65:66]
	s_wait_dscnt 0x0
	v_mul_f64_e32 v[93:94], v[57:58], v[69:70]
	v_mul_f64_e32 v[95:96], v[55:56], v[69:70]
	;; [unrolled: 1-line block ×6, first 2 shown]
	v_fma_f64 v[97:98], v[19:20], v[23:24], -v[97:98]
	v_fma_f64 v[101:102], v[21:22], v[23:24], v[101:102]
	v_fma_f64 v[103:104], v[19:20], v[27:28], -v[103:104]
	v_fma_f64 v[105:106], v[21:22], v[27:28], v[105:106]
	v_fma_f64 v[129:130], v[33:34], v[23:24], v[25:26]
	;; [unrolled: 1-line block ×3, first 2 shown]
	ds_load_b128 v[1:4], v37 offset:96
	ds_load_b128 v[45:48], v36 offset:3072
	ds_load_b128 v[49:52], v36 offset:3328
	ds_load_b128 v[71:74], v37 offset:2144
	ds_load_b128 v[19:22], v37 offset:112
	ds_load_b128 v[23:26], v37 offset:2160
	ds_load_b128 v[27:30], v36 offset:3584
	ds_load_b128 v[31:34], v36 offset:3840
	s_wait_loadcnt_dscnt 0x0
	s_barrier_signal -1
	s_barrier_wait -1
	global_inv scope:SCOPE_SE
	v_add_f64_e32 v[83:84], v[83:84], v[99:100]
	v_add_f64_e32 v[85:86], v[107:108], v[85:86]
	;; [unrolled: 1-line block ×8, first 2 shown]
	v_mul_f64_e32 v[81:82], v[3:4], v[47:48]
	v_mul_f64_e32 v[107:108], v[1:2], v[47:48]
	;; [unrolled: 1-line block ×8, first 2 shown]
	v_fma_f64 v[89:90], v[55:56], v[63:64], -v[89:90]
	v_fma_f64 v[91:92], v[57:58], v[63:64], v[91:92]
	v_fma_f64 v[55:56], v[55:56], v[67:68], -v[93:94]
	v_fma_f64 v[57:58], v[57:58], v[67:68], v[95:96]
	;; [unrolled: 2-line block ×4, first 2 shown]
	v_mul_f64_e32 v[95:96], v[21:22], v[33:34]
	v_add_f64_e32 v[65:66], v[83:84], v[97:98]
	v_add_f64_e32 v[67:68], v[101:102], v[85:86]
	;; [unrolled: 1-line block ×8, first 2 shown]
	v_mul_f64_e32 v[85:86], v[21:22], v[29:30]
	v_mul_f64_e32 v[87:88], v[19:20], v[29:30]
	;; [unrolled: 1-line block ×7, first 2 shown]
	v_fma_f64 v[81:82], v[1:2], v[45:46], -v[81:82]
	v_fma_f64 v[103:104], v[3:4], v[45:46], v[107:108]
	v_fma_f64 v[1:2], v[1:2], v[49:50], -v[109:110]
	v_fma_f64 v[3:4], v[3:4], v[49:50], v[111:112]
	;; [unrolled: 2-line block ×4, first 2 shown]
	v_add_f64_e32 v[51:52], v[65:66], v[89:90]
	v_add_f64_e32 v[65:66], v[91:92], v[67:68]
	;; [unrolled: 1-line block ×8, first 2 shown]
	v_fma_f64 v[61:62], v[19:20], v[27:28], -v[85:86]
	v_fma_f64 v[69:70], v[21:22], v[27:28], v[87:88]
	v_fma_f64 v[19:20], v[19:20], v[31:32], -v[95:96]
	v_fma_f64 v[21:22], v[21:22], v[31:32], v[97:98]
	;; [unrolled: 2-line block ×4, first 2 shown]
	v_add_f64_e32 v[23:24], v[51:52], v[81:82]
	v_add_f64_e32 v[25:26], v[103:104], v[65:66]
	v_add_f64_e32 v[1:2], v[55:56], v[1:2]
	v_add_f64_e32 v[3:4], v[3:4], v[57:58]
	v_add_f64_e32 v[51:52], v[67:68], v[105:106]
	v_add_f64_e32 v[45:46], v[45:46], v[63:64]
	v_add_f64_e32 v[47:48], v[59:60], v[47:48]
	v_add_f64_e32 v[49:50], v[49:50], v[53:54]
	v_add_f64_e32 v[31:32], v[23:24], v[61:62]
	v_add_f64_e32 v[33:34], v[69:70], v[25:26]
	v_add_f64_e32 v[27:28], v[1:2], v[19:20]
	v_add_f64_e32 v[29:30], v[21:22], v[3:4]
	v_add_f64_e32 v[23:24], v[51:52], v[71:72]
	v_add_f64_e32 v[25:26], v[73:74], v[45:46]
	v_add_f64_e32 v[21:22], v[47:48], v[75:76]
	v_add_f64_e32 v[19:20], v[77:78], v[49:50]
	s_cbranch_scc0 .LBB428_16
.LBB428_10:                             ;   Parent Loop BB428_7 Depth=1
                                        ; =>  This Inner Loop Header: Depth=2
	s_wait_alu 0xfffe
	v_add_nc_u32_e32 v1, s8, v38
	s_delay_alu instid0(VALU_DEP_1) | instskip(SKIP_3) | instid1(SALU_CYCLE_1)
	v_cmp_le_i32_e32 vcc_lo, s7, v1
	s_or_b32 s9, s20, vcc_lo
	s_wait_alu 0xfffe
	s_and_saveexec_b32 s21, s9
	s_xor_b32 s9, exec_lo, s21
; %bb.11:                               ;   in Loop: Header=BB428_10 Depth=2
	v_dual_mov_b32 v1, v0 :: v_dual_mov_b32 v2, v0
	v_mov_b32_e32 v3, v0
	ds_store_b128 v39, v[0:3]
; %bb.12:                               ;   in Loop: Header=BB428_10 Depth=2
	s_wait_alu 0xfffe
	s_and_not1_saveexec_b32 s9, s9
	s_cbranch_execz .LBB428_14
; %bb.13:                               ;   in Loop: Header=BB428_10 Depth=2
	flat_load_b128 v[1:4], v[15:16]
	s_wait_loadcnt_dscnt 0x0
	ds_store_2addr_b64 v39, v[1:2], v[3:4] offset1:1
.LBB428_14:                             ;   in Loop: Header=BB428_10 Depth=2
	s_wait_alu 0xfffe
	s_or_b32 exec_lo, exec_lo, s9
	v_add_nc_u32_e32 v1, s8, v35
	v_mov_b32_e32 v3, 0
	v_mov_b32_e32 v4, 0
	s_delay_alu instid0(VALU_DEP_3) | instskip(SKIP_3) | instid1(SALU_CYCLE_1)
	v_cmp_gt_i32_e32 vcc_lo, s7, v1
	v_mov_b32_e32 v1, 0
	v_mov_b32_e32 v2, 0
	s_and_b32 s21, vcc_lo, s0
	s_and_saveexec_b32 s9, s21
	s_cbranch_execz .LBB428_9
; %bb.15:                               ;   in Loop: Header=BB428_10 Depth=2
	flat_load_b128 v[1:4], v[17:18] offset:-8
	s_wait_loadcnt_dscnt 0x0
	v_xor_b32_e32 v4, 0x80000000, v4
	s_branch .LBB428_9
.LBB428_16:                             ;   in Loop: Header=BB428_7 Depth=1
	s_wait_loadcnt 0x0
	v_add_co_u32 v13, vcc_lo, v13, s4
	s_wait_alu 0xfffd
	v_add_co_ci_u32_e64 v14, null, s5, v14, vcc_lo
	s_delay_alu instid0(VALU_DEP_2) | instskip(SKIP_1) | instid1(VALU_DEP_2)
	v_add_co_u32 v15, vcc_lo, v13, v9
	s_wait_alu 0xfffd
	v_add_co_ci_u32_e64 v16, null, v14, v10, vcc_lo
	s_and_saveexec_b32 s8, s33
	s_cbranch_execz .LBB428_21
; %bb.17:                               ;   in Loop: Header=BB428_7 Depth=1
	v_mul_f64_e32 v[1:2], s[18:19], v[33:34]
	v_mul_f64_e32 v[3:4], s[16:17], v[33:34]
	s_and_b32 vcc_lo, exec_lo, s6
	s_mov_b32 s9, -1
	s_delay_alu instid0(VALU_DEP_2) | instskip(NEXT) | instid1(VALU_DEP_2)
	v_fma_f64 v[1:2], s[16:17], v[31:32], -v[1:2]
	v_fma_f64 v[3:4], s[18:19], v[31:32], v[3:4]
	s_wait_alu 0xfffe
	s_cbranch_vccz .LBB428_19
; %bb.18:                               ;   in Loop: Header=BB428_7 Depth=1
	v_lshlrev_b64_e32 v[17:18], 4, v[5:6]
	s_mov_b32 s9, 0
	s_delay_alu instid0(VALU_DEP_1) | instskip(SKIP_1) | instid1(VALU_DEP_2)
	v_add_co_u32 v17, vcc_lo, v15, v17
	s_wait_alu 0xfffd
	v_add_co_ci_u32_e64 v18, null, v16, v18, vcc_lo
	flat_load_b128 v[31:34], v[17:18]
	s_wait_loadcnt_dscnt 0x0
	v_mul_f64_e32 v[45:46], s[12:13], v[33:34]
	v_mul_f64_e32 v[33:34], s[10:11], v[33:34]
	s_delay_alu instid0(VALU_DEP_2) | instskip(NEXT) | instid1(VALU_DEP_2)
	v_fma_f64 v[45:46], s[10:11], v[31:32], -v[45:46]
	v_fma_f64 v[33:34], s[12:13], v[31:32], v[33:34]
	s_delay_alu instid0(VALU_DEP_2) | instskip(NEXT) | instid1(VALU_DEP_2)
	v_add_f64_e32 v[31:32], v[1:2], v[45:46]
	v_add_f64_e32 v[33:34], v[3:4], v[33:34]
	flat_store_b128 v[17:18], v[31:34]
.LBB428_19:                             ;   in Loop: Header=BB428_7 Depth=1
	s_wait_alu 0xfffe
	s_and_not1_b32 vcc_lo, exec_lo, s9
	s_wait_alu 0xfffe
	s_cbranch_vccnz .LBB428_21
; %bb.20:                               ;   in Loop: Header=BB428_7 Depth=1
	v_lshlrev_b64_e32 v[17:18], 4, v[5:6]
	s_delay_alu instid0(VALU_DEP_1) | instskip(SKIP_1) | instid1(VALU_DEP_2)
	v_add_co_u32 v17, vcc_lo, v15, v17
	s_wait_alu 0xfffd
	v_add_co_ci_u32_e64 v18, null, v16, v18, vcc_lo
	flat_store_b128 v[17:18], v[1:4]
.LBB428_21:                             ;   in Loop: Header=BB428_7 Depth=1
	s_wait_alu 0xfffe
	s_or_b32 exec_lo, exec_lo, s8
	s_and_saveexec_b32 s8, s36
	s_cbranch_execz .LBB428_26
; %bb.22:                               ;   in Loop: Header=BB428_7 Depth=1
	v_mul_f64_e32 v[1:2], s[18:19], v[29:30]
	v_mul_f64_e32 v[3:4], s[16:17], v[29:30]
	s_and_not1_b32 vcc_lo, exec_lo, s6
	s_mov_b32 s9, -1
	s_delay_alu instid0(VALU_DEP_2) | instskip(NEXT) | instid1(VALU_DEP_2)
	v_fma_f64 v[1:2], s[16:17], v[27:28], -v[1:2]
	v_fma_f64 v[3:4], s[18:19], v[27:28], v[3:4]
	s_wait_alu 0xfffe
	s_cbranch_vccnz .LBB428_24
; %bb.23:                               ;   in Loop: Header=BB428_7 Depth=1
	v_lshlrev_b64_e32 v[17:18], 4, v[7:8]
	s_mov_b32 s9, 0
	s_delay_alu instid0(VALU_DEP_1) | instskip(SKIP_1) | instid1(VALU_DEP_2)
	v_add_co_u32 v17, vcc_lo, v15, v17
	s_wait_alu 0xfffd
	v_add_co_ci_u32_e64 v18, null, v16, v18, vcc_lo
	flat_load_b128 v[27:30], v[17:18]
	s_wait_loadcnt_dscnt 0x0
	v_mul_f64_e32 v[31:32], s[12:13], v[29:30]
	v_mul_f64_e32 v[29:30], s[10:11], v[29:30]
	s_delay_alu instid0(VALU_DEP_2) | instskip(NEXT) | instid1(VALU_DEP_2)
	v_fma_f64 v[31:32], s[10:11], v[27:28], -v[31:32]
	v_fma_f64 v[29:30], s[12:13], v[27:28], v[29:30]
	s_delay_alu instid0(VALU_DEP_2) | instskip(NEXT) | instid1(VALU_DEP_2)
	v_add_f64_e32 v[27:28], v[1:2], v[31:32]
	v_add_f64_e32 v[29:30], v[3:4], v[29:30]
	flat_store_b128 v[17:18], v[27:30]
.LBB428_24:                             ;   in Loop: Header=BB428_7 Depth=1
	s_wait_alu 0xfffe
	s_and_not1_b32 vcc_lo, exec_lo, s9
	s_wait_alu 0xfffe
	s_cbranch_vccnz .LBB428_26
; %bb.25:                               ;   in Loop: Header=BB428_7 Depth=1
	v_lshlrev_b64_e32 v[17:18], 4, v[7:8]
	s_delay_alu instid0(VALU_DEP_1) | instskip(SKIP_1) | instid1(VALU_DEP_2)
	v_add_co_u32 v15, vcc_lo, v15, v17
	s_wait_alu 0xfffd
	v_add_co_ci_u32_e64 v16, null, v16, v18, vcc_lo
	flat_store_b128 v[15:16], v[1:4]
.LBB428_26:                             ;   in Loop: Header=BB428_7 Depth=1
	s_wait_alu 0xfffe
	s_or_b32 exec_lo, exec_lo, s8
	v_add_co_u32 v15, vcc_lo, v13, v11
	s_wait_alu 0xfffd
	v_add_co_ci_u32_e64 v16, null, v14, v12, vcc_lo
	s_and_saveexec_b32 s8, s26
	s_cbranch_execz .LBB428_31
; %bb.27:                               ;   in Loop: Header=BB428_7 Depth=1
	v_mul_f64_e32 v[1:2], s[18:19], v[25:26]
	v_mul_f64_e32 v[3:4], s[16:17], v[25:26]
	v_lshlrev_b64_e32 v[13:14], 4, v[5:6]
	s_and_not1_b32 vcc_lo, exec_lo, s6
	s_mov_b32 s9, -1
	s_delay_alu instid0(VALU_DEP_3) | instskip(NEXT) | instid1(VALU_DEP_3)
	v_fma_f64 v[1:2], s[16:17], v[23:24], -v[1:2]
	v_fma_f64 v[3:4], s[18:19], v[23:24], v[3:4]
	s_wait_alu 0xfffe
	s_cbranch_vccnz .LBB428_29
; %bb.28:                               ;   in Loop: Header=BB428_7 Depth=1
	v_add_co_u32 v17, vcc_lo, v15, v13
	s_wait_alu 0xfffd
	v_add_co_ci_u32_e64 v18, null, v16, v14, vcc_lo
	s_mov_b32 s9, 0
	flat_load_b128 v[23:26], v[17:18]
	s_wait_loadcnt_dscnt 0x0
	v_mul_f64_e32 v[27:28], s[12:13], v[25:26]
	v_mul_f64_e32 v[25:26], s[10:11], v[25:26]
	s_delay_alu instid0(VALU_DEP_2) | instskip(NEXT) | instid1(VALU_DEP_2)
	v_fma_f64 v[27:28], s[10:11], v[23:24], -v[27:28]
	v_fma_f64 v[25:26], s[12:13], v[23:24], v[25:26]
	s_delay_alu instid0(VALU_DEP_2) | instskip(NEXT) | instid1(VALU_DEP_2)
	v_add_f64_e32 v[23:24], v[1:2], v[27:28]
	v_add_f64_e32 v[25:26], v[3:4], v[25:26]
	flat_store_b128 v[17:18], v[23:26]
.LBB428_29:                             ;   in Loop: Header=BB428_7 Depth=1
	s_wait_alu 0xfffe
	s_and_not1_b32 vcc_lo, exec_lo, s9
	s_wait_alu 0xfffe
	s_cbranch_vccnz .LBB428_31
; %bb.30:                               ;   in Loop: Header=BB428_7 Depth=1
	v_add_co_u32 v13, vcc_lo, v15, v13
	s_wait_alu 0xfffd
	v_add_co_ci_u32_e64 v14, null, v16, v14, vcc_lo
	flat_store_b128 v[13:14], v[1:4]
.LBB428_31:                             ;   in Loop: Header=BB428_7 Depth=1
	s_wait_alu 0xfffe
	s_or_b32 exec_lo, exec_lo, s8
	s_and_saveexec_b32 s8, s37
	s_cbranch_execz .LBB428_6
; %bb.32:                               ;   in Loop: Header=BB428_7 Depth=1
	v_mul_f64_e32 v[1:2], s[18:19], v[19:20]
	v_mul_f64_e32 v[3:4], s[16:17], v[19:20]
	v_lshlrev_b64_e32 v[13:14], 4, v[7:8]
	s_and_not1_b32 vcc_lo, exec_lo, s6
	s_mov_b32 s9, -1
	s_delay_alu instid0(VALU_DEP_3) | instskip(NEXT) | instid1(VALU_DEP_3)
	v_fma_f64 v[1:2], s[16:17], v[21:22], -v[1:2]
	v_fma_f64 v[3:4], s[18:19], v[21:22], v[3:4]
	s_wait_alu 0xfffe
	s_cbranch_vccnz .LBB428_34
; %bb.33:                               ;   in Loop: Header=BB428_7 Depth=1
	v_add_co_u32 v21, vcc_lo, v15, v13
	s_wait_alu 0xfffd
	v_add_co_ci_u32_e64 v22, null, v16, v14, vcc_lo
	s_mov_b32 s9, 0
	flat_load_b128 v[17:20], v[21:22]
	s_wait_loadcnt_dscnt 0x0
	v_mul_f64_e32 v[23:24], s[12:13], v[19:20]
	v_mul_f64_e32 v[19:20], s[10:11], v[19:20]
	s_delay_alu instid0(VALU_DEP_2) | instskip(NEXT) | instid1(VALU_DEP_2)
	v_fma_f64 v[23:24], s[10:11], v[17:18], -v[23:24]
	v_fma_f64 v[19:20], s[12:13], v[17:18], v[19:20]
	s_delay_alu instid0(VALU_DEP_2) | instskip(NEXT) | instid1(VALU_DEP_2)
	v_add_f64_e32 v[17:18], v[1:2], v[23:24]
	v_add_f64_e32 v[19:20], v[3:4], v[19:20]
	flat_store_b128 v[21:22], v[17:20]
.LBB428_34:                             ;   in Loop: Header=BB428_7 Depth=1
	s_wait_alu 0xfffe
	s_and_not1_b32 vcc_lo, exec_lo, s9
	s_wait_alu 0xfffe
	s_cbranch_vccnz .LBB428_6
; %bb.35:                               ;   in Loop: Header=BB428_7 Depth=1
	v_add_co_u32 v13, vcc_lo, v15, v13
	s_wait_alu 0xfffd
	v_add_co_ci_u32_e64 v14, null, v16, v14, vcc_lo
	flat_store_b128 v[13:14], v[1:4]
	s_branch .LBB428_6
.LBB428_36:
.LBB428_37:
	s_nop 0
	s_sendmsg sendmsg(MSG_DEALLOC_VGPRS)
	s_endpgm
	.section	.rodata,"a",@progbits
	.p2align	6, 0x0
	.amdhsa_kernel _ZL29rocblas_internal_gemmt_kernelIiLi16ELi32ELi8ELc84ELc67ELc76ELb0ELb1E19rocblas_complex_numIdES1_PKPKS1_PKPS1_EviT_T9_T10_S9_lSB_S9_lSA_T11_S9_li
		.amdhsa_group_segment_fixed_size 8192
		.amdhsa_private_segment_fixed_size 0
		.amdhsa_kernarg_size 116
		.amdhsa_user_sgpr_count 2
		.amdhsa_user_sgpr_dispatch_ptr 0
		.amdhsa_user_sgpr_queue_ptr 0
		.amdhsa_user_sgpr_kernarg_segment_ptr 1
		.amdhsa_user_sgpr_dispatch_id 0
		.amdhsa_user_sgpr_private_segment_size 0
		.amdhsa_wavefront_size32 1
		.amdhsa_uses_dynamic_stack 0
		.amdhsa_enable_private_segment 0
		.amdhsa_system_sgpr_workgroup_id_x 1
		.amdhsa_system_sgpr_workgroup_id_y 1
		.amdhsa_system_sgpr_workgroup_id_z 1
		.amdhsa_system_sgpr_workgroup_info 0
		.amdhsa_system_vgpr_workitem_id 1
		.amdhsa_next_free_vgpr 133
		.amdhsa_next_free_sgpr 41
		.amdhsa_reserve_vcc 1
		.amdhsa_float_round_mode_32 0
		.amdhsa_float_round_mode_16_64 0
		.amdhsa_float_denorm_mode_32 3
		.amdhsa_float_denorm_mode_16_64 3
		.amdhsa_fp16_overflow 0
		.amdhsa_workgroup_processor_mode 1
		.amdhsa_memory_ordered 1
		.amdhsa_forward_progress 1
		.amdhsa_inst_pref_size 27
		.amdhsa_round_robin_scheduling 0
		.amdhsa_exception_fp_ieee_invalid_op 0
		.amdhsa_exception_fp_denorm_src 0
		.amdhsa_exception_fp_ieee_div_zero 0
		.amdhsa_exception_fp_ieee_overflow 0
		.amdhsa_exception_fp_ieee_underflow 0
		.amdhsa_exception_fp_ieee_inexact 0
		.amdhsa_exception_int_div_zero 0
	.end_amdhsa_kernel
	.section	.text._ZL29rocblas_internal_gemmt_kernelIiLi16ELi32ELi8ELc84ELc67ELc76ELb0ELb1E19rocblas_complex_numIdES1_PKPKS1_PKPS1_EviT_T9_T10_S9_lSB_S9_lSA_T11_S9_li,"axG",@progbits,_ZL29rocblas_internal_gemmt_kernelIiLi16ELi32ELi8ELc84ELc67ELc76ELb0ELb1E19rocblas_complex_numIdES1_PKPKS1_PKPS1_EviT_T9_T10_S9_lSB_S9_lSA_T11_S9_li,comdat
.Lfunc_end428:
	.size	_ZL29rocblas_internal_gemmt_kernelIiLi16ELi32ELi8ELc84ELc67ELc76ELb0ELb1E19rocblas_complex_numIdES1_PKPKS1_PKPS1_EviT_T9_T10_S9_lSB_S9_lSA_T11_S9_li, .Lfunc_end428-_ZL29rocblas_internal_gemmt_kernelIiLi16ELi32ELi8ELc84ELc67ELc76ELb0ELb1E19rocblas_complex_numIdES1_PKPKS1_PKPS1_EviT_T9_T10_S9_lSB_S9_lSA_T11_S9_li
                                        ; -- End function
	.set _ZL29rocblas_internal_gemmt_kernelIiLi16ELi32ELi8ELc84ELc67ELc76ELb0ELb1E19rocblas_complex_numIdES1_PKPKS1_PKPS1_EviT_T9_T10_S9_lSB_S9_lSA_T11_S9_li.num_vgpr, 133
	.set _ZL29rocblas_internal_gemmt_kernelIiLi16ELi32ELi8ELc84ELc67ELc76ELb0ELb1E19rocblas_complex_numIdES1_PKPKS1_PKPS1_EviT_T9_T10_S9_lSB_S9_lSA_T11_S9_li.num_agpr, 0
	.set _ZL29rocblas_internal_gemmt_kernelIiLi16ELi32ELi8ELc84ELc67ELc76ELb0ELb1E19rocblas_complex_numIdES1_PKPKS1_PKPS1_EviT_T9_T10_S9_lSB_S9_lSA_T11_S9_li.numbered_sgpr, 41
	.set _ZL29rocblas_internal_gemmt_kernelIiLi16ELi32ELi8ELc84ELc67ELc76ELb0ELb1E19rocblas_complex_numIdES1_PKPKS1_PKPS1_EviT_T9_T10_S9_lSB_S9_lSA_T11_S9_li.num_named_barrier, 0
	.set _ZL29rocblas_internal_gemmt_kernelIiLi16ELi32ELi8ELc84ELc67ELc76ELb0ELb1E19rocblas_complex_numIdES1_PKPKS1_PKPS1_EviT_T9_T10_S9_lSB_S9_lSA_T11_S9_li.private_seg_size, 0
	.set _ZL29rocblas_internal_gemmt_kernelIiLi16ELi32ELi8ELc84ELc67ELc76ELb0ELb1E19rocblas_complex_numIdES1_PKPKS1_PKPS1_EviT_T9_T10_S9_lSB_S9_lSA_T11_S9_li.uses_vcc, 1
	.set _ZL29rocblas_internal_gemmt_kernelIiLi16ELi32ELi8ELc84ELc67ELc76ELb0ELb1E19rocblas_complex_numIdES1_PKPKS1_PKPS1_EviT_T9_T10_S9_lSB_S9_lSA_T11_S9_li.uses_flat_scratch, 0
	.set _ZL29rocblas_internal_gemmt_kernelIiLi16ELi32ELi8ELc84ELc67ELc76ELb0ELb1E19rocblas_complex_numIdES1_PKPKS1_PKPS1_EviT_T9_T10_S9_lSB_S9_lSA_T11_S9_li.has_dyn_sized_stack, 0
	.set _ZL29rocblas_internal_gemmt_kernelIiLi16ELi32ELi8ELc84ELc67ELc76ELb0ELb1E19rocblas_complex_numIdES1_PKPKS1_PKPS1_EviT_T9_T10_S9_lSB_S9_lSA_T11_S9_li.has_recursion, 0
	.set _ZL29rocblas_internal_gemmt_kernelIiLi16ELi32ELi8ELc84ELc67ELc76ELb0ELb1E19rocblas_complex_numIdES1_PKPKS1_PKPS1_EviT_T9_T10_S9_lSB_S9_lSA_T11_S9_li.has_indirect_call, 0
	.section	.AMDGPU.csdata,"",@progbits
; Kernel info:
; codeLenInByte = 3452
; TotalNumSgprs: 43
; NumVgprs: 133
; ScratchSize: 0
; MemoryBound: 1
; FloatMode: 240
; IeeeMode: 1
; LDSByteSize: 8192 bytes/workgroup (compile time only)
; SGPRBlocks: 0
; VGPRBlocks: 16
; NumSGPRsForWavesPerEU: 43
; NumVGPRsForWavesPerEU: 133
; Occupancy: 10
; WaveLimiterHint : 1
; COMPUTE_PGM_RSRC2:SCRATCH_EN: 0
; COMPUTE_PGM_RSRC2:USER_SGPR: 2
; COMPUTE_PGM_RSRC2:TRAP_HANDLER: 0
; COMPUTE_PGM_RSRC2:TGID_X_EN: 1
; COMPUTE_PGM_RSRC2:TGID_Y_EN: 1
; COMPUTE_PGM_RSRC2:TGID_Z_EN: 1
; COMPUTE_PGM_RSRC2:TIDIG_COMP_CNT: 1
	.section	.text._ZL29rocblas_internal_gemmt_kernelIiLi16ELi32ELi8ELc67ELc78ELc76ELb1ELb0E19rocblas_complex_numIdES1_PKPKS1_PKPS1_EviT_T9_T10_S9_lSB_S9_lSA_T11_S9_li,"axG",@progbits,_ZL29rocblas_internal_gemmt_kernelIiLi16ELi32ELi8ELc67ELc78ELc76ELb1ELb0E19rocblas_complex_numIdES1_PKPKS1_PKPS1_EviT_T9_T10_S9_lSB_S9_lSA_T11_S9_li,comdat
	.globl	_ZL29rocblas_internal_gemmt_kernelIiLi16ELi32ELi8ELc67ELc78ELc76ELb1ELb0E19rocblas_complex_numIdES1_PKPKS1_PKPS1_EviT_T9_T10_S9_lSB_S9_lSA_T11_S9_li ; -- Begin function _ZL29rocblas_internal_gemmt_kernelIiLi16ELi32ELi8ELc67ELc78ELc76ELb1ELb0E19rocblas_complex_numIdES1_PKPKS1_PKPS1_EviT_T9_T10_S9_lSB_S9_lSA_T11_S9_li
	.p2align	8
	.type	_ZL29rocblas_internal_gemmt_kernelIiLi16ELi32ELi8ELc67ELc78ELc76ELb1ELb0E19rocblas_complex_numIdES1_PKPKS1_PKPS1_EviT_T9_T10_S9_lSB_S9_lSA_T11_S9_li,@function
_ZL29rocblas_internal_gemmt_kernelIiLi16ELi32ELi8ELc67ELc78ELc76ELb1ELb0E19rocblas_complex_numIdES1_PKPKS1_PKPS1_EviT_T9_T10_S9_lSB_S9_lSA_T11_S9_li: ; @_ZL29rocblas_internal_gemmt_kernelIiLi16ELi32ELi8ELc67ELc78ELc76ELb1ELb0E19rocblas_complex_numIdES1_PKPKS1_PKPS1_EviT_T9_T10_S9_lSB_S9_lSA_T11_S9_li
; %bb.0:
	s_clause 0x2
	s_load_b256 s[8:15], s[0:1], 0x40
	s_load_b64 s[4:5], s[0:1], 0x0
	s_load_b128 s[16:19], s[0:1], 0x8
	s_wait_kmcnt 0x0
	v_cmp_eq_f64_e64 s2, s[10:11], 1.0
	v_cmp_eq_f64_e64 s28, s[12:13], 0
	s_and_b32 s2, s2, s28
	s_delay_alu instid0(SALU_CYCLE_1)
	s_and_not1_b32 vcc_lo, exec_lo, s2
	s_mov_b32 s2, -1
	s_cbranch_vccnz .LBB429_3
; %bb.1:
	s_cmp_lg_u32 s5, 0
	s_cbranch_scc0 .LBB429_36
; %bb.2:
	v_cmp_neq_f64_e64 s2, s[16:17], 0
	v_cmp_neq_f64_e64 s3, s[18:19], 0
	s_or_b32 s2, s2, s3
.LBB429_3:
	s_delay_alu instid0(SALU_CYCLE_1)
	s_and_b32 vcc_lo, exec_lo, s2
	s_cbranch_vccz .LBB429_37
; %bb.4:
	s_load_b32 s27, s[0:1], 0x70
	s_lshr_b32 s6, ttmp7, 16
	s_wait_kmcnt 0x0
	s_cmp_ge_u32 s6, s27
	s_cbranch_scc1 .LBB429_37
; %bb.5:
	v_cmp_neq_f64_e64 s29, s[16:17], 0
	v_cmp_neq_f64_e64 s33, s[18:19], 0
	v_and_b32_e32 v1, 0x3ff, v0
	v_bfe_u32 v2, v0, 10, 10
	s_clause 0x4
	s_load_b96 s[24:26], s[0:1], 0x18
	s_load_b128 s[20:23], s[0:1], 0x28
	s_load_b32 s35, s[0:1], 0x38
	s_load_b32 s36, s[0:1], 0x60
	s_load_b64 s[30:31], s[0:1], 0x68
	v_and_b32_e32 v35, 7, v0
	s_lshl_b32 s0, ttmp9, 5
	v_lshlrev_b32_e32 v36, 4, v1
	v_lshl_add_u32 v0, v2, 4, v1
	v_add_nc_u32_e32 v5, s0, v1
	v_lshlrev_b32_e32 v13, 4, v35
	s_lshl_b32 s1, ttmp7, 5
	v_cmp_neq_f64_e64 s34, s[10:11], 0
	v_lshrrev_b32_e32 v38, 5, v0
	v_and_b32_e32 v1, 31, v0
	v_lshrrev_b32_e32 v0, 3, v0
	s_wait_alu 0xfffe
	s_and_b32 s2, s1, 0x1fffe0
	v_add_nc_u32_e32 v7, 16, v5
	v_add_nc_u32_e32 v3, s2, v2
	v_or_b32_e32 v4, s0, v1
	v_lshlrev_b32_e32 v1, 4, v1
	v_add_nc_u32_e32 v9, s2, v0
	v_lshl_or_b32 v0, v0, 7, v13
	v_lshl_add_u32 v37, v2, 7, 0x1000
	v_cmp_le_i32_e32 vcc_lo, v3, v5
	v_cmp_le_i32_e64 s2, v3, v7
	v_cmp_gt_i32_e64 s0, s4, v4
	v_lshl_or_b32 v39, v38, 9, v1
	v_add_nc_u32_e32 v40, 0x1000, v0
	s_wait_kmcnt 0x0
	v_mad_co_i64_i32 v[1:2], null, v3, s36, 0
	v_add_nc_u32_e32 v0, 16, v3
	v_mad_co_i64_i32 v[3:4], null, s26, v4, 0
	v_cmp_gt_i32_e64 s1, s4, v5
	v_cmp_gt_i32_e64 s3, s4, v9
	v_mad_co_i64_i32 v[9:10], null, s35, v9, 0
	v_lshlrev_b32_e32 v14, 4, v38
	s_or_b32 s33, s29, s33
	s_cmp_gt_i32 s5, 0
	v_lshlrev_b64_e32 v[3:4], 4, v[3:4]
	s_cselect_b32 s37, -1, 0
	s_xor_b32 s29, s28, -1
	s_and_b32 s28, vcc_lo, s1
	v_cmp_gt_i32_e32 vcc_lo, s4, v7
	s_lshl_b64 s[20:21], s[20:21], 4
	v_mad_co_i64_i32 v[11:12], null, v0, s36, 0
	s_lshl_b64 s[8:9], s[8:9], 4
	s_and_b32 s26, s2, vcc_lo
	v_add_co_u32 v15, s2, v3, s20
	s_wait_alu 0xf1ff
	v_add_co_ci_u32_e64 v16, null, s21, v4, s2
	v_lshlrev_b64_e32 v[3:4], 4, v[9:10]
	s_delay_alu instid0(VALU_DEP_3) | instskip(SKIP_3) | instid1(VALU_DEP_4)
	v_add_co_u32 v9, s2, v15, v14
	v_cmp_le_i32_e64 s4, v0, v5
	s_wait_alu 0xf1ff
	v_add_co_ci_u32_e64 v41, null, 0, v16, s2
	v_add_co_u32 v3, s2, v3, s8
	s_wait_alu 0xf1ff
	v_add_co_ci_u32_e64 v4, null, s9, v4, s2
	s_and_b32 s4, s4, s1
	v_cmp_le_i32_e64 s1, v0, v7
	v_add_co_u32 v43, s2, v3, v13
	v_or_b32_e32 v42, 8, v9
	v_lshlrev_b64_e32 v[9:10], 4, v[1:2]
	v_lshlrev_b64_e32 v[11:12], 4, v[11:12]
	v_ashrrev_i32_e32 v6, 31, v5
	v_ashrrev_i32_e32 v8, 31, v7
	v_mov_b32_e32 v0, 0
	s_wait_alu 0xf1ff
	v_add_co_ci_u32_e64 v44, null, 0, v4, s2
	s_mov_b32 s7, 0
	s_or_b32 s29, s34, s29
	s_wait_alu 0xfffe
	s_and_b32 s20, s33, s37
	s_and_b32 s1, s1, vcc_lo
	s_xor_b32 s21, s3, -1
	s_lshl_b64 s[2:3], s[30:31], 4
	s_branch .LBB429_7
.LBB429_6:                              ;   in Loop: Header=BB429_7 Depth=1
	s_wait_alu 0xfffe
	s_or_b32 exec_lo, exec_lo, s8
	s_add_co_i32 s6, s6, 0x10000
	s_delay_alu instid0(SALU_CYCLE_1)
	s_cmp_lt_u32 s6, s27
	s_cbranch_scc0 .LBB429_37
.LBB429_7:                              ; =>This Loop Header: Depth=1
                                        ;     Child Loop BB429_10 Depth 2
	s_lshl_b64 s[8:9], s[6:7], 3
	v_mov_b32_e32 v31, 0
	s_wait_alu 0xfffe
	s_add_nc_u64 s[30:31], s[14:15], s[8:9]
	v_mov_b32_e32 v27, 0
	global_load_b64 v[13:14], v0, s[30:31]
	v_mov_b32_e32 v23, 0
	v_dual_mov_b32 v21, 0 :: v_dual_mov_b32 v32, 0
	v_dual_mov_b32 v33, 0 :: v_dual_mov_b32 v28, 0
	;; [unrolled: 1-line block ×5, first 2 shown]
	v_mov_b32_e32 v30, 0
	v_mov_b32_e32 v26, 0
	;; [unrolled: 1-line block ×3, first 2 shown]
	s_and_not1_b32 vcc_lo, exec_lo, s20
	s_wait_alu 0xfffe
	s_cbranch_vccnz .LBB429_16
; %bb.8:                                ;   in Loop: Header=BB429_7 Depth=1
	s_add_nc_u64 s[30:31], s[24:25], s[8:9]
	s_add_nc_u64 s[8:9], s[22:23], s[8:9]
	s_clause 0x1
	global_load_b64 v[1:2], v0, s[30:31]
	global_load_b64 v[3:4], v0, s[8:9]
	v_mov_b32_e32 v19, 0
	v_mov_b32_e32 v25, 0
	;; [unrolled: 1-line block ×3, first 2 shown]
	v_dual_mov_b32 v33, 0 :: v_dual_mov_b32 v20, 0
	v_dual_mov_b32 v21, 0 :: v_dual_mov_b32 v26, 0
	;; [unrolled: 1-line block ×5, first 2 shown]
	v_mov_b32_e32 v24, 0
	v_mov_b32_e32 v28, 0
	;; [unrolled: 1-line block ×3, first 2 shown]
	s_mov_b32 s8, 0
	s_wait_loadcnt 0x1
	v_add_co_u32 v15, vcc_lo, v1, v42
	s_wait_alu 0xfffd
	v_add_co_ci_u32_e64 v16, null, v2, v41, vcc_lo
	s_wait_loadcnt 0x0
	v_add_co_u32 v17, vcc_lo, v3, v43
	s_wait_alu 0xfffd
	v_add_co_ci_u32_e64 v18, null, v4, v44, vcc_lo
	s_branch .LBB429_10
.LBB429_9:                              ;   in Loop: Header=BB429_10 Depth=2
	s_wait_alu 0xfffe
	s_or_b32 exec_lo, exec_lo, s9
	s_wait_dscnt 0x0
	s_barrier_signal -1
	s_barrier_wait -1
	global_inv scope:SCOPE_SE
	ds_load_b128 v[1:4], v37
	ds_load_b128 v[45:48], v36
	ds_load_b128 v[49:52], v36 offset:256
	ds_load_b128 v[53:56], v37 offset:2048
	ds_load_b128 v[57:60], v37 offset:16
	ds_load_b128 v[61:64], v37 offset:2064
	ds_load_b128 v[65:68], v36 offset:512
	ds_load_b128 v[69:72], v36 offset:768
	ds_load_b128 v[73:76], v37 offset:32
	ds_load_b128 v[77:80], v36 offset:1024
	ds_load_b128 v[81:84], v36 offset:1280
	ds_load_b128 v[85:88], v37 offset:2080
	v_add_co_u32 v15, vcc_lo, 0x80, v15
	s_wait_alu 0xfffd
	v_add_co_ci_u32_e64 v16, null, 0, v16, vcc_lo
	v_add_co_u32 v17, vcc_lo, 0x80, v17
	s_wait_alu 0xfffd
	v_add_co_ci_u32_e64 v18, null, 0, v18, vcc_lo
	s_add_co_i32 s8, s8, 8
	s_wait_alu 0xfffe
	s_cmp_lt_i32 s8, s5
	s_wait_dscnt 0xa
	v_mul_f64_e32 v[89:90], v[3:4], v[47:48]
	v_mul_f64_e32 v[91:92], v[1:2], v[47:48]
	s_wait_dscnt 0x9
	v_mul_f64_e32 v[93:94], v[3:4], v[51:52]
	v_mul_f64_e32 v[95:96], v[1:2], v[51:52]
	;; [unrolled: 3-line block ×3, first 2 shown]
	v_mul_f64_e32 v[99:100], v[55:56], v[51:52]
	v_mul_f64_e32 v[51:52], v[53:54], v[51:52]
	s_wait_dscnt 0x5
	v_mul_f64_e32 v[101:102], v[59:60], v[67:68]
	v_mul_f64_e32 v[103:104], v[57:58], v[67:68]
	s_wait_dscnt 0x4
	v_mul_f64_e32 v[105:106], v[59:60], v[71:72]
	v_mul_f64_e32 v[107:108], v[57:58], v[71:72]
	;; [unrolled: 1-line block ×6, first 2 shown]
	s_wait_dscnt 0x2
	v_mul_f64_e32 v[117:118], v[75:76], v[79:80]
	v_mul_f64_e32 v[119:120], v[73:74], v[79:80]
	s_wait_dscnt 0x1
	v_mul_f64_e32 v[121:122], v[75:76], v[83:84]
	v_mul_f64_e32 v[123:124], v[73:74], v[83:84]
	;; [unrolled: 3-line block ×3, first 2 shown]
	v_mul_f64_e32 v[127:128], v[87:88], v[83:84]
	v_mul_f64_e32 v[83:84], v[85:86], v[83:84]
	v_fma_f64 v[89:90], v[1:2], v[45:46], -v[89:90]
	v_fma_f64 v[91:92], v[3:4], v[45:46], v[91:92]
	v_fma_f64 v[93:94], v[1:2], v[49:50], -v[93:94]
	v_fma_f64 v[95:96], v[3:4], v[49:50], v[95:96]
	v_fma_f64 v[97:98], v[53:54], v[45:46], -v[97:98]
	v_fma_f64 v[113:114], v[55:56], v[45:46], v[47:48]
	v_fma_f64 v[99:100], v[53:54], v[49:50], -v[99:100]
	v_fma_f64 v[115:116], v[55:56], v[49:50], v[51:52]
	v_fma_f64 v[101:102], v[57:58], v[65:66], -v[101:102]
	v_fma_f64 v[103:104], v[59:60], v[65:66], v[103:104]
	v_fma_f64 v[57:58], v[57:58], v[69:70], -v[105:106]
	v_fma_f64 v[59:60], v[59:60], v[69:70], v[107:108]
	v_fma_f64 v[105:106], v[61:62], v[65:66], -v[109:110]
	v_fma_f64 v[65:66], v[63:64], v[65:66], v[67:68]
	v_fma_f64 v[61:62], v[61:62], v[69:70], -v[111:112]
	v_fma_f64 v[63:64], v[63:64], v[69:70], v[71:72]
	ds_load_b128 v[1:4], v37 offset:48
	ds_load_b128 v[45:48], v37 offset:2096
	;; [unrolled: 1-line block ×4, first 2 shown]
	v_fma_f64 v[117:118], v[73:74], v[77:78], -v[117:118]
	v_fma_f64 v[119:120], v[75:76], v[77:78], v[119:120]
	v_fma_f64 v[73:74], v[73:74], v[81:82], -v[121:122]
	v_fma_f64 v[75:76], v[75:76], v[81:82], v[123:124]
	;; [unrolled: 2-line block ×4, first 2 shown]
	s_wait_dscnt 0x1
	v_mul_f64_e32 v[107:108], v[1:2], v[51:52]
	s_wait_dscnt 0x0
	v_mul_f64_e32 v[109:110], v[3:4], v[55:56]
	v_mul_f64_e32 v[111:112], v[1:2], v[55:56]
	v_add_f64_e32 v[67:68], v[31:32], v[89:90]
	v_add_f64_e32 v[69:70], v[91:92], v[33:34]
	;; [unrolled: 1-line block ×8, first 2 shown]
	v_mul_f64_e32 v[99:100], v[3:4], v[51:52]
	v_mul_f64_e32 v[113:114], v[47:48], v[51:52]
	;; [unrolled: 1-line block ×5, first 2 shown]
	ds_load_b128 v[19:22], v37 offset:64
	ds_load_b128 v[23:26], v36 offset:2048
	;; [unrolled: 1-line block ×4, first 2 shown]
	s_wait_dscnt 0x0
	v_mul_f64_e32 v[123:124], v[33:34], v[25:26]
	v_mul_f64_e32 v[125:126], v[33:34], v[29:30]
	v_fma_f64 v[107:108], v[3:4], v[49:50], v[107:108]
	v_fma_f64 v[109:110], v[1:2], v[53:54], -v[109:110]
	v_fma_f64 v[111:112], v[3:4], v[53:54], v[111:112]
	v_add_f64_e32 v[83:84], v[67:68], v[101:102]
	v_add_f64_e32 v[85:86], v[103:104], v[69:70]
	;; [unrolled: 1-line block ×8, first 2 shown]
	v_mul_f64_e32 v[97:98], v[21:22], v[25:26]
	v_mul_f64_e32 v[101:102], v[19:20], v[25:26]
	;; [unrolled: 1-line block ×6, first 2 shown]
	v_fma_f64 v[99:100], v[1:2], v[49:50], -v[99:100]
	v_fma_f64 v[113:114], v[45:46], v[49:50], -v[113:114]
	v_fma_f64 v[127:128], v[47:48], v[49:50], v[51:52]
	v_fma_f64 v[115:116], v[45:46], v[53:54], -v[115:116]
	v_fma_f64 v[53:54], v[47:48], v[53:54], v[129:130]
	ds_load_b128 v[55:58], v37 offset:80
	ds_load_b128 v[59:62], v37 offset:2128
	;; [unrolled: 1-line block ×4, first 2 shown]
	v_fma_f64 v[123:124], v[31:32], v[23:24], -v[123:124]
	v_fma_f64 v[125:126], v[31:32], v[27:28], -v[125:126]
	v_add_f64_e32 v[83:84], v[83:84], v[117:118]
	v_add_f64_e32 v[85:86], v[119:120], v[85:86]
	;; [unrolled: 1-line block ×8, first 2 shown]
	s_wait_dscnt 0x1
	v_mul_f64_e32 v[89:90], v[57:58], v[65:66]
	v_mul_f64_e32 v[91:92], v[55:56], v[65:66]
	s_wait_dscnt 0x0
	v_mul_f64_e32 v[93:94], v[57:58], v[69:70]
	v_mul_f64_e32 v[95:96], v[55:56], v[69:70]
	;; [unrolled: 1-line block ×6, first 2 shown]
	v_fma_f64 v[97:98], v[19:20], v[23:24], -v[97:98]
	v_fma_f64 v[101:102], v[21:22], v[23:24], v[101:102]
	v_fma_f64 v[103:104], v[19:20], v[27:28], -v[103:104]
	v_fma_f64 v[105:106], v[21:22], v[27:28], v[105:106]
	v_fma_f64 v[129:130], v[33:34], v[23:24], v[25:26]
	;; [unrolled: 1-line block ×3, first 2 shown]
	ds_load_b128 v[1:4], v37 offset:96
	ds_load_b128 v[45:48], v36 offset:3072
	;; [unrolled: 1-line block ×8, first 2 shown]
	s_wait_loadcnt_dscnt 0x0
	s_barrier_signal -1
	s_barrier_wait -1
	global_inv scope:SCOPE_SE
	v_add_f64_e32 v[83:84], v[83:84], v[99:100]
	v_add_f64_e32 v[85:86], v[107:108], v[85:86]
	;; [unrolled: 1-line block ×8, first 2 shown]
	v_mul_f64_e32 v[81:82], v[3:4], v[47:48]
	v_mul_f64_e32 v[107:108], v[1:2], v[47:48]
	;; [unrolled: 1-line block ×8, first 2 shown]
	v_fma_f64 v[89:90], v[55:56], v[63:64], -v[89:90]
	v_fma_f64 v[91:92], v[57:58], v[63:64], v[91:92]
	v_fma_f64 v[55:56], v[55:56], v[67:68], -v[93:94]
	v_fma_f64 v[57:58], v[57:58], v[67:68], v[95:96]
	;; [unrolled: 2-line block ×4, first 2 shown]
	v_mul_f64_e32 v[95:96], v[21:22], v[33:34]
	v_add_f64_e32 v[65:66], v[83:84], v[97:98]
	v_add_f64_e32 v[67:68], v[101:102], v[85:86]
	;; [unrolled: 1-line block ×8, first 2 shown]
	v_mul_f64_e32 v[85:86], v[21:22], v[29:30]
	v_mul_f64_e32 v[87:88], v[19:20], v[29:30]
	;; [unrolled: 1-line block ×7, first 2 shown]
	v_fma_f64 v[81:82], v[1:2], v[45:46], -v[81:82]
	v_fma_f64 v[103:104], v[3:4], v[45:46], v[107:108]
	v_fma_f64 v[1:2], v[1:2], v[49:50], -v[109:110]
	v_fma_f64 v[3:4], v[3:4], v[49:50], v[111:112]
	;; [unrolled: 2-line block ×4, first 2 shown]
	v_add_f64_e32 v[51:52], v[65:66], v[89:90]
	v_add_f64_e32 v[65:66], v[91:92], v[67:68]
	;; [unrolled: 1-line block ×8, first 2 shown]
	v_fma_f64 v[61:62], v[19:20], v[27:28], -v[85:86]
	v_fma_f64 v[69:70], v[21:22], v[27:28], v[87:88]
	v_fma_f64 v[19:20], v[19:20], v[31:32], -v[95:96]
	v_fma_f64 v[21:22], v[21:22], v[31:32], v[97:98]
	;; [unrolled: 2-line block ×4, first 2 shown]
	v_add_f64_e32 v[23:24], v[51:52], v[81:82]
	v_add_f64_e32 v[25:26], v[103:104], v[65:66]
	;; [unrolled: 1-line block ×16, first 2 shown]
	s_cbranch_scc0 .LBB429_16
.LBB429_10:                             ;   Parent Loop BB429_7 Depth=1
                                        ; =>  This Inner Loop Header: Depth=2
	s_wait_alu 0xfffe
	v_add_nc_u32_e32 v1, s8, v38
	v_mov_b32_e32 v3, 0
	v_mov_b32_e32 v4, 0
	s_delay_alu instid0(VALU_DEP_3) | instskip(SKIP_3) | instid1(SALU_CYCLE_1)
	v_cmp_gt_i32_e32 vcc_lo, s5, v1
	v_mov_b32_e32 v1, 0
	v_mov_b32_e32 v2, 0
	s_and_b32 s30, s0, vcc_lo
	s_and_saveexec_b32 s9, s30
	s_cbranch_execz .LBB429_12
; %bb.11:                               ;   in Loop: Header=BB429_10 Depth=2
	flat_load_b128 v[1:4], v[15:16] offset:-8
	s_wait_loadcnt_dscnt 0x0
	v_xor_b32_e32 v4, 0x80000000, v4
.LBB429_12:                             ;   in Loop: Header=BB429_10 Depth=2
	s_wait_alu 0xfffe
	s_or_b32 exec_lo, exec_lo, s9
	v_add_nc_u32_e32 v45, s8, v35
	ds_store_b128 v39, v[1:4]
	v_cmp_le_i32_e32 vcc_lo, s5, v45
	s_or_b32 s9, vcc_lo, s21
	s_wait_alu 0xfffe
	s_and_saveexec_b32 s30, s9
	s_delay_alu instid0(SALU_CYCLE_1)
	s_xor_b32 s9, exec_lo, s30
; %bb.13:                               ;   in Loop: Header=BB429_10 Depth=2
	v_dual_mov_b32 v1, v0 :: v_dual_mov_b32 v2, v0
	v_mov_b32_e32 v3, v0
	ds_store_b128 v40, v[0:3]
; %bb.14:                               ;   in Loop: Header=BB429_10 Depth=2
	s_wait_alu 0xfffe
	s_and_not1_saveexec_b32 s9, s9
	s_cbranch_execz .LBB429_9
; %bb.15:                               ;   in Loop: Header=BB429_10 Depth=2
	flat_load_b128 v[1:4], v[17:18]
	s_wait_loadcnt_dscnt 0x0
	ds_store_2addr_b64 v40, v[1:2], v[3:4] offset1:1
	s_branch .LBB429_9
.LBB429_16:                             ;   in Loop: Header=BB429_7 Depth=1
	s_wait_loadcnt 0x0
	v_add_co_u32 v13, vcc_lo, v13, s2
	s_wait_alu 0xfffd
	v_add_co_ci_u32_e64 v14, null, s3, v14, vcc_lo
	s_delay_alu instid0(VALU_DEP_2) | instskip(SKIP_1) | instid1(VALU_DEP_2)
	v_add_co_u32 v15, vcc_lo, v13, v9
	s_wait_alu 0xfffd
	v_add_co_ci_u32_e64 v16, null, v14, v10, vcc_lo
	s_and_saveexec_b32 s8, s28
	s_cbranch_execz .LBB429_21
; %bb.17:                               ;   in Loop: Header=BB429_7 Depth=1
	v_mul_f64_e32 v[1:2], s[18:19], v[33:34]
	v_mul_f64_e32 v[3:4], s[16:17], v[33:34]
	s_and_b32 vcc_lo, exec_lo, s29
	s_mov_b32 s9, -1
	s_delay_alu instid0(VALU_DEP_2) | instskip(NEXT) | instid1(VALU_DEP_2)
	v_fma_f64 v[1:2], s[16:17], v[31:32], -v[1:2]
	v_fma_f64 v[3:4], s[18:19], v[31:32], v[3:4]
	s_wait_alu 0xfffe
	s_cbranch_vccz .LBB429_19
; %bb.18:                               ;   in Loop: Header=BB429_7 Depth=1
	v_lshlrev_b64_e32 v[17:18], 4, v[5:6]
	s_mov_b32 s9, 0
	s_delay_alu instid0(VALU_DEP_1) | instskip(SKIP_1) | instid1(VALU_DEP_2)
	v_add_co_u32 v17, vcc_lo, v15, v17
	s_wait_alu 0xfffd
	v_add_co_ci_u32_e64 v18, null, v16, v18, vcc_lo
	flat_load_b128 v[31:34], v[17:18]
	s_wait_loadcnt_dscnt 0x0
	v_mul_f64_e32 v[45:46], s[12:13], v[33:34]
	v_mul_f64_e32 v[33:34], s[10:11], v[33:34]
	s_delay_alu instid0(VALU_DEP_2) | instskip(NEXT) | instid1(VALU_DEP_2)
	v_fma_f64 v[45:46], s[10:11], v[31:32], -v[45:46]
	v_fma_f64 v[33:34], s[12:13], v[31:32], v[33:34]
	s_delay_alu instid0(VALU_DEP_2) | instskip(NEXT) | instid1(VALU_DEP_2)
	v_add_f64_e32 v[31:32], v[1:2], v[45:46]
	v_add_f64_e32 v[33:34], v[3:4], v[33:34]
	flat_store_b128 v[17:18], v[31:34]
.LBB429_19:                             ;   in Loop: Header=BB429_7 Depth=1
	s_wait_alu 0xfffe
	s_and_not1_b32 vcc_lo, exec_lo, s9
	s_wait_alu 0xfffe
	s_cbranch_vccnz .LBB429_21
; %bb.20:                               ;   in Loop: Header=BB429_7 Depth=1
	v_lshlrev_b64_e32 v[17:18], 4, v[5:6]
	s_delay_alu instid0(VALU_DEP_1) | instskip(SKIP_1) | instid1(VALU_DEP_2)
	v_add_co_u32 v17, vcc_lo, v15, v17
	s_wait_alu 0xfffd
	v_add_co_ci_u32_e64 v18, null, v16, v18, vcc_lo
	flat_store_b128 v[17:18], v[1:4]
.LBB429_21:                             ;   in Loop: Header=BB429_7 Depth=1
	s_wait_alu 0xfffe
	s_or_b32 exec_lo, exec_lo, s8
	s_and_saveexec_b32 s8, s26
	s_cbranch_execz .LBB429_26
; %bb.22:                               ;   in Loop: Header=BB429_7 Depth=1
	v_mul_f64_e32 v[1:2], s[18:19], v[29:30]
	v_mul_f64_e32 v[3:4], s[16:17], v[29:30]
	s_and_not1_b32 vcc_lo, exec_lo, s29
	s_mov_b32 s9, -1
	s_delay_alu instid0(VALU_DEP_2) | instskip(NEXT) | instid1(VALU_DEP_2)
	v_fma_f64 v[1:2], s[16:17], v[27:28], -v[1:2]
	v_fma_f64 v[3:4], s[18:19], v[27:28], v[3:4]
	s_wait_alu 0xfffe
	s_cbranch_vccnz .LBB429_24
; %bb.23:                               ;   in Loop: Header=BB429_7 Depth=1
	v_lshlrev_b64_e32 v[17:18], 4, v[7:8]
	s_mov_b32 s9, 0
	s_delay_alu instid0(VALU_DEP_1) | instskip(SKIP_1) | instid1(VALU_DEP_2)
	v_add_co_u32 v17, vcc_lo, v15, v17
	s_wait_alu 0xfffd
	v_add_co_ci_u32_e64 v18, null, v16, v18, vcc_lo
	flat_load_b128 v[27:30], v[17:18]
	s_wait_loadcnt_dscnt 0x0
	v_mul_f64_e32 v[31:32], s[12:13], v[29:30]
	v_mul_f64_e32 v[29:30], s[10:11], v[29:30]
	s_delay_alu instid0(VALU_DEP_2) | instskip(NEXT) | instid1(VALU_DEP_2)
	v_fma_f64 v[31:32], s[10:11], v[27:28], -v[31:32]
	v_fma_f64 v[29:30], s[12:13], v[27:28], v[29:30]
	s_delay_alu instid0(VALU_DEP_2) | instskip(NEXT) | instid1(VALU_DEP_2)
	v_add_f64_e32 v[27:28], v[1:2], v[31:32]
	v_add_f64_e32 v[29:30], v[3:4], v[29:30]
	flat_store_b128 v[17:18], v[27:30]
.LBB429_24:                             ;   in Loop: Header=BB429_7 Depth=1
	s_wait_alu 0xfffe
	s_and_not1_b32 vcc_lo, exec_lo, s9
	s_wait_alu 0xfffe
	s_cbranch_vccnz .LBB429_26
; %bb.25:                               ;   in Loop: Header=BB429_7 Depth=1
	v_lshlrev_b64_e32 v[17:18], 4, v[7:8]
	s_delay_alu instid0(VALU_DEP_1) | instskip(SKIP_1) | instid1(VALU_DEP_2)
	v_add_co_u32 v15, vcc_lo, v15, v17
	s_wait_alu 0xfffd
	v_add_co_ci_u32_e64 v16, null, v16, v18, vcc_lo
	flat_store_b128 v[15:16], v[1:4]
.LBB429_26:                             ;   in Loop: Header=BB429_7 Depth=1
	s_wait_alu 0xfffe
	s_or_b32 exec_lo, exec_lo, s8
	v_add_co_u32 v15, vcc_lo, v13, v11
	s_wait_alu 0xfffd
	v_add_co_ci_u32_e64 v16, null, v14, v12, vcc_lo
	s_and_saveexec_b32 s8, s4
	s_cbranch_execz .LBB429_31
; %bb.27:                               ;   in Loop: Header=BB429_7 Depth=1
	v_mul_f64_e32 v[1:2], s[18:19], v[25:26]
	v_mul_f64_e32 v[3:4], s[16:17], v[25:26]
	v_lshlrev_b64_e32 v[13:14], 4, v[5:6]
	s_and_not1_b32 vcc_lo, exec_lo, s29
	s_mov_b32 s9, -1
	s_delay_alu instid0(VALU_DEP_3) | instskip(NEXT) | instid1(VALU_DEP_3)
	v_fma_f64 v[1:2], s[16:17], v[23:24], -v[1:2]
	v_fma_f64 v[3:4], s[18:19], v[23:24], v[3:4]
	s_wait_alu 0xfffe
	s_cbranch_vccnz .LBB429_29
; %bb.28:                               ;   in Loop: Header=BB429_7 Depth=1
	v_add_co_u32 v17, vcc_lo, v15, v13
	s_wait_alu 0xfffd
	v_add_co_ci_u32_e64 v18, null, v16, v14, vcc_lo
	s_mov_b32 s9, 0
	flat_load_b128 v[23:26], v[17:18]
	s_wait_loadcnt_dscnt 0x0
	v_mul_f64_e32 v[27:28], s[12:13], v[25:26]
	v_mul_f64_e32 v[25:26], s[10:11], v[25:26]
	s_delay_alu instid0(VALU_DEP_2) | instskip(NEXT) | instid1(VALU_DEP_2)
	v_fma_f64 v[27:28], s[10:11], v[23:24], -v[27:28]
	v_fma_f64 v[25:26], s[12:13], v[23:24], v[25:26]
	s_delay_alu instid0(VALU_DEP_2) | instskip(NEXT) | instid1(VALU_DEP_2)
	v_add_f64_e32 v[23:24], v[1:2], v[27:28]
	v_add_f64_e32 v[25:26], v[3:4], v[25:26]
	flat_store_b128 v[17:18], v[23:26]
.LBB429_29:                             ;   in Loop: Header=BB429_7 Depth=1
	s_wait_alu 0xfffe
	s_and_not1_b32 vcc_lo, exec_lo, s9
	s_wait_alu 0xfffe
	s_cbranch_vccnz .LBB429_31
; %bb.30:                               ;   in Loop: Header=BB429_7 Depth=1
	v_add_co_u32 v13, vcc_lo, v15, v13
	s_wait_alu 0xfffd
	v_add_co_ci_u32_e64 v14, null, v16, v14, vcc_lo
	flat_store_b128 v[13:14], v[1:4]
.LBB429_31:                             ;   in Loop: Header=BB429_7 Depth=1
	s_wait_alu 0xfffe
	s_or_b32 exec_lo, exec_lo, s8
	s_and_saveexec_b32 s8, s1
	s_cbranch_execz .LBB429_6
; %bb.32:                               ;   in Loop: Header=BB429_7 Depth=1
	v_mul_f64_e32 v[1:2], s[18:19], v[19:20]
	v_mul_f64_e32 v[3:4], s[16:17], v[19:20]
	v_lshlrev_b64_e32 v[13:14], 4, v[7:8]
	s_and_not1_b32 vcc_lo, exec_lo, s29
	s_mov_b32 s9, -1
	s_delay_alu instid0(VALU_DEP_3) | instskip(NEXT) | instid1(VALU_DEP_3)
	v_fma_f64 v[1:2], s[16:17], v[21:22], -v[1:2]
	v_fma_f64 v[3:4], s[18:19], v[21:22], v[3:4]
	s_wait_alu 0xfffe
	s_cbranch_vccnz .LBB429_34
; %bb.33:                               ;   in Loop: Header=BB429_7 Depth=1
	v_add_co_u32 v21, vcc_lo, v15, v13
	s_wait_alu 0xfffd
	v_add_co_ci_u32_e64 v22, null, v16, v14, vcc_lo
	s_mov_b32 s9, 0
	flat_load_b128 v[17:20], v[21:22]
	s_wait_loadcnt_dscnt 0x0
	v_mul_f64_e32 v[23:24], s[12:13], v[19:20]
	v_mul_f64_e32 v[19:20], s[10:11], v[19:20]
	s_delay_alu instid0(VALU_DEP_2) | instskip(NEXT) | instid1(VALU_DEP_2)
	v_fma_f64 v[23:24], s[10:11], v[17:18], -v[23:24]
	v_fma_f64 v[19:20], s[12:13], v[17:18], v[19:20]
	s_delay_alu instid0(VALU_DEP_2) | instskip(NEXT) | instid1(VALU_DEP_2)
	v_add_f64_e32 v[17:18], v[1:2], v[23:24]
	v_add_f64_e32 v[19:20], v[3:4], v[19:20]
	flat_store_b128 v[21:22], v[17:20]
.LBB429_34:                             ;   in Loop: Header=BB429_7 Depth=1
	s_wait_alu 0xfffe
	s_and_not1_b32 vcc_lo, exec_lo, s9
	s_wait_alu 0xfffe
	s_cbranch_vccnz .LBB429_6
; %bb.35:                               ;   in Loop: Header=BB429_7 Depth=1
	v_add_co_u32 v13, vcc_lo, v15, v13
	s_wait_alu 0xfffd
	v_add_co_ci_u32_e64 v14, null, v16, v14, vcc_lo
	flat_store_b128 v[13:14], v[1:4]
	s_branch .LBB429_6
.LBB429_36:
.LBB429_37:
	s_nop 0
	s_sendmsg sendmsg(MSG_DEALLOC_VGPRS)
	s_endpgm
	.section	.rodata,"a",@progbits
	.p2align	6, 0x0
	.amdhsa_kernel _ZL29rocblas_internal_gemmt_kernelIiLi16ELi32ELi8ELc67ELc78ELc76ELb1ELb0E19rocblas_complex_numIdES1_PKPKS1_PKPS1_EviT_T9_T10_S9_lSB_S9_lSA_T11_S9_li
		.amdhsa_group_segment_fixed_size 8192
		.amdhsa_private_segment_fixed_size 0
		.amdhsa_kernarg_size 116
		.amdhsa_user_sgpr_count 2
		.amdhsa_user_sgpr_dispatch_ptr 0
		.amdhsa_user_sgpr_queue_ptr 0
		.amdhsa_user_sgpr_kernarg_segment_ptr 1
		.amdhsa_user_sgpr_dispatch_id 0
		.amdhsa_user_sgpr_private_segment_size 0
		.amdhsa_wavefront_size32 1
		.amdhsa_uses_dynamic_stack 0
		.amdhsa_enable_private_segment 0
		.amdhsa_system_sgpr_workgroup_id_x 1
		.amdhsa_system_sgpr_workgroup_id_y 1
		.amdhsa_system_sgpr_workgroup_id_z 1
		.amdhsa_system_sgpr_workgroup_info 0
		.amdhsa_system_vgpr_workitem_id 1
		.amdhsa_next_free_vgpr 133
		.amdhsa_next_free_sgpr 38
		.amdhsa_reserve_vcc 1
		.amdhsa_float_round_mode_32 0
		.amdhsa_float_round_mode_16_64 0
		.amdhsa_float_denorm_mode_32 3
		.amdhsa_float_denorm_mode_16_64 3
		.amdhsa_fp16_overflow 0
		.amdhsa_workgroup_processor_mode 1
		.amdhsa_memory_ordered 1
		.amdhsa_forward_progress 1
		.amdhsa_inst_pref_size 27
		.amdhsa_round_robin_scheduling 0
		.amdhsa_exception_fp_ieee_invalid_op 0
		.amdhsa_exception_fp_denorm_src 0
		.amdhsa_exception_fp_ieee_div_zero 0
		.amdhsa_exception_fp_ieee_overflow 0
		.amdhsa_exception_fp_ieee_underflow 0
		.amdhsa_exception_fp_ieee_inexact 0
		.amdhsa_exception_int_div_zero 0
	.end_amdhsa_kernel
	.section	.text._ZL29rocblas_internal_gemmt_kernelIiLi16ELi32ELi8ELc67ELc78ELc76ELb1ELb0E19rocblas_complex_numIdES1_PKPKS1_PKPS1_EviT_T9_T10_S9_lSB_S9_lSA_T11_S9_li,"axG",@progbits,_ZL29rocblas_internal_gemmt_kernelIiLi16ELi32ELi8ELc67ELc78ELc76ELb1ELb0E19rocblas_complex_numIdES1_PKPKS1_PKPS1_EviT_T9_T10_S9_lSB_S9_lSA_T11_S9_li,comdat
.Lfunc_end429:
	.size	_ZL29rocblas_internal_gemmt_kernelIiLi16ELi32ELi8ELc67ELc78ELc76ELb1ELb0E19rocblas_complex_numIdES1_PKPKS1_PKPS1_EviT_T9_T10_S9_lSB_S9_lSA_T11_S9_li, .Lfunc_end429-_ZL29rocblas_internal_gemmt_kernelIiLi16ELi32ELi8ELc67ELc78ELc76ELb1ELb0E19rocblas_complex_numIdES1_PKPKS1_PKPS1_EviT_T9_T10_S9_lSB_S9_lSA_T11_S9_li
                                        ; -- End function
	.set _ZL29rocblas_internal_gemmt_kernelIiLi16ELi32ELi8ELc67ELc78ELc76ELb1ELb0E19rocblas_complex_numIdES1_PKPKS1_PKPS1_EviT_T9_T10_S9_lSB_S9_lSA_T11_S9_li.num_vgpr, 133
	.set _ZL29rocblas_internal_gemmt_kernelIiLi16ELi32ELi8ELc67ELc78ELc76ELb1ELb0E19rocblas_complex_numIdES1_PKPKS1_PKPS1_EviT_T9_T10_S9_lSB_S9_lSA_T11_S9_li.num_agpr, 0
	.set _ZL29rocblas_internal_gemmt_kernelIiLi16ELi32ELi8ELc67ELc78ELc76ELb1ELb0E19rocblas_complex_numIdES1_PKPKS1_PKPS1_EviT_T9_T10_S9_lSB_S9_lSA_T11_S9_li.numbered_sgpr, 38
	.set _ZL29rocblas_internal_gemmt_kernelIiLi16ELi32ELi8ELc67ELc78ELc76ELb1ELb0E19rocblas_complex_numIdES1_PKPKS1_PKPS1_EviT_T9_T10_S9_lSB_S9_lSA_T11_S9_li.num_named_barrier, 0
	.set _ZL29rocblas_internal_gemmt_kernelIiLi16ELi32ELi8ELc67ELc78ELc76ELb1ELb0E19rocblas_complex_numIdES1_PKPKS1_PKPS1_EviT_T9_T10_S9_lSB_S9_lSA_T11_S9_li.private_seg_size, 0
	.set _ZL29rocblas_internal_gemmt_kernelIiLi16ELi32ELi8ELc67ELc78ELc76ELb1ELb0E19rocblas_complex_numIdES1_PKPKS1_PKPS1_EviT_T9_T10_S9_lSB_S9_lSA_T11_S9_li.uses_vcc, 1
	.set _ZL29rocblas_internal_gemmt_kernelIiLi16ELi32ELi8ELc67ELc78ELc76ELb1ELb0E19rocblas_complex_numIdES1_PKPKS1_PKPS1_EviT_T9_T10_S9_lSB_S9_lSA_T11_S9_li.uses_flat_scratch, 0
	.set _ZL29rocblas_internal_gemmt_kernelIiLi16ELi32ELi8ELc67ELc78ELc76ELb1ELb0E19rocblas_complex_numIdES1_PKPKS1_PKPS1_EviT_T9_T10_S9_lSB_S9_lSA_T11_S9_li.has_dyn_sized_stack, 0
	.set _ZL29rocblas_internal_gemmt_kernelIiLi16ELi32ELi8ELc67ELc78ELc76ELb1ELb0E19rocblas_complex_numIdES1_PKPKS1_PKPS1_EviT_T9_T10_S9_lSB_S9_lSA_T11_S9_li.has_recursion, 0
	.set _ZL29rocblas_internal_gemmt_kernelIiLi16ELi32ELi8ELc67ELc78ELc76ELb1ELb0E19rocblas_complex_numIdES1_PKPKS1_PKPS1_EviT_T9_T10_S9_lSB_S9_lSA_T11_S9_li.has_indirect_call, 0
	.section	.AMDGPU.csdata,"",@progbits
; Kernel info:
; codeLenInByte = 3436
; TotalNumSgprs: 40
; NumVgprs: 133
; ScratchSize: 0
; MemoryBound: 1
; FloatMode: 240
; IeeeMode: 1
; LDSByteSize: 8192 bytes/workgroup (compile time only)
; SGPRBlocks: 0
; VGPRBlocks: 16
; NumSGPRsForWavesPerEU: 40
; NumVGPRsForWavesPerEU: 133
; Occupancy: 10
; WaveLimiterHint : 1
; COMPUTE_PGM_RSRC2:SCRATCH_EN: 0
; COMPUTE_PGM_RSRC2:USER_SGPR: 2
; COMPUTE_PGM_RSRC2:TRAP_HANDLER: 0
; COMPUTE_PGM_RSRC2:TGID_X_EN: 1
; COMPUTE_PGM_RSRC2:TGID_Y_EN: 1
; COMPUTE_PGM_RSRC2:TGID_Z_EN: 1
; COMPUTE_PGM_RSRC2:TIDIG_COMP_CNT: 1
	.section	.text._ZL29rocblas_internal_gemmt_kernelIiLi16ELi32ELi8ELc67ELc84ELc76ELb1ELb0E19rocblas_complex_numIdES1_PKPKS1_PKPS1_EviT_T9_T10_S9_lSB_S9_lSA_T11_S9_li,"axG",@progbits,_ZL29rocblas_internal_gemmt_kernelIiLi16ELi32ELi8ELc67ELc84ELc76ELb1ELb0E19rocblas_complex_numIdES1_PKPKS1_PKPS1_EviT_T9_T10_S9_lSB_S9_lSA_T11_S9_li,comdat
	.globl	_ZL29rocblas_internal_gemmt_kernelIiLi16ELi32ELi8ELc67ELc84ELc76ELb1ELb0E19rocblas_complex_numIdES1_PKPKS1_PKPS1_EviT_T9_T10_S9_lSB_S9_lSA_T11_S9_li ; -- Begin function _ZL29rocblas_internal_gemmt_kernelIiLi16ELi32ELi8ELc67ELc84ELc76ELb1ELb0E19rocblas_complex_numIdES1_PKPKS1_PKPS1_EviT_T9_T10_S9_lSB_S9_lSA_T11_S9_li
	.p2align	8
	.type	_ZL29rocblas_internal_gemmt_kernelIiLi16ELi32ELi8ELc67ELc84ELc76ELb1ELb0E19rocblas_complex_numIdES1_PKPKS1_PKPS1_EviT_T9_T10_S9_lSB_S9_lSA_T11_S9_li,@function
_ZL29rocblas_internal_gemmt_kernelIiLi16ELi32ELi8ELc67ELc84ELc76ELb1ELb0E19rocblas_complex_numIdES1_PKPKS1_PKPS1_EviT_T9_T10_S9_lSB_S9_lSA_T11_S9_li: ; @_ZL29rocblas_internal_gemmt_kernelIiLi16ELi32ELi8ELc67ELc84ELc76ELb1ELb0E19rocblas_complex_numIdES1_PKPKS1_PKPS1_EviT_T9_T10_S9_lSB_S9_lSA_T11_S9_li
; %bb.0:
	s_clause 0x2
	s_load_b256 s[8:15], s[0:1], 0x40
	s_load_b64 s[4:5], s[0:1], 0x0
	s_load_b128 s[16:19], s[0:1], 0x8
	s_wait_kmcnt 0x0
	v_cmp_eq_f64_e64 s2, s[10:11], 1.0
	v_cmp_eq_f64_e64 s33, s[12:13], 0
	s_and_b32 s2, s2, s33
	s_delay_alu instid0(SALU_CYCLE_1)
	s_and_not1_b32 vcc_lo, exec_lo, s2
	s_mov_b32 s2, -1
	s_cbranch_vccnz .LBB430_3
; %bb.1:
	s_cmp_lg_u32 s5, 0
	s_cbranch_scc0 .LBB430_36
; %bb.2:
	v_cmp_neq_f64_e64 s2, s[16:17], 0
	v_cmp_neq_f64_e64 s3, s[18:19], 0
	s_or_b32 s2, s2, s3
.LBB430_3:
	s_delay_alu instid0(SALU_CYCLE_1)
	s_and_b32 vcc_lo, exec_lo, s2
	s_cbranch_vccz .LBB430_37
; %bb.4:
	s_load_b32 s27, s[0:1], 0x70
	s_lshr_b32 s6, ttmp7, 16
	s_wait_kmcnt 0x0
	s_cmp_ge_u32 s6, s27
	s_cbranch_scc1 .LBB430_37
; %bb.5:
	v_cmp_neq_f64_e64 s34, s[16:17], 0
	v_cmp_neq_f64_e64 s35, s[18:19], 0
	v_and_b32_e32 v1, 0x3ff, v0
	v_bfe_u32 v2, v0, 10, 10
	s_clause 0x4
	s_load_b96 s[24:26], s[0:1], 0x18
	s_load_b128 s[20:23], s[0:1], 0x28
	s_load_b32 s28, s[0:1], 0x38
	s_load_b32 s37, s[0:1], 0x60
	s_load_b64 s[30:31], s[0:1], 0x68
	v_and_b32_e32 v35, 7, v0
	s_lshl_b32 s0, ttmp9, 5
	v_lshlrev_b32_e32 v36, 4, v1
	v_lshl_add_u32 v0, v2, 4, v1
	v_add_nc_u32_e32 v5, s0, v1
	v_lshlrev_b32_e32 v3, 4, v35
	s_lshl_b32 s1, ttmp7, 5
	v_cmp_neq_f64_e64 s36, s[10:11], 0
	v_lshrrev_b32_e32 v38, 5, v0
	v_and_b32_e32 v1, 31, v0
	v_lshrrev_b32_e32 v0, 3, v0
	s_wait_alu 0xfffe
	s_and_b32 s2, s1, 0x1fffe0
	v_add_nc_u32_e32 v7, 16, v5
	v_add_nc_u32_e32 v4, s2, v2
	v_or_b32_e32 v8, s0, v1
	v_add_nc_u32_e32 v13, s2, v0
	v_lshlrev_b32_e32 v1, 4, v1
	v_lshl_or_b32 v0, v0, 7, v3
	v_lshl_add_u32 v37, v2, 7, 0x1000
	v_cmp_le_i32_e32 vcc_lo, v4, v5
	v_cmp_le_i32_e64 s2, v4, v7
	v_lshl_or_b32 v39, v38, 9, v1
	v_add_nc_u32_e32 v40, 0x1000, v0
	s_wait_kmcnt 0x0
	v_mad_co_i64_i32 v[1:2], null, v4, s37, 0
	v_add_nc_u32_e32 v0, 16, v4
	v_mad_co_i64_i32 v[3:4], null, s26, v8, 0
	v_cmp_gt_i32_e64 s3, s4, v7
	v_cmp_gt_i32_e64 s1, s4, v5
	s_ashr_i32 s29, s28, 31
	v_mad_co_i64_i32 v[9:10], null, s28, v35, 0
	v_lshlrev_b32_e32 v14, 4, v38
	s_or_b32 s38, s34, s35
	s_cmp_gt_i32 s5, 0
	v_lshlrev_b64_e32 v[3:4], 4, v[3:4]
	s_cselect_b32 s39, -1, 0
	s_and_b32 s35, s2, s3
	v_cmp_le_i32_e64 s2, v0, v7
	s_and_b32 s34, vcc_lo, s1
	v_cmp_le_i32_e32 vcc_lo, v0, v5
	v_mad_co_i64_i32 v[11:12], null, v0, s37, 0
	s_and_b32 s26, s2, s3
	s_lshl_b64 s[2:3], s[20:21], 4
	s_and_b32 s1, vcc_lo, s1
	s_wait_alu 0xfffe
	v_add_co_u32 v15, vcc_lo, v3, s2
	s_delay_alu instid0(VALU_DEP_1) | instskip(SKIP_1) | instid1(VALU_DEP_3)
	v_add_co_ci_u32_e64 v16, null, s3, v4, vcc_lo
	v_lshlrev_b64_e32 v[3:4], 4, v[9:10]
	v_add_co_u32 v9, vcc_lo, v15, v14
	s_lshl_b64 s[2:3], s[8:9], 4
	s_wait_alu 0xfffd
	v_add_co_ci_u32_e64 v41, null, 0, v16, vcc_lo
	v_lshlrev_b32_e32 v10, 4, v13
	s_wait_alu 0xfffe
	v_add_co_u32 v3, vcc_lo, v3, s2
	s_wait_alu 0xfffd
	v_add_co_ci_u32_e64 v4, null, s3, v4, vcc_lo
	v_cmp_gt_i32_e64 s0, s4, v8
	v_cmp_gt_i32_e64 s4, s4, v13
	v_add_co_u32 v43, vcc_lo, v3, v10
	v_or_b32_e32 v42, 8, v9
	v_lshlrev_b64_e32 v[9:10], 4, v[1:2]
	v_lshlrev_b64_e32 v[11:12], 4, v[11:12]
	v_ashrrev_i32_e32 v6, 31, v5
	v_ashrrev_i32_e32 v8, 31, v7
	v_mov_b32_e32 v0, 0
	s_wait_alu 0xfffd
	v_add_co_ci_u32_e64 v44, null, 0, v4, vcc_lo
	s_xor_b32 s33, s33, -1
	s_mov_b32 s7, 0
	s_or_b32 s33, s36, s33
	s_and_b32 s36, s38, s39
	s_lshl_b64 s[2:3], s[28:29], 7
	s_xor_b32 s4, s4, -1
	s_lshl_b64 s[8:9], s[30:31], 4
	s_branch .LBB430_7
.LBB430_6:                              ;   in Loop: Header=BB430_7 Depth=1
	s_wait_alu 0xfffe
	s_or_b32 exec_lo, exec_lo, s20
	s_add_co_i32 s6, s6, 0x10000
	s_delay_alu instid0(SALU_CYCLE_1)
	s_cmp_lt_u32 s6, s27
	s_cbranch_scc0 .LBB430_37
.LBB430_7:                              ; =>This Loop Header: Depth=1
                                        ;     Child Loop BB430_10 Depth 2
	s_lshl_b64 s[20:21], s[6:7], 3
	v_mov_b32_e32 v31, 0
	s_wait_alu 0xfffe
	s_add_nc_u64 s[28:29], s[14:15], s[20:21]
	v_mov_b32_e32 v27, 0
	global_load_b64 v[13:14], v0, s[28:29]
	v_mov_b32_e32 v23, 0
	v_dual_mov_b32 v21, 0 :: v_dual_mov_b32 v32, 0
	v_dual_mov_b32 v33, 0 :: v_dual_mov_b32 v28, 0
	;; [unrolled: 1-line block ×5, first 2 shown]
	v_mov_b32_e32 v30, 0
	v_mov_b32_e32 v26, 0
	;; [unrolled: 1-line block ×3, first 2 shown]
	s_and_not1_b32 vcc_lo, exec_lo, s36
	s_wait_alu 0xfffe
	s_cbranch_vccnz .LBB430_16
; %bb.8:                                ;   in Loop: Header=BB430_7 Depth=1
	s_add_nc_u64 s[28:29], s[24:25], s[20:21]
	s_add_nc_u64 s[20:21], s[22:23], s[20:21]
	s_clause 0x1
	global_load_b64 v[1:2], v0, s[28:29]
	global_load_b64 v[3:4], v0, s[20:21]
	v_mov_b32_e32 v19, 0
	v_mov_b32_e32 v25, 0
	;; [unrolled: 1-line block ×3, first 2 shown]
	v_dual_mov_b32 v33, 0 :: v_dual_mov_b32 v20, 0
	v_dual_mov_b32 v21, 0 :: v_dual_mov_b32 v26, 0
	;; [unrolled: 1-line block ×5, first 2 shown]
	v_mov_b32_e32 v24, 0
	v_mov_b32_e32 v28, 0
	;; [unrolled: 1-line block ×3, first 2 shown]
	s_mov_b32 s20, 0
	s_wait_loadcnt 0x1
	v_add_co_u32 v15, vcc_lo, v1, v42
	s_wait_alu 0xfffd
	v_add_co_ci_u32_e64 v16, null, v2, v41, vcc_lo
	s_wait_loadcnt 0x0
	v_add_co_u32 v17, vcc_lo, v3, v43
	s_wait_alu 0xfffd
	v_add_co_ci_u32_e64 v18, null, v4, v44, vcc_lo
	s_branch .LBB430_10
.LBB430_9:                              ;   in Loop: Header=BB430_10 Depth=2
	s_wait_alu 0xfffe
	s_or_b32 exec_lo, exec_lo, s21
	s_wait_dscnt 0x0
	s_barrier_signal -1
	s_barrier_wait -1
	global_inv scope:SCOPE_SE
	ds_load_b128 v[1:4], v37
	ds_load_b128 v[45:48], v36
	ds_load_b128 v[49:52], v36 offset:256
	ds_load_b128 v[53:56], v37 offset:2048
	;; [unrolled: 1-line block ×10, first 2 shown]
	v_add_co_u32 v15, vcc_lo, 0x80, v15
	s_wait_alu 0xfffd
	v_add_co_ci_u32_e64 v16, null, 0, v16, vcc_lo
	v_add_co_u32 v17, vcc_lo, v17, s2
	s_wait_alu 0xfffd
	v_add_co_ci_u32_e64 v18, null, s3, v18, vcc_lo
	s_add_co_i32 s20, s20, 8
	s_wait_alu 0xfffe
	s_cmp_lt_i32 s20, s5
	s_wait_dscnt 0xa
	v_mul_f64_e32 v[89:90], v[3:4], v[47:48]
	v_mul_f64_e32 v[91:92], v[1:2], v[47:48]
	s_wait_dscnt 0x9
	v_mul_f64_e32 v[93:94], v[3:4], v[51:52]
	v_mul_f64_e32 v[95:96], v[1:2], v[51:52]
	;; [unrolled: 3-line block ×3, first 2 shown]
	v_mul_f64_e32 v[99:100], v[55:56], v[51:52]
	v_mul_f64_e32 v[51:52], v[53:54], v[51:52]
	s_wait_dscnt 0x5
	v_mul_f64_e32 v[101:102], v[59:60], v[67:68]
	v_mul_f64_e32 v[103:104], v[57:58], v[67:68]
	s_wait_dscnt 0x4
	v_mul_f64_e32 v[105:106], v[59:60], v[71:72]
	v_mul_f64_e32 v[107:108], v[57:58], v[71:72]
	;; [unrolled: 1-line block ×6, first 2 shown]
	s_wait_dscnt 0x2
	v_mul_f64_e32 v[117:118], v[75:76], v[79:80]
	v_mul_f64_e32 v[119:120], v[73:74], v[79:80]
	s_wait_dscnt 0x1
	v_mul_f64_e32 v[121:122], v[75:76], v[83:84]
	v_mul_f64_e32 v[123:124], v[73:74], v[83:84]
	;; [unrolled: 3-line block ×3, first 2 shown]
	v_mul_f64_e32 v[127:128], v[87:88], v[83:84]
	v_mul_f64_e32 v[83:84], v[85:86], v[83:84]
	v_fma_f64 v[89:90], v[1:2], v[45:46], -v[89:90]
	v_fma_f64 v[91:92], v[3:4], v[45:46], v[91:92]
	v_fma_f64 v[93:94], v[1:2], v[49:50], -v[93:94]
	v_fma_f64 v[95:96], v[3:4], v[49:50], v[95:96]
	;; [unrolled: 2-line block ×8, first 2 shown]
	ds_load_b128 v[1:4], v37 offset:48
	ds_load_b128 v[45:48], v37 offset:2096
	;; [unrolled: 1-line block ×4, first 2 shown]
	v_fma_f64 v[117:118], v[73:74], v[77:78], -v[117:118]
	v_fma_f64 v[119:120], v[75:76], v[77:78], v[119:120]
	v_fma_f64 v[73:74], v[73:74], v[81:82], -v[121:122]
	v_fma_f64 v[75:76], v[75:76], v[81:82], v[123:124]
	;; [unrolled: 2-line block ×4, first 2 shown]
	s_wait_dscnt 0x1
	v_mul_f64_e32 v[107:108], v[1:2], v[51:52]
	s_wait_dscnt 0x0
	v_mul_f64_e32 v[109:110], v[3:4], v[55:56]
	v_mul_f64_e32 v[111:112], v[1:2], v[55:56]
	v_add_f64_e32 v[67:68], v[31:32], v[89:90]
	v_add_f64_e32 v[69:70], v[91:92], v[33:34]
	;; [unrolled: 1-line block ×8, first 2 shown]
	v_mul_f64_e32 v[99:100], v[3:4], v[51:52]
	v_mul_f64_e32 v[113:114], v[47:48], v[51:52]
	;; [unrolled: 1-line block ×5, first 2 shown]
	ds_load_b128 v[19:22], v37 offset:64
	ds_load_b128 v[23:26], v36 offset:2048
	;; [unrolled: 1-line block ×4, first 2 shown]
	s_wait_dscnt 0x0
	v_mul_f64_e32 v[123:124], v[33:34], v[25:26]
	v_mul_f64_e32 v[125:126], v[33:34], v[29:30]
	v_fma_f64 v[107:108], v[3:4], v[49:50], v[107:108]
	v_fma_f64 v[109:110], v[1:2], v[53:54], -v[109:110]
	v_fma_f64 v[111:112], v[3:4], v[53:54], v[111:112]
	v_add_f64_e32 v[83:84], v[67:68], v[101:102]
	v_add_f64_e32 v[85:86], v[103:104], v[69:70]
	;; [unrolled: 1-line block ×8, first 2 shown]
	v_mul_f64_e32 v[97:98], v[21:22], v[25:26]
	v_mul_f64_e32 v[101:102], v[19:20], v[25:26]
	;; [unrolled: 1-line block ×6, first 2 shown]
	v_fma_f64 v[99:100], v[1:2], v[49:50], -v[99:100]
	v_fma_f64 v[113:114], v[45:46], v[49:50], -v[113:114]
	v_fma_f64 v[127:128], v[47:48], v[49:50], v[51:52]
	v_fma_f64 v[115:116], v[45:46], v[53:54], -v[115:116]
	v_fma_f64 v[53:54], v[47:48], v[53:54], v[129:130]
	ds_load_b128 v[55:58], v37 offset:80
	ds_load_b128 v[59:62], v37 offset:2128
	ds_load_b128 v[63:66], v36 offset:2560
	ds_load_b128 v[67:70], v36 offset:2816
	v_fma_f64 v[123:124], v[31:32], v[23:24], -v[123:124]
	v_fma_f64 v[125:126], v[31:32], v[27:28], -v[125:126]
	v_add_f64_e32 v[83:84], v[83:84], v[117:118]
	v_add_f64_e32 v[85:86], v[119:120], v[85:86]
	;; [unrolled: 1-line block ×8, first 2 shown]
	s_wait_dscnt 0x1
	v_mul_f64_e32 v[89:90], v[57:58], v[65:66]
	v_mul_f64_e32 v[91:92], v[55:56], v[65:66]
	s_wait_dscnt 0x0
	v_mul_f64_e32 v[93:94], v[57:58], v[69:70]
	v_mul_f64_e32 v[95:96], v[55:56], v[69:70]
	;; [unrolled: 1-line block ×6, first 2 shown]
	v_fma_f64 v[97:98], v[19:20], v[23:24], -v[97:98]
	v_fma_f64 v[101:102], v[21:22], v[23:24], v[101:102]
	v_fma_f64 v[103:104], v[19:20], v[27:28], -v[103:104]
	v_fma_f64 v[105:106], v[21:22], v[27:28], v[105:106]
	v_fma_f64 v[129:130], v[33:34], v[23:24], v[25:26]
	;; [unrolled: 1-line block ×3, first 2 shown]
	ds_load_b128 v[1:4], v37 offset:96
	ds_load_b128 v[45:48], v36 offset:3072
	;; [unrolled: 1-line block ×8, first 2 shown]
	s_wait_loadcnt_dscnt 0x0
	s_barrier_signal -1
	s_barrier_wait -1
	global_inv scope:SCOPE_SE
	v_add_f64_e32 v[83:84], v[83:84], v[99:100]
	v_add_f64_e32 v[85:86], v[107:108], v[85:86]
	;; [unrolled: 1-line block ×8, first 2 shown]
	v_mul_f64_e32 v[81:82], v[3:4], v[47:48]
	v_mul_f64_e32 v[107:108], v[1:2], v[47:48]
	v_mul_f64_e32 v[109:110], v[3:4], v[51:52]
	v_mul_f64_e32 v[111:112], v[1:2], v[51:52]
	v_mul_f64_e32 v[113:114], v[73:74], v[47:48]
	v_mul_f64_e32 v[47:48], v[71:72], v[47:48]
	v_mul_f64_e32 v[115:116], v[73:74], v[51:52]
	v_mul_f64_e32 v[51:52], v[71:72], v[51:52]
	v_fma_f64 v[89:90], v[55:56], v[63:64], -v[89:90]
	v_fma_f64 v[91:92], v[57:58], v[63:64], v[91:92]
	v_fma_f64 v[55:56], v[55:56], v[67:68], -v[93:94]
	v_fma_f64 v[57:58], v[57:58], v[67:68], v[95:96]
	;; [unrolled: 2-line block ×4, first 2 shown]
	v_mul_f64_e32 v[95:96], v[21:22], v[33:34]
	v_add_f64_e32 v[65:66], v[83:84], v[97:98]
	v_add_f64_e32 v[67:68], v[101:102], v[85:86]
	;; [unrolled: 1-line block ×8, first 2 shown]
	v_mul_f64_e32 v[85:86], v[21:22], v[29:30]
	v_mul_f64_e32 v[87:88], v[19:20], v[29:30]
	;; [unrolled: 1-line block ×7, first 2 shown]
	v_fma_f64 v[81:82], v[1:2], v[45:46], -v[81:82]
	v_fma_f64 v[103:104], v[3:4], v[45:46], v[107:108]
	v_fma_f64 v[1:2], v[1:2], v[49:50], -v[109:110]
	v_fma_f64 v[3:4], v[3:4], v[49:50], v[111:112]
	v_fma_f64 v[105:106], v[71:72], v[45:46], -v[113:114]
	v_fma_f64 v[45:46], v[73:74], v[45:46], v[47:48]
	v_fma_f64 v[47:48], v[71:72], v[49:50], -v[115:116]
	v_fma_f64 v[49:50], v[73:74], v[49:50], v[51:52]
	v_add_f64_e32 v[51:52], v[65:66], v[89:90]
	v_add_f64_e32 v[65:66], v[91:92], v[67:68]
	;; [unrolled: 1-line block ×8, first 2 shown]
	v_fma_f64 v[61:62], v[19:20], v[27:28], -v[85:86]
	v_fma_f64 v[69:70], v[21:22], v[27:28], v[87:88]
	v_fma_f64 v[19:20], v[19:20], v[31:32], -v[95:96]
	v_fma_f64 v[21:22], v[21:22], v[31:32], v[97:98]
	v_fma_f64 v[71:72], v[23:24], v[27:28], -v[99:100]
	v_fma_f64 v[73:74], v[25:26], v[27:28], v[29:30]
	v_fma_f64 v[75:76], v[23:24], v[31:32], -v[101:102]
	v_fma_f64 v[77:78], v[25:26], v[31:32], v[33:34]
	v_add_f64_e32 v[23:24], v[51:52], v[81:82]
	v_add_f64_e32 v[25:26], v[103:104], v[65:66]
	;; [unrolled: 1-line block ×16, first 2 shown]
	s_cbranch_scc0 .LBB430_16
.LBB430_10:                             ;   Parent Loop BB430_7 Depth=1
                                        ; =>  This Inner Loop Header: Depth=2
	s_wait_alu 0xfffe
	v_add_nc_u32_e32 v1, s20, v38
	v_mov_b32_e32 v3, 0
	v_mov_b32_e32 v4, 0
	s_delay_alu instid0(VALU_DEP_3)
	v_cmp_gt_i32_e32 vcc_lo, s5, v1
	v_mov_b32_e32 v1, 0
	v_mov_b32_e32 v2, 0
	s_and_b32 s28, s0, vcc_lo
	s_wait_alu 0xfffe
	s_and_saveexec_b32 s21, s28
	s_cbranch_execz .LBB430_12
; %bb.11:                               ;   in Loop: Header=BB430_10 Depth=2
	flat_load_b128 v[1:4], v[15:16] offset:-8
	s_wait_loadcnt_dscnt 0x0
	v_xor_b32_e32 v4, 0x80000000, v4
.LBB430_12:                             ;   in Loop: Header=BB430_10 Depth=2
	s_wait_alu 0xfffe
	s_or_b32 exec_lo, exec_lo, s21
	v_add_nc_u32_e32 v45, s20, v35
	ds_store_b128 v39, v[1:4]
	v_cmp_le_i32_e32 vcc_lo, s5, v45
	s_or_b32 s21, vcc_lo, s4
	s_wait_alu 0xfffe
	s_and_saveexec_b32 s28, s21
	s_wait_alu 0xfffe
	s_xor_b32 s21, exec_lo, s28
; %bb.13:                               ;   in Loop: Header=BB430_10 Depth=2
	v_dual_mov_b32 v1, v0 :: v_dual_mov_b32 v2, v0
	v_mov_b32_e32 v3, v0
	ds_store_b128 v40, v[0:3]
; %bb.14:                               ;   in Loop: Header=BB430_10 Depth=2
	s_wait_alu 0xfffe
	s_and_not1_saveexec_b32 s21, s21
	s_cbranch_execz .LBB430_9
; %bb.15:                               ;   in Loop: Header=BB430_10 Depth=2
	flat_load_b128 v[1:4], v[17:18]
	s_wait_loadcnt_dscnt 0x0
	ds_store_2addr_b64 v40, v[1:2], v[3:4] offset1:1
	s_branch .LBB430_9
.LBB430_16:                             ;   in Loop: Header=BB430_7 Depth=1
	s_wait_loadcnt 0x0
	v_add_co_u32 v13, vcc_lo, v13, s8
	s_wait_alu 0xfffd
	v_add_co_ci_u32_e64 v14, null, s9, v14, vcc_lo
	s_delay_alu instid0(VALU_DEP_2) | instskip(SKIP_1) | instid1(VALU_DEP_2)
	v_add_co_u32 v15, vcc_lo, v13, v9
	s_wait_alu 0xfffd
	v_add_co_ci_u32_e64 v16, null, v14, v10, vcc_lo
	s_and_saveexec_b32 s20, s34
	s_cbranch_execz .LBB430_21
; %bb.17:                               ;   in Loop: Header=BB430_7 Depth=1
	v_mul_f64_e32 v[1:2], s[18:19], v[33:34]
	v_mul_f64_e32 v[3:4], s[16:17], v[33:34]
	s_and_b32 vcc_lo, exec_lo, s33
	s_mov_b32 s21, -1
	s_delay_alu instid0(VALU_DEP_2) | instskip(NEXT) | instid1(VALU_DEP_2)
	v_fma_f64 v[1:2], s[16:17], v[31:32], -v[1:2]
	v_fma_f64 v[3:4], s[18:19], v[31:32], v[3:4]
	s_wait_alu 0xfffe
	s_cbranch_vccz .LBB430_19
; %bb.18:                               ;   in Loop: Header=BB430_7 Depth=1
	v_lshlrev_b64_e32 v[17:18], 4, v[5:6]
	s_mov_b32 s21, 0
	s_delay_alu instid0(VALU_DEP_1) | instskip(SKIP_1) | instid1(VALU_DEP_2)
	v_add_co_u32 v17, vcc_lo, v15, v17
	s_wait_alu 0xfffd
	v_add_co_ci_u32_e64 v18, null, v16, v18, vcc_lo
	flat_load_b128 v[31:34], v[17:18]
	s_wait_loadcnt_dscnt 0x0
	v_mul_f64_e32 v[45:46], s[12:13], v[33:34]
	v_mul_f64_e32 v[33:34], s[10:11], v[33:34]
	s_delay_alu instid0(VALU_DEP_2) | instskip(NEXT) | instid1(VALU_DEP_2)
	v_fma_f64 v[45:46], s[10:11], v[31:32], -v[45:46]
	v_fma_f64 v[33:34], s[12:13], v[31:32], v[33:34]
	s_delay_alu instid0(VALU_DEP_2) | instskip(NEXT) | instid1(VALU_DEP_2)
	v_add_f64_e32 v[31:32], v[1:2], v[45:46]
	v_add_f64_e32 v[33:34], v[3:4], v[33:34]
	flat_store_b128 v[17:18], v[31:34]
.LBB430_19:                             ;   in Loop: Header=BB430_7 Depth=1
	s_wait_alu 0xfffe
	s_and_not1_b32 vcc_lo, exec_lo, s21
	s_wait_alu 0xfffe
	s_cbranch_vccnz .LBB430_21
; %bb.20:                               ;   in Loop: Header=BB430_7 Depth=1
	v_lshlrev_b64_e32 v[17:18], 4, v[5:6]
	s_delay_alu instid0(VALU_DEP_1) | instskip(SKIP_1) | instid1(VALU_DEP_2)
	v_add_co_u32 v17, vcc_lo, v15, v17
	s_wait_alu 0xfffd
	v_add_co_ci_u32_e64 v18, null, v16, v18, vcc_lo
	flat_store_b128 v[17:18], v[1:4]
.LBB430_21:                             ;   in Loop: Header=BB430_7 Depth=1
	s_wait_alu 0xfffe
	s_or_b32 exec_lo, exec_lo, s20
	s_and_saveexec_b32 s20, s35
	s_cbranch_execz .LBB430_26
; %bb.22:                               ;   in Loop: Header=BB430_7 Depth=1
	v_mul_f64_e32 v[1:2], s[18:19], v[29:30]
	v_mul_f64_e32 v[3:4], s[16:17], v[29:30]
	s_and_not1_b32 vcc_lo, exec_lo, s33
	s_mov_b32 s21, -1
	s_delay_alu instid0(VALU_DEP_2) | instskip(NEXT) | instid1(VALU_DEP_2)
	v_fma_f64 v[1:2], s[16:17], v[27:28], -v[1:2]
	v_fma_f64 v[3:4], s[18:19], v[27:28], v[3:4]
	s_wait_alu 0xfffe
	s_cbranch_vccnz .LBB430_24
; %bb.23:                               ;   in Loop: Header=BB430_7 Depth=1
	v_lshlrev_b64_e32 v[17:18], 4, v[7:8]
	s_mov_b32 s21, 0
	s_delay_alu instid0(VALU_DEP_1) | instskip(SKIP_1) | instid1(VALU_DEP_2)
	v_add_co_u32 v17, vcc_lo, v15, v17
	s_wait_alu 0xfffd
	v_add_co_ci_u32_e64 v18, null, v16, v18, vcc_lo
	flat_load_b128 v[27:30], v[17:18]
	s_wait_loadcnt_dscnt 0x0
	v_mul_f64_e32 v[31:32], s[12:13], v[29:30]
	v_mul_f64_e32 v[29:30], s[10:11], v[29:30]
	s_delay_alu instid0(VALU_DEP_2) | instskip(NEXT) | instid1(VALU_DEP_2)
	v_fma_f64 v[31:32], s[10:11], v[27:28], -v[31:32]
	v_fma_f64 v[29:30], s[12:13], v[27:28], v[29:30]
	s_delay_alu instid0(VALU_DEP_2) | instskip(NEXT) | instid1(VALU_DEP_2)
	v_add_f64_e32 v[27:28], v[1:2], v[31:32]
	v_add_f64_e32 v[29:30], v[3:4], v[29:30]
	flat_store_b128 v[17:18], v[27:30]
.LBB430_24:                             ;   in Loop: Header=BB430_7 Depth=1
	s_wait_alu 0xfffe
	s_and_not1_b32 vcc_lo, exec_lo, s21
	s_wait_alu 0xfffe
	s_cbranch_vccnz .LBB430_26
; %bb.25:                               ;   in Loop: Header=BB430_7 Depth=1
	v_lshlrev_b64_e32 v[17:18], 4, v[7:8]
	s_delay_alu instid0(VALU_DEP_1) | instskip(SKIP_1) | instid1(VALU_DEP_2)
	v_add_co_u32 v15, vcc_lo, v15, v17
	s_wait_alu 0xfffd
	v_add_co_ci_u32_e64 v16, null, v16, v18, vcc_lo
	flat_store_b128 v[15:16], v[1:4]
.LBB430_26:                             ;   in Loop: Header=BB430_7 Depth=1
	s_wait_alu 0xfffe
	s_or_b32 exec_lo, exec_lo, s20
	v_add_co_u32 v15, vcc_lo, v13, v11
	s_wait_alu 0xfffd
	v_add_co_ci_u32_e64 v16, null, v14, v12, vcc_lo
	s_and_saveexec_b32 s20, s1
	s_cbranch_execz .LBB430_31
; %bb.27:                               ;   in Loop: Header=BB430_7 Depth=1
	v_mul_f64_e32 v[1:2], s[18:19], v[25:26]
	v_mul_f64_e32 v[3:4], s[16:17], v[25:26]
	v_lshlrev_b64_e32 v[13:14], 4, v[5:6]
	s_and_not1_b32 vcc_lo, exec_lo, s33
	s_mov_b32 s21, -1
	s_delay_alu instid0(VALU_DEP_3) | instskip(NEXT) | instid1(VALU_DEP_3)
	v_fma_f64 v[1:2], s[16:17], v[23:24], -v[1:2]
	v_fma_f64 v[3:4], s[18:19], v[23:24], v[3:4]
	s_wait_alu 0xfffe
	s_cbranch_vccnz .LBB430_29
; %bb.28:                               ;   in Loop: Header=BB430_7 Depth=1
	v_add_co_u32 v17, vcc_lo, v15, v13
	s_wait_alu 0xfffd
	v_add_co_ci_u32_e64 v18, null, v16, v14, vcc_lo
	s_mov_b32 s21, 0
	flat_load_b128 v[23:26], v[17:18]
	s_wait_loadcnt_dscnt 0x0
	v_mul_f64_e32 v[27:28], s[12:13], v[25:26]
	v_mul_f64_e32 v[25:26], s[10:11], v[25:26]
	s_delay_alu instid0(VALU_DEP_2) | instskip(NEXT) | instid1(VALU_DEP_2)
	v_fma_f64 v[27:28], s[10:11], v[23:24], -v[27:28]
	v_fma_f64 v[25:26], s[12:13], v[23:24], v[25:26]
	s_delay_alu instid0(VALU_DEP_2) | instskip(NEXT) | instid1(VALU_DEP_2)
	v_add_f64_e32 v[23:24], v[1:2], v[27:28]
	v_add_f64_e32 v[25:26], v[3:4], v[25:26]
	flat_store_b128 v[17:18], v[23:26]
.LBB430_29:                             ;   in Loop: Header=BB430_7 Depth=1
	s_wait_alu 0xfffe
	s_and_not1_b32 vcc_lo, exec_lo, s21
	s_wait_alu 0xfffe
	s_cbranch_vccnz .LBB430_31
; %bb.30:                               ;   in Loop: Header=BB430_7 Depth=1
	v_add_co_u32 v13, vcc_lo, v15, v13
	s_wait_alu 0xfffd
	v_add_co_ci_u32_e64 v14, null, v16, v14, vcc_lo
	flat_store_b128 v[13:14], v[1:4]
.LBB430_31:                             ;   in Loop: Header=BB430_7 Depth=1
	s_wait_alu 0xfffe
	s_or_b32 exec_lo, exec_lo, s20
	s_and_saveexec_b32 s20, s26
	s_cbranch_execz .LBB430_6
; %bb.32:                               ;   in Loop: Header=BB430_7 Depth=1
	v_mul_f64_e32 v[1:2], s[18:19], v[19:20]
	v_mul_f64_e32 v[3:4], s[16:17], v[19:20]
	v_lshlrev_b64_e32 v[13:14], 4, v[7:8]
	s_and_not1_b32 vcc_lo, exec_lo, s33
	s_mov_b32 s21, -1
	s_delay_alu instid0(VALU_DEP_3) | instskip(NEXT) | instid1(VALU_DEP_3)
	v_fma_f64 v[1:2], s[16:17], v[21:22], -v[1:2]
	v_fma_f64 v[3:4], s[18:19], v[21:22], v[3:4]
	s_wait_alu 0xfffe
	s_cbranch_vccnz .LBB430_34
; %bb.33:                               ;   in Loop: Header=BB430_7 Depth=1
	v_add_co_u32 v21, vcc_lo, v15, v13
	s_wait_alu 0xfffd
	v_add_co_ci_u32_e64 v22, null, v16, v14, vcc_lo
	s_mov_b32 s21, 0
	flat_load_b128 v[17:20], v[21:22]
	s_wait_loadcnt_dscnt 0x0
	v_mul_f64_e32 v[23:24], s[12:13], v[19:20]
	v_mul_f64_e32 v[19:20], s[10:11], v[19:20]
	s_delay_alu instid0(VALU_DEP_2) | instskip(NEXT) | instid1(VALU_DEP_2)
	v_fma_f64 v[23:24], s[10:11], v[17:18], -v[23:24]
	v_fma_f64 v[19:20], s[12:13], v[17:18], v[19:20]
	s_delay_alu instid0(VALU_DEP_2) | instskip(NEXT) | instid1(VALU_DEP_2)
	v_add_f64_e32 v[17:18], v[1:2], v[23:24]
	v_add_f64_e32 v[19:20], v[3:4], v[19:20]
	flat_store_b128 v[21:22], v[17:20]
.LBB430_34:                             ;   in Loop: Header=BB430_7 Depth=1
	s_wait_alu 0xfffe
	s_and_not1_b32 vcc_lo, exec_lo, s21
	s_wait_alu 0xfffe
	s_cbranch_vccnz .LBB430_6
; %bb.35:                               ;   in Loop: Header=BB430_7 Depth=1
	v_add_co_u32 v13, vcc_lo, v15, v13
	s_wait_alu 0xfffd
	v_add_co_ci_u32_e64 v14, null, v16, v14, vcc_lo
	flat_store_b128 v[13:14], v[1:4]
	s_branch .LBB430_6
.LBB430_36:
.LBB430_37:
	s_nop 0
	s_sendmsg sendmsg(MSG_DEALLOC_VGPRS)
	s_endpgm
	.section	.rodata,"a",@progbits
	.p2align	6, 0x0
	.amdhsa_kernel _ZL29rocblas_internal_gemmt_kernelIiLi16ELi32ELi8ELc67ELc84ELc76ELb1ELb0E19rocblas_complex_numIdES1_PKPKS1_PKPS1_EviT_T9_T10_S9_lSB_S9_lSA_T11_S9_li
		.amdhsa_group_segment_fixed_size 8192
		.amdhsa_private_segment_fixed_size 0
		.amdhsa_kernarg_size 116
		.amdhsa_user_sgpr_count 2
		.amdhsa_user_sgpr_dispatch_ptr 0
		.amdhsa_user_sgpr_queue_ptr 0
		.amdhsa_user_sgpr_kernarg_segment_ptr 1
		.amdhsa_user_sgpr_dispatch_id 0
		.amdhsa_user_sgpr_private_segment_size 0
		.amdhsa_wavefront_size32 1
		.amdhsa_uses_dynamic_stack 0
		.amdhsa_enable_private_segment 0
		.amdhsa_system_sgpr_workgroup_id_x 1
		.amdhsa_system_sgpr_workgroup_id_y 1
		.amdhsa_system_sgpr_workgroup_id_z 1
		.amdhsa_system_sgpr_workgroup_info 0
		.amdhsa_system_vgpr_workitem_id 1
		.amdhsa_next_free_vgpr 133
		.amdhsa_next_free_sgpr 40
		.amdhsa_reserve_vcc 1
		.amdhsa_float_round_mode_32 0
		.amdhsa_float_round_mode_16_64 0
		.amdhsa_float_denorm_mode_32 3
		.amdhsa_float_denorm_mode_16_64 3
		.amdhsa_fp16_overflow 0
		.amdhsa_workgroup_processor_mode 1
		.amdhsa_memory_ordered 1
		.amdhsa_forward_progress 1
		.amdhsa_inst_pref_size 27
		.amdhsa_round_robin_scheduling 0
		.amdhsa_exception_fp_ieee_invalid_op 0
		.amdhsa_exception_fp_denorm_src 0
		.amdhsa_exception_fp_ieee_div_zero 0
		.amdhsa_exception_fp_ieee_overflow 0
		.amdhsa_exception_fp_ieee_underflow 0
		.amdhsa_exception_fp_ieee_inexact 0
		.amdhsa_exception_int_div_zero 0
	.end_amdhsa_kernel
	.section	.text._ZL29rocblas_internal_gemmt_kernelIiLi16ELi32ELi8ELc67ELc84ELc76ELb1ELb0E19rocblas_complex_numIdES1_PKPKS1_PKPS1_EviT_T9_T10_S9_lSB_S9_lSA_T11_S9_li,"axG",@progbits,_ZL29rocblas_internal_gemmt_kernelIiLi16ELi32ELi8ELc67ELc84ELc76ELb1ELb0E19rocblas_complex_numIdES1_PKPKS1_PKPS1_EviT_T9_T10_S9_lSB_S9_lSA_T11_S9_li,comdat
.Lfunc_end430:
	.size	_ZL29rocblas_internal_gemmt_kernelIiLi16ELi32ELi8ELc67ELc84ELc76ELb1ELb0E19rocblas_complex_numIdES1_PKPKS1_PKPS1_EviT_T9_T10_S9_lSB_S9_lSA_T11_S9_li, .Lfunc_end430-_ZL29rocblas_internal_gemmt_kernelIiLi16ELi32ELi8ELc67ELc84ELc76ELb1ELb0E19rocblas_complex_numIdES1_PKPKS1_PKPS1_EviT_T9_T10_S9_lSB_S9_lSA_T11_S9_li
                                        ; -- End function
	.set _ZL29rocblas_internal_gemmt_kernelIiLi16ELi32ELi8ELc67ELc84ELc76ELb1ELb0E19rocblas_complex_numIdES1_PKPKS1_PKPS1_EviT_T9_T10_S9_lSB_S9_lSA_T11_S9_li.num_vgpr, 133
	.set _ZL29rocblas_internal_gemmt_kernelIiLi16ELi32ELi8ELc67ELc84ELc76ELb1ELb0E19rocblas_complex_numIdES1_PKPKS1_PKPS1_EviT_T9_T10_S9_lSB_S9_lSA_T11_S9_li.num_agpr, 0
	.set _ZL29rocblas_internal_gemmt_kernelIiLi16ELi32ELi8ELc67ELc84ELc76ELb1ELb0E19rocblas_complex_numIdES1_PKPKS1_PKPS1_EviT_T9_T10_S9_lSB_S9_lSA_T11_S9_li.numbered_sgpr, 40
	.set _ZL29rocblas_internal_gemmt_kernelIiLi16ELi32ELi8ELc67ELc84ELc76ELb1ELb0E19rocblas_complex_numIdES1_PKPKS1_PKPS1_EviT_T9_T10_S9_lSB_S9_lSA_T11_S9_li.num_named_barrier, 0
	.set _ZL29rocblas_internal_gemmt_kernelIiLi16ELi32ELi8ELc67ELc84ELc76ELb1ELb0E19rocblas_complex_numIdES1_PKPKS1_PKPS1_EviT_T9_T10_S9_lSB_S9_lSA_T11_S9_li.private_seg_size, 0
	.set _ZL29rocblas_internal_gemmt_kernelIiLi16ELi32ELi8ELc67ELc84ELc76ELb1ELb0E19rocblas_complex_numIdES1_PKPKS1_PKPS1_EviT_T9_T10_S9_lSB_S9_lSA_T11_S9_li.uses_vcc, 1
	.set _ZL29rocblas_internal_gemmt_kernelIiLi16ELi32ELi8ELc67ELc84ELc76ELb1ELb0E19rocblas_complex_numIdES1_PKPKS1_PKPS1_EviT_T9_T10_S9_lSB_S9_lSA_T11_S9_li.uses_flat_scratch, 0
	.set _ZL29rocblas_internal_gemmt_kernelIiLi16ELi32ELi8ELc67ELc84ELc76ELb1ELb0E19rocblas_complex_numIdES1_PKPKS1_PKPS1_EviT_T9_T10_S9_lSB_S9_lSA_T11_S9_li.has_dyn_sized_stack, 0
	.set _ZL29rocblas_internal_gemmt_kernelIiLi16ELi32ELi8ELc67ELc84ELc76ELb1ELb0E19rocblas_complex_numIdES1_PKPKS1_PKPS1_EviT_T9_T10_S9_lSB_S9_lSA_T11_S9_li.has_recursion, 0
	.set _ZL29rocblas_internal_gemmt_kernelIiLi16ELi32ELi8ELc67ELc84ELc76ELb1ELb0E19rocblas_complex_numIdES1_PKPKS1_PKPS1_EviT_T9_T10_S9_lSB_S9_lSA_T11_S9_li.has_indirect_call, 0
	.section	.AMDGPU.csdata,"",@progbits
; Kernel info:
; codeLenInByte = 3448
; TotalNumSgprs: 42
; NumVgprs: 133
; ScratchSize: 0
; MemoryBound: 1
; FloatMode: 240
; IeeeMode: 1
; LDSByteSize: 8192 bytes/workgroup (compile time only)
; SGPRBlocks: 0
; VGPRBlocks: 16
; NumSGPRsForWavesPerEU: 42
; NumVGPRsForWavesPerEU: 133
; Occupancy: 10
; WaveLimiterHint : 1
; COMPUTE_PGM_RSRC2:SCRATCH_EN: 0
; COMPUTE_PGM_RSRC2:USER_SGPR: 2
; COMPUTE_PGM_RSRC2:TRAP_HANDLER: 0
; COMPUTE_PGM_RSRC2:TGID_X_EN: 1
; COMPUTE_PGM_RSRC2:TGID_Y_EN: 1
; COMPUTE_PGM_RSRC2:TGID_Z_EN: 1
; COMPUTE_PGM_RSRC2:TIDIG_COMP_CNT: 1
	.section	.text._ZL29rocblas_internal_gemmt_kernelIiLi16ELi32ELi8ELc67ELc67ELc76ELb1ELb1E19rocblas_complex_numIdES1_PKPKS1_PKPS1_EviT_T9_T10_S9_lSB_S9_lSA_T11_S9_li,"axG",@progbits,_ZL29rocblas_internal_gemmt_kernelIiLi16ELi32ELi8ELc67ELc67ELc76ELb1ELb1E19rocblas_complex_numIdES1_PKPKS1_PKPS1_EviT_T9_T10_S9_lSB_S9_lSA_T11_S9_li,comdat
	.globl	_ZL29rocblas_internal_gemmt_kernelIiLi16ELi32ELi8ELc67ELc67ELc76ELb1ELb1E19rocblas_complex_numIdES1_PKPKS1_PKPS1_EviT_T9_T10_S9_lSB_S9_lSA_T11_S9_li ; -- Begin function _ZL29rocblas_internal_gemmt_kernelIiLi16ELi32ELi8ELc67ELc67ELc76ELb1ELb1E19rocblas_complex_numIdES1_PKPKS1_PKPS1_EviT_T9_T10_S9_lSB_S9_lSA_T11_S9_li
	.p2align	8
	.type	_ZL29rocblas_internal_gemmt_kernelIiLi16ELi32ELi8ELc67ELc67ELc76ELb1ELb1E19rocblas_complex_numIdES1_PKPKS1_PKPS1_EviT_T9_T10_S9_lSB_S9_lSA_T11_S9_li,@function
_ZL29rocblas_internal_gemmt_kernelIiLi16ELi32ELi8ELc67ELc67ELc76ELb1ELb1E19rocblas_complex_numIdES1_PKPKS1_PKPS1_EviT_T9_T10_S9_lSB_S9_lSA_T11_S9_li: ; @_ZL29rocblas_internal_gemmt_kernelIiLi16ELi32ELi8ELc67ELc67ELc76ELb1ELb1E19rocblas_complex_numIdES1_PKPKS1_PKPS1_EviT_T9_T10_S9_lSB_S9_lSA_T11_S9_li
; %bb.0:
	s_clause 0x2
	s_load_b256 s[4:11], s[0:1], 0x40
	s_load_b64 s[24:25], s[0:1], 0x0
	s_load_b128 s[12:15], s[0:1], 0x8
	s_wait_kmcnt 0x0
	v_cmp_eq_f64_e64 s2, s[6:7], 1.0
	v_cmp_eq_f64_e64 s3, s[8:9], 0
	s_and_b32 s2, s2, s3
	s_delay_alu instid0(SALU_CYCLE_1)
	s_and_not1_b32 vcc_lo, exec_lo, s2
	s_mov_b32 s2, -1
	s_cbranch_vccnz .LBB431_3
; %bb.1:
	s_cmp_lg_u32 s25, 0
	s_cbranch_scc0 .LBB431_34
; %bb.2:
	v_cmp_neq_f64_e64 s2, s[12:13], 0
	v_cmp_neq_f64_e64 s16, s[14:15], 0
	s_or_b32 s2, s2, s16
.LBB431_3:
	s_delay_alu instid0(SALU_CYCLE_1)
	s_and_b32 vcc_lo, exec_lo, s2
	s_cbranch_vccz .LBB431_35
; %bb.4:
	s_load_b32 s23, s[0:1], 0x70
	s_lshr_b32 s26, ttmp7, 16
	s_wait_kmcnt 0x0
	s_cmp_ge_u32 s26, s23
	s_cbranch_scc1 .LBB431_35
; %bb.5:
	v_cmp_neq_f64_e64 s33, s[12:13], 0
	v_cmp_neq_f64_e64 s34, s[14:15], 0
	v_cmp_neq_f64_e64 s35, s[6:7], 0
	v_dual_mov_b32 v44, 0 :: v_dual_and_b32 v1, 0x3ff, v0
	v_bfe_u32 v2, v0, 10, 10
	s_clause 0x4
	s_load_b96 s[20:22], s[0:1], 0x18
	s_load_b128 s[16:19], s[0:1], 0x28
	s_load_b32 s28, s[0:1], 0x38
	s_load_b32 s36, s[0:1], 0x60
	s_load_b64 s[30:31], s[0:1], 0x68
	v_and_b32_e32 v38, 7, v0
	s_lshl_b32 s0, ttmp9, 5
	s_lshl_b32 s1, ttmp7, 5
	v_lshl_add_u32 v0, v2, 4, v1
	s_and_b32 s1, s1, 0x1fffe0
	v_lshlrev_b32_e32 v39, 4, v1
	v_add_nc_u32_e32 v8, s0, v1
	v_lshlrev_b32_e32 v3, 4, v38
	v_and_b32_e32 v1, 31, v0
	v_add_nc_u32_e32 v4, s1, v2
	v_lshrrev_b32_e32 v41, 5, v0
	v_lshrrev_b32_e32 v0, 3, v0
	v_lshl_add_u32 v40, v2, 7, 0x1000
	v_or_b32_e32 v2, s0, v1
	v_cmp_le_i32_e32 vcc_lo, v4, v8
	v_cmp_gt_i32_e64 s2, s24, v8
	v_add_nc_u32_e32 v10, 16, v8
	v_lshlrev_b32_e32 v1, 4, v1
	v_add_nc_u32_e32 v12, s1, v0
	v_lshl_or_b32 v0, v0, 7, v3
	s_wait_kmcnt 0x0
	s_ashr_i32 s29, s28, 31
	v_cmp_gt_i32_e64 s0, s24, v2
	v_mad_co_i64_i32 v[2:3], null, s22, v2, 0
	v_lshl_or_b32 v42, v41, 9, v1
	v_add_nc_u32_e32 v43, 0x1000, v0
	v_mad_co_i64_i32 v[0:1], null, v4, s36, 0
	v_add_nc_u32_e32 v13, 16, v4
	v_cmp_gt_i32_e64 s1, s24, v12
	v_lshlrev_b64_e32 v[2:3], 4, v[2:3]
	v_lshlrev_b32_e32 v12, 4, v12
	s_or_b32 s37, s33, s34
	s_cmp_gt_i32 s25, 0
	v_mad_co_i64_i32 v[6:7], null, v13, s36, 0
	s_cselect_b32 s38, -1, 0
	s_xor_b32 s3, s3, -1
	s_and_b32 s33, vcc_lo, s2
	v_cmp_le_i32_e32 vcc_lo, v4, v10
	v_mad_co_i64_i32 v[4:5], null, s28, v38, 0
	s_or_b32 s34, s35, s3
	v_cmp_gt_i32_e64 s3, s24, v10
	s_lshl_b64 s[16:17], s[16:17], 4
	s_lshl_b64 s[4:5], s[4:5], 4
	v_lshlrev_b64_e32 v[14:15], 4, v[6:7]
	v_ashrrev_i32_e32 v9, 31, v8
	s_and_b32 s22, vcc_lo, s3
	v_cmp_le_i32_e32 vcc_lo, v13, v8
	v_lshlrev_b64_e32 v[4:5], 4, v[4:5]
	v_ashrrev_i32_e32 v11, 31, v10
	s_mov_b32 s27, 0
	s_wait_alu 0xfffe
	s_and_b32 s35, s37, s38
	s_and_b32 s24, vcc_lo, s2
	v_add_co_u32 v2, s2, v2, s16
	v_cmp_le_i32_e32 vcc_lo, v13, v10
	v_add_co_ci_u32_e64 v3, null, s17, v3, s2
	v_lshlrev_b32_e32 v13, 4, v41
	v_add_co_u32 v4, s2, v4, s4
	s_wait_alu 0xf1ff
	v_add_co_ci_u32_e64 v5, null, s5, v5, s2
	s_delay_alu instid0(VALU_DEP_3) | instskip(NEXT) | instid1(VALU_DEP_3)
	v_add_co_u32 v2, s4, v2, v13
	v_add_co_u32 v4, s2, v4, v12
	v_lshlrev_b64_e32 v[12:13], 4, v[0:1]
	s_wait_alu 0xf1ff
	v_add_co_ci_u32_e64 v45, null, 0, v3, s4
	v_or_b32_e32 v46, 8, v2
	v_add_co_ci_u32_e64 v47, null, 0, v5, s2
	v_or_b32_e32 v48, 8, v4
	s_and_b32 s36, vcc_lo, s3
	s_lshl_b64 s[2:3], s[28:29], 7
	s_lshl_b64 s[4:5], s[30:31], 4
	s_branch .LBB431_7
.LBB431_6:                              ;   in Loop: Header=BB431_7 Depth=1
	s_wait_alu 0xfffe
	s_or_b32 exec_lo, exec_lo, s16
	s_add_co_i32 s26, s26, 0x10000
	s_delay_alu instid0(SALU_CYCLE_1)
	s_cmp_lt_u32 s26, s23
	s_cbranch_scc0 .LBB431_35
.LBB431_7:                              ; =>This Loop Header: Depth=1
                                        ;     Child Loop BB431_10 Depth 2
	s_lshl_b64 s[16:17], s[26:27], 3
	v_mov_b32_e32 v34, 0
	s_wait_alu 0xfffe
	s_add_nc_u64 s[28:29], s[10:11], s[16:17]
	v_mov_b32_e32 v30, 0
	global_load_b64 v[16:17], v44, s[28:29]
	v_mov_b32_e32 v26, 0
	v_dual_mov_b32 v24, 0 :: v_dual_mov_b32 v35, 0
	v_dual_mov_b32 v36, 0 :: v_dual_mov_b32 v31, 0
	;; [unrolled: 1-line block ×5, first 2 shown]
	v_mov_b32_e32 v33, 0
	v_mov_b32_e32 v29, 0
	;; [unrolled: 1-line block ×3, first 2 shown]
	s_and_not1_b32 vcc_lo, exec_lo, s35
	s_wait_alu 0xfffe
	s_cbranch_vccnz .LBB431_14
; %bb.8:                                ;   in Loop: Header=BB431_7 Depth=1
	s_add_nc_u64 s[28:29], s[20:21], s[16:17]
	s_add_nc_u64 s[16:17], s[18:19], s[16:17]
	s_clause 0x1
	global_load_b64 v[0:1], v44, s[28:29]
	global_load_b64 v[2:3], v44, s[16:17]
	v_mov_b32_e32 v22, 0
	v_mov_b32_e32 v28, 0
	;; [unrolled: 1-line block ×3, first 2 shown]
	v_dual_mov_b32 v36, 0 :: v_dual_mov_b32 v23, 0
	v_dual_mov_b32 v24, 0 :: v_dual_mov_b32 v29, 0
	;; [unrolled: 1-line block ×5, first 2 shown]
	v_mov_b32_e32 v27, 0
	v_mov_b32_e32 v31, 0
	;; [unrolled: 1-line block ×3, first 2 shown]
	s_mov_b32 s16, 0
	s_wait_loadcnt 0x1
	v_add_co_u32 v18, vcc_lo, v0, v46
	s_wait_alu 0xfffd
	v_add_co_ci_u32_e64 v19, null, v1, v45, vcc_lo
	s_wait_loadcnt 0x0
	v_add_co_u32 v20, vcc_lo, v2, v48
	s_wait_alu 0xfffd
	v_add_co_ci_u32_e64 v21, null, v3, v47, vcc_lo
	s_branch .LBB431_10
.LBB431_9:                              ;   in Loop: Header=BB431_10 Depth=2
	s_wait_alu 0xfffe
	s_or_b32 exec_lo, exec_lo, s17
	ds_store_b128 v43, v[4:7]
	s_wait_dscnt 0x0
	s_barrier_signal -1
	s_barrier_wait -1
	global_inv scope:SCOPE_SE
	ds_load_b128 v[0:3], v40
	ds_load_b128 v[4:7], v39
	ds_load_b128 v[49:52], v39 offset:256
	ds_load_b128 v[53:56], v40 offset:2048
	ds_load_b128 v[57:60], v40 offset:16
	ds_load_b128 v[61:64], v40 offset:2064
	ds_load_b128 v[65:68], v39 offset:512
	ds_load_b128 v[69:72], v39 offset:768
	ds_load_b128 v[73:76], v40 offset:32
	ds_load_b128 v[77:80], v39 offset:1024
	ds_load_b128 v[81:84], v39 offset:1280
	ds_load_b128 v[85:88], v40 offset:2080
	v_add_co_u32 v18, vcc_lo, 0x80, v18
	s_wait_alu 0xfffd
	v_add_co_ci_u32_e64 v19, null, 0, v19, vcc_lo
	v_add_co_u32 v20, vcc_lo, v20, s2
	s_wait_alu 0xfffd
	v_add_co_ci_u32_e64 v21, null, s3, v21, vcc_lo
	s_add_co_i32 s16, s16, 8
	s_wait_alu 0xfffe
	s_cmp_lt_i32 s16, s25
	s_wait_dscnt 0xa
	v_mul_f64_e32 v[89:90], v[2:3], v[6:7]
	v_mul_f64_e32 v[91:92], v[0:1], v[6:7]
	s_wait_dscnt 0x9
	v_mul_f64_e32 v[93:94], v[2:3], v[51:52]
	v_mul_f64_e32 v[95:96], v[0:1], v[51:52]
	;; [unrolled: 3-line block ×3, first 2 shown]
	v_mul_f64_e32 v[99:100], v[55:56], v[51:52]
	v_mul_f64_e32 v[51:52], v[53:54], v[51:52]
	s_wait_dscnt 0x5
	v_mul_f64_e32 v[101:102], v[59:60], v[67:68]
	v_mul_f64_e32 v[103:104], v[57:58], v[67:68]
	s_wait_dscnt 0x4
	v_mul_f64_e32 v[105:106], v[59:60], v[71:72]
	v_mul_f64_e32 v[107:108], v[57:58], v[71:72]
	;; [unrolled: 1-line block ×6, first 2 shown]
	s_wait_dscnt 0x2
	v_mul_f64_e32 v[117:118], v[75:76], v[79:80]
	v_mul_f64_e32 v[119:120], v[73:74], v[79:80]
	s_wait_dscnt 0x1
	v_mul_f64_e32 v[121:122], v[75:76], v[83:84]
	v_mul_f64_e32 v[123:124], v[73:74], v[83:84]
	;; [unrolled: 3-line block ×3, first 2 shown]
	v_mul_f64_e32 v[127:128], v[87:88], v[83:84]
	v_mul_f64_e32 v[83:84], v[85:86], v[83:84]
	v_fma_f64 v[89:90], v[0:1], v[4:5], -v[89:90]
	v_fma_f64 v[91:92], v[2:3], v[4:5], v[91:92]
	v_fma_f64 v[93:94], v[0:1], v[49:50], -v[93:94]
	v_fma_f64 v[95:96], v[2:3], v[49:50], v[95:96]
	;; [unrolled: 2-line block ×8, first 2 shown]
	ds_load_b128 v[0:3], v40 offset:48
	ds_load_b128 v[4:7], v40 offset:2096
	ds_load_b128 v[49:52], v39 offset:1536
	ds_load_b128 v[53:56], v39 offset:1792
	v_fma_f64 v[117:118], v[73:74], v[77:78], -v[117:118]
	v_fma_f64 v[119:120], v[75:76], v[77:78], v[119:120]
	v_fma_f64 v[73:74], v[73:74], v[81:82], -v[121:122]
	v_fma_f64 v[75:76], v[75:76], v[81:82], v[123:124]
	;; [unrolled: 2-line block ×4, first 2 shown]
	s_wait_dscnt 0x1
	v_mul_f64_e32 v[107:108], v[0:1], v[51:52]
	s_wait_dscnt 0x0
	v_mul_f64_e32 v[109:110], v[2:3], v[55:56]
	v_mul_f64_e32 v[111:112], v[0:1], v[55:56]
	v_add_f64_e32 v[67:68], v[34:35], v[89:90]
	v_add_f64_e32 v[69:70], v[91:92], v[36:37]
	;; [unrolled: 1-line block ×8, first 2 shown]
	v_mul_f64_e32 v[99:100], v[2:3], v[51:52]
	v_mul_f64_e32 v[113:114], v[6:7], v[51:52]
	;; [unrolled: 1-line block ×5, first 2 shown]
	ds_load_b128 v[22:25], v40 offset:64
	ds_load_b128 v[26:29], v39 offset:2048
	;; [unrolled: 1-line block ×4, first 2 shown]
	s_wait_dscnt 0x0
	v_mul_f64_e32 v[123:124], v[36:37], v[28:29]
	v_mul_f64_e32 v[125:126], v[36:37], v[32:33]
	v_fma_f64 v[107:108], v[2:3], v[49:50], v[107:108]
	v_fma_f64 v[109:110], v[0:1], v[53:54], -v[109:110]
	v_fma_f64 v[111:112], v[2:3], v[53:54], v[111:112]
	v_add_f64_e32 v[83:84], v[67:68], v[101:102]
	v_add_f64_e32 v[85:86], v[103:104], v[69:70]
	;; [unrolled: 1-line block ×8, first 2 shown]
	v_mul_f64_e32 v[97:98], v[24:25], v[28:29]
	v_mul_f64_e32 v[101:102], v[22:23], v[28:29]
	;; [unrolled: 1-line block ×6, first 2 shown]
	v_fma_f64 v[99:100], v[0:1], v[49:50], -v[99:100]
	v_fma_f64 v[113:114], v[4:5], v[49:50], -v[113:114]
	v_fma_f64 v[127:128], v[6:7], v[49:50], v[51:52]
	v_fma_f64 v[115:116], v[4:5], v[53:54], -v[115:116]
	v_fma_f64 v[53:54], v[6:7], v[53:54], v[129:130]
	ds_load_b128 v[55:58], v40 offset:80
	ds_load_b128 v[59:62], v40 offset:2128
	;; [unrolled: 1-line block ×4, first 2 shown]
	v_fma_f64 v[123:124], v[34:35], v[26:27], -v[123:124]
	v_fma_f64 v[125:126], v[34:35], v[30:31], -v[125:126]
	v_add_f64_e32 v[83:84], v[83:84], v[117:118]
	v_add_f64_e32 v[85:86], v[119:120], v[85:86]
	;; [unrolled: 1-line block ×8, first 2 shown]
	s_wait_dscnt 0x1
	v_mul_f64_e32 v[89:90], v[57:58], v[65:66]
	v_mul_f64_e32 v[91:92], v[55:56], v[65:66]
	s_wait_dscnt 0x0
	v_mul_f64_e32 v[93:94], v[57:58], v[69:70]
	v_mul_f64_e32 v[95:96], v[55:56], v[69:70]
	;; [unrolled: 1-line block ×6, first 2 shown]
	v_fma_f64 v[97:98], v[22:23], v[26:27], -v[97:98]
	v_fma_f64 v[101:102], v[24:25], v[26:27], v[101:102]
	v_fma_f64 v[103:104], v[22:23], v[30:31], -v[103:104]
	v_fma_f64 v[105:106], v[24:25], v[30:31], v[105:106]
	v_fma_f64 v[129:130], v[36:37], v[26:27], v[28:29]
	;; [unrolled: 1-line block ×3, first 2 shown]
	ds_load_b128 v[0:3], v40 offset:96
	ds_load_b128 v[4:7], v39 offset:3072
	ds_load_b128 v[49:52], v39 offset:3328
	ds_load_b128 v[71:74], v40 offset:2144
	ds_load_b128 v[22:25], v40 offset:112
	ds_load_b128 v[26:29], v40 offset:2160
	ds_load_b128 v[30:33], v39 offset:3584
	ds_load_b128 v[34:37], v39 offset:3840
	s_wait_loadcnt_dscnt 0x0
	s_barrier_signal -1
	s_barrier_wait -1
	global_inv scope:SCOPE_SE
	v_add_f64_e32 v[83:84], v[83:84], v[99:100]
	v_add_f64_e32 v[85:86], v[107:108], v[85:86]
	;; [unrolled: 1-line block ×8, first 2 shown]
	v_mul_f64_e32 v[81:82], v[2:3], v[6:7]
	v_mul_f64_e32 v[107:108], v[0:1], v[6:7]
	;; [unrolled: 1-line block ×8, first 2 shown]
	v_fma_f64 v[89:90], v[55:56], v[63:64], -v[89:90]
	v_fma_f64 v[91:92], v[57:58], v[63:64], v[91:92]
	v_fma_f64 v[55:56], v[55:56], v[67:68], -v[93:94]
	v_fma_f64 v[57:58], v[57:58], v[67:68], v[95:96]
	;; [unrolled: 2-line block ×4, first 2 shown]
	v_mul_f64_e32 v[95:96], v[24:25], v[36:37]
	v_add_f64_e32 v[65:66], v[83:84], v[97:98]
	v_add_f64_e32 v[67:68], v[101:102], v[85:86]
	;; [unrolled: 1-line block ×8, first 2 shown]
	v_mul_f64_e32 v[85:86], v[24:25], v[32:33]
	v_mul_f64_e32 v[87:88], v[22:23], v[32:33]
	;; [unrolled: 1-line block ×7, first 2 shown]
	v_fma_f64 v[81:82], v[0:1], v[4:5], -v[81:82]
	v_fma_f64 v[103:104], v[2:3], v[4:5], v[107:108]
	v_fma_f64 v[0:1], v[0:1], v[49:50], -v[109:110]
	v_fma_f64 v[2:3], v[2:3], v[49:50], v[111:112]
	;; [unrolled: 2-line block ×4, first 2 shown]
	v_add_f64_e32 v[51:52], v[65:66], v[89:90]
	v_add_f64_e32 v[65:66], v[91:92], v[67:68]
	v_add_f64_e32 v[55:56], v[69:70], v[55:56]
	v_add_f64_e32 v[57:58], v[57:58], v[75:76]
	v_add_f64_e32 v[67:68], v[83:84], v[93:94]
	v_add_f64_e32 v[63:64], v[63:64], v[77:78]
	v_add_f64_e32 v[59:60], v[79:80], v[59:60]
	v_add_f64_e32 v[53:54], v[61:62], v[53:54]
	v_fma_f64 v[61:62], v[22:23], v[30:31], -v[85:86]
	v_fma_f64 v[69:70], v[24:25], v[30:31], v[87:88]
	v_fma_f64 v[22:23], v[22:23], v[34:35], -v[95:96]
	v_fma_f64 v[24:25], v[24:25], v[34:35], v[97:98]
	;; [unrolled: 2-line block ×4, first 2 shown]
	v_add_f64_e32 v[26:27], v[51:52], v[81:82]
	v_add_f64_e32 v[28:29], v[103:104], v[65:66]
	;; [unrolled: 1-line block ×16, first 2 shown]
	s_cbranch_scc0 .LBB431_14
.LBB431_10:                             ;   Parent Loop BB431_7 Depth=1
                                        ; =>  This Inner Loop Header: Depth=2
	s_wait_alu 0xfffe
	v_add_nc_u32_e32 v0, s16, v41
	v_mov_b32_e32 v2, 0
	v_mov_b32_e32 v3, 0
	s_delay_alu instid0(VALU_DEP_3)
	v_cmp_gt_i32_e32 vcc_lo, s25, v0
	v_mov_b32_e32 v0, 0
	v_mov_b32_e32 v1, 0
	s_and_b32 s28, s0, vcc_lo
	s_wait_alu 0xfffe
	s_and_saveexec_b32 s17, s28
	s_cbranch_execz .LBB431_12
; %bb.11:                               ;   in Loop: Header=BB431_10 Depth=2
	flat_load_b128 v[0:3], v[18:19] offset:-8
	s_wait_loadcnt_dscnt 0x0
	v_xor_b32_e32 v3, 0x80000000, v3
.LBB431_12:                             ;   in Loop: Header=BB431_10 Depth=2
	s_wait_alu 0xfffe
	s_or_b32 exec_lo, exec_lo, s17
	v_add_nc_u32_e32 v4, s16, v38
	v_mov_b32_e32 v6, 0
	v_mov_b32_e32 v7, 0
	ds_store_b128 v42, v[0:3]
	v_cmp_gt_i32_e32 vcc_lo, s25, v4
	v_mov_b32_e32 v4, 0
	v_mov_b32_e32 v5, 0
	s_and_b32 s28, vcc_lo, s1
	s_wait_alu 0xfffe
	s_and_saveexec_b32 s17, s28
	s_cbranch_execz .LBB431_9
; %bb.13:                               ;   in Loop: Header=BB431_10 Depth=2
	flat_load_b128 v[4:7], v[20:21] offset:-8
	s_wait_loadcnt_dscnt 0x0
	v_xor_b32_e32 v7, 0x80000000, v7
	s_branch .LBB431_9
.LBB431_14:                             ;   in Loop: Header=BB431_7 Depth=1
	s_wait_loadcnt 0x0
	v_add_co_u32 v4, vcc_lo, v16, s4
	s_wait_alu 0xfffd
	v_add_co_ci_u32_e64 v5, null, s5, v17, vcc_lo
	s_delay_alu instid0(VALU_DEP_2) | instskip(SKIP_1) | instid1(VALU_DEP_2)
	v_add_co_u32 v6, vcc_lo, v4, v12
	s_wait_alu 0xfffd
	v_add_co_ci_u32_e64 v7, null, v5, v13, vcc_lo
	s_and_saveexec_b32 s16, s33
	s_cbranch_execz .LBB431_19
; %bb.15:                               ;   in Loop: Header=BB431_7 Depth=1
	v_mul_f64_e32 v[0:1], s[14:15], v[36:37]
	v_mul_f64_e32 v[2:3], s[12:13], v[36:37]
	s_and_b32 vcc_lo, exec_lo, s34
	s_mov_b32 s17, -1
	s_delay_alu instid0(VALU_DEP_2) | instskip(NEXT) | instid1(VALU_DEP_2)
	v_fma_f64 v[0:1], s[12:13], v[34:35], -v[0:1]
	v_fma_f64 v[2:3], s[14:15], v[34:35], v[2:3]
	s_wait_alu 0xfffe
	s_cbranch_vccz .LBB431_17
; %bb.16:                               ;   in Loop: Header=BB431_7 Depth=1
	v_lshlrev_b64_e32 v[16:17], 4, v[8:9]
	s_mov_b32 s17, 0
	s_delay_alu instid0(VALU_DEP_1) | instskip(SKIP_1) | instid1(VALU_DEP_2)
	v_add_co_u32 v20, vcc_lo, v6, v16
	s_wait_alu 0xfffd
	v_add_co_ci_u32_e64 v21, null, v7, v17, vcc_lo
	flat_load_b128 v[16:19], v[20:21]
	s_wait_loadcnt_dscnt 0x0
	v_mul_f64_e32 v[34:35], s[8:9], v[18:19]
	v_mul_f64_e32 v[18:19], s[6:7], v[18:19]
	s_delay_alu instid0(VALU_DEP_2) | instskip(NEXT) | instid1(VALU_DEP_2)
	v_fma_f64 v[34:35], s[6:7], v[16:17], -v[34:35]
	v_fma_f64 v[18:19], s[8:9], v[16:17], v[18:19]
	s_delay_alu instid0(VALU_DEP_2) | instskip(NEXT) | instid1(VALU_DEP_2)
	v_add_f64_e32 v[16:17], v[0:1], v[34:35]
	v_add_f64_e32 v[18:19], v[2:3], v[18:19]
	flat_store_b128 v[20:21], v[16:19]
.LBB431_17:                             ;   in Loop: Header=BB431_7 Depth=1
	s_wait_alu 0xfffe
	s_and_not1_b32 vcc_lo, exec_lo, s17
	s_wait_alu 0xfffe
	s_cbranch_vccnz .LBB431_19
; %bb.18:                               ;   in Loop: Header=BB431_7 Depth=1
	v_lshlrev_b64_e32 v[16:17], 4, v[8:9]
	s_delay_alu instid0(VALU_DEP_1) | instskip(SKIP_1) | instid1(VALU_DEP_2)
	v_add_co_u32 v16, vcc_lo, v6, v16
	s_wait_alu 0xfffd
	v_add_co_ci_u32_e64 v17, null, v7, v17, vcc_lo
	flat_store_b128 v[16:17], v[0:3]
.LBB431_19:                             ;   in Loop: Header=BB431_7 Depth=1
	s_wait_alu 0xfffe
	s_or_b32 exec_lo, exec_lo, s16
	s_and_saveexec_b32 s16, s22
	s_cbranch_execz .LBB431_24
; %bb.20:                               ;   in Loop: Header=BB431_7 Depth=1
	v_mul_f64_e32 v[0:1], s[14:15], v[32:33]
	v_mul_f64_e32 v[2:3], s[12:13], v[32:33]
	s_and_not1_b32 vcc_lo, exec_lo, s34
	s_mov_b32 s17, -1
	s_delay_alu instid0(VALU_DEP_2) | instskip(NEXT) | instid1(VALU_DEP_2)
	v_fma_f64 v[0:1], s[12:13], v[30:31], -v[0:1]
	v_fma_f64 v[2:3], s[14:15], v[30:31], v[2:3]
	s_wait_alu 0xfffe
	s_cbranch_vccnz .LBB431_22
; %bb.21:                               ;   in Loop: Header=BB431_7 Depth=1
	v_lshlrev_b64_e32 v[16:17], 4, v[10:11]
	s_mov_b32 s17, 0
	s_delay_alu instid0(VALU_DEP_1) | instskip(SKIP_1) | instid1(VALU_DEP_2)
	v_add_co_u32 v20, vcc_lo, v6, v16
	s_wait_alu 0xfffd
	v_add_co_ci_u32_e64 v21, null, v7, v17, vcc_lo
	flat_load_b128 v[16:19], v[20:21]
	s_wait_loadcnt_dscnt 0x0
	v_mul_f64_e32 v[30:31], s[8:9], v[18:19]
	v_mul_f64_e32 v[18:19], s[6:7], v[18:19]
	s_delay_alu instid0(VALU_DEP_2) | instskip(NEXT) | instid1(VALU_DEP_2)
	v_fma_f64 v[30:31], s[6:7], v[16:17], -v[30:31]
	v_fma_f64 v[18:19], s[8:9], v[16:17], v[18:19]
	s_delay_alu instid0(VALU_DEP_2) | instskip(NEXT) | instid1(VALU_DEP_2)
	v_add_f64_e32 v[16:17], v[0:1], v[30:31]
	v_add_f64_e32 v[18:19], v[2:3], v[18:19]
	flat_store_b128 v[20:21], v[16:19]
.LBB431_22:                             ;   in Loop: Header=BB431_7 Depth=1
	s_wait_alu 0xfffe
	s_and_not1_b32 vcc_lo, exec_lo, s17
	s_wait_alu 0xfffe
	s_cbranch_vccnz .LBB431_24
; %bb.23:                               ;   in Loop: Header=BB431_7 Depth=1
	v_lshlrev_b64_e32 v[16:17], 4, v[10:11]
	s_delay_alu instid0(VALU_DEP_1) | instskip(SKIP_1) | instid1(VALU_DEP_2)
	v_add_co_u32 v6, vcc_lo, v6, v16
	s_wait_alu 0xfffd
	v_add_co_ci_u32_e64 v7, null, v7, v17, vcc_lo
	flat_store_b128 v[6:7], v[0:3]
.LBB431_24:                             ;   in Loop: Header=BB431_7 Depth=1
	s_wait_alu 0xfffe
	s_or_b32 exec_lo, exec_lo, s16
	v_add_co_u32 v6, vcc_lo, v4, v14
	s_wait_alu 0xfffd
	v_add_co_ci_u32_e64 v7, null, v5, v15, vcc_lo
	s_and_saveexec_b32 s16, s24
	s_cbranch_execz .LBB431_29
; %bb.25:                               ;   in Loop: Header=BB431_7 Depth=1
	v_mul_f64_e32 v[0:1], s[14:15], v[28:29]
	v_mul_f64_e32 v[2:3], s[12:13], v[28:29]
	v_lshlrev_b64_e32 v[4:5], 4, v[8:9]
	s_and_not1_b32 vcc_lo, exec_lo, s34
	s_mov_b32 s17, -1
	s_delay_alu instid0(VALU_DEP_3) | instskip(NEXT) | instid1(VALU_DEP_3)
	v_fma_f64 v[0:1], s[12:13], v[26:27], -v[0:1]
	v_fma_f64 v[2:3], s[14:15], v[26:27], v[2:3]
	s_wait_alu 0xfffe
	s_cbranch_vccnz .LBB431_27
; %bb.26:                               ;   in Loop: Header=BB431_7 Depth=1
	v_add_co_u32 v20, vcc_lo, v6, v4
	s_wait_alu 0xfffd
	v_add_co_ci_u32_e64 v21, null, v7, v5, vcc_lo
	s_mov_b32 s17, 0
	flat_load_b128 v[16:19], v[20:21]
	s_wait_loadcnt_dscnt 0x0
	v_mul_f64_e32 v[26:27], s[8:9], v[18:19]
	v_mul_f64_e32 v[18:19], s[6:7], v[18:19]
	s_delay_alu instid0(VALU_DEP_2) | instskip(NEXT) | instid1(VALU_DEP_2)
	v_fma_f64 v[26:27], s[6:7], v[16:17], -v[26:27]
	v_fma_f64 v[18:19], s[8:9], v[16:17], v[18:19]
	s_delay_alu instid0(VALU_DEP_2) | instskip(NEXT) | instid1(VALU_DEP_2)
	v_add_f64_e32 v[16:17], v[0:1], v[26:27]
	v_add_f64_e32 v[18:19], v[2:3], v[18:19]
	flat_store_b128 v[20:21], v[16:19]
.LBB431_27:                             ;   in Loop: Header=BB431_7 Depth=1
	s_wait_alu 0xfffe
	s_and_not1_b32 vcc_lo, exec_lo, s17
	s_wait_alu 0xfffe
	s_cbranch_vccnz .LBB431_29
; %bb.28:                               ;   in Loop: Header=BB431_7 Depth=1
	v_add_co_u32 v4, vcc_lo, v6, v4
	s_wait_alu 0xfffd
	v_add_co_ci_u32_e64 v5, null, v7, v5, vcc_lo
	flat_store_b128 v[4:5], v[0:3]
.LBB431_29:                             ;   in Loop: Header=BB431_7 Depth=1
	s_wait_alu 0xfffe
	s_or_b32 exec_lo, exec_lo, s16
	s_and_saveexec_b32 s16, s36
	s_cbranch_execz .LBB431_6
; %bb.30:                               ;   in Loop: Header=BB431_7 Depth=1
	v_mul_f64_e32 v[0:1], s[14:15], v[22:23]
	v_mul_f64_e32 v[2:3], s[12:13], v[22:23]
	v_lshlrev_b64_e32 v[4:5], 4, v[10:11]
	s_and_not1_b32 vcc_lo, exec_lo, s34
	s_mov_b32 s17, -1
	s_delay_alu instid0(VALU_DEP_3) | instskip(NEXT) | instid1(VALU_DEP_3)
	v_fma_f64 v[0:1], s[12:13], v[24:25], -v[0:1]
	v_fma_f64 v[2:3], s[14:15], v[24:25], v[2:3]
	s_wait_alu 0xfffe
	s_cbranch_vccnz .LBB431_32
; %bb.31:                               ;   in Loop: Header=BB431_7 Depth=1
	v_add_co_u32 v20, vcc_lo, v6, v4
	s_wait_alu 0xfffd
	v_add_co_ci_u32_e64 v21, null, v7, v5, vcc_lo
	s_mov_b32 s17, 0
	flat_load_b128 v[16:19], v[20:21]
	s_wait_loadcnt_dscnt 0x0
	v_mul_f64_e32 v[22:23], s[8:9], v[18:19]
	v_mul_f64_e32 v[18:19], s[6:7], v[18:19]
	s_delay_alu instid0(VALU_DEP_2) | instskip(NEXT) | instid1(VALU_DEP_2)
	v_fma_f64 v[22:23], s[6:7], v[16:17], -v[22:23]
	v_fma_f64 v[18:19], s[8:9], v[16:17], v[18:19]
	s_delay_alu instid0(VALU_DEP_2) | instskip(NEXT) | instid1(VALU_DEP_2)
	v_add_f64_e32 v[16:17], v[0:1], v[22:23]
	v_add_f64_e32 v[18:19], v[2:3], v[18:19]
	flat_store_b128 v[20:21], v[16:19]
.LBB431_32:                             ;   in Loop: Header=BB431_7 Depth=1
	s_wait_alu 0xfffe
	s_and_not1_b32 vcc_lo, exec_lo, s17
	s_wait_alu 0xfffe
	s_cbranch_vccnz .LBB431_6
; %bb.33:                               ;   in Loop: Header=BB431_7 Depth=1
	v_add_co_u32 v4, vcc_lo, v6, v4
	s_wait_alu 0xfffd
	v_add_co_ci_u32_e64 v5, null, v7, v5, vcc_lo
	flat_store_b128 v[4:5], v[0:3]
	s_branch .LBB431_6
.LBB431_34:
.LBB431_35:
	s_nop 0
	s_sendmsg sendmsg(MSG_DEALLOC_VGPRS)
	s_endpgm
	.section	.rodata,"a",@progbits
	.p2align	6, 0x0
	.amdhsa_kernel _ZL29rocblas_internal_gemmt_kernelIiLi16ELi32ELi8ELc67ELc67ELc76ELb1ELb1E19rocblas_complex_numIdES1_PKPKS1_PKPS1_EviT_T9_T10_S9_lSB_S9_lSA_T11_S9_li
		.amdhsa_group_segment_fixed_size 8192
		.amdhsa_private_segment_fixed_size 0
		.amdhsa_kernarg_size 116
		.amdhsa_user_sgpr_count 2
		.amdhsa_user_sgpr_dispatch_ptr 0
		.amdhsa_user_sgpr_queue_ptr 0
		.amdhsa_user_sgpr_kernarg_segment_ptr 1
		.amdhsa_user_sgpr_dispatch_id 0
		.amdhsa_user_sgpr_private_segment_size 0
		.amdhsa_wavefront_size32 1
		.amdhsa_uses_dynamic_stack 0
		.amdhsa_enable_private_segment 0
		.amdhsa_system_sgpr_workgroup_id_x 1
		.amdhsa_system_sgpr_workgroup_id_y 1
		.amdhsa_system_sgpr_workgroup_id_z 1
		.amdhsa_system_sgpr_workgroup_info 0
		.amdhsa_system_vgpr_workitem_id 1
		.amdhsa_next_free_vgpr 133
		.amdhsa_next_free_sgpr 39
		.amdhsa_reserve_vcc 1
		.amdhsa_float_round_mode_32 0
		.amdhsa_float_round_mode_16_64 0
		.amdhsa_float_denorm_mode_32 3
		.amdhsa_float_denorm_mode_16_64 3
		.amdhsa_fp16_overflow 0
		.amdhsa_workgroup_processor_mode 1
		.amdhsa_memory_ordered 1
		.amdhsa_forward_progress 1
		.amdhsa_inst_pref_size 27
		.amdhsa_round_robin_scheduling 0
		.amdhsa_exception_fp_ieee_invalid_op 0
		.amdhsa_exception_fp_denorm_src 0
		.amdhsa_exception_fp_ieee_div_zero 0
		.amdhsa_exception_fp_ieee_overflow 0
		.amdhsa_exception_fp_ieee_underflow 0
		.amdhsa_exception_fp_ieee_inexact 0
		.amdhsa_exception_int_div_zero 0
	.end_amdhsa_kernel
	.section	.text._ZL29rocblas_internal_gemmt_kernelIiLi16ELi32ELi8ELc67ELc67ELc76ELb1ELb1E19rocblas_complex_numIdES1_PKPKS1_PKPS1_EviT_T9_T10_S9_lSB_S9_lSA_T11_S9_li,"axG",@progbits,_ZL29rocblas_internal_gemmt_kernelIiLi16ELi32ELi8ELc67ELc67ELc76ELb1ELb1E19rocblas_complex_numIdES1_PKPKS1_PKPS1_EviT_T9_T10_S9_lSB_S9_lSA_T11_S9_li,comdat
.Lfunc_end431:
	.size	_ZL29rocblas_internal_gemmt_kernelIiLi16ELi32ELi8ELc67ELc67ELc76ELb1ELb1E19rocblas_complex_numIdES1_PKPKS1_PKPS1_EviT_T9_T10_S9_lSB_S9_lSA_T11_S9_li, .Lfunc_end431-_ZL29rocblas_internal_gemmt_kernelIiLi16ELi32ELi8ELc67ELc67ELc76ELb1ELb1E19rocblas_complex_numIdES1_PKPKS1_PKPS1_EviT_T9_T10_S9_lSB_S9_lSA_T11_S9_li
                                        ; -- End function
	.set _ZL29rocblas_internal_gemmt_kernelIiLi16ELi32ELi8ELc67ELc67ELc76ELb1ELb1E19rocblas_complex_numIdES1_PKPKS1_PKPS1_EviT_T9_T10_S9_lSB_S9_lSA_T11_S9_li.num_vgpr, 133
	.set _ZL29rocblas_internal_gemmt_kernelIiLi16ELi32ELi8ELc67ELc67ELc76ELb1ELb1E19rocblas_complex_numIdES1_PKPKS1_PKPS1_EviT_T9_T10_S9_lSB_S9_lSA_T11_S9_li.num_agpr, 0
	.set _ZL29rocblas_internal_gemmt_kernelIiLi16ELi32ELi8ELc67ELc67ELc76ELb1ELb1E19rocblas_complex_numIdES1_PKPKS1_PKPS1_EviT_T9_T10_S9_lSB_S9_lSA_T11_S9_li.numbered_sgpr, 39
	.set _ZL29rocblas_internal_gemmt_kernelIiLi16ELi32ELi8ELc67ELc67ELc76ELb1ELb1E19rocblas_complex_numIdES1_PKPKS1_PKPS1_EviT_T9_T10_S9_lSB_S9_lSA_T11_S9_li.num_named_barrier, 0
	.set _ZL29rocblas_internal_gemmt_kernelIiLi16ELi32ELi8ELc67ELc67ELc76ELb1ELb1E19rocblas_complex_numIdES1_PKPKS1_PKPS1_EviT_T9_T10_S9_lSB_S9_lSA_T11_S9_li.private_seg_size, 0
	.set _ZL29rocblas_internal_gemmt_kernelIiLi16ELi32ELi8ELc67ELc67ELc76ELb1ELb1E19rocblas_complex_numIdES1_PKPKS1_PKPS1_EviT_T9_T10_S9_lSB_S9_lSA_T11_S9_li.uses_vcc, 1
	.set _ZL29rocblas_internal_gemmt_kernelIiLi16ELi32ELi8ELc67ELc67ELc76ELb1ELb1E19rocblas_complex_numIdES1_PKPKS1_PKPS1_EviT_T9_T10_S9_lSB_S9_lSA_T11_S9_li.uses_flat_scratch, 0
	.set _ZL29rocblas_internal_gemmt_kernelIiLi16ELi32ELi8ELc67ELc67ELc76ELb1ELb1E19rocblas_complex_numIdES1_PKPKS1_PKPS1_EviT_T9_T10_S9_lSB_S9_lSA_T11_S9_li.has_dyn_sized_stack, 0
	.set _ZL29rocblas_internal_gemmt_kernelIiLi16ELi32ELi8ELc67ELc67ELc76ELb1ELb1E19rocblas_complex_numIdES1_PKPKS1_PKPS1_EviT_T9_T10_S9_lSB_S9_lSA_T11_S9_li.has_recursion, 0
	.set _ZL29rocblas_internal_gemmt_kernelIiLi16ELi32ELi8ELc67ELc67ELc76ELb1ELb1E19rocblas_complex_numIdES1_PKPKS1_PKPS1_EviT_T9_T10_S9_lSB_S9_lSA_T11_S9_li.has_indirect_call, 0
	.section	.AMDGPU.csdata,"",@progbits
; Kernel info:
; codeLenInByte = 3416
; TotalNumSgprs: 41
; NumVgprs: 133
; ScratchSize: 0
; MemoryBound: 1
; FloatMode: 240
; IeeeMode: 1
; LDSByteSize: 8192 bytes/workgroup (compile time only)
; SGPRBlocks: 0
; VGPRBlocks: 16
; NumSGPRsForWavesPerEU: 41
; NumVGPRsForWavesPerEU: 133
; Occupancy: 10
; WaveLimiterHint : 1
; COMPUTE_PGM_RSRC2:SCRATCH_EN: 0
; COMPUTE_PGM_RSRC2:USER_SGPR: 2
; COMPUTE_PGM_RSRC2:TRAP_HANDLER: 0
; COMPUTE_PGM_RSRC2:TGID_X_EN: 1
; COMPUTE_PGM_RSRC2:TGID_Y_EN: 1
; COMPUTE_PGM_RSRC2:TGID_Z_EN: 1
; COMPUTE_PGM_RSRC2:TIDIG_COMP_CNT: 1
	.section	.text._ZL29rocblas_internal_gemmt_kernelIlLi16ELi32ELi8ELc78ELc78ELc85ELb0ELb0EfPKfPKS1_PKPfEviT_T9_T10_S7_lS9_S7_lS8_T11_S7_li,"axG",@progbits,_ZL29rocblas_internal_gemmt_kernelIlLi16ELi32ELi8ELc78ELc78ELc85ELb0ELb0EfPKfPKS1_PKPfEviT_T9_T10_S7_lS9_S7_lS8_T11_S7_li,comdat
	.globl	_ZL29rocblas_internal_gemmt_kernelIlLi16ELi32ELi8ELc78ELc78ELc85ELb0ELb0EfPKfPKS1_PKPfEviT_T9_T10_S7_lS9_S7_lS8_T11_S7_li ; -- Begin function _ZL29rocblas_internal_gemmt_kernelIlLi16ELi32ELi8ELc78ELc78ELc85ELb0ELb0EfPKfPKS1_PKPfEviT_T9_T10_S7_lS9_S7_lS8_T11_S7_li
	.p2align	8
	.type	_ZL29rocblas_internal_gemmt_kernelIlLi16ELi32ELi8ELc78ELc78ELc85ELb0ELb0EfPKfPKS1_PKPfEviT_T9_T10_S7_lS9_S7_lS8_T11_S7_li,@function
_ZL29rocblas_internal_gemmt_kernelIlLi16ELi32ELi8ELc78ELc78ELc85ELb0ELb0EfPKfPKS1_PKPfEviT_T9_T10_S7_lS9_S7_lS8_T11_S7_li: ; @_ZL29rocblas_internal_gemmt_kernelIlLi16ELi32ELi8ELc78ELc78ELc85ELb0ELb0EfPKfPKS1_PKPfEviT_T9_T10_S7_lS9_S7_lS8_T11_S7_li
; %bb.0:
	s_clause 0x1
	s_load_b256 s[24:31], s[0:1], 0x48
	s_load_b512 s[8:23], s[0:1], 0x8
	s_wait_kmcnt 0x0
	s_load_b32 s24, s[24:25], 0x0
	s_load_b32 s25, s[10:11], 0x0
	s_wait_kmcnt 0x0
	s_cmp_neq_f32 s24, 1.0
	s_cselect_b32 s2, -1, 0
	s_delay_alu instid0(SALU_CYCLE_1)
	s_and_b32 vcc_lo, exec_lo, s2
	s_cbranch_vccnz .LBB432_2
; %bb.1:
	s_cmp_lg_u64 s[8:9], 0
	s_cselect_b32 s2, -1, 0
	s_cmp_neq_f32 s25, 0
	s_cselect_b32 s3, -1, 0
	s_delay_alu instid0(SALU_CYCLE_1)
	s_and_b32 s2, s2, s3
.LBB432_2:
	s_delay_alu instid0(SALU_CYCLE_1)
	s_and_not1_b32 vcc_lo, exec_lo, s2
	s_cbranch_vccnz .LBB432_35
; %bb.3:
	s_load_b32 s33, s[0:1], 0x68
	s_lshr_b32 s6, ttmp7, 16
	s_wait_kmcnt 0x0
	s_cmp_ge_u32 s6, s33
	s_cbranch_scc1 .LBB432_35
; %bb.4:
	v_bfe_u32 v5, v0, 10, 10
	s_load_b32 s3, s[0:1], 0x0
	s_lshl_b32 s1, ttmp7, 5
	s_lshl_b32 s0, ttmp9, 5
	s_and_b32 s1, s1, 0x1fffe0
	v_lshl_add_u32 v21, v5, 5, 0x400
	v_add_nc_u32_e32 v15, s1, v5
	s_cmp_neq_f32 s25, 0
	v_cmp_gt_i64_e64 s10, s[8:9], 0
	s_mov_b32 s7, 0
	v_mad_co_u64_u32 v[10:11], null, s28, v15, 0
	v_and_b32_e32 v1, 0x3ff, v0
	v_add_nc_u32_e32 v22, 16, v15
	s_cselect_b32 s11, -1, 0
	s_cmp_neq_f32 s24, 0
	s_delay_alu instid0(VALU_DEP_2)
	v_lshl_add_u32 v2, v5, 4, v1
	v_lshlrev_b32_e32 v17, 2, v1
	v_mad_co_u64_u32 v[12:13], null, s28, v22, 0
	s_wait_kmcnt 0x0
	v_cmp_gt_i32_e32 vcc_lo, s3, v15
	v_lshrrev_b32_e32 v3, 3, v2
	v_lshrrev_b32_e32 v18, 5, v2
	s_delay_alu instid0(VALU_DEP_2) | instskip(NEXT) | instid1(VALU_DEP_1)
	v_add_nc_u32_e32 v14, s1, v3
	v_mad_co_u64_u32 v[8:9], null, s20, v14, 0
	v_and_b32_e32 v16, 7, v0
	v_add_nc_u32_e32 v0, s0, v1
	v_dual_mov_b32 v2, v11 :: v_dual_and_b32 v1, 31, v2
	s_cselect_b32 s20, -1, 0
	s_and_b32 s35, s11, s10
	s_lshl_b64 s[10:11], s[30:31], 2
	s_delay_alu instid0(VALU_DEP_1) | instskip(SKIP_2) | instid1(VALU_DEP_3)
	v_or_b32_e32 v6, s0, v1
	v_lshlrev_b32_e32 v7, 2, v1
	v_dual_mov_b32 v1, v9 :: v_dual_lshlrev_b32 v4, 2, v16
	v_cmp_gt_i32_e64 s0, s3, v6
	s_delay_alu instid0(VALU_DEP_3) | instskip(SKIP_1) | instid1(VALU_DEP_4)
	v_lshl_or_b32 v19, v18, 7, v7
	v_ashrrev_i32_e32 v7, 31, v6
	v_lshl_or_b32 v20, v3, 5, v4
	v_mad_co_u64_u32 v[3:4], null, s21, v14, v[1:2]
	s_delay_alu instid0(VALU_DEP_3) | instskip(NEXT) | instid1(VALU_DEP_3)
	v_lshlrev_b64_e32 v[6:7], 2, v[6:7]
	v_add_nc_u32_e32 v20, 0x400, v20
	s_delay_alu instid0(VALU_DEP_3) | instskip(SKIP_4) | instid1(VALU_DEP_4)
	v_mad_co_u64_u32 v[1:2], null, s29, v15, v[2:3]
	v_mov_b32_e32 v9, v3
	v_mov_b32_e32 v3, v13
	v_cmp_le_i32_e64 s2, v0, v15
	v_add_nc_u32_e32 v2, 16, v0
	v_lshlrev_b64_e32 v[8:9], 2, v[8:9]
	s_delay_alu instid0(VALU_DEP_4)
	v_mad_co_u64_u32 v[4:5], null, s29, v22, v[3:4]
	v_mov_b32_e32 v11, v1
	v_cmp_gt_i32_e64 s1, s3, v14
	s_and_b32 s21, vcc_lo, s2
	v_cmp_le_i32_e64 s2, v2, v15
	v_ashrrev_i32_e32 v1, 31, v0
	v_lshlrev_b64_e32 v[10:11], 2, v[10:11]
	v_mov_b32_e32 v13, v4
	v_cmp_gt_i32_e64 s3, s3, v22
	v_cmp_le_i32_e64 s4, v0, v22
	v_cmp_le_i32_e64 s5, v2, v22
	v_ashrrev_i32_e32 v3, 31, v2
	v_lshlrev_b64_e32 v[12:13], 2, v[12:13]
	v_mov_b32_e32 v5, 0
	s_and_b32 s28, vcc_lo, s2
	s_and_b32 s29, s3, s4
	s_and_b32 s34, s3, s5
	s_lshl_b64 s[2:3], s[22:23], 2
	s_lshl_b64 s[4:5], s[16:17], 2
	s_branch .LBB432_6
.LBB432_5:                              ;   in Loop: Header=BB432_6 Depth=1
	s_wait_alu 0xfffe
	s_or_b32 exec_lo, exec_lo, s16
	s_add_co_i32 s6, s6, 0x10000
	s_delay_alu instid0(SALU_CYCLE_1)
	s_cmp_lt_u32 s6, s33
	s_cbranch_scc0 .LBB432_35
.LBB432_6:                              ; =>This Loop Header: Depth=1
                                        ;     Child Loop BB432_9 Depth 2
	s_lshl_b64 s[16:17], s[6:7], 3
	v_dual_mov_b32 v25, v5 :: v_dual_mov_b32 v24, v5
	s_wait_alu 0xfffe
	s_add_nc_u64 s[22:23], s[26:27], s[16:17]
	v_dual_mov_b32 v23, v5 :: v_dual_mov_b32 v22, v5
	global_load_b64 v[14:15], v5, s[22:23]
	s_and_not1_b32 vcc_lo, exec_lo, s35
	s_wait_alu 0xfffe
	s_cbranch_vccnz .LBB432_15
; %bb.7:                                ;   in Loop: Header=BB432_6 Depth=1
	s_add_nc_u64 s[22:23], s[12:13], s[16:17]
	s_add_nc_u64 s[16:17], s[18:19], s[16:17]
	s_clause 0x1
	global_load_b64 v[25:26], v5, s[22:23]
	global_load_b64 v[27:28], v5, s[16:17]
	v_dual_mov_b32 v22, 0 :: v_dual_mov_b32 v23, 0
	v_mov_b32_e32 v24, 0
	s_mov_b64 s[16:17], 0
	s_wait_loadcnt 0x1
	v_add_co_u32 v4, vcc_lo, v25, s4
	s_wait_alu 0xfffd
	v_add_co_ci_u32_e64 v25, null, s5, v26, vcc_lo
	s_wait_loadcnt 0x0
	v_add_co_u32 v29, vcc_lo, v27, s2
	s_wait_alu 0xfffd
	v_add_co_ci_u32_e64 v30, null, s3, v28, vcc_lo
	v_add_co_u32 v26, vcc_lo, v4, v6
	s_wait_alu 0xfffd
	v_add_co_ci_u32_e64 v27, null, v25, v7, vcc_lo
	;; [unrolled: 3-line block ×3, first 2 shown]
	v_mov_b32_e32 v25, 0
	s_branch .LBB432_9
.LBB432_8:                              ;   in Loop: Header=BB432_9 Depth=2
	s_or_b32 exec_lo, exec_lo, s22
	s_wait_loadcnt_dscnt 0x0
	ds_store_b32 v20, v31
	s_wait_dscnt 0x0
	s_barrier_signal -1
	s_barrier_wait -1
	global_inv scope:SCOPE_SE
	ds_load_b128 v[30:33], v21
	ds_load_2addr_b32 v[46:47], v17 offset1:16
	ds_load_b128 v[34:37], v21 offset:512
	ds_load_2addr_b32 v[48:49], v17 offset0:32 offset1:48
	ds_load_2addr_b32 v[50:51], v17 offset0:64 offset1:80
	;; [unrolled: 1-line block ×3, first 2 shown]
	ds_load_b128 v[38:41], v21 offset:16
	ds_load_2addr_b32 v[54:55], v17 offset0:128 offset1:144
	ds_load_b128 v[42:45], v21 offset:528
	ds_load_2addr_b32 v[56:57], v17 offset0:160 offset1:176
	s_add_nc_u64 s[16:17], s[16:17], 8
	s_wait_alu 0xfffe
	v_cmp_gt_i64_e64 s22, s[8:9], s[16:17]
	s_and_b32 vcc_lo, exec_lo, s22
	s_wait_dscnt 0x8
	v_fmac_f32_e32 v24, v47, v30
	v_fmac_f32_e32 v25, v46, v30
	s_wait_dscnt 0x7
	v_fmac_f32_e32 v22, v47, v34
	v_fmac_f32_e32 v23, v46, v34
	ds_load_2addr_b32 v[46:47], v17 offset0:192 offset1:208
	s_wait_dscnt 0x7
	v_fmac_f32_e32 v24, v49, v31
	v_fmac_f32_e32 v25, v48, v31
	;; [unrolled: 1-line block ×4, first 2 shown]
	ds_load_2addr_b32 v[30:31], v17 offset0:224 offset1:240
	s_wait_dscnt 0x7
	v_fmac_f32_e32 v24, v51, v32
	v_fmac_f32_e32 v25, v50, v32
	v_fmac_f32_e32 v22, v51, v36
	v_fmac_f32_e32 v23, v50, v36
	s_wait_loadcnt_dscnt 0x0
	v_fmac_f32_e32 v24, v53, v33
	v_fmac_f32_e32 v25, v52, v33
	v_fmac_f32_e32 v22, v53, v37
	v_fmac_f32_e32 v23, v52, v37
	s_barrier_signal -1
	v_fmac_f32_e32 v24, v55, v38
	v_fmac_f32_e32 v25, v54, v38
	;; [unrolled: 1-line block ×4, first 2 shown]
	s_barrier_wait -1
	v_fmac_f32_e32 v24, v57, v39
	v_fmac_f32_e32 v25, v56, v39
	;; [unrolled: 1-line block ×4, first 2 shown]
	global_inv scope:SCOPE_SE
	v_fmac_f32_e32 v24, v47, v40
	v_fmac_f32_e32 v25, v46, v40
	;; [unrolled: 1-line block ×3, first 2 shown]
	s_delay_alu instid0(VALU_DEP_3) | instskip(NEXT) | instid1(VALU_DEP_3)
	v_dual_fmac_f32 v23, v46, v44 :: v_dual_fmac_f32 v24, v31, v41
	v_fmac_f32_e32 v25, v30, v41
	s_delay_alu instid0(VALU_DEP_3) | instskip(NEXT) | instid1(VALU_DEP_3)
	v_fmac_f32_e32 v22, v31, v45
	v_fmac_f32_e32 v23, v30, v45
	s_wait_alu 0xfffe
	s_cbranch_vccz .LBB432_15
.LBB432_9:                              ;   Parent Loop BB432_6 Depth=1
                                        ; =>  This Inner Loop Header: Depth=2
	v_mov_b32_e32 v30, 0
	s_and_saveexec_b32 s22, s0
	s_cbranch_execz .LBB432_13
; %bb.10:                               ;   in Loop: Header=BB432_9 Depth=2
	s_wait_alu 0xfffe
	v_add_nc_u32_e32 v4, s16, v18
	v_mov_b32_e32 v30, 0
	s_mov_b32 s23, exec_lo
	s_delay_alu instid0(VALU_DEP_2)
	v_cmpx_gt_u64_e64 s[8:9], v[4:5]
	s_cbranch_execz .LBB432_12
; %bb.11:                               ;   in Loop: Header=BB432_9 Depth=2
	v_mad_co_u64_u32 v[30:31], null, s14, v4, 0
	s_delay_alu instid0(VALU_DEP_1) | instskip(NEXT) | instid1(VALU_DEP_1)
	v_mad_co_u64_u32 v[31:32], null, s15, v4, v[31:32]
	v_lshlrev_b64_e32 v[30:31], 2, v[30:31]
	s_delay_alu instid0(VALU_DEP_1) | instskip(SKIP_1) | instid1(VALU_DEP_2)
	v_add_co_u32 v30, vcc_lo, v26, v30
	s_wait_alu 0xfffd
	v_add_co_ci_u32_e64 v31, null, v27, v31, vcc_lo
	flat_load_b32 v30, v[30:31]
.LBB432_12:                             ;   in Loop: Header=BB432_9 Depth=2
	s_or_b32 exec_lo, exec_lo, s23
.LBB432_13:                             ;   in Loop: Header=BB432_9 Depth=2
	s_delay_alu instid0(SALU_CYCLE_1)
	s_or_b32 exec_lo, exec_lo, s22
	s_wait_alu 0xfffe
	v_dual_mov_b32 v31, 0 :: v_dual_add_nc_u32 v4, s16, v16
	s_wait_loadcnt_dscnt 0x0
	ds_store_b32 v19, v30
	v_cmp_gt_u64_e32 vcc_lo, s[8:9], v[4:5]
	s_and_b32 s23, vcc_lo, s1
	s_delay_alu instid0(SALU_CYCLE_1)
	s_and_saveexec_b32 s22, s23
	s_cbranch_execz .LBB432_8
; %bb.14:                               ;   in Loop: Header=BB432_9 Depth=2
	v_lshlrev_b64_e32 v[30:31], 2, v[4:5]
	s_delay_alu instid0(VALU_DEP_1) | instskip(SKIP_1) | instid1(VALU_DEP_2)
	v_add_co_u32 v30, vcc_lo, v28, v30
	s_wait_alu 0xfffd
	v_add_co_ci_u32_e64 v31, null, v29, v31, vcc_lo
	flat_load_b32 v31, v[30:31]
	s_branch .LBB432_8
.LBB432_15:                             ;   in Loop: Header=BB432_6 Depth=1
	s_wait_loadcnt 0x0
	v_add_co_u32 v4, vcc_lo, v14, s10
	s_wait_alu 0xfffd
	v_add_co_ci_u32_e64 v14, null, s11, v15, vcc_lo
	s_delay_alu instid0(VALU_DEP_2) | instskip(SKIP_1) | instid1(VALU_DEP_2)
	v_add_co_u32 v15, vcc_lo, v4, v10
	s_wait_alu 0xfffd
	v_add_co_ci_u32_e64 v26, null, v14, v11, vcc_lo
	s_wait_alu 0xfffe
	s_and_saveexec_b32 s16, s21
	s_cbranch_execz .LBB432_19
; %bb.16:                               ;   in Loop: Header=BB432_6 Depth=1
	v_mul_f32_e32 v25, s25, v25
	s_and_b32 vcc_lo, exec_lo, s20
	s_wait_alu 0xfffe
	s_cbranch_vccz .LBB432_30
; %bb.17:                               ;   in Loop: Header=BB432_6 Depth=1
	v_lshlrev_b64_e32 v[27:28], 2, v[0:1]
	s_delay_alu instid0(VALU_DEP_1) | instskip(SKIP_1) | instid1(VALU_DEP_2)
	v_add_co_u32 v27, vcc_lo, v15, v27
	s_wait_alu 0xfffd
	v_add_co_ci_u32_e64 v28, null, v26, v28, vcc_lo
	flat_load_b32 v29, v[27:28]
	s_wait_loadcnt_dscnt 0x0
	v_fma_f32 v29, s24, v29, v25
	flat_store_b32 v[27:28], v29
	s_cbranch_execnz .LBB432_19
.LBB432_18:                             ;   in Loop: Header=BB432_6 Depth=1
	v_lshlrev_b64_e32 v[27:28], 2, v[0:1]
	s_delay_alu instid0(VALU_DEP_1) | instskip(SKIP_1) | instid1(VALU_DEP_2)
	v_add_co_u32 v27, vcc_lo, v15, v27
	s_wait_alu 0xfffd
	v_add_co_ci_u32_e64 v28, null, v26, v28, vcc_lo
	flat_store_b32 v[27:28], v25
.LBB432_19:                             ;   in Loop: Header=BB432_6 Depth=1
	s_wait_alu 0xfffe
	s_or_b32 exec_lo, exec_lo, s16
	s_and_saveexec_b32 s16, s28
	s_cbranch_execz .LBB432_23
; %bb.20:                               ;   in Loop: Header=BB432_6 Depth=1
	v_mul_f32_e32 v24, s25, v24
	s_and_not1_b32 vcc_lo, exec_lo, s20
	s_wait_alu 0xfffe
	s_cbranch_vccnz .LBB432_31
; %bb.21:                               ;   in Loop: Header=BB432_6 Depth=1
	v_lshlrev_b64_e32 v[27:28], 2, v[2:3]
	s_delay_alu instid0(VALU_DEP_1) | instskip(SKIP_1) | instid1(VALU_DEP_2)
	v_add_co_u32 v27, vcc_lo, v15, v27
	s_wait_alu 0xfffd
	v_add_co_ci_u32_e64 v28, null, v26, v28, vcc_lo
	flat_load_b32 v25, v[27:28]
	s_wait_loadcnt_dscnt 0x0
	v_fma_f32 v25, s24, v25, v24
	flat_store_b32 v[27:28], v25
	s_cbranch_execnz .LBB432_23
.LBB432_22:                             ;   in Loop: Header=BB432_6 Depth=1
	v_lshlrev_b64_e32 v[27:28], 2, v[2:3]
	s_delay_alu instid0(VALU_DEP_1) | instskip(SKIP_1) | instid1(VALU_DEP_2)
	v_add_co_u32 v25, vcc_lo, v15, v27
	s_wait_alu 0xfffd
	v_add_co_ci_u32_e64 v26, null, v26, v28, vcc_lo
	flat_store_b32 v[25:26], v24
.LBB432_23:                             ;   in Loop: Header=BB432_6 Depth=1
	s_wait_alu 0xfffe
	s_or_b32 exec_lo, exec_lo, s16
	v_add_co_u32 v4, vcc_lo, v4, v12
	s_wait_alu 0xfffd
	v_add_co_ci_u32_e64 v24, null, v14, v13, vcc_lo
	s_and_saveexec_b32 s16, s29
	s_cbranch_execz .LBB432_27
; %bb.24:                               ;   in Loop: Header=BB432_6 Depth=1
	v_lshlrev_b64_e32 v[14:15], 2, v[0:1]
	v_mul_f32_e32 v23, s25, v23
	s_and_not1_b32 vcc_lo, exec_lo, s20
	s_wait_alu 0xfffe
	s_cbranch_vccnz .LBB432_32
; %bb.25:                               ;   in Loop: Header=BB432_6 Depth=1
	s_delay_alu instid0(VALU_DEP_2)
	v_add_co_u32 v25, vcc_lo, v4, v14
	s_wait_alu 0xfffd
	v_add_co_ci_u32_e64 v26, null, v24, v15, vcc_lo
	flat_load_b32 v27, v[25:26]
	s_wait_loadcnt_dscnt 0x0
	v_fma_f32 v27, s24, v27, v23
	flat_store_b32 v[25:26], v27
	s_cbranch_execnz .LBB432_27
.LBB432_26:                             ;   in Loop: Header=BB432_6 Depth=1
	v_add_co_u32 v14, vcc_lo, v4, v14
	s_wait_alu 0xfffd
	v_add_co_ci_u32_e64 v15, null, v24, v15, vcc_lo
	flat_store_b32 v[14:15], v23
.LBB432_27:                             ;   in Loop: Header=BB432_6 Depth=1
	s_wait_alu 0xfffe
	s_or_b32 exec_lo, exec_lo, s16
	s_and_saveexec_b32 s16, s34
	s_cbranch_execz .LBB432_5
; %bb.28:                               ;   in Loop: Header=BB432_6 Depth=1
	v_lshlrev_b64_e32 v[14:15], 2, v[2:3]
	v_mul_f32_e32 v22, s25, v22
	s_and_not1_b32 vcc_lo, exec_lo, s20
	s_wait_alu 0xfffe
	s_cbranch_vccnz .LBB432_33
; %bb.29:                               ;   in Loop: Header=BB432_6 Depth=1
	s_delay_alu instid0(VALU_DEP_2)
	v_add_co_u32 v25, vcc_lo, v4, v14
	s_wait_alu 0xfffd
	v_add_co_ci_u32_e64 v26, null, v24, v15, vcc_lo
	flat_load_b32 v23, v[25:26]
	s_wait_loadcnt_dscnt 0x0
	v_fma_f32 v23, s24, v23, v22
	flat_store_b32 v[25:26], v23
	s_cbranch_execnz .LBB432_5
	s_branch .LBB432_34
.LBB432_30:                             ;   in Loop: Header=BB432_6 Depth=1
	s_branch .LBB432_18
.LBB432_31:                             ;   in Loop: Header=BB432_6 Depth=1
	s_branch .LBB432_22
.LBB432_32:                             ;   in Loop: Header=BB432_6 Depth=1
	s_branch .LBB432_26
.LBB432_33:                             ;   in Loop: Header=BB432_6 Depth=1
.LBB432_34:                             ;   in Loop: Header=BB432_6 Depth=1
	s_delay_alu instid0(VALU_DEP_2)
	v_add_co_u32 v14, vcc_lo, v4, v14
	s_wait_alu 0xfffd
	v_add_co_ci_u32_e64 v15, null, v24, v15, vcc_lo
	flat_store_b32 v[14:15], v22
	s_branch .LBB432_5
.LBB432_35:
	s_endpgm
	.section	.rodata,"a",@progbits
	.p2align	6, 0x0
	.amdhsa_kernel _ZL29rocblas_internal_gemmt_kernelIlLi16ELi32ELi8ELc78ELc78ELc85ELb0ELb0EfPKfPKS1_PKPfEviT_T9_T10_S7_lS9_S7_lS8_T11_S7_li
		.amdhsa_group_segment_fixed_size 2048
		.amdhsa_private_segment_fixed_size 0
		.amdhsa_kernarg_size 108
		.amdhsa_user_sgpr_count 2
		.amdhsa_user_sgpr_dispatch_ptr 0
		.amdhsa_user_sgpr_queue_ptr 0
		.amdhsa_user_sgpr_kernarg_segment_ptr 1
		.amdhsa_user_sgpr_dispatch_id 0
		.amdhsa_user_sgpr_private_segment_size 0
		.amdhsa_wavefront_size32 1
		.amdhsa_uses_dynamic_stack 0
		.amdhsa_enable_private_segment 0
		.amdhsa_system_sgpr_workgroup_id_x 1
		.amdhsa_system_sgpr_workgroup_id_y 1
		.amdhsa_system_sgpr_workgroup_id_z 1
		.amdhsa_system_sgpr_workgroup_info 0
		.amdhsa_system_vgpr_workitem_id 1
		.amdhsa_next_free_vgpr 58
		.amdhsa_next_free_sgpr 36
		.amdhsa_reserve_vcc 1
		.amdhsa_float_round_mode_32 0
		.amdhsa_float_round_mode_16_64 0
		.amdhsa_float_denorm_mode_32 3
		.amdhsa_float_denorm_mode_16_64 3
		.amdhsa_fp16_overflow 0
		.amdhsa_workgroup_processor_mode 1
		.amdhsa_memory_ordered 1
		.amdhsa_forward_progress 1
		.amdhsa_inst_pref_size 16
		.amdhsa_round_robin_scheduling 0
		.amdhsa_exception_fp_ieee_invalid_op 0
		.amdhsa_exception_fp_denorm_src 0
		.amdhsa_exception_fp_ieee_div_zero 0
		.amdhsa_exception_fp_ieee_overflow 0
		.amdhsa_exception_fp_ieee_underflow 0
		.amdhsa_exception_fp_ieee_inexact 0
		.amdhsa_exception_int_div_zero 0
	.end_amdhsa_kernel
	.section	.text._ZL29rocblas_internal_gemmt_kernelIlLi16ELi32ELi8ELc78ELc78ELc85ELb0ELb0EfPKfPKS1_PKPfEviT_T9_T10_S7_lS9_S7_lS8_T11_S7_li,"axG",@progbits,_ZL29rocblas_internal_gemmt_kernelIlLi16ELi32ELi8ELc78ELc78ELc85ELb0ELb0EfPKfPKS1_PKPfEviT_T9_T10_S7_lS9_S7_lS8_T11_S7_li,comdat
.Lfunc_end432:
	.size	_ZL29rocblas_internal_gemmt_kernelIlLi16ELi32ELi8ELc78ELc78ELc85ELb0ELb0EfPKfPKS1_PKPfEviT_T9_T10_S7_lS9_S7_lS8_T11_S7_li, .Lfunc_end432-_ZL29rocblas_internal_gemmt_kernelIlLi16ELi32ELi8ELc78ELc78ELc85ELb0ELb0EfPKfPKS1_PKPfEviT_T9_T10_S7_lS9_S7_lS8_T11_S7_li
                                        ; -- End function
	.set _ZL29rocblas_internal_gemmt_kernelIlLi16ELi32ELi8ELc78ELc78ELc85ELb0ELb0EfPKfPKS1_PKPfEviT_T9_T10_S7_lS9_S7_lS8_T11_S7_li.num_vgpr, 58
	.set _ZL29rocblas_internal_gemmt_kernelIlLi16ELi32ELi8ELc78ELc78ELc85ELb0ELb0EfPKfPKS1_PKPfEviT_T9_T10_S7_lS9_S7_lS8_T11_S7_li.num_agpr, 0
	.set _ZL29rocblas_internal_gemmt_kernelIlLi16ELi32ELi8ELc78ELc78ELc85ELb0ELb0EfPKfPKS1_PKPfEviT_T9_T10_S7_lS9_S7_lS8_T11_S7_li.numbered_sgpr, 36
	.set _ZL29rocblas_internal_gemmt_kernelIlLi16ELi32ELi8ELc78ELc78ELc85ELb0ELb0EfPKfPKS1_PKPfEviT_T9_T10_S7_lS9_S7_lS8_T11_S7_li.num_named_barrier, 0
	.set _ZL29rocblas_internal_gemmt_kernelIlLi16ELi32ELi8ELc78ELc78ELc85ELb0ELb0EfPKfPKS1_PKPfEviT_T9_T10_S7_lS9_S7_lS8_T11_S7_li.private_seg_size, 0
	.set _ZL29rocblas_internal_gemmt_kernelIlLi16ELi32ELi8ELc78ELc78ELc85ELb0ELb0EfPKfPKS1_PKPfEviT_T9_T10_S7_lS9_S7_lS8_T11_S7_li.uses_vcc, 1
	.set _ZL29rocblas_internal_gemmt_kernelIlLi16ELi32ELi8ELc78ELc78ELc85ELb0ELb0EfPKfPKS1_PKPfEviT_T9_T10_S7_lS9_S7_lS8_T11_S7_li.uses_flat_scratch, 0
	.set _ZL29rocblas_internal_gemmt_kernelIlLi16ELi32ELi8ELc78ELc78ELc85ELb0ELb0EfPKfPKS1_PKPfEviT_T9_T10_S7_lS9_S7_lS8_T11_S7_li.has_dyn_sized_stack, 0
	.set _ZL29rocblas_internal_gemmt_kernelIlLi16ELi32ELi8ELc78ELc78ELc85ELb0ELb0EfPKfPKS1_PKPfEviT_T9_T10_S7_lS9_S7_lS8_T11_S7_li.has_recursion, 0
	.set _ZL29rocblas_internal_gemmt_kernelIlLi16ELi32ELi8ELc78ELc78ELc85ELb0ELb0EfPKfPKS1_PKPfEviT_T9_T10_S7_lS9_S7_lS8_T11_S7_li.has_indirect_call, 0
	.section	.AMDGPU.csdata,"",@progbits
; Kernel info:
; codeLenInByte = 1928
; TotalNumSgprs: 38
; NumVgprs: 58
; ScratchSize: 0
; MemoryBound: 0
; FloatMode: 240
; IeeeMode: 1
; LDSByteSize: 2048 bytes/workgroup (compile time only)
; SGPRBlocks: 0
; VGPRBlocks: 7
; NumSGPRsForWavesPerEU: 38
; NumVGPRsForWavesPerEU: 58
; Occupancy: 16
; WaveLimiterHint : 1
; COMPUTE_PGM_RSRC2:SCRATCH_EN: 0
; COMPUTE_PGM_RSRC2:USER_SGPR: 2
; COMPUTE_PGM_RSRC2:TRAP_HANDLER: 0
; COMPUTE_PGM_RSRC2:TGID_X_EN: 1
; COMPUTE_PGM_RSRC2:TGID_Y_EN: 1
; COMPUTE_PGM_RSRC2:TGID_Z_EN: 1
; COMPUTE_PGM_RSRC2:TIDIG_COMP_CNT: 1
	.section	.text._ZL29rocblas_internal_gemmt_kernelIlLi16ELi32ELi8ELc78ELc84ELc85ELb0ELb0EfPKfPKS1_PKPfEviT_T9_T10_S7_lS9_S7_lS8_T11_S7_li,"axG",@progbits,_ZL29rocblas_internal_gemmt_kernelIlLi16ELi32ELi8ELc78ELc84ELc85ELb0ELb0EfPKfPKS1_PKPfEviT_T9_T10_S7_lS9_S7_lS8_T11_S7_li,comdat
	.globl	_ZL29rocblas_internal_gemmt_kernelIlLi16ELi32ELi8ELc78ELc84ELc85ELb0ELb0EfPKfPKS1_PKPfEviT_T9_T10_S7_lS9_S7_lS8_T11_S7_li ; -- Begin function _ZL29rocblas_internal_gemmt_kernelIlLi16ELi32ELi8ELc78ELc84ELc85ELb0ELb0EfPKfPKS1_PKPfEviT_T9_T10_S7_lS9_S7_lS8_T11_S7_li
	.p2align	8
	.type	_ZL29rocblas_internal_gemmt_kernelIlLi16ELi32ELi8ELc78ELc84ELc85ELb0ELb0EfPKfPKS1_PKPfEviT_T9_T10_S7_lS9_S7_lS8_T11_S7_li,@function
_ZL29rocblas_internal_gemmt_kernelIlLi16ELi32ELi8ELc78ELc84ELc85ELb0ELb0EfPKfPKS1_PKPfEviT_T9_T10_S7_lS9_S7_lS8_T11_S7_li: ; @_ZL29rocblas_internal_gemmt_kernelIlLi16ELi32ELi8ELc78ELc84ELc85ELb0ELb0EfPKfPKS1_PKPfEviT_T9_T10_S7_lS9_S7_lS8_T11_S7_li
; %bb.0:
	s_clause 0x1
	s_load_b256 s[24:31], s[0:1], 0x48
	s_load_b512 s[8:23], s[0:1], 0x8
	s_wait_kmcnt 0x0
	s_load_b32 s24, s[24:25], 0x0
	s_load_b32 s25, s[10:11], 0x0
	s_wait_kmcnt 0x0
	s_cmp_neq_f32 s24, 1.0
	s_cselect_b32 s2, -1, 0
	s_delay_alu instid0(SALU_CYCLE_1)
	s_and_b32 vcc_lo, exec_lo, s2
	s_cbranch_vccnz .LBB433_2
; %bb.1:
	s_cmp_lg_u64 s[8:9], 0
	s_cselect_b32 s2, -1, 0
	s_cmp_neq_f32 s25, 0
	s_cselect_b32 s3, -1, 0
	s_delay_alu instid0(SALU_CYCLE_1)
	s_and_b32 s2, s2, s3
.LBB433_2:
	s_delay_alu instid0(SALU_CYCLE_1)
	s_and_not1_b32 vcc_lo, exec_lo, s2
	s_cbranch_vccnz .LBB433_35
; %bb.3:
	s_load_b32 s33, s[0:1], 0x68
	s_lshr_b32 s6, ttmp7, 16
	s_wait_kmcnt 0x0
	s_cmp_ge_u32 s6, s33
	s_cbranch_scc1 .LBB433_35
; %bb.4:
	v_and_b32_e32 v2, 0x3ff, v0
	v_bfe_u32 v5, v0, 10, 10
	s_load_b32 s3, s[0:1], 0x0
	s_lshl_b32 s0, ttmp7, 5
	v_and_b32_e32 v14, 7, v0
	s_and_b32 s0, s0, 0x1fffe0
	v_lshl_add_u32 v0, v5, 4, v2
	v_add_nc_u32_e32 v13, s0, v5
	s_lshl_b32 s2, ttmp9, 5
	s_cmp_neq_f32 s25, 0
	v_cmp_gt_i64_e64 s10, s[8:9], 0
	v_lshrrev_b32_e32 v4, 3, v0
	v_mad_co_u64_u32 v[8:9], null, s28, v13, 0
	v_and_b32_e32 v1, 31, v0
	v_add_nc_u32_e32 v21, 16, v13
	v_lshrrev_b32_e32 v15, 5, v0
	v_add_nc_u32_e32 v20, s0, v4
	s_cselect_b32 s11, -1, 0
	v_lshlrev_b32_e32 v0, 2, v1
	v_mad_co_u64_u32 v[10:11], null, s28, v21, 0
	v_lshlrev_b32_e32 v3, 2, v14
	s_wait_kmcnt 0x0
	v_cmp_gt_i32_e32 vcc_lo, s3, v13
	v_lshl_or_b32 v16, v15, 7, v0
	v_mov_b32_e32 v0, v9
	v_or_b32_e32 v6, s2, v1
	v_lshl_or_b32 v1, v4, 5, v3
	s_cmp_neq_f32 s24, 0
	v_cmp_gt_i32_e64 s1, s3, v20
	v_lshl_add_u32 v19, v5, 5, 0x400
	v_ashrrev_i32_e32 v7, 31, v6
	v_add_nc_u32_e32 v17, 0x400, v1
	v_dual_mov_b32 v1, 0 :: v_dual_lshlrev_b32 v18, 2, v2
	v_add_nc_u32_e32 v2, s2, v2
	v_cmp_gt_i32_e64 s0, s3, v6
	s_cselect_b32 s28, -1, 0
	v_mad_co_u64_u32 v[3:4], null, s29, v13, v[0:1]
	v_mov_b32_e32 v0, v11
	v_cmp_le_i32_e64 s2, v2, v13
	v_add_nc_u32_e32 v4, 16, v2
	v_cmp_gt_i32_e64 s3, s3, v21
	v_cmp_le_i32_e64 s4, v2, v21
	v_mad_co_u64_u32 v[11:12], null, s29, v21, v[0:1]
	v_mov_b32_e32 v9, v3
	s_and_b32 s34, vcc_lo, s2
	v_cmp_le_i32_e64 s2, v4, v13
	v_cmp_le_i32_e64 s5, v4, v21
	v_lshlrev_b64_e32 v[6:7], 2, v[6:7]
	v_lshlrev_b64_e32 v[8:9], 2, v[8:9]
	;; [unrolled: 1-line block ×3, first 2 shown]
	v_ashrrev_i32_e32 v3, 31, v2
	v_ashrrev_i32_e32 v5, 31, v4
	v_lshlrev_b32_e32 v20, 2, v20
	s_mov_b32 s7, 0
	s_and_b32 s29, vcc_lo, s2
	s_and_b32 s35, s3, s4
	s_and_b32 s36, s3, s5
	s_and_b32 s37, s11, s10
	s_lshl_b64 s[2:3], s[22:23], 2
	s_lshl_b64 s[4:5], s[16:17], 2
	;; [unrolled: 1-line block ×3, first 2 shown]
	s_branch .LBB433_6
.LBB433_5:                              ;   in Loop: Header=BB433_6 Depth=1
	s_wait_alu 0xfffe
	s_or_b32 exec_lo, exec_lo, s16
	s_add_co_i32 s6, s6, 0x10000
	s_delay_alu instid0(SALU_CYCLE_1)
	s_cmp_lt_u32 s6, s33
	s_cbranch_scc0 .LBB433_35
.LBB433_6:                              ; =>This Loop Header: Depth=1
                                        ;     Child Loop BB433_9 Depth 2
	s_lshl_b64 s[16:17], s[6:7], 3
	v_dual_mov_b32 v24, v1 :: v_dual_mov_b32 v23, v1
	s_wait_alu 0xfffe
	s_add_nc_u64 s[22:23], s[26:27], s[16:17]
	v_dual_mov_b32 v22, v1 :: v_dual_mov_b32 v21, v1
	global_load_b64 v[12:13], v1, s[22:23]
	s_and_not1_b32 vcc_lo, exec_lo, s37
	s_wait_alu 0xfffe
	s_cbranch_vccnz .LBB433_15
; %bb.7:                                ;   in Loop: Header=BB433_6 Depth=1
	s_add_nc_u64 s[22:23], s[12:13], s[16:17]
	s_add_nc_u64 s[16:17], s[18:19], s[16:17]
	s_clause 0x1
	global_load_b64 v[24:25], v1, s[22:23]
	global_load_b64 v[26:27], v1, s[16:17]
	v_dual_mov_b32 v21, 0 :: v_dual_mov_b32 v22, 0
	v_mov_b32_e32 v23, 0
	s_mov_b64 s[16:17], 0
	s_wait_loadcnt 0x1
	v_add_co_u32 v0, vcc_lo, v24, s4
	s_wait_alu 0xfffd
	v_add_co_ci_u32_e64 v24, null, s5, v25, vcc_lo
	s_wait_loadcnt 0x0
	v_add_co_u32 v28, vcc_lo, v26, s2
	s_wait_alu 0xfffd
	v_add_co_ci_u32_e64 v29, null, s3, v27, vcc_lo
	v_add_co_u32 v25, vcc_lo, v0, v6
	s_wait_alu 0xfffd
	v_add_co_ci_u32_e64 v26, null, v24, v7, vcc_lo
	;; [unrolled: 3-line block ×3, first 2 shown]
	v_mov_b32_e32 v24, 0
	s_branch .LBB433_9
.LBB433_8:                              ;   in Loop: Header=BB433_9 Depth=2
	s_or_b32 exec_lo, exec_lo, s22
	s_wait_loadcnt_dscnt 0x0
	ds_store_b32 v17, v30
	s_wait_dscnt 0x0
	s_barrier_signal -1
	s_barrier_wait -1
	global_inv scope:SCOPE_SE
	ds_load_b128 v[29:32], v19
	ds_load_2addr_b32 v[45:46], v18 offset1:16
	ds_load_b128 v[33:36], v19 offset:512
	ds_load_2addr_b32 v[47:48], v18 offset0:32 offset1:48
	ds_load_2addr_b32 v[49:50], v18 offset0:64 offset1:80
	;; [unrolled: 1-line block ×3, first 2 shown]
	ds_load_b128 v[37:40], v19 offset:16
	ds_load_2addr_b32 v[53:54], v18 offset0:128 offset1:144
	ds_load_b128 v[41:44], v19 offset:528
	ds_load_2addr_b32 v[55:56], v18 offset0:160 offset1:176
	s_add_nc_u64 s[16:17], s[16:17], 8
	s_wait_alu 0xfffe
	v_cmp_gt_i64_e64 s22, s[8:9], s[16:17]
	s_and_b32 vcc_lo, exec_lo, s22
	s_wait_dscnt 0x8
	v_fmac_f32_e32 v23, v46, v29
	v_fmac_f32_e32 v24, v45, v29
	s_wait_dscnt 0x7
	v_fmac_f32_e32 v21, v46, v33
	v_fmac_f32_e32 v22, v45, v33
	ds_load_2addr_b32 v[45:46], v18 offset0:192 offset1:208
	s_wait_dscnt 0x7
	v_fmac_f32_e32 v23, v48, v30
	v_fmac_f32_e32 v24, v47, v30
	;; [unrolled: 1-line block ×4, first 2 shown]
	ds_load_2addr_b32 v[29:30], v18 offset0:224 offset1:240
	s_wait_dscnt 0x7
	v_fmac_f32_e32 v23, v50, v31
	v_fmac_f32_e32 v24, v49, v31
	;; [unrolled: 1-line block ×4, first 2 shown]
	s_wait_loadcnt_dscnt 0x0
	v_fmac_f32_e32 v23, v52, v32
	v_fmac_f32_e32 v24, v51, v32
	;; [unrolled: 1-line block ×4, first 2 shown]
	s_barrier_signal -1
	v_fmac_f32_e32 v23, v54, v37
	v_fmac_f32_e32 v24, v53, v37
	;; [unrolled: 1-line block ×4, first 2 shown]
	s_barrier_wait -1
	v_fmac_f32_e32 v23, v56, v38
	v_fmac_f32_e32 v24, v55, v38
	;; [unrolled: 1-line block ×4, first 2 shown]
	global_inv scope:SCOPE_SE
	v_fmac_f32_e32 v23, v46, v39
	v_fmac_f32_e32 v24, v45, v39
	;; [unrolled: 1-line block ×3, first 2 shown]
	s_delay_alu instid0(VALU_DEP_3) | instskip(NEXT) | instid1(VALU_DEP_3)
	v_dual_fmac_f32 v22, v45, v43 :: v_dual_fmac_f32 v23, v30, v40
	v_fmac_f32_e32 v24, v29, v40
	s_delay_alu instid0(VALU_DEP_3) | instskip(NEXT) | instid1(VALU_DEP_3)
	v_fmac_f32_e32 v21, v30, v44
	v_fmac_f32_e32 v22, v29, v44
	s_wait_alu 0xfffe
	s_cbranch_vccz .LBB433_15
.LBB433_9:                              ;   Parent Loop BB433_6 Depth=1
                                        ; =>  This Inner Loop Header: Depth=2
	v_mov_b32_e32 v29, 0
	s_and_saveexec_b32 s22, s0
	s_cbranch_execz .LBB433_13
; %bb.10:                               ;   in Loop: Header=BB433_9 Depth=2
	s_wait_alu 0xfffe
	v_dual_mov_b32 v29, 0 :: v_dual_add_nc_u32 v0, s16, v15
	s_mov_b32 s23, exec_lo
	s_delay_alu instid0(VALU_DEP_1)
	v_cmpx_gt_u64_e64 s[8:9], v[0:1]
	s_cbranch_execz .LBB433_12
; %bb.11:                               ;   in Loop: Header=BB433_9 Depth=2
	v_mad_co_u64_u32 v[29:30], null, s14, v0, 0
	s_delay_alu instid0(VALU_DEP_1) | instskip(NEXT) | instid1(VALU_DEP_1)
	v_mad_co_u64_u32 v[30:31], null, s15, v0, v[30:31]
	v_lshlrev_b64_e32 v[29:30], 2, v[29:30]
	s_delay_alu instid0(VALU_DEP_1) | instskip(SKIP_1) | instid1(VALU_DEP_2)
	v_add_co_u32 v29, vcc_lo, v25, v29
	s_wait_alu 0xfffd
	v_add_co_ci_u32_e64 v30, null, v26, v30, vcc_lo
	flat_load_b32 v29, v[29:30]
.LBB433_12:                             ;   in Loop: Header=BB433_9 Depth=2
	s_or_b32 exec_lo, exec_lo, s23
.LBB433_13:                             ;   in Loop: Header=BB433_9 Depth=2
	s_delay_alu instid0(SALU_CYCLE_1)
	s_or_b32 exec_lo, exec_lo, s22
	s_wait_alu 0xfffe
	v_add_nc_u32_e32 v0, s16, v14
	v_mov_b32_e32 v30, 0
	s_wait_loadcnt_dscnt 0x0
	ds_store_b32 v16, v29
	v_cmp_gt_u64_e32 vcc_lo, s[8:9], v[0:1]
	s_and_b32 s23, vcc_lo, s1
	s_delay_alu instid0(SALU_CYCLE_1)
	s_and_saveexec_b32 s22, s23
	s_cbranch_execz .LBB433_8
; %bb.14:                               ;   in Loop: Header=BB433_9 Depth=2
	v_mad_co_u64_u32 v[29:30], null, s20, v0, 0
	s_delay_alu instid0(VALU_DEP_1) | instskip(NEXT) | instid1(VALU_DEP_1)
	v_mad_co_u64_u32 v[30:31], null, s21, v0, v[30:31]
	v_lshlrev_b64_e32 v[29:30], 2, v[29:30]
	s_delay_alu instid0(VALU_DEP_1) | instskip(SKIP_1) | instid1(VALU_DEP_2)
	v_add_co_u32 v29, vcc_lo, v27, v29
	s_wait_alu 0xfffd
	v_add_co_ci_u32_e64 v30, null, v28, v30, vcc_lo
	flat_load_b32 v30, v[29:30]
	s_branch .LBB433_8
.LBB433_15:                             ;   in Loop: Header=BB433_6 Depth=1
	s_wait_loadcnt 0x0
	v_add_co_u32 v0, vcc_lo, v12, s10
	s_wait_alu 0xfffd
	v_add_co_ci_u32_e64 v12, null, s11, v13, vcc_lo
	s_delay_alu instid0(VALU_DEP_2) | instskip(SKIP_1) | instid1(VALU_DEP_2)
	v_add_co_u32 v13, vcc_lo, v0, v8
	s_wait_alu 0xfffd
	v_add_co_ci_u32_e64 v25, null, v12, v9, vcc_lo
	s_and_saveexec_b32 s16, s34
	s_cbranch_execz .LBB433_19
; %bb.16:                               ;   in Loop: Header=BB433_6 Depth=1
	v_mul_f32_e32 v24, s25, v24
	s_wait_alu 0xfffe
	s_and_b32 vcc_lo, exec_lo, s28
	s_wait_alu 0xfffe
	s_cbranch_vccz .LBB433_30
; %bb.17:                               ;   in Loop: Header=BB433_6 Depth=1
	v_lshlrev_b64_e32 v[26:27], 2, v[2:3]
	s_delay_alu instid0(VALU_DEP_1) | instskip(SKIP_1) | instid1(VALU_DEP_2)
	v_add_co_u32 v26, vcc_lo, v13, v26
	s_wait_alu 0xfffd
	v_add_co_ci_u32_e64 v27, null, v25, v27, vcc_lo
	flat_load_b32 v28, v[26:27]
	s_wait_loadcnt_dscnt 0x0
	v_fma_f32 v28, s24, v28, v24
	flat_store_b32 v[26:27], v28
	s_cbranch_execnz .LBB433_19
.LBB433_18:                             ;   in Loop: Header=BB433_6 Depth=1
	v_lshlrev_b64_e32 v[26:27], 2, v[2:3]
	s_delay_alu instid0(VALU_DEP_1) | instskip(SKIP_1) | instid1(VALU_DEP_2)
	v_add_co_u32 v26, vcc_lo, v13, v26
	s_wait_alu 0xfffd
	v_add_co_ci_u32_e64 v27, null, v25, v27, vcc_lo
	flat_store_b32 v[26:27], v24
.LBB433_19:                             ;   in Loop: Header=BB433_6 Depth=1
	s_wait_alu 0xfffe
	s_or_b32 exec_lo, exec_lo, s16
	s_and_saveexec_b32 s16, s29
	s_cbranch_execz .LBB433_23
; %bb.20:                               ;   in Loop: Header=BB433_6 Depth=1
	v_mul_f32_e32 v23, s25, v23
	s_and_not1_b32 vcc_lo, exec_lo, s28
	s_wait_alu 0xfffe
	s_cbranch_vccnz .LBB433_31
; %bb.21:                               ;   in Loop: Header=BB433_6 Depth=1
	v_lshlrev_b64_e32 v[26:27], 2, v[4:5]
	s_delay_alu instid0(VALU_DEP_1) | instskip(SKIP_1) | instid1(VALU_DEP_2)
	v_add_co_u32 v26, vcc_lo, v13, v26
	s_wait_alu 0xfffd
	v_add_co_ci_u32_e64 v27, null, v25, v27, vcc_lo
	flat_load_b32 v24, v[26:27]
	s_wait_loadcnt_dscnt 0x0
	v_fma_f32 v24, s24, v24, v23
	flat_store_b32 v[26:27], v24
	s_cbranch_execnz .LBB433_23
.LBB433_22:                             ;   in Loop: Header=BB433_6 Depth=1
	v_lshlrev_b64_e32 v[26:27], 2, v[4:5]
	s_delay_alu instid0(VALU_DEP_1) | instskip(SKIP_1) | instid1(VALU_DEP_2)
	v_add_co_u32 v24, vcc_lo, v13, v26
	s_wait_alu 0xfffd
	v_add_co_ci_u32_e64 v25, null, v25, v27, vcc_lo
	flat_store_b32 v[24:25], v23
.LBB433_23:                             ;   in Loop: Header=BB433_6 Depth=1
	s_wait_alu 0xfffe
	s_or_b32 exec_lo, exec_lo, s16
	v_add_co_u32 v0, vcc_lo, v0, v10
	s_wait_alu 0xfffd
	v_add_co_ci_u32_e64 v23, null, v12, v11, vcc_lo
	s_and_saveexec_b32 s16, s35
	s_cbranch_execz .LBB433_27
; %bb.24:                               ;   in Loop: Header=BB433_6 Depth=1
	v_lshlrev_b64_e32 v[12:13], 2, v[2:3]
	v_mul_f32_e32 v22, s25, v22
	s_and_not1_b32 vcc_lo, exec_lo, s28
	s_wait_alu 0xfffe
	s_cbranch_vccnz .LBB433_32
; %bb.25:                               ;   in Loop: Header=BB433_6 Depth=1
	s_delay_alu instid0(VALU_DEP_2)
	v_add_co_u32 v24, vcc_lo, v0, v12
	s_wait_alu 0xfffd
	v_add_co_ci_u32_e64 v25, null, v23, v13, vcc_lo
	flat_load_b32 v26, v[24:25]
	s_wait_loadcnt_dscnt 0x0
	v_fma_f32 v26, s24, v26, v22
	flat_store_b32 v[24:25], v26
	s_cbranch_execnz .LBB433_27
.LBB433_26:                             ;   in Loop: Header=BB433_6 Depth=1
	v_add_co_u32 v12, vcc_lo, v0, v12
	s_wait_alu 0xfffd
	v_add_co_ci_u32_e64 v13, null, v23, v13, vcc_lo
	flat_store_b32 v[12:13], v22
.LBB433_27:                             ;   in Loop: Header=BB433_6 Depth=1
	s_wait_alu 0xfffe
	s_or_b32 exec_lo, exec_lo, s16
	s_and_saveexec_b32 s16, s36
	s_cbranch_execz .LBB433_5
; %bb.28:                               ;   in Loop: Header=BB433_6 Depth=1
	v_lshlrev_b64_e32 v[12:13], 2, v[4:5]
	v_mul_f32_e32 v21, s25, v21
	s_and_not1_b32 vcc_lo, exec_lo, s28
	s_wait_alu 0xfffe
	s_cbranch_vccnz .LBB433_33
; %bb.29:                               ;   in Loop: Header=BB433_6 Depth=1
	s_delay_alu instid0(VALU_DEP_2)
	v_add_co_u32 v24, vcc_lo, v0, v12
	s_wait_alu 0xfffd
	v_add_co_ci_u32_e64 v25, null, v23, v13, vcc_lo
	flat_load_b32 v22, v[24:25]
	s_wait_loadcnt_dscnt 0x0
	v_fma_f32 v22, s24, v22, v21
	flat_store_b32 v[24:25], v22
	s_cbranch_execnz .LBB433_5
	s_branch .LBB433_34
.LBB433_30:                             ;   in Loop: Header=BB433_6 Depth=1
	s_branch .LBB433_18
.LBB433_31:                             ;   in Loop: Header=BB433_6 Depth=1
	s_branch .LBB433_22
.LBB433_32:                             ;   in Loop: Header=BB433_6 Depth=1
	s_branch .LBB433_26
.LBB433_33:                             ;   in Loop: Header=BB433_6 Depth=1
.LBB433_34:                             ;   in Loop: Header=BB433_6 Depth=1
	s_delay_alu instid0(VALU_DEP_2)
	v_add_co_u32 v12, vcc_lo, v0, v12
	s_wait_alu 0xfffd
	v_add_co_ci_u32_e64 v13, null, v23, v13, vcc_lo
	flat_store_b32 v[12:13], v21
	s_branch .LBB433_5
.LBB433_35:
	s_endpgm
	.section	.rodata,"a",@progbits
	.p2align	6, 0x0
	.amdhsa_kernel _ZL29rocblas_internal_gemmt_kernelIlLi16ELi32ELi8ELc78ELc84ELc85ELb0ELb0EfPKfPKS1_PKPfEviT_T9_T10_S7_lS9_S7_lS8_T11_S7_li
		.amdhsa_group_segment_fixed_size 2048
		.amdhsa_private_segment_fixed_size 0
		.amdhsa_kernarg_size 108
		.amdhsa_user_sgpr_count 2
		.amdhsa_user_sgpr_dispatch_ptr 0
		.amdhsa_user_sgpr_queue_ptr 0
		.amdhsa_user_sgpr_kernarg_segment_ptr 1
		.amdhsa_user_sgpr_dispatch_id 0
		.amdhsa_user_sgpr_private_segment_size 0
		.amdhsa_wavefront_size32 1
		.amdhsa_uses_dynamic_stack 0
		.amdhsa_enable_private_segment 0
		.amdhsa_system_sgpr_workgroup_id_x 1
		.amdhsa_system_sgpr_workgroup_id_y 1
		.amdhsa_system_sgpr_workgroup_id_z 1
		.amdhsa_system_sgpr_workgroup_info 0
		.amdhsa_system_vgpr_workitem_id 1
		.amdhsa_next_free_vgpr 57
		.amdhsa_next_free_sgpr 38
		.amdhsa_reserve_vcc 1
		.amdhsa_float_round_mode_32 0
		.amdhsa_float_round_mode_16_64 0
		.amdhsa_float_denorm_mode_32 3
		.amdhsa_float_denorm_mode_16_64 3
		.amdhsa_fp16_overflow 0
		.amdhsa_workgroup_processor_mode 1
		.amdhsa_memory_ordered 1
		.amdhsa_forward_progress 1
		.amdhsa_inst_pref_size 15
		.amdhsa_round_robin_scheduling 0
		.amdhsa_exception_fp_ieee_invalid_op 0
		.amdhsa_exception_fp_denorm_src 0
		.amdhsa_exception_fp_ieee_div_zero 0
		.amdhsa_exception_fp_ieee_overflow 0
		.amdhsa_exception_fp_ieee_underflow 0
		.amdhsa_exception_fp_ieee_inexact 0
		.amdhsa_exception_int_div_zero 0
	.end_amdhsa_kernel
	.section	.text._ZL29rocblas_internal_gemmt_kernelIlLi16ELi32ELi8ELc78ELc84ELc85ELb0ELb0EfPKfPKS1_PKPfEviT_T9_T10_S7_lS9_S7_lS8_T11_S7_li,"axG",@progbits,_ZL29rocblas_internal_gemmt_kernelIlLi16ELi32ELi8ELc78ELc84ELc85ELb0ELb0EfPKfPKS1_PKPfEviT_T9_T10_S7_lS9_S7_lS8_T11_S7_li,comdat
.Lfunc_end433:
	.size	_ZL29rocblas_internal_gemmt_kernelIlLi16ELi32ELi8ELc78ELc84ELc85ELb0ELb0EfPKfPKS1_PKPfEviT_T9_T10_S7_lS9_S7_lS8_T11_S7_li, .Lfunc_end433-_ZL29rocblas_internal_gemmt_kernelIlLi16ELi32ELi8ELc78ELc84ELc85ELb0ELb0EfPKfPKS1_PKPfEviT_T9_T10_S7_lS9_S7_lS8_T11_S7_li
                                        ; -- End function
	.set _ZL29rocblas_internal_gemmt_kernelIlLi16ELi32ELi8ELc78ELc84ELc85ELb0ELb0EfPKfPKS1_PKPfEviT_T9_T10_S7_lS9_S7_lS8_T11_S7_li.num_vgpr, 57
	.set _ZL29rocblas_internal_gemmt_kernelIlLi16ELi32ELi8ELc78ELc84ELc85ELb0ELb0EfPKfPKS1_PKPfEviT_T9_T10_S7_lS9_S7_lS8_T11_S7_li.num_agpr, 0
	.set _ZL29rocblas_internal_gemmt_kernelIlLi16ELi32ELi8ELc78ELc84ELc85ELb0ELb0EfPKfPKS1_PKPfEviT_T9_T10_S7_lS9_S7_lS8_T11_S7_li.numbered_sgpr, 38
	.set _ZL29rocblas_internal_gemmt_kernelIlLi16ELi32ELi8ELc78ELc84ELc85ELb0ELb0EfPKfPKS1_PKPfEviT_T9_T10_S7_lS9_S7_lS8_T11_S7_li.num_named_barrier, 0
	.set _ZL29rocblas_internal_gemmt_kernelIlLi16ELi32ELi8ELc78ELc84ELc85ELb0ELb0EfPKfPKS1_PKPfEviT_T9_T10_S7_lS9_S7_lS8_T11_S7_li.private_seg_size, 0
	.set _ZL29rocblas_internal_gemmt_kernelIlLi16ELi32ELi8ELc78ELc84ELc85ELb0ELb0EfPKfPKS1_PKPfEviT_T9_T10_S7_lS9_S7_lS8_T11_S7_li.uses_vcc, 1
	.set _ZL29rocblas_internal_gemmt_kernelIlLi16ELi32ELi8ELc78ELc84ELc85ELb0ELb0EfPKfPKS1_PKPfEviT_T9_T10_S7_lS9_S7_lS8_T11_S7_li.uses_flat_scratch, 0
	.set _ZL29rocblas_internal_gemmt_kernelIlLi16ELi32ELi8ELc78ELc84ELc85ELb0ELb0EfPKfPKS1_PKPfEviT_T9_T10_S7_lS9_S7_lS8_T11_S7_li.has_dyn_sized_stack, 0
	.set _ZL29rocblas_internal_gemmt_kernelIlLi16ELi32ELi8ELc78ELc84ELc85ELb0ELb0EfPKfPKS1_PKPfEviT_T9_T10_S7_lS9_S7_lS8_T11_S7_li.has_recursion, 0
	.set _ZL29rocblas_internal_gemmt_kernelIlLi16ELi32ELi8ELc78ELc84ELc85ELb0ELb0EfPKfPKS1_PKPfEviT_T9_T10_S7_lS9_S7_lS8_T11_S7_li.has_indirect_call, 0
	.section	.AMDGPU.csdata,"",@progbits
; Kernel info:
; codeLenInByte = 1892
; TotalNumSgprs: 40
; NumVgprs: 57
; ScratchSize: 0
; MemoryBound: 0
; FloatMode: 240
; IeeeMode: 1
; LDSByteSize: 2048 bytes/workgroup (compile time only)
; SGPRBlocks: 0
; VGPRBlocks: 7
; NumSGPRsForWavesPerEU: 40
; NumVGPRsForWavesPerEU: 57
; Occupancy: 16
; WaveLimiterHint : 1
; COMPUTE_PGM_RSRC2:SCRATCH_EN: 0
; COMPUTE_PGM_RSRC2:USER_SGPR: 2
; COMPUTE_PGM_RSRC2:TRAP_HANDLER: 0
; COMPUTE_PGM_RSRC2:TGID_X_EN: 1
; COMPUTE_PGM_RSRC2:TGID_Y_EN: 1
; COMPUTE_PGM_RSRC2:TGID_Z_EN: 1
; COMPUTE_PGM_RSRC2:TIDIG_COMP_CNT: 1
	.section	.text._ZL29rocblas_internal_gemmt_kernelIlLi16ELi32ELi8ELc78ELc67ELc85ELb0ELb0EfPKfPKS1_PKPfEviT_T9_T10_S7_lS9_S7_lS8_T11_S7_li,"axG",@progbits,_ZL29rocblas_internal_gemmt_kernelIlLi16ELi32ELi8ELc78ELc67ELc85ELb0ELb0EfPKfPKS1_PKPfEviT_T9_T10_S7_lS9_S7_lS8_T11_S7_li,comdat
	.globl	_ZL29rocblas_internal_gemmt_kernelIlLi16ELi32ELi8ELc78ELc67ELc85ELb0ELb0EfPKfPKS1_PKPfEviT_T9_T10_S7_lS9_S7_lS8_T11_S7_li ; -- Begin function _ZL29rocblas_internal_gemmt_kernelIlLi16ELi32ELi8ELc78ELc67ELc85ELb0ELb0EfPKfPKS1_PKPfEviT_T9_T10_S7_lS9_S7_lS8_T11_S7_li
	.p2align	8
	.type	_ZL29rocblas_internal_gemmt_kernelIlLi16ELi32ELi8ELc78ELc67ELc85ELb0ELb0EfPKfPKS1_PKPfEviT_T9_T10_S7_lS9_S7_lS8_T11_S7_li,@function
_ZL29rocblas_internal_gemmt_kernelIlLi16ELi32ELi8ELc78ELc67ELc85ELb0ELb0EfPKfPKS1_PKPfEviT_T9_T10_S7_lS9_S7_lS8_T11_S7_li: ; @_ZL29rocblas_internal_gemmt_kernelIlLi16ELi32ELi8ELc78ELc67ELc85ELb0ELb0EfPKfPKS1_PKPfEviT_T9_T10_S7_lS9_S7_lS8_T11_S7_li
; %bb.0:
	s_clause 0x1
	s_load_b256 s[24:31], s[0:1], 0x48
	s_load_b512 s[8:23], s[0:1], 0x8
	s_wait_kmcnt 0x0
	s_load_b32 s24, s[24:25], 0x0
	s_load_b32 s25, s[10:11], 0x0
	s_wait_kmcnt 0x0
	s_cmp_neq_f32 s24, 1.0
	s_cselect_b32 s2, -1, 0
	s_delay_alu instid0(SALU_CYCLE_1)
	s_and_b32 vcc_lo, exec_lo, s2
	s_cbranch_vccnz .LBB434_2
; %bb.1:
	s_cmp_lg_u64 s[8:9], 0
	s_cselect_b32 s2, -1, 0
	s_cmp_neq_f32 s25, 0
	s_cselect_b32 s3, -1, 0
	s_delay_alu instid0(SALU_CYCLE_1)
	s_and_b32 s2, s2, s3
.LBB434_2:
	s_delay_alu instid0(SALU_CYCLE_1)
	s_and_not1_b32 vcc_lo, exec_lo, s2
	s_cbranch_vccnz .LBB434_35
; %bb.3:
	s_load_b32 s33, s[0:1], 0x68
	s_lshr_b32 s6, ttmp7, 16
	s_wait_kmcnt 0x0
	s_cmp_ge_u32 s6, s33
	s_cbranch_scc1 .LBB434_35
; %bb.4:
	v_and_b32_e32 v2, 0x3ff, v0
	v_bfe_u32 v5, v0, 10, 10
	s_load_b32 s3, s[0:1], 0x0
	s_lshl_b32 s0, ttmp7, 5
	v_and_b32_e32 v14, 7, v0
	s_and_b32 s0, s0, 0x1fffe0
	v_lshl_add_u32 v0, v5, 4, v2
	v_add_nc_u32_e32 v13, s0, v5
	s_lshl_b32 s2, ttmp9, 5
	s_cmp_neq_f32 s25, 0
	v_cmp_gt_i64_e64 s10, s[8:9], 0
	v_lshrrev_b32_e32 v4, 3, v0
	v_mad_co_u64_u32 v[8:9], null, s28, v13, 0
	v_and_b32_e32 v1, 31, v0
	v_add_nc_u32_e32 v21, 16, v13
	v_lshrrev_b32_e32 v15, 5, v0
	v_add_nc_u32_e32 v20, s0, v4
	s_cselect_b32 s11, -1, 0
	v_lshlrev_b32_e32 v0, 2, v1
	v_mad_co_u64_u32 v[10:11], null, s28, v21, 0
	v_lshlrev_b32_e32 v3, 2, v14
	s_wait_kmcnt 0x0
	v_cmp_gt_i32_e32 vcc_lo, s3, v13
	v_lshl_or_b32 v16, v15, 7, v0
	v_mov_b32_e32 v0, v9
	v_or_b32_e32 v6, s2, v1
	v_lshl_or_b32 v1, v4, 5, v3
	s_cmp_neq_f32 s24, 0
	v_cmp_gt_i32_e64 s1, s3, v20
	v_lshl_add_u32 v19, v5, 5, 0x400
	v_ashrrev_i32_e32 v7, 31, v6
	v_add_nc_u32_e32 v17, 0x400, v1
	v_dual_mov_b32 v1, 0 :: v_dual_lshlrev_b32 v18, 2, v2
	v_add_nc_u32_e32 v2, s2, v2
	v_cmp_gt_i32_e64 s0, s3, v6
	s_cselect_b32 s28, -1, 0
	v_mad_co_u64_u32 v[3:4], null, s29, v13, v[0:1]
	v_mov_b32_e32 v0, v11
	v_cmp_le_i32_e64 s2, v2, v13
	v_add_nc_u32_e32 v4, 16, v2
	v_cmp_gt_i32_e64 s3, s3, v21
	v_cmp_le_i32_e64 s4, v2, v21
	v_mad_co_u64_u32 v[11:12], null, s29, v21, v[0:1]
	v_mov_b32_e32 v9, v3
	s_and_b32 s34, vcc_lo, s2
	v_cmp_le_i32_e64 s2, v4, v13
	v_cmp_le_i32_e64 s5, v4, v21
	v_lshlrev_b64_e32 v[6:7], 2, v[6:7]
	v_lshlrev_b64_e32 v[8:9], 2, v[8:9]
	;; [unrolled: 1-line block ×3, first 2 shown]
	v_ashrrev_i32_e32 v3, 31, v2
	v_ashrrev_i32_e32 v5, 31, v4
	v_lshlrev_b32_e32 v20, 2, v20
	s_mov_b32 s7, 0
	s_and_b32 s29, vcc_lo, s2
	s_and_b32 s35, s3, s4
	s_and_b32 s36, s3, s5
	;; [unrolled: 1-line block ×3, first 2 shown]
	s_lshl_b64 s[2:3], s[22:23], 2
	s_lshl_b64 s[4:5], s[16:17], 2
	;; [unrolled: 1-line block ×3, first 2 shown]
	s_branch .LBB434_6
.LBB434_5:                              ;   in Loop: Header=BB434_6 Depth=1
	s_wait_alu 0xfffe
	s_or_b32 exec_lo, exec_lo, s16
	s_add_co_i32 s6, s6, 0x10000
	s_delay_alu instid0(SALU_CYCLE_1)
	s_cmp_lt_u32 s6, s33
	s_cbranch_scc0 .LBB434_35
.LBB434_6:                              ; =>This Loop Header: Depth=1
                                        ;     Child Loop BB434_9 Depth 2
	s_lshl_b64 s[16:17], s[6:7], 3
	v_dual_mov_b32 v24, v1 :: v_dual_mov_b32 v23, v1
	s_wait_alu 0xfffe
	s_add_nc_u64 s[22:23], s[26:27], s[16:17]
	v_dual_mov_b32 v22, v1 :: v_dual_mov_b32 v21, v1
	global_load_b64 v[12:13], v1, s[22:23]
	s_and_not1_b32 vcc_lo, exec_lo, s37
	s_wait_alu 0xfffe
	s_cbranch_vccnz .LBB434_15
; %bb.7:                                ;   in Loop: Header=BB434_6 Depth=1
	s_add_nc_u64 s[22:23], s[12:13], s[16:17]
	s_add_nc_u64 s[16:17], s[18:19], s[16:17]
	s_clause 0x1
	global_load_b64 v[24:25], v1, s[22:23]
	global_load_b64 v[26:27], v1, s[16:17]
	v_dual_mov_b32 v21, 0 :: v_dual_mov_b32 v22, 0
	v_mov_b32_e32 v23, 0
	s_mov_b64 s[16:17], 0
	s_wait_loadcnt 0x1
	v_add_co_u32 v0, vcc_lo, v24, s4
	s_wait_alu 0xfffd
	v_add_co_ci_u32_e64 v24, null, s5, v25, vcc_lo
	s_wait_loadcnt 0x0
	v_add_co_u32 v28, vcc_lo, v26, s2
	s_wait_alu 0xfffd
	v_add_co_ci_u32_e64 v29, null, s3, v27, vcc_lo
	v_add_co_u32 v25, vcc_lo, v0, v6
	s_wait_alu 0xfffd
	v_add_co_ci_u32_e64 v26, null, v24, v7, vcc_lo
	;; [unrolled: 3-line block ×3, first 2 shown]
	v_mov_b32_e32 v24, 0
	s_branch .LBB434_9
.LBB434_8:                              ;   in Loop: Header=BB434_9 Depth=2
	s_or_b32 exec_lo, exec_lo, s22
	s_wait_loadcnt_dscnt 0x0
	ds_store_b32 v17, v30
	s_wait_dscnt 0x0
	s_barrier_signal -1
	s_barrier_wait -1
	global_inv scope:SCOPE_SE
	ds_load_b128 v[29:32], v19
	ds_load_2addr_b32 v[45:46], v18 offset1:16
	ds_load_b128 v[33:36], v19 offset:512
	ds_load_2addr_b32 v[47:48], v18 offset0:32 offset1:48
	ds_load_2addr_b32 v[49:50], v18 offset0:64 offset1:80
	;; [unrolled: 1-line block ×3, first 2 shown]
	ds_load_b128 v[37:40], v19 offset:16
	ds_load_2addr_b32 v[53:54], v18 offset0:128 offset1:144
	ds_load_b128 v[41:44], v19 offset:528
	ds_load_2addr_b32 v[55:56], v18 offset0:160 offset1:176
	s_add_nc_u64 s[16:17], s[16:17], 8
	s_wait_alu 0xfffe
	v_cmp_gt_i64_e64 s22, s[8:9], s[16:17]
	s_and_b32 vcc_lo, exec_lo, s22
	s_wait_dscnt 0x8
	v_fmac_f32_e32 v23, v46, v29
	v_fmac_f32_e32 v24, v45, v29
	s_wait_dscnt 0x7
	v_fmac_f32_e32 v21, v46, v33
	v_fmac_f32_e32 v22, v45, v33
	ds_load_2addr_b32 v[45:46], v18 offset0:192 offset1:208
	s_wait_dscnt 0x7
	v_fmac_f32_e32 v23, v48, v30
	v_fmac_f32_e32 v24, v47, v30
	;; [unrolled: 1-line block ×4, first 2 shown]
	ds_load_2addr_b32 v[29:30], v18 offset0:224 offset1:240
	s_wait_dscnt 0x7
	v_fmac_f32_e32 v23, v50, v31
	v_fmac_f32_e32 v24, v49, v31
	v_fmac_f32_e32 v21, v50, v35
	v_fmac_f32_e32 v22, v49, v35
	s_wait_loadcnt_dscnt 0x0
	v_fmac_f32_e32 v23, v52, v32
	v_fmac_f32_e32 v24, v51, v32
	;; [unrolled: 1-line block ×4, first 2 shown]
	s_barrier_signal -1
	v_fmac_f32_e32 v23, v54, v37
	v_fmac_f32_e32 v24, v53, v37
	;; [unrolled: 1-line block ×4, first 2 shown]
	s_barrier_wait -1
	v_fmac_f32_e32 v23, v56, v38
	v_fmac_f32_e32 v24, v55, v38
	v_fmac_f32_e32 v21, v56, v42
	v_fmac_f32_e32 v22, v55, v42
	global_inv scope:SCOPE_SE
	v_fmac_f32_e32 v23, v46, v39
	v_fmac_f32_e32 v24, v45, v39
	;; [unrolled: 1-line block ×3, first 2 shown]
	s_delay_alu instid0(VALU_DEP_3) | instskip(NEXT) | instid1(VALU_DEP_3)
	v_dual_fmac_f32 v22, v45, v43 :: v_dual_fmac_f32 v23, v30, v40
	v_fmac_f32_e32 v24, v29, v40
	s_delay_alu instid0(VALU_DEP_3) | instskip(NEXT) | instid1(VALU_DEP_3)
	v_fmac_f32_e32 v21, v30, v44
	v_fmac_f32_e32 v22, v29, v44
	s_wait_alu 0xfffe
	s_cbranch_vccz .LBB434_15
.LBB434_9:                              ;   Parent Loop BB434_6 Depth=1
                                        ; =>  This Inner Loop Header: Depth=2
	v_mov_b32_e32 v29, 0
	s_and_saveexec_b32 s22, s0
	s_cbranch_execz .LBB434_13
; %bb.10:                               ;   in Loop: Header=BB434_9 Depth=2
	s_wait_alu 0xfffe
	v_dual_mov_b32 v29, 0 :: v_dual_add_nc_u32 v0, s16, v15
	s_mov_b32 s23, exec_lo
	s_delay_alu instid0(VALU_DEP_1)
	v_cmpx_gt_u64_e64 s[8:9], v[0:1]
	s_cbranch_execz .LBB434_12
; %bb.11:                               ;   in Loop: Header=BB434_9 Depth=2
	v_mad_co_u64_u32 v[29:30], null, s14, v0, 0
	s_delay_alu instid0(VALU_DEP_1) | instskip(NEXT) | instid1(VALU_DEP_1)
	v_mad_co_u64_u32 v[30:31], null, s15, v0, v[30:31]
	v_lshlrev_b64_e32 v[29:30], 2, v[29:30]
	s_delay_alu instid0(VALU_DEP_1) | instskip(SKIP_1) | instid1(VALU_DEP_2)
	v_add_co_u32 v29, vcc_lo, v25, v29
	s_wait_alu 0xfffd
	v_add_co_ci_u32_e64 v30, null, v26, v30, vcc_lo
	flat_load_b32 v29, v[29:30]
.LBB434_12:                             ;   in Loop: Header=BB434_9 Depth=2
	s_or_b32 exec_lo, exec_lo, s23
.LBB434_13:                             ;   in Loop: Header=BB434_9 Depth=2
	s_delay_alu instid0(SALU_CYCLE_1)
	s_or_b32 exec_lo, exec_lo, s22
	s_wait_alu 0xfffe
	v_add_nc_u32_e32 v0, s16, v14
	v_mov_b32_e32 v30, 0
	s_wait_loadcnt_dscnt 0x0
	ds_store_b32 v16, v29
	v_cmp_gt_u64_e32 vcc_lo, s[8:9], v[0:1]
	s_and_b32 s23, vcc_lo, s1
	s_delay_alu instid0(SALU_CYCLE_1)
	s_and_saveexec_b32 s22, s23
	s_cbranch_execz .LBB434_8
; %bb.14:                               ;   in Loop: Header=BB434_9 Depth=2
	v_mad_co_u64_u32 v[29:30], null, s20, v0, 0
	s_delay_alu instid0(VALU_DEP_1) | instskip(NEXT) | instid1(VALU_DEP_1)
	v_mad_co_u64_u32 v[30:31], null, s21, v0, v[30:31]
	v_lshlrev_b64_e32 v[29:30], 2, v[29:30]
	s_delay_alu instid0(VALU_DEP_1) | instskip(SKIP_1) | instid1(VALU_DEP_2)
	v_add_co_u32 v29, vcc_lo, v27, v29
	s_wait_alu 0xfffd
	v_add_co_ci_u32_e64 v30, null, v28, v30, vcc_lo
	flat_load_b32 v30, v[29:30]
	s_branch .LBB434_8
.LBB434_15:                             ;   in Loop: Header=BB434_6 Depth=1
	s_wait_loadcnt 0x0
	v_add_co_u32 v0, vcc_lo, v12, s10
	s_wait_alu 0xfffd
	v_add_co_ci_u32_e64 v12, null, s11, v13, vcc_lo
	s_delay_alu instid0(VALU_DEP_2) | instskip(SKIP_1) | instid1(VALU_DEP_2)
	v_add_co_u32 v13, vcc_lo, v0, v8
	s_wait_alu 0xfffd
	v_add_co_ci_u32_e64 v25, null, v12, v9, vcc_lo
	s_and_saveexec_b32 s16, s34
	s_cbranch_execz .LBB434_19
; %bb.16:                               ;   in Loop: Header=BB434_6 Depth=1
	v_mul_f32_e32 v24, s25, v24
	s_wait_alu 0xfffe
	s_and_b32 vcc_lo, exec_lo, s28
	s_wait_alu 0xfffe
	s_cbranch_vccz .LBB434_30
; %bb.17:                               ;   in Loop: Header=BB434_6 Depth=1
	v_lshlrev_b64_e32 v[26:27], 2, v[2:3]
	s_delay_alu instid0(VALU_DEP_1) | instskip(SKIP_1) | instid1(VALU_DEP_2)
	v_add_co_u32 v26, vcc_lo, v13, v26
	s_wait_alu 0xfffd
	v_add_co_ci_u32_e64 v27, null, v25, v27, vcc_lo
	flat_load_b32 v28, v[26:27]
	s_wait_loadcnt_dscnt 0x0
	v_fma_f32 v28, s24, v28, v24
	flat_store_b32 v[26:27], v28
	s_cbranch_execnz .LBB434_19
.LBB434_18:                             ;   in Loop: Header=BB434_6 Depth=1
	v_lshlrev_b64_e32 v[26:27], 2, v[2:3]
	s_delay_alu instid0(VALU_DEP_1) | instskip(SKIP_1) | instid1(VALU_DEP_2)
	v_add_co_u32 v26, vcc_lo, v13, v26
	s_wait_alu 0xfffd
	v_add_co_ci_u32_e64 v27, null, v25, v27, vcc_lo
	flat_store_b32 v[26:27], v24
.LBB434_19:                             ;   in Loop: Header=BB434_6 Depth=1
	s_wait_alu 0xfffe
	s_or_b32 exec_lo, exec_lo, s16
	s_and_saveexec_b32 s16, s29
	s_cbranch_execz .LBB434_23
; %bb.20:                               ;   in Loop: Header=BB434_6 Depth=1
	v_mul_f32_e32 v23, s25, v23
	s_and_not1_b32 vcc_lo, exec_lo, s28
	s_wait_alu 0xfffe
	s_cbranch_vccnz .LBB434_31
; %bb.21:                               ;   in Loop: Header=BB434_6 Depth=1
	v_lshlrev_b64_e32 v[26:27], 2, v[4:5]
	s_delay_alu instid0(VALU_DEP_1) | instskip(SKIP_1) | instid1(VALU_DEP_2)
	v_add_co_u32 v26, vcc_lo, v13, v26
	s_wait_alu 0xfffd
	v_add_co_ci_u32_e64 v27, null, v25, v27, vcc_lo
	flat_load_b32 v24, v[26:27]
	s_wait_loadcnt_dscnt 0x0
	v_fma_f32 v24, s24, v24, v23
	flat_store_b32 v[26:27], v24
	s_cbranch_execnz .LBB434_23
.LBB434_22:                             ;   in Loop: Header=BB434_6 Depth=1
	v_lshlrev_b64_e32 v[26:27], 2, v[4:5]
	s_delay_alu instid0(VALU_DEP_1) | instskip(SKIP_1) | instid1(VALU_DEP_2)
	v_add_co_u32 v24, vcc_lo, v13, v26
	s_wait_alu 0xfffd
	v_add_co_ci_u32_e64 v25, null, v25, v27, vcc_lo
	flat_store_b32 v[24:25], v23
.LBB434_23:                             ;   in Loop: Header=BB434_6 Depth=1
	s_wait_alu 0xfffe
	s_or_b32 exec_lo, exec_lo, s16
	v_add_co_u32 v0, vcc_lo, v0, v10
	s_wait_alu 0xfffd
	v_add_co_ci_u32_e64 v23, null, v12, v11, vcc_lo
	s_and_saveexec_b32 s16, s35
	s_cbranch_execz .LBB434_27
; %bb.24:                               ;   in Loop: Header=BB434_6 Depth=1
	v_lshlrev_b64_e32 v[12:13], 2, v[2:3]
	v_mul_f32_e32 v22, s25, v22
	s_and_not1_b32 vcc_lo, exec_lo, s28
	s_wait_alu 0xfffe
	s_cbranch_vccnz .LBB434_32
; %bb.25:                               ;   in Loop: Header=BB434_6 Depth=1
	s_delay_alu instid0(VALU_DEP_2)
	v_add_co_u32 v24, vcc_lo, v0, v12
	s_wait_alu 0xfffd
	v_add_co_ci_u32_e64 v25, null, v23, v13, vcc_lo
	flat_load_b32 v26, v[24:25]
	s_wait_loadcnt_dscnt 0x0
	v_fma_f32 v26, s24, v26, v22
	flat_store_b32 v[24:25], v26
	s_cbranch_execnz .LBB434_27
.LBB434_26:                             ;   in Loop: Header=BB434_6 Depth=1
	v_add_co_u32 v12, vcc_lo, v0, v12
	s_wait_alu 0xfffd
	v_add_co_ci_u32_e64 v13, null, v23, v13, vcc_lo
	flat_store_b32 v[12:13], v22
.LBB434_27:                             ;   in Loop: Header=BB434_6 Depth=1
	s_wait_alu 0xfffe
	s_or_b32 exec_lo, exec_lo, s16
	s_and_saveexec_b32 s16, s36
	s_cbranch_execz .LBB434_5
; %bb.28:                               ;   in Loop: Header=BB434_6 Depth=1
	v_lshlrev_b64_e32 v[12:13], 2, v[4:5]
	v_mul_f32_e32 v21, s25, v21
	s_and_not1_b32 vcc_lo, exec_lo, s28
	s_wait_alu 0xfffe
	s_cbranch_vccnz .LBB434_33
; %bb.29:                               ;   in Loop: Header=BB434_6 Depth=1
	s_delay_alu instid0(VALU_DEP_2)
	v_add_co_u32 v24, vcc_lo, v0, v12
	s_wait_alu 0xfffd
	v_add_co_ci_u32_e64 v25, null, v23, v13, vcc_lo
	flat_load_b32 v22, v[24:25]
	s_wait_loadcnt_dscnt 0x0
	v_fma_f32 v22, s24, v22, v21
	flat_store_b32 v[24:25], v22
	s_cbranch_execnz .LBB434_5
	s_branch .LBB434_34
.LBB434_30:                             ;   in Loop: Header=BB434_6 Depth=1
	s_branch .LBB434_18
.LBB434_31:                             ;   in Loop: Header=BB434_6 Depth=1
	s_branch .LBB434_22
.LBB434_32:                             ;   in Loop: Header=BB434_6 Depth=1
	s_branch .LBB434_26
.LBB434_33:                             ;   in Loop: Header=BB434_6 Depth=1
.LBB434_34:                             ;   in Loop: Header=BB434_6 Depth=1
	s_delay_alu instid0(VALU_DEP_2)
	v_add_co_u32 v12, vcc_lo, v0, v12
	s_wait_alu 0xfffd
	v_add_co_ci_u32_e64 v13, null, v23, v13, vcc_lo
	flat_store_b32 v[12:13], v21
	s_branch .LBB434_5
.LBB434_35:
	s_endpgm
	.section	.rodata,"a",@progbits
	.p2align	6, 0x0
	.amdhsa_kernel _ZL29rocblas_internal_gemmt_kernelIlLi16ELi32ELi8ELc78ELc67ELc85ELb0ELb0EfPKfPKS1_PKPfEviT_T9_T10_S7_lS9_S7_lS8_T11_S7_li
		.amdhsa_group_segment_fixed_size 2048
		.amdhsa_private_segment_fixed_size 0
		.amdhsa_kernarg_size 108
		.amdhsa_user_sgpr_count 2
		.amdhsa_user_sgpr_dispatch_ptr 0
		.amdhsa_user_sgpr_queue_ptr 0
		.amdhsa_user_sgpr_kernarg_segment_ptr 1
		.amdhsa_user_sgpr_dispatch_id 0
		.amdhsa_user_sgpr_private_segment_size 0
		.amdhsa_wavefront_size32 1
		.amdhsa_uses_dynamic_stack 0
		.amdhsa_enable_private_segment 0
		.amdhsa_system_sgpr_workgroup_id_x 1
		.amdhsa_system_sgpr_workgroup_id_y 1
		.amdhsa_system_sgpr_workgroup_id_z 1
		.amdhsa_system_sgpr_workgroup_info 0
		.amdhsa_system_vgpr_workitem_id 1
		.amdhsa_next_free_vgpr 57
		.amdhsa_next_free_sgpr 38
		.amdhsa_reserve_vcc 1
		.amdhsa_float_round_mode_32 0
		.amdhsa_float_round_mode_16_64 0
		.amdhsa_float_denorm_mode_32 3
		.amdhsa_float_denorm_mode_16_64 3
		.amdhsa_fp16_overflow 0
		.amdhsa_workgroup_processor_mode 1
		.amdhsa_memory_ordered 1
		.amdhsa_forward_progress 1
		.amdhsa_inst_pref_size 15
		.amdhsa_round_robin_scheduling 0
		.amdhsa_exception_fp_ieee_invalid_op 0
		.amdhsa_exception_fp_denorm_src 0
		.amdhsa_exception_fp_ieee_div_zero 0
		.amdhsa_exception_fp_ieee_overflow 0
		.amdhsa_exception_fp_ieee_underflow 0
		.amdhsa_exception_fp_ieee_inexact 0
		.amdhsa_exception_int_div_zero 0
	.end_amdhsa_kernel
	.section	.text._ZL29rocblas_internal_gemmt_kernelIlLi16ELi32ELi8ELc78ELc67ELc85ELb0ELb0EfPKfPKS1_PKPfEviT_T9_T10_S7_lS9_S7_lS8_T11_S7_li,"axG",@progbits,_ZL29rocblas_internal_gemmt_kernelIlLi16ELi32ELi8ELc78ELc67ELc85ELb0ELb0EfPKfPKS1_PKPfEviT_T9_T10_S7_lS9_S7_lS8_T11_S7_li,comdat
.Lfunc_end434:
	.size	_ZL29rocblas_internal_gemmt_kernelIlLi16ELi32ELi8ELc78ELc67ELc85ELb0ELb0EfPKfPKS1_PKPfEviT_T9_T10_S7_lS9_S7_lS8_T11_S7_li, .Lfunc_end434-_ZL29rocblas_internal_gemmt_kernelIlLi16ELi32ELi8ELc78ELc67ELc85ELb0ELb0EfPKfPKS1_PKPfEviT_T9_T10_S7_lS9_S7_lS8_T11_S7_li
                                        ; -- End function
	.set _ZL29rocblas_internal_gemmt_kernelIlLi16ELi32ELi8ELc78ELc67ELc85ELb0ELb0EfPKfPKS1_PKPfEviT_T9_T10_S7_lS9_S7_lS8_T11_S7_li.num_vgpr, 57
	.set _ZL29rocblas_internal_gemmt_kernelIlLi16ELi32ELi8ELc78ELc67ELc85ELb0ELb0EfPKfPKS1_PKPfEviT_T9_T10_S7_lS9_S7_lS8_T11_S7_li.num_agpr, 0
	.set _ZL29rocblas_internal_gemmt_kernelIlLi16ELi32ELi8ELc78ELc67ELc85ELb0ELb0EfPKfPKS1_PKPfEviT_T9_T10_S7_lS9_S7_lS8_T11_S7_li.numbered_sgpr, 38
	.set _ZL29rocblas_internal_gemmt_kernelIlLi16ELi32ELi8ELc78ELc67ELc85ELb0ELb0EfPKfPKS1_PKPfEviT_T9_T10_S7_lS9_S7_lS8_T11_S7_li.num_named_barrier, 0
	.set _ZL29rocblas_internal_gemmt_kernelIlLi16ELi32ELi8ELc78ELc67ELc85ELb0ELb0EfPKfPKS1_PKPfEviT_T9_T10_S7_lS9_S7_lS8_T11_S7_li.private_seg_size, 0
	.set _ZL29rocblas_internal_gemmt_kernelIlLi16ELi32ELi8ELc78ELc67ELc85ELb0ELb0EfPKfPKS1_PKPfEviT_T9_T10_S7_lS9_S7_lS8_T11_S7_li.uses_vcc, 1
	.set _ZL29rocblas_internal_gemmt_kernelIlLi16ELi32ELi8ELc78ELc67ELc85ELb0ELb0EfPKfPKS1_PKPfEviT_T9_T10_S7_lS9_S7_lS8_T11_S7_li.uses_flat_scratch, 0
	.set _ZL29rocblas_internal_gemmt_kernelIlLi16ELi32ELi8ELc78ELc67ELc85ELb0ELb0EfPKfPKS1_PKPfEviT_T9_T10_S7_lS9_S7_lS8_T11_S7_li.has_dyn_sized_stack, 0
	.set _ZL29rocblas_internal_gemmt_kernelIlLi16ELi32ELi8ELc78ELc67ELc85ELb0ELb0EfPKfPKS1_PKPfEviT_T9_T10_S7_lS9_S7_lS8_T11_S7_li.has_recursion, 0
	.set _ZL29rocblas_internal_gemmt_kernelIlLi16ELi32ELi8ELc78ELc67ELc85ELb0ELb0EfPKfPKS1_PKPfEviT_T9_T10_S7_lS9_S7_lS8_T11_S7_li.has_indirect_call, 0
	.section	.AMDGPU.csdata,"",@progbits
; Kernel info:
; codeLenInByte = 1892
; TotalNumSgprs: 40
; NumVgprs: 57
; ScratchSize: 0
; MemoryBound: 0
; FloatMode: 240
; IeeeMode: 1
; LDSByteSize: 2048 bytes/workgroup (compile time only)
; SGPRBlocks: 0
; VGPRBlocks: 7
; NumSGPRsForWavesPerEU: 40
; NumVGPRsForWavesPerEU: 57
; Occupancy: 16
; WaveLimiterHint : 1
; COMPUTE_PGM_RSRC2:SCRATCH_EN: 0
; COMPUTE_PGM_RSRC2:USER_SGPR: 2
; COMPUTE_PGM_RSRC2:TRAP_HANDLER: 0
; COMPUTE_PGM_RSRC2:TGID_X_EN: 1
; COMPUTE_PGM_RSRC2:TGID_Y_EN: 1
; COMPUTE_PGM_RSRC2:TGID_Z_EN: 1
; COMPUTE_PGM_RSRC2:TIDIG_COMP_CNT: 1
	.section	.text._ZL29rocblas_internal_gemmt_kernelIlLi16ELi32ELi8ELc84ELc78ELc85ELb0ELb0EfPKfPKS1_PKPfEviT_T9_T10_S7_lS9_S7_lS8_T11_S7_li,"axG",@progbits,_ZL29rocblas_internal_gemmt_kernelIlLi16ELi32ELi8ELc84ELc78ELc85ELb0ELb0EfPKfPKS1_PKPfEviT_T9_T10_S7_lS9_S7_lS8_T11_S7_li,comdat
	.globl	_ZL29rocblas_internal_gemmt_kernelIlLi16ELi32ELi8ELc84ELc78ELc85ELb0ELb0EfPKfPKS1_PKPfEviT_T9_T10_S7_lS9_S7_lS8_T11_S7_li ; -- Begin function _ZL29rocblas_internal_gemmt_kernelIlLi16ELi32ELi8ELc84ELc78ELc85ELb0ELb0EfPKfPKS1_PKPfEviT_T9_T10_S7_lS9_S7_lS8_T11_S7_li
	.p2align	8
	.type	_ZL29rocblas_internal_gemmt_kernelIlLi16ELi32ELi8ELc84ELc78ELc85ELb0ELb0EfPKfPKS1_PKPfEviT_T9_T10_S7_lS9_S7_lS8_T11_S7_li,@function
_ZL29rocblas_internal_gemmt_kernelIlLi16ELi32ELi8ELc84ELc78ELc85ELb0ELb0EfPKfPKS1_PKPfEviT_T9_T10_S7_lS9_S7_lS8_T11_S7_li: ; @_ZL29rocblas_internal_gemmt_kernelIlLi16ELi32ELi8ELc84ELc78ELc85ELb0ELb0EfPKfPKS1_PKPfEviT_T9_T10_S7_lS9_S7_lS8_T11_S7_li
; %bb.0:
	s_clause 0x1
	s_load_b256 s[24:31], s[0:1], 0x48
	s_load_b512 s[8:23], s[0:1], 0x8
	s_wait_kmcnt 0x0
	s_load_b32 s24, s[24:25], 0x0
	s_load_b32 s25, s[10:11], 0x0
	s_wait_kmcnt 0x0
	s_cmp_neq_f32 s24, 1.0
	s_cselect_b32 s2, -1, 0
	s_delay_alu instid0(SALU_CYCLE_1)
	s_and_b32 vcc_lo, exec_lo, s2
	s_cbranch_vccnz .LBB435_2
; %bb.1:
	s_cmp_lg_u64 s[8:9], 0
	s_cselect_b32 s2, -1, 0
	s_cmp_neq_f32 s25, 0
	s_cselect_b32 s3, -1, 0
	s_delay_alu instid0(SALU_CYCLE_1)
	s_and_b32 s2, s2, s3
.LBB435_2:
	s_delay_alu instid0(SALU_CYCLE_1)
	s_and_not1_b32 vcc_lo, exec_lo, s2
	s_cbranch_vccnz .LBB435_35
; %bb.3:
	s_load_b32 s33, s[0:1], 0x68
	s_lshr_b32 s6, ttmp7, 16
	s_wait_kmcnt 0x0
	s_cmp_ge_u32 s6, s33
	s_cbranch_scc1 .LBB435_35
; %bb.4:
	v_bfe_u32 v3, v0, 10, 10
	s_load_b32 s3, s[0:1], 0x0
	s_lshl_b32 s0, ttmp7, 5
	v_and_b32_e32 v16, 7, v0
	s_and_b32 s0, s0, 0x1fffe0
	s_lshl_b32 s2, ttmp9, 5
	v_add_nc_u32_e32 v14, s0, v3
	s_cmp_neq_f32 s25, 0
	v_lshl_add_u32 v21, v3, 5, 0x400
	v_cmp_gt_i64_e64 s10, s[8:9], 0
	s_mov_b32 s7, 0
	v_mad_co_u64_u32 v[10:11], null, s28, v14, 0
	v_and_b32_e32 v2, 0x3ff, v0
	v_add_nc_u32_e32 v15, 16, v14
	s_cselect_b32 s11, -1, 0
	s_delay_alu instid0(VALU_DEP_2) | instskip(NEXT) | instid1(VALU_DEP_1)
	v_lshl_add_u32 v0, v3, 4, v2
	v_lshrrev_b32_e32 v4, 3, v0
	v_lshrrev_b32_e32 v18, 5, v0
	s_delay_alu instid0(VALU_DEP_2)
	v_add_nc_u32_e32 v12, s0, v4
	s_ashr_i32 s0, s2, 31
	s_cmp_neq_f32 s24, 0
	s_wait_alu 0xfffe
	s_mul_i32 s4, s14, s0
	v_mad_co_u64_u32 v[8:9], null, s20, v12, 0
	v_and_b32_e32 v1, 31, v0
	s_wait_kmcnt 0x0
	v_cmp_gt_i32_e64 s1, s3, v12
	s_cselect_b32 s20, -1, 0
	s_and_b32 s35, s11, s10
	s_lshl_b64 s[10:11], s[30:31], 2
	v_mov_b32_e32 v0, v9
	v_or_b32_e32 v13, s2, v1
	v_lshlrev_b32_e32 v19, 2, v1
	s_delay_alu instid0(VALU_DEP_3) | instskip(NEXT) | instid1(VALU_DEP_3)
	v_mad_co_u64_u32 v[0:1], null, s21, v12, v[0:1]
	v_mul_lo_u32 v9, s15, v13
	v_mad_co_u64_u32 v[6:7], null, s14, v13, 0
	v_cmp_gt_i32_e64 s0, s3, v13
	v_mad_co_u64_u32 v[12:13], null, s28, v15, 0
	v_mov_b32_e32 v1, v11
	v_lshlrev_b32_e32 v17, 2, v2
	v_lshl_or_b32 v19, v18, 7, v19
	v_add3_u32 v7, v7, s4, v9
	v_mov_b32_e32 v9, v0
	v_lshlrev_b32_e32 v5, 2, v16
	v_dual_mov_b32 v3, v13 :: v_dual_add_nc_u32 v0, s2, v2
	v_mad_co_u64_u32 v[1:2], null, s29, v14, v[1:2]
	s_delay_alu instid0(VALU_DEP_3)
	v_lshl_or_b32 v4, v4, 5, v5
	v_cmp_gt_i32_e32 vcc_lo, s3, v14
	v_cmp_gt_i32_e64 s3, s3, v15
	v_lshlrev_b64_e32 v[6:7], 2, v[6:7]
	v_lshlrev_b64_e32 v[8:9], 2, v[8:9]
	v_add_nc_u32_e32 v20, 0x400, v4
	v_mad_co_u64_u32 v[4:5], null, s29, v15, v[3:4]
	v_mov_b32_e32 v5, 0
	v_cmp_le_i32_e64 s2, v0, v14
	v_dual_mov_b32 v11, v1 :: v_dual_add_nc_u32 v2, 16, v0
	v_cmp_le_i32_e64 s4, v0, v15
	v_ashrrev_i32_e32 v1, 31, v0
	v_mov_b32_e32 v13, v4
	s_and_b32 s21, vcc_lo, s2
	v_cmp_le_i32_e64 s2, v2, v14
	v_cmp_le_i32_e64 s5, v2, v15
	v_lshlrev_b64_e32 v[10:11], 2, v[10:11]
	v_lshlrev_b64_e32 v[12:13], 2, v[12:13]
	v_ashrrev_i32_e32 v3, 31, v2
	s_and_b32 s28, vcc_lo, s2
	s_and_b32 s29, s3, s4
	s_and_b32 s34, s3, s5
	s_lshl_b64 s[2:3], s[22:23], 2
	s_lshl_b64 s[4:5], s[16:17], 2
	s_branch .LBB435_6
.LBB435_5:                              ;   in Loop: Header=BB435_6 Depth=1
	s_wait_alu 0xfffe
	s_or_b32 exec_lo, exec_lo, s14
	s_add_co_i32 s6, s6, 0x10000
	s_delay_alu instid0(SALU_CYCLE_1)
	s_cmp_lt_u32 s6, s33
	s_cbranch_scc0 .LBB435_35
.LBB435_6:                              ; =>This Loop Header: Depth=1
                                        ;     Child Loop BB435_9 Depth 2
	s_lshl_b64 s[14:15], s[6:7], 3
	v_dual_mov_b32 v25, v5 :: v_dual_mov_b32 v24, v5
	s_wait_alu 0xfffe
	s_add_nc_u64 s[16:17], s[26:27], s[14:15]
	v_dual_mov_b32 v23, v5 :: v_dual_mov_b32 v22, v5
	global_load_b64 v[14:15], v5, s[16:17]
	s_and_not1_b32 vcc_lo, exec_lo, s35
	s_wait_alu 0xfffe
	s_cbranch_vccnz .LBB435_15
; %bb.7:                                ;   in Loop: Header=BB435_6 Depth=1
	s_add_nc_u64 s[16:17], s[12:13], s[14:15]
	s_add_nc_u64 s[14:15], s[18:19], s[14:15]
	s_clause 0x1
	global_load_b64 v[25:26], v5, s[16:17]
	global_load_b64 v[27:28], v5, s[14:15]
	v_dual_mov_b32 v22, 0 :: v_dual_mov_b32 v23, 0
	v_mov_b32_e32 v24, 0
	s_mov_b64 s[14:15], 0
	s_wait_loadcnt 0x1
	v_add_co_u32 v4, vcc_lo, v25, s4
	s_wait_alu 0xfffd
	v_add_co_ci_u32_e64 v25, null, s5, v26, vcc_lo
	s_wait_loadcnt 0x0
	v_add_co_u32 v29, vcc_lo, v27, s2
	s_wait_alu 0xfffd
	v_add_co_ci_u32_e64 v30, null, s3, v28, vcc_lo
	v_add_co_u32 v26, vcc_lo, v4, v6
	s_wait_alu 0xfffd
	v_add_co_ci_u32_e64 v27, null, v25, v7, vcc_lo
	;; [unrolled: 3-line block ×3, first 2 shown]
	v_mov_b32_e32 v25, 0
	s_branch .LBB435_9
.LBB435_8:                              ;   in Loop: Header=BB435_9 Depth=2
	s_or_b32 exec_lo, exec_lo, s16
	s_wait_loadcnt_dscnt 0x0
	ds_store_b32 v20, v31
	s_wait_dscnt 0x0
	s_barrier_signal -1
	s_barrier_wait -1
	global_inv scope:SCOPE_SE
	ds_load_b128 v[30:33], v21
	ds_load_2addr_b32 v[46:47], v17 offset1:16
	ds_load_b128 v[34:37], v21 offset:512
	ds_load_2addr_b32 v[48:49], v17 offset0:32 offset1:48
	ds_load_2addr_b32 v[50:51], v17 offset0:64 offset1:80
	;; [unrolled: 1-line block ×3, first 2 shown]
	ds_load_b128 v[38:41], v21 offset:16
	ds_load_2addr_b32 v[54:55], v17 offset0:128 offset1:144
	ds_load_b128 v[42:45], v21 offset:528
	ds_load_2addr_b32 v[56:57], v17 offset0:160 offset1:176
	s_add_nc_u64 s[14:15], s[14:15], 8
	s_wait_alu 0xfffe
	v_cmp_gt_i64_e64 s16, s[8:9], s[14:15]
	s_and_b32 vcc_lo, exec_lo, s16
	s_wait_dscnt 0x8
	v_fmac_f32_e32 v24, v47, v30
	v_fmac_f32_e32 v25, v46, v30
	s_wait_dscnt 0x7
	v_fmac_f32_e32 v22, v47, v34
	v_fmac_f32_e32 v23, v46, v34
	ds_load_2addr_b32 v[46:47], v17 offset0:192 offset1:208
	s_wait_dscnt 0x7
	v_fmac_f32_e32 v24, v49, v31
	v_fmac_f32_e32 v25, v48, v31
	;; [unrolled: 1-line block ×4, first 2 shown]
	ds_load_2addr_b32 v[30:31], v17 offset0:224 offset1:240
	s_wait_dscnt 0x7
	v_fmac_f32_e32 v24, v51, v32
	v_fmac_f32_e32 v25, v50, v32
	;; [unrolled: 1-line block ×4, first 2 shown]
	s_wait_loadcnt_dscnt 0x0
	v_fmac_f32_e32 v24, v53, v33
	v_fmac_f32_e32 v25, v52, v33
	;; [unrolled: 1-line block ×4, first 2 shown]
	s_barrier_signal -1
	v_fmac_f32_e32 v24, v55, v38
	v_fmac_f32_e32 v25, v54, v38
	;; [unrolled: 1-line block ×4, first 2 shown]
	s_barrier_wait -1
	v_fmac_f32_e32 v24, v57, v39
	v_fmac_f32_e32 v25, v56, v39
	v_fmac_f32_e32 v22, v57, v43
	v_fmac_f32_e32 v23, v56, v43
	global_inv scope:SCOPE_SE
	v_fmac_f32_e32 v24, v47, v40
	v_fmac_f32_e32 v25, v46, v40
	;; [unrolled: 1-line block ×3, first 2 shown]
	s_delay_alu instid0(VALU_DEP_3) | instskip(NEXT) | instid1(VALU_DEP_3)
	v_dual_fmac_f32 v23, v46, v44 :: v_dual_fmac_f32 v24, v31, v41
	v_fmac_f32_e32 v25, v30, v41
	s_delay_alu instid0(VALU_DEP_3) | instskip(NEXT) | instid1(VALU_DEP_3)
	v_fmac_f32_e32 v22, v31, v45
	v_fmac_f32_e32 v23, v30, v45
	s_wait_alu 0xfffe
	s_cbranch_vccz .LBB435_15
.LBB435_9:                              ;   Parent Loop BB435_6 Depth=1
                                        ; =>  This Inner Loop Header: Depth=2
	v_mov_b32_e32 v30, 0
	s_and_saveexec_b32 s16, s0
	s_cbranch_execz .LBB435_13
; %bb.10:                               ;   in Loop: Header=BB435_9 Depth=2
	s_wait_alu 0xfffe
	v_add_nc_u32_e32 v4, s14, v18
	v_mov_b32_e32 v30, 0
	s_mov_b32 s17, exec_lo
	s_delay_alu instid0(VALU_DEP_2)
	v_cmpx_gt_u64_e64 s[8:9], v[4:5]
	s_cbranch_execz .LBB435_12
; %bb.11:                               ;   in Loop: Header=BB435_9 Depth=2
	v_lshlrev_b64_e32 v[30:31], 2, v[4:5]
	s_delay_alu instid0(VALU_DEP_1) | instskip(SKIP_1) | instid1(VALU_DEP_2)
	v_add_co_u32 v30, vcc_lo, v26, v30
	s_wait_alu 0xfffd
	v_add_co_ci_u32_e64 v31, null, v27, v31, vcc_lo
	flat_load_b32 v30, v[30:31]
.LBB435_12:                             ;   in Loop: Header=BB435_9 Depth=2
	s_or_b32 exec_lo, exec_lo, s17
.LBB435_13:                             ;   in Loop: Header=BB435_9 Depth=2
	s_delay_alu instid0(SALU_CYCLE_1)
	s_or_b32 exec_lo, exec_lo, s16
	s_wait_alu 0xfffe
	v_dual_mov_b32 v31, 0 :: v_dual_add_nc_u32 v4, s14, v16
	s_wait_loadcnt_dscnt 0x0
	ds_store_b32 v19, v30
	v_cmp_gt_u64_e32 vcc_lo, s[8:9], v[4:5]
	s_and_b32 s17, vcc_lo, s1
	s_delay_alu instid0(SALU_CYCLE_1)
	s_and_saveexec_b32 s16, s17
	s_cbranch_execz .LBB435_8
; %bb.14:                               ;   in Loop: Header=BB435_9 Depth=2
	v_lshlrev_b64_e32 v[30:31], 2, v[4:5]
	s_delay_alu instid0(VALU_DEP_1) | instskip(SKIP_1) | instid1(VALU_DEP_2)
	v_add_co_u32 v30, vcc_lo, v28, v30
	s_wait_alu 0xfffd
	v_add_co_ci_u32_e64 v31, null, v29, v31, vcc_lo
	flat_load_b32 v31, v[30:31]
	s_branch .LBB435_8
.LBB435_15:                             ;   in Loop: Header=BB435_6 Depth=1
	s_wait_loadcnt 0x0
	v_add_co_u32 v4, vcc_lo, v14, s10
	s_wait_alu 0xfffd
	v_add_co_ci_u32_e64 v14, null, s11, v15, vcc_lo
	s_delay_alu instid0(VALU_DEP_2) | instskip(SKIP_1) | instid1(VALU_DEP_2)
	v_add_co_u32 v15, vcc_lo, v4, v10
	s_wait_alu 0xfffd
	v_add_co_ci_u32_e64 v26, null, v14, v11, vcc_lo
	s_and_saveexec_b32 s14, s21
	s_cbranch_execz .LBB435_19
; %bb.16:                               ;   in Loop: Header=BB435_6 Depth=1
	v_mul_f32_e32 v25, s25, v25
	s_and_b32 vcc_lo, exec_lo, s20
	s_wait_alu 0xfffe
	s_cbranch_vccz .LBB435_30
; %bb.17:                               ;   in Loop: Header=BB435_6 Depth=1
	v_lshlrev_b64_e32 v[27:28], 2, v[0:1]
	s_delay_alu instid0(VALU_DEP_1) | instskip(SKIP_1) | instid1(VALU_DEP_2)
	v_add_co_u32 v27, vcc_lo, v15, v27
	s_wait_alu 0xfffd
	v_add_co_ci_u32_e64 v28, null, v26, v28, vcc_lo
	flat_load_b32 v29, v[27:28]
	s_wait_loadcnt_dscnt 0x0
	v_fma_f32 v29, s24, v29, v25
	flat_store_b32 v[27:28], v29
	s_cbranch_execnz .LBB435_19
.LBB435_18:                             ;   in Loop: Header=BB435_6 Depth=1
	v_lshlrev_b64_e32 v[27:28], 2, v[0:1]
	s_delay_alu instid0(VALU_DEP_1) | instskip(SKIP_1) | instid1(VALU_DEP_2)
	v_add_co_u32 v27, vcc_lo, v15, v27
	s_wait_alu 0xfffd
	v_add_co_ci_u32_e64 v28, null, v26, v28, vcc_lo
	flat_store_b32 v[27:28], v25
.LBB435_19:                             ;   in Loop: Header=BB435_6 Depth=1
	s_wait_alu 0xfffe
	s_or_b32 exec_lo, exec_lo, s14
	s_and_saveexec_b32 s14, s28
	s_cbranch_execz .LBB435_23
; %bb.20:                               ;   in Loop: Header=BB435_6 Depth=1
	v_mul_f32_e32 v24, s25, v24
	s_and_not1_b32 vcc_lo, exec_lo, s20
	s_wait_alu 0xfffe
	s_cbranch_vccnz .LBB435_31
; %bb.21:                               ;   in Loop: Header=BB435_6 Depth=1
	v_lshlrev_b64_e32 v[27:28], 2, v[2:3]
	s_delay_alu instid0(VALU_DEP_1) | instskip(SKIP_1) | instid1(VALU_DEP_2)
	v_add_co_u32 v27, vcc_lo, v15, v27
	s_wait_alu 0xfffd
	v_add_co_ci_u32_e64 v28, null, v26, v28, vcc_lo
	flat_load_b32 v25, v[27:28]
	s_wait_loadcnt_dscnt 0x0
	v_fma_f32 v25, s24, v25, v24
	flat_store_b32 v[27:28], v25
	s_cbranch_execnz .LBB435_23
.LBB435_22:                             ;   in Loop: Header=BB435_6 Depth=1
	v_lshlrev_b64_e32 v[27:28], 2, v[2:3]
	s_delay_alu instid0(VALU_DEP_1) | instskip(SKIP_1) | instid1(VALU_DEP_2)
	v_add_co_u32 v25, vcc_lo, v15, v27
	s_wait_alu 0xfffd
	v_add_co_ci_u32_e64 v26, null, v26, v28, vcc_lo
	flat_store_b32 v[25:26], v24
.LBB435_23:                             ;   in Loop: Header=BB435_6 Depth=1
	s_wait_alu 0xfffe
	s_or_b32 exec_lo, exec_lo, s14
	v_add_co_u32 v4, vcc_lo, v4, v12
	s_wait_alu 0xfffd
	v_add_co_ci_u32_e64 v24, null, v14, v13, vcc_lo
	s_and_saveexec_b32 s14, s29
	s_cbranch_execz .LBB435_27
; %bb.24:                               ;   in Loop: Header=BB435_6 Depth=1
	v_lshlrev_b64_e32 v[14:15], 2, v[0:1]
	v_mul_f32_e32 v23, s25, v23
	s_and_not1_b32 vcc_lo, exec_lo, s20
	s_wait_alu 0xfffe
	s_cbranch_vccnz .LBB435_32
; %bb.25:                               ;   in Loop: Header=BB435_6 Depth=1
	s_delay_alu instid0(VALU_DEP_2)
	v_add_co_u32 v25, vcc_lo, v4, v14
	s_wait_alu 0xfffd
	v_add_co_ci_u32_e64 v26, null, v24, v15, vcc_lo
	flat_load_b32 v27, v[25:26]
	s_wait_loadcnt_dscnt 0x0
	v_fma_f32 v27, s24, v27, v23
	flat_store_b32 v[25:26], v27
	s_cbranch_execnz .LBB435_27
.LBB435_26:                             ;   in Loop: Header=BB435_6 Depth=1
	v_add_co_u32 v14, vcc_lo, v4, v14
	s_wait_alu 0xfffd
	v_add_co_ci_u32_e64 v15, null, v24, v15, vcc_lo
	flat_store_b32 v[14:15], v23
.LBB435_27:                             ;   in Loop: Header=BB435_6 Depth=1
	s_wait_alu 0xfffe
	s_or_b32 exec_lo, exec_lo, s14
	s_and_saveexec_b32 s14, s34
	s_cbranch_execz .LBB435_5
; %bb.28:                               ;   in Loop: Header=BB435_6 Depth=1
	v_lshlrev_b64_e32 v[14:15], 2, v[2:3]
	v_mul_f32_e32 v22, s25, v22
	s_and_not1_b32 vcc_lo, exec_lo, s20
	s_wait_alu 0xfffe
	s_cbranch_vccnz .LBB435_33
; %bb.29:                               ;   in Loop: Header=BB435_6 Depth=1
	s_delay_alu instid0(VALU_DEP_2)
	v_add_co_u32 v25, vcc_lo, v4, v14
	s_wait_alu 0xfffd
	v_add_co_ci_u32_e64 v26, null, v24, v15, vcc_lo
	flat_load_b32 v23, v[25:26]
	s_wait_loadcnt_dscnt 0x0
	v_fma_f32 v23, s24, v23, v22
	flat_store_b32 v[25:26], v23
	s_cbranch_execnz .LBB435_5
	s_branch .LBB435_34
.LBB435_30:                             ;   in Loop: Header=BB435_6 Depth=1
	s_branch .LBB435_18
.LBB435_31:                             ;   in Loop: Header=BB435_6 Depth=1
	s_branch .LBB435_22
.LBB435_32:                             ;   in Loop: Header=BB435_6 Depth=1
	s_branch .LBB435_26
.LBB435_33:                             ;   in Loop: Header=BB435_6 Depth=1
.LBB435_34:                             ;   in Loop: Header=BB435_6 Depth=1
	s_delay_alu instid0(VALU_DEP_2)
	v_add_co_u32 v14, vcc_lo, v4, v14
	s_wait_alu 0xfffd
	v_add_co_ci_u32_e64 v15, null, v24, v15, vcc_lo
	flat_store_b32 v[14:15], v22
	s_branch .LBB435_5
.LBB435_35:
	s_endpgm
	.section	.rodata,"a",@progbits
	.p2align	6, 0x0
	.amdhsa_kernel _ZL29rocblas_internal_gemmt_kernelIlLi16ELi32ELi8ELc84ELc78ELc85ELb0ELb0EfPKfPKS1_PKPfEviT_T9_T10_S7_lS9_S7_lS8_T11_S7_li
		.amdhsa_group_segment_fixed_size 2048
		.amdhsa_private_segment_fixed_size 0
		.amdhsa_kernarg_size 108
		.amdhsa_user_sgpr_count 2
		.amdhsa_user_sgpr_dispatch_ptr 0
		.amdhsa_user_sgpr_queue_ptr 0
		.amdhsa_user_sgpr_kernarg_segment_ptr 1
		.amdhsa_user_sgpr_dispatch_id 0
		.amdhsa_user_sgpr_private_segment_size 0
		.amdhsa_wavefront_size32 1
		.amdhsa_uses_dynamic_stack 0
		.amdhsa_enable_private_segment 0
		.amdhsa_system_sgpr_workgroup_id_x 1
		.amdhsa_system_sgpr_workgroup_id_y 1
		.amdhsa_system_sgpr_workgroup_id_z 1
		.amdhsa_system_sgpr_workgroup_info 0
		.amdhsa_system_vgpr_workitem_id 1
		.amdhsa_next_free_vgpr 58
		.amdhsa_next_free_sgpr 36
		.amdhsa_reserve_vcc 1
		.amdhsa_float_round_mode_32 0
		.amdhsa_float_round_mode_16_64 0
		.amdhsa_float_denorm_mode_32 3
		.amdhsa_float_denorm_mode_16_64 3
		.amdhsa_fp16_overflow 0
		.amdhsa_workgroup_processor_mode 1
		.amdhsa_memory_ordered 1
		.amdhsa_forward_progress 1
		.amdhsa_inst_pref_size 16
		.amdhsa_round_robin_scheduling 0
		.amdhsa_exception_fp_ieee_invalid_op 0
		.amdhsa_exception_fp_denorm_src 0
		.amdhsa_exception_fp_ieee_div_zero 0
		.amdhsa_exception_fp_ieee_overflow 0
		.amdhsa_exception_fp_ieee_underflow 0
		.amdhsa_exception_fp_ieee_inexact 0
		.amdhsa_exception_int_div_zero 0
	.end_amdhsa_kernel
	.section	.text._ZL29rocblas_internal_gemmt_kernelIlLi16ELi32ELi8ELc84ELc78ELc85ELb0ELb0EfPKfPKS1_PKPfEviT_T9_T10_S7_lS9_S7_lS8_T11_S7_li,"axG",@progbits,_ZL29rocblas_internal_gemmt_kernelIlLi16ELi32ELi8ELc84ELc78ELc85ELb0ELb0EfPKfPKS1_PKPfEviT_T9_T10_S7_lS9_S7_lS8_T11_S7_li,comdat
.Lfunc_end435:
	.size	_ZL29rocblas_internal_gemmt_kernelIlLi16ELi32ELi8ELc84ELc78ELc85ELb0ELb0EfPKfPKS1_PKPfEviT_T9_T10_S7_lS9_S7_lS8_T11_S7_li, .Lfunc_end435-_ZL29rocblas_internal_gemmt_kernelIlLi16ELi32ELi8ELc84ELc78ELc85ELb0ELb0EfPKfPKS1_PKPfEviT_T9_T10_S7_lS9_S7_lS8_T11_S7_li
                                        ; -- End function
	.set _ZL29rocblas_internal_gemmt_kernelIlLi16ELi32ELi8ELc84ELc78ELc85ELb0ELb0EfPKfPKS1_PKPfEviT_T9_T10_S7_lS9_S7_lS8_T11_S7_li.num_vgpr, 58
	.set _ZL29rocblas_internal_gemmt_kernelIlLi16ELi32ELi8ELc84ELc78ELc85ELb0ELb0EfPKfPKS1_PKPfEviT_T9_T10_S7_lS9_S7_lS8_T11_S7_li.num_agpr, 0
	.set _ZL29rocblas_internal_gemmt_kernelIlLi16ELi32ELi8ELc84ELc78ELc85ELb0ELb0EfPKfPKS1_PKPfEviT_T9_T10_S7_lS9_S7_lS8_T11_S7_li.numbered_sgpr, 36
	.set _ZL29rocblas_internal_gemmt_kernelIlLi16ELi32ELi8ELc84ELc78ELc85ELb0ELb0EfPKfPKS1_PKPfEviT_T9_T10_S7_lS9_S7_lS8_T11_S7_li.num_named_barrier, 0
	.set _ZL29rocblas_internal_gemmt_kernelIlLi16ELi32ELi8ELc84ELc78ELc85ELb0ELb0EfPKfPKS1_PKPfEviT_T9_T10_S7_lS9_S7_lS8_T11_S7_li.private_seg_size, 0
	.set _ZL29rocblas_internal_gemmt_kernelIlLi16ELi32ELi8ELc84ELc78ELc85ELb0ELb0EfPKfPKS1_PKPfEviT_T9_T10_S7_lS9_S7_lS8_T11_S7_li.uses_vcc, 1
	.set _ZL29rocblas_internal_gemmt_kernelIlLi16ELi32ELi8ELc84ELc78ELc85ELb0ELb0EfPKfPKS1_PKPfEviT_T9_T10_S7_lS9_S7_lS8_T11_S7_li.uses_flat_scratch, 0
	.set _ZL29rocblas_internal_gemmt_kernelIlLi16ELi32ELi8ELc84ELc78ELc85ELb0ELb0EfPKfPKS1_PKPfEviT_T9_T10_S7_lS9_S7_lS8_T11_S7_li.has_dyn_sized_stack, 0
	.set _ZL29rocblas_internal_gemmt_kernelIlLi16ELi32ELi8ELc84ELc78ELc85ELb0ELb0EfPKfPKS1_PKPfEviT_T9_T10_S7_lS9_S7_lS8_T11_S7_li.has_recursion, 0
	.set _ZL29rocblas_internal_gemmt_kernelIlLi16ELi32ELi8ELc84ELc78ELc85ELb0ELb0EfPKfPKS1_PKPfEviT_T9_T10_S7_lS9_S7_lS8_T11_S7_li.has_indirect_call, 0
	.section	.AMDGPU.csdata,"",@progbits
; Kernel info:
; codeLenInByte = 1924
; TotalNumSgprs: 38
; NumVgprs: 58
; ScratchSize: 0
; MemoryBound: 0
; FloatMode: 240
; IeeeMode: 1
; LDSByteSize: 2048 bytes/workgroup (compile time only)
; SGPRBlocks: 0
; VGPRBlocks: 7
; NumSGPRsForWavesPerEU: 38
; NumVGPRsForWavesPerEU: 58
; Occupancy: 16
; WaveLimiterHint : 1
; COMPUTE_PGM_RSRC2:SCRATCH_EN: 0
; COMPUTE_PGM_RSRC2:USER_SGPR: 2
; COMPUTE_PGM_RSRC2:TRAP_HANDLER: 0
; COMPUTE_PGM_RSRC2:TGID_X_EN: 1
; COMPUTE_PGM_RSRC2:TGID_Y_EN: 1
; COMPUTE_PGM_RSRC2:TGID_Z_EN: 1
; COMPUTE_PGM_RSRC2:TIDIG_COMP_CNT: 1
	.section	.text._ZL29rocblas_internal_gemmt_kernelIlLi16ELi32ELi8ELc84ELc84ELc85ELb0ELb0EfPKfPKS1_PKPfEviT_T9_T10_S7_lS9_S7_lS8_T11_S7_li,"axG",@progbits,_ZL29rocblas_internal_gemmt_kernelIlLi16ELi32ELi8ELc84ELc84ELc85ELb0ELb0EfPKfPKS1_PKPfEviT_T9_T10_S7_lS9_S7_lS8_T11_S7_li,comdat
	.globl	_ZL29rocblas_internal_gemmt_kernelIlLi16ELi32ELi8ELc84ELc84ELc85ELb0ELb0EfPKfPKS1_PKPfEviT_T9_T10_S7_lS9_S7_lS8_T11_S7_li ; -- Begin function _ZL29rocblas_internal_gemmt_kernelIlLi16ELi32ELi8ELc84ELc84ELc85ELb0ELb0EfPKfPKS1_PKPfEviT_T9_T10_S7_lS9_S7_lS8_T11_S7_li
	.p2align	8
	.type	_ZL29rocblas_internal_gemmt_kernelIlLi16ELi32ELi8ELc84ELc84ELc85ELb0ELb0EfPKfPKS1_PKPfEviT_T9_T10_S7_lS9_S7_lS8_T11_S7_li,@function
_ZL29rocblas_internal_gemmt_kernelIlLi16ELi32ELi8ELc84ELc84ELc85ELb0ELb0EfPKfPKS1_PKPfEviT_T9_T10_S7_lS9_S7_lS8_T11_S7_li: ; @_ZL29rocblas_internal_gemmt_kernelIlLi16ELi32ELi8ELc84ELc84ELc85ELb0ELb0EfPKfPKS1_PKPfEviT_T9_T10_S7_lS9_S7_lS8_T11_S7_li
; %bb.0:
	s_clause 0x1
	s_load_b256 s[24:31], s[0:1], 0x48
	s_load_b512 s[8:23], s[0:1], 0x8
	s_wait_kmcnt 0x0
	s_load_b32 s24, s[24:25], 0x0
	s_load_b32 s25, s[10:11], 0x0
	s_wait_kmcnt 0x0
	s_cmp_neq_f32 s24, 1.0
	s_cselect_b32 s2, -1, 0
	s_delay_alu instid0(SALU_CYCLE_1)
	s_and_b32 vcc_lo, exec_lo, s2
	s_cbranch_vccnz .LBB436_2
; %bb.1:
	s_cmp_lg_u64 s[8:9], 0
	s_cselect_b32 s2, -1, 0
	s_cmp_neq_f32 s25, 0
	s_cselect_b32 s3, -1, 0
	s_delay_alu instid0(SALU_CYCLE_1)
	s_and_b32 s2, s2, s3
.LBB436_2:
	s_delay_alu instid0(SALU_CYCLE_1)
	s_and_not1_b32 vcc_lo, exec_lo, s2
	s_cbranch_vccnz .LBB436_35
; %bb.3:
	s_load_b32 s33, s[0:1], 0x68
	s_lshr_b32 s6, ttmp7, 16
	s_wait_kmcnt 0x0
	s_cmp_ge_u32 s6, s33
	s_cbranch_scc1 .LBB436_35
; %bb.4:
	v_and_b32_e32 v2, 0x3ff, v0
	v_bfe_u32 v5, v0, 10, 10
	s_load_b32 s3, s[0:1], 0x0
	s_lshl_b32 s0, ttmp7, 5
	v_and_b32_e32 v14, 7, v0
	s_and_b32 s1, s0, 0x1fffe0
	v_lshl_add_u32 v0, v5, 4, v2
	v_add_nc_u32_e32 v20, s1, v5
	s_lshl_b32 s2, ttmp9, 5
	s_cmp_neq_f32 s25, 0
	v_cmp_gt_i64_e64 s10, s[8:9], 0
	v_lshrrev_b32_e32 v4, 3, v0
	v_mad_co_u64_u32 v[8:9], null, s28, v20, 0
	v_and_b32_e32 v1, 31, v0
	v_lshrrev_b32_e32 v15, 5, v0
	v_add_nc_u32_e32 v21, 16, v20
	s_cselect_b32 s11, -1, 0
	s_ashr_i32 s4, s2, 31
	v_or_b32_e32 v6, s2, v1
	v_add_nc_u32_e32 v13, s1, v4
	s_mul_i32 s1, s14, s4
	v_mad_co_u64_u32 v[10:11], null, s28, v21, 0
	s_wait_kmcnt 0x0
	v_cmp_gt_i32_e64 s0, s3, v6
	v_mul_lo_u32 v0, s15, v6
	v_mad_co_u64_u32 v[6:7], null, s14, v6, 0
	v_lshlrev_b32_e32 v3, 2, v14
	v_cmp_gt_i32_e32 vcc_lo, s3, v20
	s_cmp_neq_f32 s24, 0
	v_lshl_add_u32 v19, v5, 5, 0x400
	s_mov_b32 s7, 0
	v_lshl_or_b32 v3, v4, 5, v3
	s_wait_alu 0xfffe
	v_add3_u32 v7, v7, s1, v0
	v_dual_mov_b32 v0, v9 :: v_dual_lshlrev_b32 v1, 2, v1
	v_cmp_gt_i32_e64 s1, s3, v13
	v_add_nc_u32_e32 v17, 0x400, v3
	s_cselect_b32 s28, -1, 0
	v_cmp_gt_i32_e64 s3, s3, v21
	v_lshl_or_b32 v16, v15, 7, v1
	v_dual_mov_b32 v1, 0 :: v_dual_lshlrev_b32 v18, 2, v2
	v_add_nc_u32_e32 v2, s2, v2
	v_lshlrev_b64_e32 v[6:7], 2, v[6:7]
	s_and_b32 s37, s11, s10
	s_delay_alu instid0(VALU_DEP_3)
	v_mad_co_u64_u32 v[3:4], null, s29, v20, v[0:1]
	v_mov_b32_e32 v0, v11
	v_cmp_le_i32_e64 s2, v2, v20
	v_add_nc_u32_e32 v4, 16, v2
	v_cmp_le_i32_e64 s4, v2, v21
	s_lshl_b64 s[10:11], s[30:31], 2
	v_mad_co_u64_u32 v[11:12], null, s29, v21, v[0:1]
	v_mov_b32_e32 v9, v3
	s_and_b32 s34, vcc_lo, s2
	v_cmp_le_i32_e64 s2, v4, v20
	v_cmp_le_i32_e64 s5, v4, v21
	v_ashrrev_i32_e32 v3, 31, v2
	v_lshlrev_b64_e32 v[8:9], 2, v[8:9]
	v_lshlrev_b64_e32 v[10:11], 2, v[10:11]
	v_ashrrev_i32_e32 v5, 31, v4
	v_lshlrev_b32_e32 v20, 2, v13
	s_and_b32 s29, vcc_lo, s2
	s_and_b32 s35, s3, s4
	s_and_b32 s36, s3, s5
	s_lshl_b64 s[2:3], s[22:23], 2
	s_lshl_b64 s[4:5], s[16:17], 2
	s_branch .LBB436_6
.LBB436_5:                              ;   in Loop: Header=BB436_6 Depth=1
	s_wait_alu 0xfffe
	s_or_b32 exec_lo, exec_lo, s14
	s_add_co_i32 s6, s6, 0x10000
	s_delay_alu instid0(SALU_CYCLE_1)
	s_cmp_lt_u32 s6, s33
	s_cbranch_scc0 .LBB436_35
.LBB436_6:                              ; =>This Loop Header: Depth=1
                                        ;     Child Loop BB436_9 Depth 2
	s_lshl_b64 s[14:15], s[6:7], 3
	v_dual_mov_b32 v24, v1 :: v_dual_mov_b32 v23, v1
	s_wait_alu 0xfffe
	s_add_nc_u64 s[16:17], s[26:27], s[14:15]
	v_dual_mov_b32 v22, v1 :: v_dual_mov_b32 v21, v1
	global_load_b64 v[12:13], v1, s[16:17]
	s_and_not1_b32 vcc_lo, exec_lo, s37
	s_wait_alu 0xfffe
	s_cbranch_vccnz .LBB436_15
; %bb.7:                                ;   in Loop: Header=BB436_6 Depth=1
	s_add_nc_u64 s[16:17], s[12:13], s[14:15]
	s_add_nc_u64 s[14:15], s[18:19], s[14:15]
	s_clause 0x1
	global_load_b64 v[24:25], v1, s[16:17]
	global_load_b64 v[26:27], v1, s[14:15]
	v_dual_mov_b32 v21, 0 :: v_dual_mov_b32 v22, 0
	v_mov_b32_e32 v23, 0
	s_mov_b64 s[14:15], 0
	s_wait_loadcnt 0x1
	v_add_co_u32 v0, vcc_lo, v24, s4
	s_wait_alu 0xfffd
	v_add_co_ci_u32_e64 v24, null, s5, v25, vcc_lo
	s_wait_loadcnt 0x0
	v_add_co_u32 v28, vcc_lo, v26, s2
	s_wait_alu 0xfffd
	v_add_co_ci_u32_e64 v29, null, s3, v27, vcc_lo
	v_add_co_u32 v25, vcc_lo, v0, v6
	s_wait_alu 0xfffd
	v_add_co_ci_u32_e64 v26, null, v24, v7, vcc_lo
	;; [unrolled: 3-line block ×3, first 2 shown]
	v_mov_b32_e32 v24, 0
	s_branch .LBB436_9
.LBB436_8:                              ;   in Loop: Header=BB436_9 Depth=2
	s_or_b32 exec_lo, exec_lo, s16
	s_wait_loadcnt_dscnt 0x0
	ds_store_b32 v17, v30
	s_wait_dscnt 0x0
	s_barrier_signal -1
	s_barrier_wait -1
	global_inv scope:SCOPE_SE
	ds_load_b128 v[29:32], v19
	ds_load_2addr_b32 v[45:46], v18 offset1:16
	ds_load_b128 v[33:36], v19 offset:512
	ds_load_2addr_b32 v[47:48], v18 offset0:32 offset1:48
	ds_load_2addr_b32 v[49:50], v18 offset0:64 offset1:80
	;; [unrolled: 1-line block ×3, first 2 shown]
	ds_load_b128 v[37:40], v19 offset:16
	ds_load_2addr_b32 v[53:54], v18 offset0:128 offset1:144
	ds_load_b128 v[41:44], v19 offset:528
	ds_load_2addr_b32 v[55:56], v18 offset0:160 offset1:176
	s_add_nc_u64 s[14:15], s[14:15], 8
	s_wait_alu 0xfffe
	v_cmp_gt_i64_e64 s16, s[8:9], s[14:15]
	s_and_b32 vcc_lo, exec_lo, s16
	s_wait_dscnt 0x8
	v_fmac_f32_e32 v23, v46, v29
	v_fmac_f32_e32 v24, v45, v29
	s_wait_dscnt 0x7
	v_fmac_f32_e32 v21, v46, v33
	v_fmac_f32_e32 v22, v45, v33
	ds_load_2addr_b32 v[45:46], v18 offset0:192 offset1:208
	s_wait_dscnt 0x7
	v_fmac_f32_e32 v23, v48, v30
	v_fmac_f32_e32 v24, v47, v30
	;; [unrolled: 1-line block ×4, first 2 shown]
	ds_load_2addr_b32 v[29:30], v18 offset0:224 offset1:240
	s_wait_dscnt 0x7
	v_fmac_f32_e32 v23, v50, v31
	v_fmac_f32_e32 v24, v49, v31
	;; [unrolled: 1-line block ×4, first 2 shown]
	s_wait_loadcnt_dscnt 0x0
	v_fmac_f32_e32 v23, v52, v32
	v_fmac_f32_e32 v24, v51, v32
	;; [unrolled: 1-line block ×4, first 2 shown]
	s_barrier_signal -1
	v_fmac_f32_e32 v23, v54, v37
	v_fmac_f32_e32 v24, v53, v37
	;; [unrolled: 1-line block ×4, first 2 shown]
	s_barrier_wait -1
	v_fmac_f32_e32 v23, v56, v38
	v_fmac_f32_e32 v24, v55, v38
	;; [unrolled: 1-line block ×4, first 2 shown]
	global_inv scope:SCOPE_SE
	v_fmac_f32_e32 v23, v46, v39
	v_fmac_f32_e32 v24, v45, v39
	;; [unrolled: 1-line block ×3, first 2 shown]
	s_delay_alu instid0(VALU_DEP_3) | instskip(NEXT) | instid1(VALU_DEP_3)
	v_dual_fmac_f32 v22, v45, v43 :: v_dual_fmac_f32 v23, v30, v40
	v_fmac_f32_e32 v24, v29, v40
	s_delay_alu instid0(VALU_DEP_3) | instskip(NEXT) | instid1(VALU_DEP_3)
	v_fmac_f32_e32 v21, v30, v44
	v_fmac_f32_e32 v22, v29, v44
	s_wait_alu 0xfffe
	s_cbranch_vccz .LBB436_15
.LBB436_9:                              ;   Parent Loop BB436_6 Depth=1
                                        ; =>  This Inner Loop Header: Depth=2
	v_mov_b32_e32 v29, 0
	s_and_saveexec_b32 s16, s0
	s_cbranch_execz .LBB436_13
; %bb.10:                               ;   in Loop: Header=BB436_9 Depth=2
	s_wait_alu 0xfffe
	v_dual_mov_b32 v29, 0 :: v_dual_add_nc_u32 v0, s14, v15
	s_mov_b32 s17, exec_lo
	s_delay_alu instid0(VALU_DEP_1)
	v_cmpx_gt_u64_e64 s[8:9], v[0:1]
	s_cbranch_execz .LBB436_12
; %bb.11:                               ;   in Loop: Header=BB436_9 Depth=2
	v_lshlrev_b64_e32 v[29:30], 2, v[0:1]
	s_delay_alu instid0(VALU_DEP_1) | instskip(SKIP_1) | instid1(VALU_DEP_2)
	v_add_co_u32 v29, vcc_lo, v25, v29
	s_wait_alu 0xfffd
	v_add_co_ci_u32_e64 v30, null, v26, v30, vcc_lo
	flat_load_b32 v29, v[29:30]
.LBB436_12:                             ;   in Loop: Header=BB436_9 Depth=2
	s_or_b32 exec_lo, exec_lo, s17
.LBB436_13:                             ;   in Loop: Header=BB436_9 Depth=2
	s_delay_alu instid0(SALU_CYCLE_1)
	s_or_b32 exec_lo, exec_lo, s16
	s_wait_alu 0xfffe
	v_add_nc_u32_e32 v0, s14, v14
	v_mov_b32_e32 v30, 0
	s_wait_loadcnt_dscnt 0x0
	ds_store_b32 v16, v29
	v_cmp_gt_u64_e32 vcc_lo, s[8:9], v[0:1]
	s_and_b32 s17, vcc_lo, s1
	s_delay_alu instid0(SALU_CYCLE_1)
	s_and_saveexec_b32 s16, s17
	s_cbranch_execz .LBB436_8
; %bb.14:                               ;   in Loop: Header=BB436_9 Depth=2
	v_mad_co_u64_u32 v[29:30], null, s20, v0, 0
	s_delay_alu instid0(VALU_DEP_1) | instskip(NEXT) | instid1(VALU_DEP_1)
	v_mad_co_u64_u32 v[30:31], null, s21, v0, v[30:31]
	v_lshlrev_b64_e32 v[29:30], 2, v[29:30]
	s_delay_alu instid0(VALU_DEP_1) | instskip(SKIP_1) | instid1(VALU_DEP_2)
	v_add_co_u32 v29, vcc_lo, v27, v29
	s_wait_alu 0xfffd
	v_add_co_ci_u32_e64 v30, null, v28, v30, vcc_lo
	flat_load_b32 v30, v[29:30]
	s_branch .LBB436_8
.LBB436_15:                             ;   in Loop: Header=BB436_6 Depth=1
	s_wait_loadcnt 0x0
	v_add_co_u32 v0, vcc_lo, v12, s10
	s_wait_alu 0xfffd
	v_add_co_ci_u32_e64 v12, null, s11, v13, vcc_lo
	s_delay_alu instid0(VALU_DEP_2) | instskip(SKIP_1) | instid1(VALU_DEP_2)
	v_add_co_u32 v13, vcc_lo, v0, v8
	s_wait_alu 0xfffd
	v_add_co_ci_u32_e64 v25, null, v12, v9, vcc_lo
	s_and_saveexec_b32 s14, s34
	s_cbranch_execz .LBB436_19
; %bb.16:                               ;   in Loop: Header=BB436_6 Depth=1
	v_mul_f32_e32 v24, s25, v24
	s_and_b32 vcc_lo, exec_lo, s28
	s_wait_alu 0xfffe
	s_cbranch_vccz .LBB436_30
; %bb.17:                               ;   in Loop: Header=BB436_6 Depth=1
	v_lshlrev_b64_e32 v[26:27], 2, v[2:3]
	s_delay_alu instid0(VALU_DEP_1) | instskip(SKIP_1) | instid1(VALU_DEP_2)
	v_add_co_u32 v26, vcc_lo, v13, v26
	s_wait_alu 0xfffd
	v_add_co_ci_u32_e64 v27, null, v25, v27, vcc_lo
	flat_load_b32 v28, v[26:27]
	s_wait_loadcnt_dscnt 0x0
	v_fma_f32 v28, s24, v28, v24
	flat_store_b32 v[26:27], v28
	s_cbranch_execnz .LBB436_19
.LBB436_18:                             ;   in Loop: Header=BB436_6 Depth=1
	v_lshlrev_b64_e32 v[26:27], 2, v[2:3]
	s_delay_alu instid0(VALU_DEP_1) | instskip(SKIP_1) | instid1(VALU_DEP_2)
	v_add_co_u32 v26, vcc_lo, v13, v26
	s_wait_alu 0xfffd
	v_add_co_ci_u32_e64 v27, null, v25, v27, vcc_lo
	flat_store_b32 v[26:27], v24
.LBB436_19:                             ;   in Loop: Header=BB436_6 Depth=1
	s_wait_alu 0xfffe
	s_or_b32 exec_lo, exec_lo, s14
	s_and_saveexec_b32 s14, s29
	s_cbranch_execz .LBB436_23
; %bb.20:                               ;   in Loop: Header=BB436_6 Depth=1
	v_mul_f32_e32 v23, s25, v23
	s_and_not1_b32 vcc_lo, exec_lo, s28
	s_wait_alu 0xfffe
	s_cbranch_vccnz .LBB436_31
; %bb.21:                               ;   in Loop: Header=BB436_6 Depth=1
	v_lshlrev_b64_e32 v[26:27], 2, v[4:5]
	s_delay_alu instid0(VALU_DEP_1) | instskip(SKIP_1) | instid1(VALU_DEP_2)
	v_add_co_u32 v26, vcc_lo, v13, v26
	s_wait_alu 0xfffd
	v_add_co_ci_u32_e64 v27, null, v25, v27, vcc_lo
	flat_load_b32 v24, v[26:27]
	s_wait_loadcnt_dscnt 0x0
	v_fma_f32 v24, s24, v24, v23
	flat_store_b32 v[26:27], v24
	s_cbranch_execnz .LBB436_23
.LBB436_22:                             ;   in Loop: Header=BB436_6 Depth=1
	v_lshlrev_b64_e32 v[26:27], 2, v[4:5]
	s_delay_alu instid0(VALU_DEP_1) | instskip(SKIP_1) | instid1(VALU_DEP_2)
	v_add_co_u32 v24, vcc_lo, v13, v26
	s_wait_alu 0xfffd
	v_add_co_ci_u32_e64 v25, null, v25, v27, vcc_lo
	flat_store_b32 v[24:25], v23
.LBB436_23:                             ;   in Loop: Header=BB436_6 Depth=1
	s_wait_alu 0xfffe
	s_or_b32 exec_lo, exec_lo, s14
	v_add_co_u32 v0, vcc_lo, v0, v10
	s_wait_alu 0xfffd
	v_add_co_ci_u32_e64 v23, null, v12, v11, vcc_lo
	s_and_saveexec_b32 s14, s35
	s_cbranch_execz .LBB436_27
; %bb.24:                               ;   in Loop: Header=BB436_6 Depth=1
	v_lshlrev_b64_e32 v[12:13], 2, v[2:3]
	v_mul_f32_e32 v22, s25, v22
	s_and_not1_b32 vcc_lo, exec_lo, s28
	s_wait_alu 0xfffe
	s_cbranch_vccnz .LBB436_32
; %bb.25:                               ;   in Loop: Header=BB436_6 Depth=1
	s_delay_alu instid0(VALU_DEP_2)
	v_add_co_u32 v24, vcc_lo, v0, v12
	s_wait_alu 0xfffd
	v_add_co_ci_u32_e64 v25, null, v23, v13, vcc_lo
	flat_load_b32 v26, v[24:25]
	s_wait_loadcnt_dscnt 0x0
	v_fma_f32 v26, s24, v26, v22
	flat_store_b32 v[24:25], v26
	s_cbranch_execnz .LBB436_27
.LBB436_26:                             ;   in Loop: Header=BB436_6 Depth=1
	v_add_co_u32 v12, vcc_lo, v0, v12
	s_wait_alu 0xfffd
	v_add_co_ci_u32_e64 v13, null, v23, v13, vcc_lo
	flat_store_b32 v[12:13], v22
.LBB436_27:                             ;   in Loop: Header=BB436_6 Depth=1
	s_wait_alu 0xfffe
	s_or_b32 exec_lo, exec_lo, s14
	s_and_saveexec_b32 s14, s36
	s_cbranch_execz .LBB436_5
; %bb.28:                               ;   in Loop: Header=BB436_6 Depth=1
	v_lshlrev_b64_e32 v[12:13], 2, v[4:5]
	v_mul_f32_e32 v21, s25, v21
	s_and_not1_b32 vcc_lo, exec_lo, s28
	s_wait_alu 0xfffe
	s_cbranch_vccnz .LBB436_33
; %bb.29:                               ;   in Loop: Header=BB436_6 Depth=1
	s_delay_alu instid0(VALU_DEP_2)
	v_add_co_u32 v24, vcc_lo, v0, v12
	s_wait_alu 0xfffd
	v_add_co_ci_u32_e64 v25, null, v23, v13, vcc_lo
	flat_load_b32 v22, v[24:25]
	s_wait_loadcnt_dscnt 0x0
	v_fma_f32 v22, s24, v22, v21
	flat_store_b32 v[24:25], v22
	s_cbranch_execnz .LBB436_5
	s_branch .LBB436_34
.LBB436_30:                             ;   in Loop: Header=BB436_6 Depth=1
	s_branch .LBB436_18
.LBB436_31:                             ;   in Loop: Header=BB436_6 Depth=1
	s_branch .LBB436_22
.LBB436_32:                             ;   in Loop: Header=BB436_6 Depth=1
	s_branch .LBB436_26
.LBB436_33:                             ;   in Loop: Header=BB436_6 Depth=1
.LBB436_34:                             ;   in Loop: Header=BB436_6 Depth=1
	s_delay_alu instid0(VALU_DEP_2)
	v_add_co_u32 v12, vcc_lo, v0, v12
	s_wait_alu 0xfffd
	v_add_co_ci_u32_e64 v13, null, v23, v13, vcc_lo
	flat_store_b32 v[12:13], v21
	s_branch .LBB436_5
.LBB436_35:
	s_endpgm
	.section	.rodata,"a",@progbits
	.p2align	6, 0x0
	.amdhsa_kernel _ZL29rocblas_internal_gemmt_kernelIlLi16ELi32ELi8ELc84ELc84ELc85ELb0ELb0EfPKfPKS1_PKPfEviT_T9_T10_S7_lS9_S7_lS8_T11_S7_li
		.amdhsa_group_segment_fixed_size 2048
		.amdhsa_private_segment_fixed_size 0
		.amdhsa_kernarg_size 108
		.amdhsa_user_sgpr_count 2
		.amdhsa_user_sgpr_dispatch_ptr 0
		.amdhsa_user_sgpr_queue_ptr 0
		.amdhsa_user_sgpr_kernarg_segment_ptr 1
		.amdhsa_user_sgpr_dispatch_id 0
		.amdhsa_user_sgpr_private_segment_size 0
		.amdhsa_wavefront_size32 1
		.amdhsa_uses_dynamic_stack 0
		.amdhsa_enable_private_segment 0
		.amdhsa_system_sgpr_workgroup_id_x 1
		.amdhsa_system_sgpr_workgroup_id_y 1
		.amdhsa_system_sgpr_workgroup_id_z 1
		.amdhsa_system_sgpr_workgroup_info 0
		.amdhsa_system_vgpr_workitem_id 1
		.amdhsa_next_free_vgpr 57
		.amdhsa_next_free_sgpr 38
		.amdhsa_reserve_vcc 1
		.amdhsa_float_round_mode_32 0
		.amdhsa_float_round_mode_16_64 0
		.amdhsa_float_denorm_mode_32 3
		.amdhsa_float_denorm_mode_16_64 3
		.amdhsa_fp16_overflow 0
		.amdhsa_workgroup_processor_mode 1
		.amdhsa_memory_ordered 1
		.amdhsa_forward_progress 1
		.amdhsa_inst_pref_size 15
		.amdhsa_round_robin_scheduling 0
		.amdhsa_exception_fp_ieee_invalid_op 0
		.amdhsa_exception_fp_denorm_src 0
		.amdhsa_exception_fp_ieee_div_zero 0
		.amdhsa_exception_fp_ieee_overflow 0
		.amdhsa_exception_fp_ieee_underflow 0
		.amdhsa_exception_fp_ieee_inexact 0
		.amdhsa_exception_int_div_zero 0
	.end_amdhsa_kernel
	.section	.text._ZL29rocblas_internal_gemmt_kernelIlLi16ELi32ELi8ELc84ELc84ELc85ELb0ELb0EfPKfPKS1_PKPfEviT_T9_T10_S7_lS9_S7_lS8_T11_S7_li,"axG",@progbits,_ZL29rocblas_internal_gemmt_kernelIlLi16ELi32ELi8ELc84ELc84ELc85ELb0ELb0EfPKfPKS1_PKPfEviT_T9_T10_S7_lS9_S7_lS8_T11_S7_li,comdat
.Lfunc_end436:
	.size	_ZL29rocblas_internal_gemmt_kernelIlLi16ELi32ELi8ELc84ELc84ELc85ELb0ELb0EfPKfPKS1_PKPfEviT_T9_T10_S7_lS9_S7_lS8_T11_S7_li, .Lfunc_end436-_ZL29rocblas_internal_gemmt_kernelIlLi16ELi32ELi8ELc84ELc84ELc85ELb0ELb0EfPKfPKS1_PKPfEviT_T9_T10_S7_lS9_S7_lS8_T11_S7_li
                                        ; -- End function
	.set _ZL29rocblas_internal_gemmt_kernelIlLi16ELi32ELi8ELc84ELc84ELc85ELb0ELb0EfPKfPKS1_PKPfEviT_T9_T10_S7_lS9_S7_lS8_T11_S7_li.num_vgpr, 57
	.set _ZL29rocblas_internal_gemmt_kernelIlLi16ELi32ELi8ELc84ELc84ELc85ELb0ELb0EfPKfPKS1_PKPfEviT_T9_T10_S7_lS9_S7_lS8_T11_S7_li.num_agpr, 0
	.set _ZL29rocblas_internal_gemmt_kernelIlLi16ELi32ELi8ELc84ELc84ELc85ELb0ELb0EfPKfPKS1_PKPfEviT_T9_T10_S7_lS9_S7_lS8_T11_S7_li.numbered_sgpr, 38
	.set _ZL29rocblas_internal_gemmt_kernelIlLi16ELi32ELi8ELc84ELc84ELc85ELb0ELb0EfPKfPKS1_PKPfEviT_T9_T10_S7_lS9_S7_lS8_T11_S7_li.num_named_barrier, 0
	.set _ZL29rocblas_internal_gemmt_kernelIlLi16ELi32ELi8ELc84ELc84ELc85ELb0ELb0EfPKfPKS1_PKPfEviT_T9_T10_S7_lS9_S7_lS8_T11_S7_li.private_seg_size, 0
	.set _ZL29rocblas_internal_gemmt_kernelIlLi16ELi32ELi8ELc84ELc84ELc85ELb0ELb0EfPKfPKS1_PKPfEviT_T9_T10_S7_lS9_S7_lS8_T11_S7_li.uses_vcc, 1
	.set _ZL29rocblas_internal_gemmt_kernelIlLi16ELi32ELi8ELc84ELc84ELc85ELb0ELb0EfPKfPKS1_PKPfEviT_T9_T10_S7_lS9_S7_lS8_T11_S7_li.uses_flat_scratch, 0
	.set _ZL29rocblas_internal_gemmt_kernelIlLi16ELi32ELi8ELc84ELc84ELc85ELb0ELb0EfPKfPKS1_PKPfEviT_T9_T10_S7_lS9_S7_lS8_T11_S7_li.has_dyn_sized_stack, 0
	.set _ZL29rocblas_internal_gemmt_kernelIlLi16ELi32ELi8ELc84ELc84ELc85ELb0ELb0EfPKfPKS1_PKPfEviT_T9_T10_S7_lS9_S7_lS8_T11_S7_li.has_recursion, 0
	.set _ZL29rocblas_internal_gemmt_kernelIlLi16ELi32ELi8ELc84ELc84ELc85ELb0ELb0EfPKfPKS1_PKPfEviT_T9_T10_S7_lS9_S7_lS8_T11_S7_li.has_indirect_call, 0
	.section	.AMDGPU.csdata,"",@progbits
; Kernel info:
; codeLenInByte = 1904
; TotalNumSgprs: 40
; NumVgprs: 57
; ScratchSize: 0
; MemoryBound: 0
; FloatMode: 240
; IeeeMode: 1
; LDSByteSize: 2048 bytes/workgroup (compile time only)
; SGPRBlocks: 0
; VGPRBlocks: 7
; NumSGPRsForWavesPerEU: 40
; NumVGPRsForWavesPerEU: 57
; Occupancy: 16
; WaveLimiterHint : 1
; COMPUTE_PGM_RSRC2:SCRATCH_EN: 0
; COMPUTE_PGM_RSRC2:USER_SGPR: 2
; COMPUTE_PGM_RSRC2:TRAP_HANDLER: 0
; COMPUTE_PGM_RSRC2:TGID_X_EN: 1
; COMPUTE_PGM_RSRC2:TGID_Y_EN: 1
; COMPUTE_PGM_RSRC2:TGID_Z_EN: 1
; COMPUTE_PGM_RSRC2:TIDIG_COMP_CNT: 1
	.section	.text._ZL29rocblas_internal_gemmt_kernelIlLi16ELi32ELi8ELc84ELc67ELc85ELb0ELb0EfPKfPKS1_PKPfEviT_T9_T10_S7_lS9_S7_lS8_T11_S7_li,"axG",@progbits,_ZL29rocblas_internal_gemmt_kernelIlLi16ELi32ELi8ELc84ELc67ELc85ELb0ELb0EfPKfPKS1_PKPfEviT_T9_T10_S7_lS9_S7_lS8_T11_S7_li,comdat
	.globl	_ZL29rocblas_internal_gemmt_kernelIlLi16ELi32ELi8ELc84ELc67ELc85ELb0ELb0EfPKfPKS1_PKPfEviT_T9_T10_S7_lS9_S7_lS8_T11_S7_li ; -- Begin function _ZL29rocblas_internal_gemmt_kernelIlLi16ELi32ELi8ELc84ELc67ELc85ELb0ELb0EfPKfPKS1_PKPfEviT_T9_T10_S7_lS9_S7_lS8_T11_S7_li
	.p2align	8
	.type	_ZL29rocblas_internal_gemmt_kernelIlLi16ELi32ELi8ELc84ELc67ELc85ELb0ELb0EfPKfPKS1_PKPfEviT_T9_T10_S7_lS9_S7_lS8_T11_S7_li,@function
_ZL29rocblas_internal_gemmt_kernelIlLi16ELi32ELi8ELc84ELc67ELc85ELb0ELb0EfPKfPKS1_PKPfEviT_T9_T10_S7_lS9_S7_lS8_T11_S7_li: ; @_ZL29rocblas_internal_gemmt_kernelIlLi16ELi32ELi8ELc84ELc67ELc85ELb0ELb0EfPKfPKS1_PKPfEviT_T9_T10_S7_lS9_S7_lS8_T11_S7_li
; %bb.0:
	s_clause 0x1
	s_load_b256 s[24:31], s[0:1], 0x48
	s_load_b512 s[8:23], s[0:1], 0x8
	s_wait_kmcnt 0x0
	s_load_b32 s24, s[24:25], 0x0
	s_load_b32 s25, s[10:11], 0x0
	s_wait_kmcnt 0x0
	s_cmp_neq_f32 s24, 1.0
	s_cselect_b32 s2, -1, 0
	s_delay_alu instid0(SALU_CYCLE_1)
	s_and_b32 vcc_lo, exec_lo, s2
	s_cbranch_vccnz .LBB437_2
; %bb.1:
	s_cmp_lg_u64 s[8:9], 0
	s_cselect_b32 s2, -1, 0
	s_cmp_neq_f32 s25, 0
	s_cselect_b32 s3, -1, 0
	s_delay_alu instid0(SALU_CYCLE_1)
	s_and_b32 s2, s2, s3
.LBB437_2:
	s_delay_alu instid0(SALU_CYCLE_1)
	s_and_not1_b32 vcc_lo, exec_lo, s2
	s_cbranch_vccnz .LBB437_35
; %bb.3:
	s_load_b32 s33, s[0:1], 0x68
	s_lshr_b32 s6, ttmp7, 16
	s_wait_kmcnt 0x0
	s_cmp_ge_u32 s6, s33
	s_cbranch_scc1 .LBB437_35
; %bb.4:
	v_and_b32_e32 v2, 0x3ff, v0
	v_bfe_u32 v5, v0, 10, 10
	s_load_b32 s3, s[0:1], 0x0
	s_lshl_b32 s0, ttmp7, 5
	v_and_b32_e32 v14, 7, v0
	s_and_b32 s1, s0, 0x1fffe0
	v_lshl_add_u32 v0, v5, 4, v2
	v_add_nc_u32_e32 v20, s1, v5
	s_lshl_b32 s2, ttmp9, 5
	s_cmp_neq_f32 s25, 0
	v_cmp_gt_i64_e64 s10, s[8:9], 0
	v_lshrrev_b32_e32 v4, 3, v0
	v_mad_co_u64_u32 v[8:9], null, s28, v20, 0
	v_and_b32_e32 v1, 31, v0
	v_lshrrev_b32_e32 v15, 5, v0
	v_add_nc_u32_e32 v21, 16, v20
	s_cselect_b32 s11, -1, 0
	s_ashr_i32 s4, s2, 31
	v_or_b32_e32 v6, s2, v1
	v_add_nc_u32_e32 v13, s1, v4
	s_mul_i32 s1, s14, s4
	v_mad_co_u64_u32 v[10:11], null, s28, v21, 0
	s_wait_kmcnt 0x0
	v_cmp_gt_i32_e64 s0, s3, v6
	v_mul_lo_u32 v0, s15, v6
	v_mad_co_u64_u32 v[6:7], null, s14, v6, 0
	v_lshlrev_b32_e32 v3, 2, v14
	v_cmp_gt_i32_e32 vcc_lo, s3, v20
	s_cmp_neq_f32 s24, 0
	v_lshl_add_u32 v19, v5, 5, 0x400
	s_mov_b32 s7, 0
	v_lshl_or_b32 v3, v4, 5, v3
	s_wait_alu 0xfffe
	v_add3_u32 v7, v7, s1, v0
	v_dual_mov_b32 v0, v9 :: v_dual_lshlrev_b32 v1, 2, v1
	v_cmp_gt_i32_e64 s1, s3, v13
	v_add_nc_u32_e32 v17, 0x400, v3
	s_cselect_b32 s28, -1, 0
	v_cmp_gt_i32_e64 s3, s3, v21
	v_lshl_or_b32 v16, v15, 7, v1
	v_dual_mov_b32 v1, 0 :: v_dual_lshlrev_b32 v18, 2, v2
	v_add_nc_u32_e32 v2, s2, v2
	v_lshlrev_b64_e32 v[6:7], 2, v[6:7]
	s_and_b32 s37, s11, s10
	s_delay_alu instid0(VALU_DEP_3)
	v_mad_co_u64_u32 v[3:4], null, s29, v20, v[0:1]
	v_mov_b32_e32 v0, v11
	v_cmp_le_i32_e64 s2, v2, v20
	v_add_nc_u32_e32 v4, 16, v2
	v_cmp_le_i32_e64 s4, v2, v21
	s_lshl_b64 s[10:11], s[30:31], 2
	v_mad_co_u64_u32 v[11:12], null, s29, v21, v[0:1]
	v_mov_b32_e32 v9, v3
	s_and_b32 s34, vcc_lo, s2
	v_cmp_le_i32_e64 s2, v4, v20
	v_cmp_le_i32_e64 s5, v4, v21
	v_ashrrev_i32_e32 v3, 31, v2
	v_lshlrev_b64_e32 v[8:9], 2, v[8:9]
	v_lshlrev_b64_e32 v[10:11], 2, v[10:11]
	v_ashrrev_i32_e32 v5, 31, v4
	v_lshlrev_b32_e32 v20, 2, v13
	s_and_b32 s29, vcc_lo, s2
	s_and_b32 s35, s3, s4
	s_and_b32 s36, s3, s5
	s_lshl_b64 s[2:3], s[22:23], 2
	s_lshl_b64 s[4:5], s[16:17], 2
	s_branch .LBB437_6
.LBB437_5:                              ;   in Loop: Header=BB437_6 Depth=1
	s_wait_alu 0xfffe
	s_or_b32 exec_lo, exec_lo, s14
	s_add_co_i32 s6, s6, 0x10000
	s_delay_alu instid0(SALU_CYCLE_1)
	s_cmp_lt_u32 s6, s33
	s_cbranch_scc0 .LBB437_35
.LBB437_6:                              ; =>This Loop Header: Depth=1
                                        ;     Child Loop BB437_9 Depth 2
	s_lshl_b64 s[14:15], s[6:7], 3
	v_dual_mov_b32 v24, v1 :: v_dual_mov_b32 v23, v1
	s_wait_alu 0xfffe
	s_add_nc_u64 s[16:17], s[26:27], s[14:15]
	v_dual_mov_b32 v22, v1 :: v_dual_mov_b32 v21, v1
	global_load_b64 v[12:13], v1, s[16:17]
	s_and_not1_b32 vcc_lo, exec_lo, s37
	s_wait_alu 0xfffe
	s_cbranch_vccnz .LBB437_15
; %bb.7:                                ;   in Loop: Header=BB437_6 Depth=1
	s_add_nc_u64 s[16:17], s[12:13], s[14:15]
	s_add_nc_u64 s[14:15], s[18:19], s[14:15]
	s_clause 0x1
	global_load_b64 v[24:25], v1, s[16:17]
	global_load_b64 v[26:27], v1, s[14:15]
	v_dual_mov_b32 v21, 0 :: v_dual_mov_b32 v22, 0
	v_mov_b32_e32 v23, 0
	s_mov_b64 s[14:15], 0
	s_wait_loadcnt 0x1
	v_add_co_u32 v0, vcc_lo, v24, s4
	s_wait_alu 0xfffd
	v_add_co_ci_u32_e64 v24, null, s5, v25, vcc_lo
	s_wait_loadcnt 0x0
	v_add_co_u32 v28, vcc_lo, v26, s2
	s_wait_alu 0xfffd
	v_add_co_ci_u32_e64 v29, null, s3, v27, vcc_lo
	v_add_co_u32 v25, vcc_lo, v0, v6
	s_wait_alu 0xfffd
	v_add_co_ci_u32_e64 v26, null, v24, v7, vcc_lo
	;; [unrolled: 3-line block ×3, first 2 shown]
	v_mov_b32_e32 v24, 0
	s_branch .LBB437_9
.LBB437_8:                              ;   in Loop: Header=BB437_9 Depth=2
	s_or_b32 exec_lo, exec_lo, s16
	s_wait_loadcnt_dscnt 0x0
	ds_store_b32 v17, v30
	s_wait_dscnt 0x0
	s_barrier_signal -1
	s_barrier_wait -1
	global_inv scope:SCOPE_SE
	ds_load_b128 v[29:32], v19
	ds_load_2addr_b32 v[45:46], v18 offset1:16
	ds_load_b128 v[33:36], v19 offset:512
	ds_load_2addr_b32 v[47:48], v18 offset0:32 offset1:48
	ds_load_2addr_b32 v[49:50], v18 offset0:64 offset1:80
	;; [unrolled: 1-line block ×3, first 2 shown]
	ds_load_b128 v[37:40], v19 offset:16
	ds_load_2addr_b32 v[53:54], v18 offset0:128 offset1:144
	ds_load_b128 v[41:44], v19 offset:528
	ds_load_2addr_b32 v[55:56], v18 offset0:160 offset1:176
	s_add_nc_u64 s[14:15], s[14:15], 8
	s_wait_alu 0xfffe
	v_cmp_gt_i64_e64 s16, s[8:9], s[14:15]
	s_and_b32 vcc_lo, exec_lo, s16
	s_wait_dscnt 0x8
	v_fmac_f32_e32 v23, v46, v29
	v_fmac_f32_e32 v24, v45, v29
	s_wait_dscnt 0x7
	v_fmac_f32_e32 v21, v46, v33
	v_fmac_f32_e32 v22, v45, v33
	ds_load_2addr_b32 v[45:46], v18 offset0:192 offset1:208
	s_wait_dscnt 0x7
	v_fmac_f32_e32 v23, v48, v30
	v_fmac_f32_e32 v24, v47, v30
	v_fmac_f32_e32 v21, v48, v34
	v_fmac_f32_e32 v22, v47, v34
	ds_load_2addr_b32 v[29:30], v18 offset0:224 offset1:240
	s_wait_dscnt 0x7
	v_fmac_f32_e32 v23, v50, v31
	v_fmac_f32_e32 v24, v49, v31
	;; [unrolled: 1-line block ×4, first 2 shown]
	s_wait_loadcnt_dscnt 0x0
	v_fmac_f32_e32 v23, v52, v32
	v_fmac_f32_e32 v24, v51, v32
	;; [unrolled: 1-line block ×4, first 2 shown]
	s_barrier_signal -1
	v_fmac_f32_e32 v23, v54, v37
	v_fmac_f32_e32 v24, v53, v37
	v_fmac_f32_e32 v21, v54, v41
	v_fmac_f32_e32 v22, v53, v41
	s_barrier_wait -1
	v_fmac_f32_e32 v23, v56, v38
	v_fmac_f32_e32 v24, v55, v38
	;; [unrolled: 1-line block ×4, first 2 shown]
	global_inv scope:SCOPE_SE
	v_fmac_f32_e32 v23, v46, v39
	v_fmac_f32_e32 v24, v45, v39
	;; [unrolled: 1-line block ×3, first 2 shown]
	s_delay_alu instid0(VALU_DEP_3) | instskip(NEXT) | instid1(VALU_DEP_3)
	v_dual_fmac_f32 v22, v45, v43 :: v_dual_fmac_f32 v23, v30, v40
	v_fmac_f32_e32 v24, v29, v40
	s_delay_alu instid0(VALU_DEP_3) | instskip(NEXT) | instid1(VALU_DEP_3)
	v_fmac_f32_e32 v21, v30, v44
	v_fmac_f32_e32 v22, v29, v44
	s_wait_alu 0xfffe
	s_cbranch_vccz .LBB437_15
.LBB437_9:                              ;   Parent Loop BB437_6 Depth=1
                                        ; =>  This Inner Loop Header: Depth=2
	v_mov_b32_e32 v29, 0
	s_and_saveexec_b32 s16, s0
	s_cbranch_execz .LBB437_13
; %bb.10:                               ;   in Loop: Header=BB437_9 Depth=2
	s_wait_alu 0xfffe
	v_dual_mov_b32 v29, 0 :: v_dual_add_nc_u32 v0, s14, v15
	s_mov_b32 s17, exec_lo
	s_delay_alu instid0(VALU_DEP_1)
	v_cmpx_gt_u64_e64 s[8:9], v[0:1]
	s_cbranch_execz .LBB437_12
; %bb.11:                               ;   in Loop: Header=BB437_9 Depth=2
	v_lshlrev_b64_e32 v[29:30], 2, v[0:1]
	s_delay_alu instid0(VALU_DEP_1) | instskip(SKIP_1) | instid1(VALU_DEP_2)
	v_add_co_u32 v29, vcc_lo, v25, v29
	s_wait_alu 0xfffd
	v_add_co_ci_u32_e64 v30, null, v26, v30, vcc_lo
	flat_load_b32 v29, v[29:30]
.LBB437_12:                             ;   in Loop: Header=BB437_9 Depth=2
	s_or_b32 exec_lo, exec_lo, s17
.LBB437_13:                             ;   in Loop: Header=BB437_9 Depth=2
	s_delay_alu instid0(SALU_CYCLE_1)
	s_or_b32 exec_lo, exec_lo, s16
	s_wait_alu 0xfffe
	v_add_nc_u32_e32 v0, s14, v14
	v_mov_b32_e32 v30, 0
	s_wait_loadcnt_dscnt 0x0
	ds_store_b32 v16, v29
	v_cmp_gt_u64_e32 vcc_lo, s[8:9], v[0:1]
	s_and_b32 s17, vcc_lo, s1
	s_delay_alu instid0(SALU_CYCLE_1)
	s_and_saveexec_b32 s16, s17
	s_cbranch_execz .LBB437_8
; %bb.14:                               ;   in Loop: Header=BB437_9 Depth=2
	v_mad_co_u64_u32 v[29:30], null, s20, v0, 0
	s_delay_alu instid0(VALU_DEP_1) | instskip(NEXT) | instid1(VALU_DEP_1)
	v_mad_co_u64_u32 v[30:31], null, s21, v0, v[30:31]
	v_lshlrev_b64_e32 v[29:30], 2, v[29:30]
	s_delay_alu instid0(VALU_DEP_1) | instskip(SKIP_1) | instid1(VALU_DEP_2)
	v_add_co_u32 v29, vcc_lo, v27, v29
	s_wait_alu 0xfffd
	v_add_co_ci_u32_e64 v30, null, v28, v30, vcc_lo
	flat_load_b32 v30, v[29:30]
	s_branch .LBB437_8
.LBB437_15:                             ;   in Loop: Header=BB437_6 Depth=1
	s_wait_loadcnt 0x0
	v_add_co_u32 v0, vcc_lo, v12, s10
	s_wait_alu 0xfffd
	v_add_co_ci_u32_e64 v12, null, s11, v13, vcc_lo
	s_delay_alu instid0(VALU_DEP_2) | instskip(SKIP_1) | instid1(VALU_DEP_2)
	v_add_co_u32 v13, vcc_lo, v0, v8
	s_wait_alu 0xfffd
	v_add_co_ci_u32_e64 v25, null, v12, v9, vcc_lo
	s_and_saveexec_b32 s14, s34
	s_cbranch_execz .LBB437_19
; %bb.16:                               ;   in Loop: Header=BB437_6 Depth=1
	v_mul_f32_e32 v24, s25, v24
	s_and_b32 vcc_lo, exec_lo, s28
	s_wait_alu 0xfffe
	s_cbranch_vccz .LBB437_30
; %bb.17:                               ;   in Loop: Header=BB437_6 Depth=1
	v_lshlrev_b64_e32 v[26:27], 2, v[2:3]
	s_delay_alu instid0(VALU_DEP_1) | instskip(SKIP_1) | instid1(VALU_DEP_2)
	v_add_co_u32 v26, vcc_lo, v13, v26
	s_wait_alu 0xfffd
	v_add_co_ci_u32_e64 v27, null, v25, v27, vcc_lo
	flat_load_b32 v28, v[26:27]
	s_wait_loadcnt_dscnt 0x0
	v_fma_f32 v28, s24, v28, v24
	flat_store_b32 v[26:27], v28
	s_cbranch_execnz .LBB437_19
.LBB437_18:                             ;   in Loop: Header=BB437_6 Depth=1
	v_lshlrev_b64_e32 v[26:27], 2, v[2:3]
	s_delay_alu instid0(VALU_DEP_1) | instskip(SKIP_1) | instid1(VALU_DEP_2)
	v_add_co_u32 v26, vcc_lo, v13, v26
	s_wait_alu 0xfffd
	v_add_co_ci_u32_e64 v27, null, v25, v27, vcc_lo
	flat_store_b32 v[26:27], v24
.LBB437_19:                             ;   in Loop: Header=BB437_6 Depth=1
	s_wait_alu 0xfffe
	s_or_b32 exec_lo, exec_lo, s14
	s_and_saveexec_b32 s14, s29
	s_cbranch_execz .LBB437_23
; %bb.20:                               ;   in Loop: Header=BB437_6 Depth=1
	v_mul_f32_e32 v23, s25, v23
	s_and_not1_b32 vcc_lo, exec_lo, s28
	s_wait_alu 0xfffe
	s_cbranch_vccnz .LBB437_31
; %bb.21:                               ;   in Loop: Header=BB437_6 Depth=1
	v_lshlrev_b64_e32 v[26:27], 2, v[4:5]
	s_delay_alu instid0(VALU_DEP_1) | instskip(SKIP_1) | instid1(VALU_DEP_2)
	v_add_co_u32 v26, vcc_lo, v13, v26
	s_wait_alu 0xfffd
	v_add_co_ci_u32_e64 v27, null, v25, v27, vcc_lo
	flat_load_b32 v24, v[26:27]
	s_wait_loadcnt_dscnt 0x0
	v_fma_f32 v24, s24, v24, v23
	flat_store_b32 v[26:27], v24
	s_cbranch_execnz .LBB437_23
.LBB437_22:                             ;   in Loop: Header=BB437_6 Depth=1
	v_lshlrev_b64_e32 v[26:27], 2, v[4:5]
	s_delay_alu instid0(VALU_DEP_1) | instskip(SKIP_1) | instid1(VALU_DEP_2)
	v_add_co_u32 v24, vcc_lo, v13, v26
	s_wait_alu 0xfffd
	v_add_co_ci_u32_e64 v25, null, v25, v27, vcc_lo
	flat_store_b32 v[24:25], v23
.LBB437_23:                             ;   in Loop: Header=BB437_6 Depth=1
	s_wait_alu 0xfffe
	s_or_b32 exec_lo, exec_lo, s14
	v_add_co_u32 v0, vcc_lo, v0, v10
	s_wait_alu 0xfffd
	v_add_co_ci_u32_e64 v23, null, v12, v11, vcc_lo
	s_and_saveexec_b32 s14, s35
	s_cbranch_execz .LBB437_27
; %bb.24:                               ;   in Loop: Header=BB437_6 Depth=1
	v_lshlrev_b64_e32 v[12:13], 2, v[2:3]
	v_mul_f32_e32 v22, s25, v22
	s_and_not1_b32 vcc_lo, exec_lo, s28
	s_wait_alu 0xfffe
	s_cbranch_vccnz .LBB437_32
; %bb.25:                               ;   in Loop: Header=BB437_6 Depth=1
	s_delay_alu instid0(VALU_DEP_2)
	v_add_co_u32 v24, vcc_lo, v0, v12
	s_wait_alu 0xfffd
	v_add_co_ci_u32_e64 v25, null, v23, v13, vcc_lo
	flat_load_b32 v26, v[24:25]
	s_wait_loadcnt_dscnt 0x0
	v_fma_f32 v26, s24, v26, v22
	flat_store_b32 v[24:25], v26
	s_cbranch_execnz .LBB437_27
.LBB437_26:                             ;   in Loop: Header=BB437_6 Depth=1
	v_add_co_u32 v12, vcc_lo, v0, v12
	s_wait_alu 0xfffd
	v_add_co_ci_u32_e64 v13, null, v23, v13, vcc_lo
	flat_store_b32 v[12:13], v22
.LBB437_27:                             ;   in Loop: Header=BB437_6 Depth=1
	s_wait_alu 0xfffe
	s_or_b32 exec_lo, exec_lo, s14
	s_and_saveexec_b32 s14, s36
	s_cbranch_execz .LBB437_5
; %bb.28:                               ;   in Loop: Header=BB437_6 Depth=1
	v_lshlrev_b64_e32 v[12:13], 2, v[4:5]
	v_mul_f32_e32 v21, s25, v21
	s_and_not1_b32 vcc_lo, exec_lo, s28
	s_wait_alu 0xfffe
	s_cbranch_vccnz .LBB437_33
; %bb.29:                               ;   in Loop: Header=BB437_6 Depth=1
	s_delay_alu instid0(VALU_DEP_2)
	v_add_co_u32 v24, vcc_lo, v0, v12
	s_wait_alu 0xfffd
	v_add_co_ci_u32_e64 v25, null, v23, v13, vcc_lo
	flat_load_b32 v22, v[24:25]
	s_wait_loadcnt_dscnt 0x0
	v_fma_f32 v22, s24, v22, v21
	flat_store_b32 v[24:25], v22
	s_cbranch_execnz .LBB437_5
	s_branch .LBB437_34
.LBB437_30:                             ;   in Loop: Header=BB437_6 Depth=1
	s_branch .LBB437_18
.LBB437_31:                             ;   in Loop: Header=BB437_6 Depth=1
	s_branch .LBB437_22
.LBB437_32:                             ;   in Loop: Header=BB437_6 Depth=1
	s_branch .LBB437_26
.LBB437_33:                             ;   in Loop: Header=BB437_6 Depth=1
.LBB437_34:                             ;   in Loop: Header=BB437_6 Depth=1
	s_delay_alu instid0(VALU_DEP_2)
	v_add_co_u32 v12, vcc_lo, v0, v12
	s_wait_alu 0xfffd
	v_add_co_ci_u32_e64 v13, null, v23, v13, vcc_lo
	flat_store_b32 v[12:13], v21
	s_branch .LBB437_5
.LBB437_35:
	s_endpgm
	.section	.rodata,"a",@progbits
	.p2align	6, 0x0
	.amdhsa_kernel _ZL29rocblas_internal_gemmt_kernelIlLi16ELi32ELi8ELc84ELc67ELc85ELb0ELb0EfPKfPKS1_PKPfEviT_T9_T10_S7_lS9_S7_lS8_T11_S7_li
		.amdhsa_group_segment_fixed_size 2048
		.amdhsa_private_segment_fixed_size 0
		.amdhsa_kernarg_size 108
		.amdhsa_user_sgpr_count 2
		.amdhsa_user_sgpr_dispatch_ptr 0
		.amdhsa_user_sgpr_queue_ptr 0
		.amdhsa_user_sgpr_kernarg_segment_ptr 1
		.amdhsa_user_sgpr_dispatch_id 0
		.amdhsa_user_sgpr_private_segment_size 0
		.amdhsa_wavefront_size32 1
		.amdhsa_uses_dynamic_stack 0
		.amdhsa_enable_private_segment 0
		.amdhsa_system_sgpr_workgroup_id_x 1
		.amdhsa_system_sgpr_workgroup_id_y 1
		.amdhsa_system_sgpr_workgroup_id_z 1
		.amdhsa_system_sgpr_workgroup_info 0
		.amdhsa_system_vgpr_workitem_id 1
		.amdhsa_next_free_vgpr 57
		.amdhsa_next_free_sgpr 38
		.amdhsa_reserve_vcc 1
		.amdhsa_float_round_mode_32 0
		.amdhsa_float_round_mode_16_64 0
		.amdhsa_float_denorm_mode_32 3
		.amdhsa_float_denorm_mode_16_64 3
		.amdhsa_fp16_overflow 0
		.amdhsa_workgroup_processor_mode 1
		.amdhsa_memory_ordered 1
		.amdhsa_forward_progress 1
		.amdhsa_inst_pref_size 15
		.amdhsa_round_robin_scheduling 0
		.amdhsa_exception_fp_ieee_invalid_op 0
		.amdhsa_exception_fp_denorm_src 0
		.amdhsa_exception_fp_ieee_div_zero 0
		.amdhsa_exception_fp_ieee_overflow 0
		.amdhsa_exception_fp_ieee_underflow 0
		.amdhsa_exception_fp_ieee_inexact 0
		.amdhsa_exception_int_div_zero 0
	.end_amdhsa_kernel
	.section	.text._ZL29rocblas_internal_gemmt_kernelIlLi16ELi32ELi8ELc84ELc67ELc85ELb0ELb0EfPKfPKS1_PKPfEviT_T9_T10_S7_lS9_S7_lS8_T11_S7_li,"axG",@progbits,_ZL29rocblas_internal_gemmt_kernelIlLi16ELi32ELi8ELc84ELc67ELc85ELb0ELb0EfPKfPKS1_PKPfEviT_T9_T10_S7_lS9_S7_lS8_T11_S7_li,comdat
.Lfunc_end437:
	.size	_ZL29rocblas_internal_gemmt_kernelIlLi16ELi32ELi8ELc84ELc67ELc85ELb0ELb0EfPKfPKS1_PKPfEviT_T9_T10_S7_lS9_S7_lS8_T11_S7_li, .Lfunc_end437-_ZL29rocblas_internal_gemmt_kernelIlLi16ELi32ELi8ELc84ELc67ELc85ELb0ELb0EfPKfPKS1_PKPfEviT_T9_T10_S7_lS9_S7_lS8_T11_S7_li
                                        ; -- End function
	.set _ZL29rocblas_internal_gemmt_kernelIlLi16ELi32ELi8ELc84ELc67ELc85ELb0ELb0EfPKfPKS1_PKPfEviT_T9_T10_S7_lS9_S7_lS8_T11_S7_li.num_vgpr, 57
	.set _ZL29rocblas_internal_gemmt_kernelIlLi16ELi32ELi8ELc84ELc67ELc85ELb0ELb0EfPKfPKS1_PKPfEviT_T9_T10_S7_lS9_S7_lS8_T11_S7_li.num_agpr, 0
	.set _ZL29rocblas_internal_gemmt_kernelIlLi16ELi32ELi8ELc84ELc67ELc85ELb0ELb0EfPKfPKS1_PKPfEviT_T9_T10_S7_lS9_S7_lS8_T11_S7_li.numbered_sgpr, 38
	.set _ZL29rocblas_internal_gemmt_kernelIlLi16ELi32ELi8ELc84ELc67ELc85ELb0ELb0EfPKfPKS1_PKPfEviT_T9_T10_S7_lS9_S7_lS8_T11_S7_li.num_named_barrier, 0
	.set _ZL29rocblas_internal_gemmt_kernelIlLi16ELi32ELi8ELc84ELc67ELc85ELb0ELb0EfPKfPKS1_PKPfEviT_T9_T10_S7_lS9_S7_lS8_T11_S7_li.private_seg_size, 0
	.set _ZL29rocblas_internal_gemmt_kernelIlLi16ELi32ELi8ELc84ELc67ELc85ELb0ELb0EfPKfPKS1_PKPfEviT_T9_T10_S7_lS9_S7_lS8_T11_S7_li.uses_vcc, 1
	.set _ZL29rocblas_internal_gemmt_kernelIlLi16ELi32ELi8ELc84ELc67ELc85ELb0ELb0EfPKfPKS1_PKPfEviT_T9_T10_S7_lS9_S7_lS8_T11_S7_li.uses_flat_scratch, 0
	.set _ZL29rocblas_internal_gemmt_kernelIlLi16ELi32ELi8ELc84ELc67ELc85ELb0ELb0EfPKfPKS1_PKPfEviT_T9_T10_S7_lS9_S7_lS8_T11_S7_li.has_dyn_sized_stack, 0
	.set _ZL29rocblas_internal_gemmt_kernelIlLi16ELi32ELi8ELc84ELc67ELc85ELb0ELb0EfPKfPKS1_PKPfEviT_T9_T10_S7_lS9_S7_lS8_T11_S7_li.has_recursion, 0
	.set _ZL29rocblas_internal_gemmt_kernelIlLi16ELi32ELi8ELc84ELc67ELc85ELb0ELb0EfPKfPKS1_PKPfEviT_T9_T10_S7_lS9_S7_lS8_T11_S7_li.has_indirect_call, 0
	.section	.AMDGPU.csdata,"",@progbits
; Kernel info:
; codeLenInByte = 1904
; TotalNumSgprs: 40
; NumVgprs: 57
; ScratchSize: 0
; MemoryBound: 0
; FloatMode: 240
; IeeeMode: 1
; LDSByteSize: 2048 bytes/workgroup (compile time only)
; SGPRBlocks: 0
; VGPRBlocks: 7
; NumSGPRsForWavesPerEU: 40
; NumVGPRsForWavesPerEU: 57
; Occupancy: 16
; WaveLimiterHint : 1
; COMPUTE_PGM_RSRC2:SCRATCH_EN: 0
; COMPUTE_PGM_RSRC2:USER_SGPR: 2
; COMPUTE_PGM_RSRC2:TRAP_HANDLER: 0
; COMPUTE_PGM_RSRC2:TGID_X_EN: 1
; COMPUTE_PGM_RSRC2:TGID_Y_EN: 1
; COMPUTE_PGM_RSRC2:TGID_Z_EN: 1
; COMPUTE_PGM_RSRC2:TIDIG_COMP_CNT: 1
	.section	.text._ZL29rocblas_internal_gemmt_kernelIlLi16ELi32ELi8ELc67ELc78ELc85ELb0ELb0EfPKfPKS1_PKPfEviT_T9_T10_S7_lS9_S7_lS8_T11_S7_li,"axG",@progbits,_ZL29rocblas_internal_gemmt_kernelIlLi16ELi32ELi8ELc67ELc78ELc85ELb0ELb0EfPKfPKS1_PKPfEviT_T9_T10_S7_lS9_S7_lS8_T11_S7_li,comdat
	.globl	_ZL29rocblas_internal_gemmt_kernelIlLi16ELi32ELi8ELc67ELc78ELc85ELb0ELb0EfPKfPKS1_PKPfEviT_T9_T10_S7_lS9_S7_lS8_T11_S7_li ; -- Begin function _ZL29rocblas_internal_gemmt_kernelIlLi16ELi32ELi8ELc67ELc78ELc85ELb0ELb0EfPKfPKS1_PKPfEviT_T9_T10_S7_lS9_S7_lS8_T11_S7_li
	.p2align	8
	.type	_ZL29rocblas_internal_gemmt_kernelIlLi16ELi32ELi8ELc67ELc78ELc85ELb0ELb0EfPKfPKS1_PKPfEviT_T9_T10_S7_lS9_S7_lS8_T11_S7_li,@function
_ZL29rocblas_internal_gemmt_kernelIlLi16ELi32ELi8ELc67ELc78ELc85ELb0ELb0EfPKfPKS1_PKPfEviT_T9_T10_S7_lS9_S7_lS8_T11_S7_li: ; @_ZL29rocblas_internal_gemmt_kernelIlLi16ELi32ELi8ELc67ELc78ELc85ELb0ELb0EfPKfPKS1_PKPfEviT_T9_T10_S7_lS9_S7_lS8_T11_S7_li
; %bb.0:
	s_clause 0x1
	s_load_b256 s[24:31], s[0:1], 0x48
	s_load_b512 s[8:23], s[0:1], 0x8
	s_wait_kmcnt 0x0
	s_load_b32 s24, s[24:25], 0x0
	s_load_b32 s25, s[10:11], 0x0
	s_wait_kmcnt 0x0
	s_cmp_neq_f32 s24, 1.0
	s_cselect_b32 s2, -1, 0
	s_delay_alu instid0(SALU_CYCLE_1)
	s_and_b32 vcc_lo, exec_lo, s2
	s_cbranch_vccnz .LBB438_2
; %bb.1:
	s_cmp_lg_u64 s[8:9], 0
	s_cselect_b32 s2, -1, 0
	s_cmp_neq_f32 s25, 0
	s_cselect_b32 s3, -1, 0
	s_delay_alu instid0(SALU_CYCLE_1)
	s_and_b32 s2, s2, s3
.LBB438_2:
	s_delay_alu instid0(SALU_CYCLE_1)
	s_and_not1_b32 vcc_lo, exec_lo, s2
	s_cbranch_vccnz .LBB438_35
; %bb.3:
	s_load_b32 s33, s[0:1], 0x68
	s_lshr_b32 s6, ttmp7, 16
	s_wait_kmcnt 0x0
	s_cmp_ge_u32 s6, s33
	s_cbranch_scc1 .LBB438_35
; %bb.4:
	v_bfe_u32 v3, v0, 10, 10
	s_load_b32 s3, s[0:1], 0x0
	s_lshl_b32 s0, ttmp7, 5
	v_and_b32_e32 v16, 7, v0
	s_and_b32 s0, s0, 0x1fffe0
	s_lshl_b32 s2, ttmp9, 5
	v_add_nc_u32_e32 v14, s0, v3
	s_cmp_neq_f32 s25, 0
	v_lshl_add_u32 v21, v3, 5, 0x400
	v_cmp_gt_i64_e64 s10, s[8:9], 0
	s_mov_b32 s7, 0
	v_mad_co_u64_u32 v[10:11], null, s28, v14, 0
	v_and_b32_e32 v2, 0x3ff, v0
	v_add_nc_u32_e32 v15, 16, v14
	s_cselect_b32 s11, -1, 0
	s_delay_alu instid0(VALU_DEP_2) | instskip(NEXT) | instid1(VALU_DEP_1)
	v_lshl_add_u32 v0, v3, 4, v2
	v_lshrrev_b32_e32 v4, 3, v0
	v_lshrrev_b32_e32 v18, 5, v0
	s_delay_alu instid0(VALU_DEP_2)
	v_add_nc_u32_e32 v12, s0, v4
	s_ashr_i32 s0, s2, 31
	s_cmp_neq_f32 s24, 0
	s_wait_alu 0xfffe
	s_mul_i32 s4, s14, s0
	v_mad_co_u64_u32 v[8:9], null, s20, v12, 0
	v_and_b32_e32 v1, 31, v0
	s_wait_kmcnt 0x0
	v_cmp_gt_i32_e64 s1, s3, v12
	s_cselect_b32 s20, -1, 0
	s_and_b32 s35, s11, s10
	s_lshl_b64 s[10:11], s[30:31], 2
	v_mov_b32_e32 v0, v9
	v_or_b32_e32 v13, s2, v1
	v_lshlrev_b32_e32 v19, 2, v1
	s_delay_alu instid0(VALU_DEP_3) | instskip(NEXT) | instid1(VALU_DEP_3)
	v_mad_co_u64_u32 v[0:1], null, s21, v12, v[0:1]
	v_mul_lo_u32 v9, s15, v13
	v_mad_co_u64_u32 v[6:7], null, s14, v13, 0
	v_cmp_gt_i32_e64 s0, s3, v13
	v_mad_co_u64_u32 v[12:13], null, s28, v15, 0
	v_mov_b32_e32 v1, v11
	v_lshlrev_b32_e32 v17, 2, v2
	v_lshl_or_b32 v19, v18, 7, v19
	v_add3_u32 v7, v7, s4, v9
	v_mov_b32_e32 v9, v0
	v_lshlrev_b32_e32 v5, 2, v16
	v_dual_mov_b32 v3, v13 :: v_dual_add_nc_u32 v0, s2, v2
	v_mad_co_u64_u32 v[1:2], null, s29, v14, v[1:2]
	s_delay_alu instid0(VALU_DEP_3)
	v_lshl_or_b32 v4, v4, 5, v5
	v_cmp_gt_i32_e32 vcc_lo, s3, v14
	v_cmp_gt_i32_e64 s3, s3, v15
	v_lshlrev_b64_e32 v[6:7], 2, v[6:7]
	v_lshlrev_b64_e32 v[8:9], 2, v[8:9]
	v_add_nc_u32_e32 v20, 0x400, v4
	v_mad_co_u64_u32 v[4:5], null, s29, v15, v[3:4]
	v_mov_b32_e32 v5, 0
	v_cmp_le_i32_e64 s2, v0, v14
	v_dual_mov_b32 v11, v1 :: v_dual_add_nc_u32 v2, 16, v0
	v_cmp_le_i32_e64 s4, v0, v15
	v_ashrrev_i32_e32 v1, 31, v0
	v_mov_b32_e32 v13, v4
	s_and_b32 s21, vcc_lo, s2
	v_cmp_le_i32_e64 s2, v2, v14
	v_cmp_le_i32_e64 s5, v2, v15
	v_lshlrev_b64_e32 v[10:11], 2, v[10:11]
	v_lshlrev_b64_e32 v[12:13], 2, v[12:13]
	v_ashrrev_i32_e32 v3, 31, v2
	s_and_b32 s28, vcc_lo, s2
	s_and_b32 s29, s3, s4
	s_and_b32 s34, s3, s5
	s_lshl_b64 s[2:3], s[22:23], 2
	s_lshl_b64 s[4:5], s[16:17], 2
	s_branch .LBB438_6
.LBB438_5:                              ;   in Loop: Header=BB438_6 Depth=1
	s_wait_alu 0xfffe
	s_or_b32 exec_lo, exec_lo, s14
	s_add_co_i32 s6, s6, 0x10000
	s_delay_alu instid0(SALU_CYCLE_1)
	s_cmp_lt_u32 s6, s33
	s_cbranch_scc0 .LBB438_35
.LBB438_6:                              ; =>This Loop Header: Depth=1
                                        ;     Child Loop BB438_9 Depth 2
	s_lshl_b64 s[14:15], s[6:7], 3
	v_dual_mov_b32 v25, v5 :: v_dual_mov_b32 v24, v5
	s_wait_alu 0xfffe
	s_add_nc_u64 s[16:17], s[26:27], s[14:15]
	v_dual_mov_b32 v23, v5 :: v_dual_mov_b32 v22, v5
	global_load_b64 v[14:15], v5, s[16:17]
	s_and_not1_b32 vcc_lo, exec_lo, s35
	s_wait_alu 0xfffe
	s_cbranch_vccnz .LBB438_15
; %bb.7:                                ;   in Loop: Header=BB438_6 Depth=1
	s_add_nc_u64 s[16:17], s[12:13], s[14:15]
	s_add_nc_u64 s[14:15], s[18:19], s[14:15]
	s_clause 0x1
	global_load_b64 v[25:26], v5, s[16:17]
	global_load_b64 v[27:28], v5, s[14:15]
	v_dual_mov_b32 v22, 0 :: v_dual_mov_b32 v23, 0
	v_mov_b32_e32 v24, 0
	s_mov_b64 s[14:15], 0
	s_wait_loadcnt 0x1
	v_add_co_u32 v4, vcc_lo, v25, s4
	s_wait_alu 0xfffd
	v_add_co_ci_u32_e64 v25, null, s5, v26, vcc_lo
	s_wait_loadcnt 0x0
	v_add_co_u32 v29, vcc_lo, v27, s2
	s_wait_alu 0xfffd
	v_add_co_ci_u32_e64 v30, null, s3, v28, vcc_lo
	v_add_co_u32 v26, vcc_lo, v4, v6
	s_wait_alu 0xfffd
	v_add_co_ci_u32_e64 v27, null, v25, v7, vcc_lo
	;; [unrolled: 3-line block ×3, first 2 shown]
	v_mov_b32_e32 v25, 0
	s_branch .LBB438_9
.LBB438_8:                              ;   in Loop: Header=BB438_9 Depth=2
	s_or_b32 exec_lo, exec_lo, s16
	s_wait_loadcnt_dscnt 0x0
	ds_store_b32 v20, v31
	s_wait_dscnt 0x0
	s_barrier_signal -1
	s_barrier_wait -1
	global_inv scope:SCOPE_SE
	ds_load_b128 v[30:33], v21
	ds_load_2addr_b32 v[46:47], v17 offset1:16
	ds_load_b128 v[34:37], v21 offset:512
	ds_load_2addr_b32 v[48:49], v17 offset0:32 offset1:48
	ds_load_2addr_b32 v[50:51], v17 offset0:64 offset1:80
	;; [unrolled: 1-line block ×3, first 2 shown]
	ds_load_b128 v[38:41], v21 offset:16
	ds_load_2addr_b32 v[54:55], v17 offset0:128 offset1:144
	ds_load_b128 v[42:45], v21 offset:528
	ds_load_2addr_b32 v[56:57], v17 offset0:160 offset1:176
	s_add_nc_u64 s[14:15], s[14:15], 8
	s_wait_alu 0xfffe
	v_cmp_gt_i64_e64 s16, s[8:9], s[14:15]
	s_and_b32 vcc_lo, exec_lo, s16
	s_wait_dscnt 0x8
	v_fmac_f32_e32 v24, v47, v30
	v_fmac_f32_e32 v25, v46, v30
	s_wait_dscnt 0x7
	v_fmac_f32_e32 v22, v47, v34
	v_fmac_f32_e32 v23, v46, v34
	ds_load_2addr_b32 v[46:47], v17 offset0:192 offset1:208
	s_wait_dscnt 0x7
	v_fmac_f32_e32 v24, v49, v31
	v_fmac_f32_e32 v25, v48, v31
	;; [unrolled: 1-line block ×4, first 2 shown]
	ds_load_2addr_b32 v[30:31], v17 offset0:224 offset1:240
	s_wait_dscnt 0x7
	v_fmac_f32_e32 v24, v51, v32
	v_fmac_f32_e32 v25, v50, v32
	;; [unrolled: 1-line block ×4, first 2 shown]
	s_wait_loadcnt_dscnt 0x0
	v_fmac_f32_e32 v24, v53, v33
	v_fmac_f32_e32 v25, v52, v33
	;; [unrolled: 1-line block ×4, first 2 shown]
	s_barrier_signal -1
	v_fmac_f32_e32 v24, v55, v38
	v_fmac_f32_e32 v25, v54, v38
	v_fmac_f32_e32 v22, v55, v42
	v_fmac_f32_e32 v23, v54, v42
	s_barrier_wait -1
	v_fmac_f32_e32 v24, v57, v39
	v_fmac_f32_e32 v25, v56, v39
	;; [unrolled: 1-line block ×4, first 2 shown]
	global_inv scope:SCOPE_SE
	v_fmac_f32_e32 v24, v47, v40
	v_fmac_f32_e32 v25, v46, v40
	;; [unrolled: 1-line block ×3, first 2 shown]
	s_delay_alu instid0(VALU_DEP_3) | instskip(NEXT) | instid1(VALU_DEP_3)
	v_dual_fmac_f32 v23, v46, v44 :: v_dual_fmac_f32 v24, v31, v41
	v_fmac_f32_e32 v25, v30, v41
	s_delay_alu instid0(VALU_DEP_3) | instskip(NEXT) | instid1(VALU_DEP_3)
	v_fmac_f32_e32 v22, v31, v45
	v_fmac_f32_e32 v23, v30, v45
	s_wait_alu 0xfffe
	s_cbranch_vccz .LBB438_15
.LBB438_9:                              ;   Parent Loop BB438_6 Depth=1
                                        ; =>  This Inner Loop Header: Depth=2
	v_mov_b32_e32 v30, 0
	s_and_saveexec_b32 s16, s0
	s_cbranch_execz .LBB438_13
; %bb.10:                               ;   in Loop: Header=BB438_9 Depth=2
	s_wait_alu 0xfffe
	v_add_nc_u32_e32 v4, s14, v18
	v_mov_b32_e32 v30, 0
	s_mov_b32 s17, exec_lo
	s_delay_alu instid0(VALU_DEP_2)
	v_cmpx_gt_u64_e64 s[8:9], v[4:5]
	s_cbranch_execz .LBB438_12
; %bb.11:                               ;   in Loop: Header=BB438_9 Depth=2
	v_lshlrev_b64_e32 v[30:31], 2, v[4:5]
	s_delay_alu instid0(VALU_DEP_1) | instskip(SKIP_1) | instid1(VALU_DEP_2)
	v_add_co_u32 v30, vcc_lo, v26, v30
	s_wait_alu 0xfffd
	v_add_co_ci_u32_e64 v31, null, v27, v31, vcc_lo
	flat_load_b32 v30, v[30:31]
.LBB438_12:                             ;   in Loop: Header=BB438_9 Depth=2
	s_or_b32 exec_lo, exec_lo, s17
.LBB438_13:                             ;   in Loop: Header=BB438_9 Depth=2
	s_delay_alu instid0(SALU_CYCLE_1)
	s_or_b32 exec_lo, exec_lo, s16
	s_wait_alu 0xfffe
	v_dual_mov_b32 v31, 0 :: v_dual_add_nc_u32 v4, s14, v16
	s_wait_loadcnt_dscnt 0x0
	ds_store_b32 v19, v30
	v_cmp_gt_u64_e32 vcc_lo, s[8:9], v[4:5]
	s_and_b32 s17, vcc_lo, s1
	s_delay_alu instid0(SALU_CYCLE_1)
	s_and_saveexec_b32 s16, s17
	s_cbranch_execz .LBB438_8
; %bb.14:                               ;   in Loop: Header=BB438_9 Depth=2
	v_lshlrev_b64_e32 v[30:31], 2, v[4:5]
	s_delay_alu instid0(VALU_DEP_1) | instskip(SKIP_1) | instid1(VALU_DEP_2)
	v_add_co_u32 v30, vcc_lo, v28, v30
	s_wait_alu 0xfffd
	v_add_co_ci_u32_e64 v31, null, v29, v31, vcc_lo
	flat_load_b32 v31, v[30:31]
	s_branch .LBB438_8
.LBB438_15:                             ;   in Loop: Header=BB438_6 Depth=1
	s_wait_loadcnt 0x0
	v_add_co_u32 v4, vcc_lo, v14, s10
	s_wait_alu 0xfffd
	v_add_co_ci_u32_e64 v14, null, s11, v15, vcc_lo
	s_delay_alu instid0(VALU_DEP_2) | instskip(SKIP_1) | instid1(VALU_DEP_2)
	v_add_co_u32 v15, vcc_lo, v4, v10
	s_wait_alu 0xfffd
	v_add_co_ci_u32_e64 v26, null, v14, v11, vcc_lo
	s_and_saveexec_b32 s14, s21
	s_cbranch_execz .LBB438_19
; %bb.16:                               ;   in Loop: Header=BB438_6 Depth=1
	v_mul_f32_e32 v25, s25, v25
	s_and_b32 vcc_lo, exec_lo, s20
	s_wait_alu 0xfffe
	s_cbranch_vccz .LBB438_30
; %bb.17:                               ;   in Loop: Header=BB438_6 Depth=1
	v_lshlrev_b64_e32 v[27:28], 2, v[0:1]
	s_delay_alu instid0(VALU_DEP_1) | instskip(SKIP_1) | instid1(VALU_DEP_2)
	v_add_co_u32 v27, vcc_lo, v15, v27
	s_wait_alu 0xfffd
	v_add_co_ci_u32_e64 v28, null, v26, v28, vcc_lo
	flat_load_b32 v29, v[27:28]
	s_wait_loadcnt_dscnt 0x0
	v_fma_f32 v29, s24, v29, v25
	flat_store_b32 v[27:28], v29
	s_cbranch_execnz .LBB438_19
.LBB438_18:                             ;   in Loop: Header=BB438_6 Depth=1
	v_lshlrev_b64_e32 v[27:28], 2, v[0:1]
	s_delay_alu instid0(VALU_DEP_1) | instskip(SKIP_1) | instid1(VALU_DEP_2)
	v_add_co_u32 v27, vcc_lo, v15, v27
	s_wait_alu 0xfffd
	v_add_co_ci_u32_e64 v28, null, v26, v28, vcc_lo
	flat_store_b32 v[27:28], v25
.LBB438_19:                             ;   in Loop: Header=BB438_6 Depth=1
	s_wait_alu 0xfffe
	s_or_b32 exec_lo, exec_lo, s14
	s_and_saveexec_b32 s14, s28
	s_cbranch_execz .LBB438_23
; %bb.20:                               ;   in Loop: Header=BB438_6 Depth=1
	v_mul_f32_e32 v24, s25, v24
	s_and_not1_b32 vcc_lo, exec_lo, s20
	s_wait_alu 0xfffe
	s_cbranch_vccnz .LBB438_31
; %bb.21:                               ;   in Loop: Header=BB438_6 Depth=1
	v_lshlrev_b64_e32 v[27:28], 2, v[2:3]
	s_delay_alu instid0(VALU_DEP_1) | instskip(SKIP_1) | instid1(VALU_DEP_2)
	v_add_co_u32 v27, vcc_lo, v15, v27
	s_wait_alu 0xfffd
	v_add_co_ci_u32_e64 v28, null, v26, v28, vcc_lo
	flat_load_b32 v25, v[27:28]
	s_wait_loadcnt_dscnt 0x0
	v_fma_f32 v25, s24, v25, v24
	flat_store_b32 v[27:28], v25
	s_cbranch_execnz .LBB438_23
.LBB438_22:                             ;   in Loop: Header=BB438_6 Depth=1
	v_lshlrev_b64_e32 v[27:28], 2, v[2:3]
	s_delay_alu instid0(VALU_DEP_1) | instskip(SKIP_1) | instid1(VALU_DEP_2)
	v_add_co_u32 v25, vcc_lo, v15, v27
	s_wait_alu 0xfffd
	v_add_co_ci_u32_e64 v26, null, v26, v28, vcc_lo
	flat_store_b32 v[25:26], v24
.LBB438_23:                             ;   in Loop: Header=BB438_6 Depth=1
	s_wait_alu 0xfffe
	s_or_b32 exec_lo, exec_lo, s14
	v_add_co_u32 v4, vcc_lo, v4, v12
	s_wait_alu 0xfffd
	v_add_co_ci_u32_e64 v24, null, v14, v13, vcc_lo
	s_and_saveexec_b32 s14, s29
	s_cbranch_execz .LBB438_27
; %bb.24:                               ;   in Loop: Header=BB438_6 Depth=1
	v_lshlrev_b64_e32 v[14:15], 2, v[0:1]
	v_mul_f32_e32 v23, s25, v23
	s_and_not1_b32 vcc_lo, exec_lo, s20
	s_wait_alu 0xfffe
	s_cbranch_vccnz .LBB438_32
; %bb.25:                               ;   in Loop: Header=BB438_6 Depth=1
	s_delay_alu instid0(VALU_DEP_2)
	v_add_co_u32 v25, vcc_lo, v4, v14
	s_wait_alu 0xfffd
	v_add_co_ci_u32_e64 v26, null, v24, v15, vcc_lo
	flat_load_b32 v27, v[25:26]
	s_wait_loadcnt_dscnt 0x0
	v_fma_f32 v27, s24, v27, v23
	flat_store_b32 v[25:26], v27
	s_cbranch_execnz .LBB438_27
.LBB438_26:                             ;   in Loop: Header=BB438_6 Depth=1
	v_add_co_u32 v14, vcc_lo, v4, v14
	s_wait_alu 0xfffd
	v_add_co_ci_u32_e64 v15, null, v24, v15, vcc_lo
	flat_store_b32 v[14:15], v23
.LBB438_27:                             ;   in Loop: Header=BB438_6 Depth=1
	s_wait_alu 0xfffe
	s_or_b32 exec_lo, exec_lo, s14
	s_and_saveexec_b32 s14, s34
	s_cbranch_execz .LBB438_5
; %bb.28:                               ;   in Loop: Header=BB438_6 Depth=1
	v_lshlrev_b64_e32 v[14:15], 2, v[2:3]
	v_mul_f32_e32 v22, s25, v22
	s_and_not1_b32 vcc_lo, exec_lo, s20
	s_wait_alu 0xfffe
	s_cbranch_vccnz .LBB438_33
; %bb.29:                               ;   in Loop: Header=BB438_6 Depth=1
	s_delay_alu instid0(VALU_DEP_2)
	v_add_co_u32 v25, vcc_lo, v4, v14
	s_wait_alu 0xfffd
	v_add_co_ci_u32_e64 v26, null, v24, v15, vcc_lo
	flat_load_b32 v23, v[25:26]
	s_wait_loadcnt_dscnt 0x0
	v_fma_f32 v23, s24, v23, v22
	flat_store_b32 v[25:26], v23
	s_cbranch_execnz .LBB438_5
	s_branch .LBB438_34
.LBB438_30:                             ;   in Loop: Header=BB438_6 Depth=1
	s_branch .LBB438_18
.LBB438_31:                             ;   in Loop: Header=BB438_6 Depth=1
	s_branch .LBB438_22
.LBB438_32:                             ;   in Loop: Header=BB438_6 Depth=1
	s_branch .LBB438_26
.LBB438_33:                             ;   in Loop: Header=BB438_6 Depth=1
.LBB438_34:                             ;   in Loop: Header=BB438_6 Depth=1
	s_delay_alu instid0(VALU_DEP_2)
	v_add_co_u32 v14, vcc_lo, v4, v14
	s_wait_alu 0xfffd
	v_add_co_ci_u32_e64 v15, null, v24, v15, vcc_lo
	flat_store_b32 v[14:15], v22
	s_branch .LBB438_5
.LBB438_35:
	s_endpgm
	.section	.rodata,"a",@progbits
	.p2align	6, 0x0
	.amdhsa_kernel _ZL29rocblas_internal_gemmt_kernelIlLi16ELi32ELi8ELc67ELc78ELc85ELb0ELb0EfPKfPKS1_PKPfEviT_T9_T10_S7_lS9_S7_lS8_T11_S7_li
		.amdhsa_group_segment_fixed_size 2048
		.amdhsa_private_segment_fixed_size 0
		.amdhsa_kernarg_size 108
		.amdhsa_user_sgpr_count 2
		.amdhsa_user_sgpr_dispatch_ptr 0
		.amdhsa_user_sgpr_queue_ptr 0
		.amdhsa_user_sgpr_kernarg_segment_ptr 1
		.amdhsa_user_sgpr_dispatch_id 0
		.amdhsa_user_sgpr_private_segment_size 0
		.amdhsa_wavefront_size32 1
		.amdhsa_uses_dynamic_stack 0
		.amdhsa_enable_private_segment 0
		.amdhsa_system_sgpr_workgroup_id_x 1
		.amdhsa_system_sgpr_workgroup_id_y 1
		.amdhsa_system_sgpr_workgroup_id_z 1
		.amdhsa_system_sgpr_workgroup_info 0
		.amdhsa_system_vgpr_workitem_id 1
		.amdhsa_next_free_vgpr 58
		.amdhsa_next_free_sgpr 36
		.amdhsa_reserve_vcc 1
		.amdhsa_float_round_mode_32 0
		.amdhsa_float_round_mode_16_64 0
		.amdhsa_float_denorm_mode_32 3
		.amdhsa_float_denorm_mode_16_64 3
		.amdhsa_fp16_overflow 0
		.amdhsa_workgroup_processor_mode 1
		.amdhsa_memory_ordered 1
		.amdhsa_forward_progress 1
		.amdhsa_inst_pref_size 16
		.amdhsa_round_robin_scheduling 0
		.amdhsa_exception_fp_ieee_invalid_op 0
		.amdhsa_exception_fp_denorm_src 0
		.amdhsa_exception_fp_ieee_div_zero 0
		.amdhsa_exception_fp_ieee_overflow 0
		.amdhsa_exception_fp_ieee_underflow 0
		.amdhsa_exception_fp_ieee_inexact 0
		.amdhsa_exception_int_div_zero 0
	.end_amdhsa_kernel
	.section	.text._ZL29rocblas_internal_gemmt_kernelIlLi16ELi32ELi8ELc67ELc78ELc85ELb0ELb0EfPKfPKS1_PKPfEviT_T9_T10_S7_lS9_S7_lS8_T11_S7_li,"axG",@progbits,_ZL29rocblas_internal_gemmt_kernelIlLi16ELi32ELi8ELc67ELc78ELc85ELb0ELb0EfPKfPKS1_PKPfEviT_T9_T10_S7_lS9_S7_lS8_T11_S7_li,comdat
.Lfunc_end438:
	.size	_ZL29rocblas_internal_gemmt_kernelIlLi16ELi32ELi8ELc67ELc78ELc85ELb0ELb0EfPKfPKS1_PKPfEviT_T9_T10_S7_lS9_S7_lS8_T11_S7_li, .Lfunc_end438-_ZL29rocblas_internal_gemmt_kernelIlLi16ELi32ELi8ELc67ELc78ELc85ELb0ELb0EfPKfPKS1_PKPfEviT_T9_T10_S7_lS9_S7_lS8_T11_S7_li
                                        ; -- End function
	.set _ZL29rocblas_internal_gemmt_kernelIlLi16ELi32ELi8ELc67ELc78ELc85ELb0ELb0EfPKfPKS1_PKPfEviT_T9_T10_S7_lS9_S7_lS8_T11_S7_li.num_vgpr, 58
	.set _ZL29rocblas_internal_gemmt_kernelIlLi16ELi32ELi8ELc67ELc78ELc85ELb0ELb0EfPKfPKS1_PKPfEviT_T9_T10_S7_lS9_S7_lS8_T11_S7_li.num_agpr, 0
	.set _ZL29rocblas_internal_gemmt_kernelIlLi16ELi32ELi8ELc67ELc78ELc85ELb0ELb0EfPKfPKS1_PKPfEviT_T9_T10_S7_lS9_S7_lS8_T11_S7_li.numbered_sgpr, 36
	.set _ZL29rocblas_internal_gemmt_kernelIlLi16ELi32ELi8ELc67ELc78ELc85ELb0ELb0EfPKfPKS1_PKPfEviT_T9_T10_S7_lS9_S7_lS8_T11_S7_li.num_named_barrier, 0
	.set _ZL29rocblas_internal_gemmt_kernelIlLi16ELi32ELi8ELc67ELc78ELc85ELb0ELb0EfPKfPKS1_PKPfEviT_T9_T10_S7_lS9_S7_lS8_T11_S7_li.private_seg_size, 0
	.set _ZL29rocblas_internal_gemmt_kernelIlLi16ELi32ELi8ELc67ELc78ELc85ELb0ELb0EfPKfPKS1_PKPfEviT_T9_T10_S7_lS9_S7_lS8_T11_S7_li.uses_vcc, 1
	.set _ZL29rocblas_internal_gemmt_kernelIlLi16ELi32ELi8ELc67ELc78ELc85ELb0ELb0EfPKfPKS1_PKPfEviT_T9_T10_S7_lS9_S7_lS8_T11_S7_li.uses_flat_scratch, 0
	.set _ZL29rocblas_internal_gemmt_kernelIlLi16ELi32ELi8ELc67ELc78ELc85ELb0ELb0EfPKfPKS1_PKPfEviT_T9_T10_S7_lS9_S7_lS8_T11_S7_li.has_dyn_sized_stack, 0
	.set _ZL29rocblas_internal_gemmt_kernelIlLi16ELi32ELi8ELc67ELc78ELc85ELb0ELb0EfPKfPKS1_PKPfEviT_T9_T10_S7_lS9_S7_lS8_T11_S7_li.has_recursion, 0
	.set _ZL29rocblas_internal_gemmt_kernelIlLi16ELi32ELi8ELc67ELc78ELc85ELb0ELb0EfPKfPKS1_PKPfEviT_T9_T10_S7_lS9_S7_lS8_T11_S7_li.has_indirect_call, 0
	.section	.AMDGPU.csdata,"",@progbits
; Kernel info:
; codeLenInByte = 1924
; TotalNumSgprs: 38
; NumVgprs: 58
; ScratchSize: 0
; MemoryBound: 0
; FloatMode: 240
; IeeeMode: 1
; LDSByteSize: 2048 bytes/workgroup (compile time only)
; SGPRBlocks: 0
; VGPRBlocks: 7
; NumSGPRsForWavesPerEU: 38
; NumVGPRsForWavesPerEU: 58
; Occupancy: 16
; WaveLimiterHint : 1
; COMPUTE_PGM_RSRC2:SCRATCH_EN: 0
; COMPUTE_PGM_RSRC2:USER_SGPR: 2
; COMPUTE_PGM_RSRC2:TRAP_HANDLER: 0
; COMPUTE_PGM_RSRC2:TGID_X_EN: 1
; COMPUTE_PGM_RSRC2:TGID_Y_EN: 1
; COMPUTE_PGM_RSRC2:TGID_Z_EN: 1
; COMPUTE_PGM_RSRC2:TIDIG_COMP_CNT: 1
	.section	.text._ZL29rocblas_internal_gemmt_kernelIlLi16ELi32ELi8ELc67ELc84ELc85ELb0ELb0EfPKfPKS1_PKPfEviT_T9_T10_S7_lS9_S7_lS8_T11_S7_li,"axG",@progbits,_ZL29rocblas_internal_gemmt_kernelIlLi16ELi32ELi8ELc67ELc84ELc85ELb0ELb0EfPKfPKS1_PKPfEviT_T9_T10_S7_lS9_S7_lS8_T11_S7_li,comdat
	.globl	_ZL29rocblas_internal_gemmt_kernelIlLi16ELi32ELi8ELc67ELc84ELc85ELb0ELb0EfPKfPKS1_PKPfEviT_T9_T10_S7_lS9_S7_lS8_T11_S7_li ; -- Begin function _ZL29rocblas_internal_gemmt_kernelIlLi16ELi32ELi8ELc67ELc84ELc85ELb0ELb0EfPKfPKS1_PKPfEviT_T9_T10_S7_lS9_S7_lS8_T11_S7_li
	.p2align	8
	.type	_ZL29rocblas_internal_gemmt_kernelIlLi16ELi32ELi8ELc67ELc84ELc85ELb0ELb0EfPKfPKS1_PKPfEviT_T9_T10_S7_lS9_S7_lS8_T11_S7_li,@function
_ZL29rocblas_internal_gemmt_kernelIlLi16ELi32ELi8ELc67ELc84ELc85ELb0ELb0EfPKfPKS1_PKPfEviT_T9_T10_S7_lS9_S7_lS8_T11_S7_li: ; @_ZL29rocblas_internal_gemmt_kernelIlLi16ELi32ELi8ELc67ELc84ELc85ELb0ELb0EfPKfPKS1_PKPfEviT_T9_T10_S7_lS9_S7_lS8_T11_S7_li
; %bb.0:
	s_clause 0x1
	s_load_b256 s[24:31], s[0:1], 0x48
	s_load_b512 s[8:23], s[0:1], 0x8
	s_wait_kmcnt 0x0
	s_load_b32 s24, s[24:25], 0x0
	s_load_b32 s25, s[10:11], 0x0
	s_wait_kmcnt 0x0
	s_cmp_neq_f32 s24, 1.0
	s_cselect_b32 s2, -1, 0
	s_delay_alu instid0(SALU_CYCLE_1)
	s_and_b32 vcc_lo, exec_lo, s2
	s_cbranch_vccnz .LBB439_2
; %bb.1:
	s_cmp_lg_u64 s[8:9], 0
	s_cselect_b32 s2, -1, 0
	s_cmp_neq_f32 s25, 0
	s_cselect_b32 s3, -1, 0
	s_delay_alu instid0(SALU_CYCLE_1)
	s_and_b32 s2, s2, s3
.LBB439_2:
	s_delay_alu instid0(SALU_CYCLE_1)
	s_and_not1_b32 vcc_lo, exec_lo, s2
	s_cbranch_vccnz .LBB439_35
; %bb.3:
	s_load_b32 s33, s[0:1], 0x68
	s_lshr_b32 s6, ttmp7, 16
	s_wait_kmcnt 0x0
	s_cmp_ge_u32 s6, s33
	s_cbranch_scc1 .LBB439_35
; %bb.4:
	v_and_b32_e32 v2, 0x3ff, v0
	v_bfe_u32 v5, v0, 10, 10
	s_load_b32 s3, s[0:1], 0x0
	s_lshl_b32 s0, ttmp7, 5
	v_and_b32_e32 v14, 7, v0
	s_and_b32 s1, s0, 0x1fffe0
	v_lshl_add_u32 v0, v5, 4, v2
	v_add_nc_u32_e32 v20, s1, v5
	s_lshl_b32 s2, ttmp9, 5
	s_cmp_neq_f32 s25, 0
	v_cmp_gt_i64_e64 s10, s[8:9], 0
	v_lshrrev_b32_e32 v4, 3, v0
	v_mad_co_u64_u32 v[8:9], null, s28, v20, 0
	v_and_b32_e32 v1, 31, v0
	v_lshrrev_b32_e32 v15, 5, v0
	v_add_nc_u32_e32 v21, 16, v20
	s_cselect_b32 s11, -1, 0
	s_ashr_i32 s4, s2, 31
	v_or_b32_e32 v6, s2, v1
	v_add_nc_u32_e32 v13, s1, v4
	s_mul_i32 s1, s14, s4
	v_mad_co_u64_u32 v[10:11], null, s28, v21, 0
	s_wait_kmcnt 0x0
	v_cmp_gt_i32_e64 s0, s3, v6
	v_mul_lo_u32 v0, s15, v6
	v_mad_co_u64_u32 v[6:7], null, s14, v6, 0
	v_lshlrev_b32_e32 v3, 2, v14
	v_cmp_gt_i32_e32 vcc_lo, s3, v20
	s_cmp_neq_f32 s24, 0
	v_lshl_add_u32 v19, v5, 5, 0x400
	s_mov_b32 s7, 0
	v_lshl_or_b32 v3, v4, 5, v3
	s_wait_alu 0xfffe
	v_add3_u32 v7, v7, s1, v0
	v_dual_mov_b32 v0, v9 :: v_dual_lshlrev_b32 v1, 2, v1
	v_cmp_gt_i32_e64 s1, s3, v13
	v_add_nc_u32_e32 v17, 0x400, v3
	s_cselect_b32 s28, -1, 0
	v_cmp_gt_i32_e64 s3, s3, v21
	v_lshl_or_b32 v16, v15, 7, v1
	v_dual_mov_b32 v1, 0 :: v_dual_lshlrev_b32 v18, 2, v2
	v_add_nc_u32_e32 v2, s2, v2
	v_lshlrev_b64_e32 v[6:7], 2, v[6:7]
	s_and_b32 s37, s11, s10
	s_delay_alu instid0(VALU_DEP_3)
	v_mad_co_u64_u32 v[3:4], null, s29, v20, v[0:1]
	v_mov_b32_e32 v0, v11
	v_cmp_le_i32_e64 s2, v2, v20
	v_add_nc_u32_e32 v4, 16, v2
	v_cmp_le_i32_e64 s4, v2, v21
	s_lshl_b64 s[10:11], s[30:31], 2
	v_mad_co_u64_u32 v[11:12], null, s29, v21, v[0:1]
	v_mov_b32_e32 v9, v3
	s_and_b32 s34, vcc_lo, s2
	v_cmp_le_i32_e64 s2, v4, v20
	v_cmp_le_i32_e64 s5, v4, v21
	v_ashrrev_i32_e32 v3, 31, v2
	v_lshlrev_b64_e32 v[8:9], 2, v[8:9]
	v_lshlrev_b64_e32 v[10:11], 2, v[10:11]
	v_ashrrev_i32_e32 v5, 31, v4
	v_lshlrev_b32_e32 v20, 2, v13
	s_and_b32 s29, vcc_lo, s2
	s_and_b32 s35, s3, s4
	s_and_b32 s36, s3, s5
	s_lshl_b64 s[2:3], s[22:23], 2
	s_lshl_b64 s[4:5], s[16:17], 2
	s_branch .LBB439_6
.LBB439_5:                              ;   in Loop: Header=BB439_6 Depth=1
	s_wait_alu 0xfffe
	s_or_b32 exec_lo, exec_lo, s14
	s_add_co_i32 s6, s6, 0x10000
	s_delay_alu instid0(SALU_CYCLE_1)
	s_cmp_lt_u32 s6, s33
	s_cbranch_scc0 .LBB439_35
.LBB439_6:                              ; =>This Loop Header: Depth=1
                                        ;     Child Loop BB439_9 Depth 2
	s_lshl_b64 s[14:15], s[6:7], 3
	v_dual_mov_b32 v24, v1 :: v_dual_mov_b32 v23, v1
	s_wait_alu 0xfffe
	s_add_nc_u64 s[16:17], s[26:27], s[14:15]
	v_dual_mov_b32 v22, v1 :: v_dual_mov_b32 v21, v1
	global_load_b64 v[12:13], v1, s[16:17]
	s_and_not1_b32 vcc_lo, exec_lo, s37
	s_wait_alu 0xfffe
	s_cbranch_vccnz .LBB439_15
; %bb.7:                                ;   in Loop: Header=BB439_6 Depth=1
	s_add_nc_u64 s[16:17], s[12:13], s[14:15]
	s_add_nc_u64 s[14:15], s[18:19], s[14:15]
	s_clause 0x1
	global_load_b64 v[24:25], v1, s[16:17]
	global_load_b64 v[26:27], v1, s[14:15]
	v_dual_mov_b32 v21, 0 :: v_dual_mov_b32 v22, 0
	v_mov_b32_e32 v23, 0
	s_mov_b64 s[14:15], 0
	s_wait_loadcnt 0x1
	v_add_co_u32 v0, vcc_lo, v24, s4
	s_wait_alu 0xfffd
	v_add_co_ci_u32_e64 v24, null, s5, v25, vcc_lo
	s_wait_loadcnt 0x0
	v_add_co_u32 v28, vcc_lo, v26, s2
	s_wait_alu 0xfffd
	v_add_co_ci_u32_e64 v29, null, s3, v27, vcc_lo
	v_add_co_u32 v25, vcc_lo, v0, v6
	s_wait_alu 0xfffd
	v_add_co_ci_u32_e64 v26, null, v24, v7, vcc_lo
	;; [unrolled: 3-line block ×3, first 2 shown]
	v_mov_b32_e32 v24, 0
	s_branch .LBB439_9
.LBB439_8:                              ;   in Loop: Header=BB439_9 Depth=2
	s_or_b32 exec_lo, exec_lo, s16
	s_wait_loadcnt_dscnt 0x0
	ds_store_b32 v17, v30
	s_wait_dscnt 0x0
	s_barrier_signal -1
	s_barrier_wait -1
	global_inv scope:SCOPE_SE
	ds_load_b128 v[29:32], v19
	ds_load_2addr_b32 v[45:46], v18 offset1:16
	ds_load_b128 v[33:36], v19 offset:512
	ds_load_2addr_b32 v[47:48], v18 offset0:32 offset1:48
	ds_load_2addr_b32 v[49:50], v18 offset0:64 offset1:80
	;; [unrolled: 1-line block ×3, first 2 shown]
	ds_load_b128 v[37:40], v19 offset:16
	ds_load_2addr_b32 v[53:54], v18 offset0:128 offset1:144
	ds_load_b128 v[41:44], v19 offset:528
	ds_load_2addr_b32 v[55:56], v18 offset0:160 offset1:176
	s_add_nc_u64 s[14:15], s[14:15], 8
	s_wait_alu 0xfffe
	v_cmp_gt_i64_e64 s16, s[8:9], s[14:15]
	s_and_b32 vcc_lo, exec_lo, s16
	s_wait_dscnt 0x8
	v_fmac_f32_e32 v23, v46, v29
	v_fmac_f32_e32 v24, v45, v29
	s_wait_dscnt 0x7
	v_fmac_f32_e32 v21, v46, v33
	v_fmac_f32_e32 v22, v45, v33
	ds_load_2addr_b32 v[45:46], v18 offset0:192 offset1:208
	s_wait_dscnt 0x7
	v_fmac_f32_e32 v23, v48, v30
	v_fmac_f32_e32 v24, v47, v30
	;; [unrolled: 1-line block ×4, first 2 shown]
	ds_load_2addr_b32 v[29:30], v18 offset0:224 offset1:240
	s_wait_dscnt 0x7
	v_fmac_f32_e32 v23, v50, v31
	v_fmac_f32_e32 v24, v49, v31
	;; [unrolled: 1-line block ×4, first 2 shown]
	s_wait_loadcnt_dscnt 0x0
	v_fmac_f32_e32 v23, v52, v32
	v_fmac_f32_e32 v24, v51, v32
	;; [unrolled: 1-line block ×4, first 2 shown]
	s_barrier_signal -1
	v_fmac_f32_e32 v23, v54, v37
	v_fmac_f32_e32 v24, v53, v37
	;; [unrolled: 1-line block ×4, first 2 shown]
	s_barrier_wait -1
	v_fmac_f32_e32 v23, v56, v38
	v_fmac_f32_e32 v24, v55, v38
	;; [unrolled: 1-line block ×4, first 2 shown]
	global_inv scope:SCOPE_SE
	v_fmac_f32_e32 v23, v46, v39
	v_fmac_f32_e32 v24, v45, v39
	;; [unrolled: 1-line block ×3, first 2 shown]
	s_delay_alu instid0(VALU_DEP_3) | instskip(NEXT) | instid1(VALU_DEP_3)
	v_dual_fmac_f32 v22, v45, v43 :: v_dual_fmac_f32 v23, v30, v40
	v_fmac_f32_e32 v24, v29, v40
	s_delay_alu instid0(VALU_DEP_3) | instskip(NEXT) | instid1(VALU_DEP_3)
	v_fmac_f32_e32 v21, v30, v44
	v_fmac_f32_e32 v22, v29, v44
	s_wait_alu 0xfffe
	s_cbranch_vccz .LBB439_15
.LBB439_9:                              ;   Parent Loop BB439_6 Depth=1
                                        ; =>  This Inner Loop Header: Depth=2
	v_mov_b32_e32 v29, 0
	s_and_saveexec_b32 s16, s0
	s_cbranch_execz .LBB439_13
; %bb.10:                               ;   in Loop: Header=BB439_9 Depth=2
	s_wait_alu 0xfffe
	v_dual_mov_b32 v29, 0 :: v_dual_add_nc_u32 v0, s14, v15
	s_mov_b32 s17, exec_lo
	s_delay_alu instid0(VALU_DEP_1)
	v_cmpx_gt_u64_e64 s[8:9], v[0:1]
	s_cbranch_execz .LBB439_12
; %bb.11:                               ;   in Loop: Header=BB439_9 Depth=2
	v_lshlrev_b64_e32 v[29:30], 2, v[0:1]
	s_delay_alu instid0(VALU_DEP_1) | instskip(SKIP_1) | instid1(VALU_DEP_2)
	v_add_co_u32 v29, vcc_lo, v25, v29
	s_wait_alu 0xfffd
	v_add_co_ci_u32_e64 v30, null, v26, v30, vcc_lo
	flat_load_b32 v29, v[29:30]
.LBB439_12:                             ;   in Loop: Header=BB439_9 Depth=2
	s_or_b32 exec_lo, exec_lo, s17
.LBB439_13:                             ;   in Loop: Header=BB439_9 Depth=2
	s_delay_alu instid0(SALU_CYCLE_1)
	s_or_b32 exec_lo, exec_lo, s16
	s_wait_alu 0xfffe
	v_add_nc_u32_e32 v0, s14, v14
	v_mov_b32_e32 v30, 0
	s_wait_loadcnt_dscnt 0x0
	ds_store_b32 v16, v29
	v_cmp_gt_u64_e32 vcc_lo, s[8:9], v[0:1]
	s_and_b32 s17, vcc_lo, s1
	s_delay_alu instid0(SALU_CYCLE_1)
	s_and_saveexec_b32 s16, s17
	s_cbranch_execz .LBB439_8
; %bb.14:                               ;   in Loop: Header=BB439_9 Depth=2
	v_mad_co_u64_u32 v[29:30], null, s20, v0, 0
	s_delay_alu instid0(VALU_DEP_1) | instskip(NEXT) | instid1(VALU_DEP_1)
	v_mad_co_u64_u32 v[30:31], null, s21, v0, v[30:31]
	v_lshlrev_b64_e32 v[29:30], 2, v[29:30]
	s_delay_alu instid0(VALU_DEP_1) | instskip(SKIP_1) | instid1(VALU_DEP_2)
	v_add_co_u32 v29, vcc_lo, v27, v29
	s_wait_alu 0xfffd
	v_add_co_ci_u32_e64 v30, null, v28, v30, vcc_lo
	flat_load_b32 v30, v[29:30]
	s_branch .LBB439_8
.LBB439_15:                             ;   in Loop: Header=BB439_6 Depth=1
	s_wait_loadcnt 0x0
	v_add_co_u32 v0, vcc_lo, v12, s10
	s_wait_alu 0xfffd
	v_add_co_ci_u32_e64 v12, null, s11, v13, vcc_lo
	s_delay_alu instid0(VALU_DEP_2) | instskip(SKIP_1) | instid1(VALU_DEP_2)
	v_add_co_u32 v13, vcc_lo, v0, v8
	s_wait_alu 0xfffd
	v_add_co_ci_u32_e64 v25, null, v12, v9, vcc_lo
	s_and_saveexec_b32 s14, s34
	s_cbranch_execz .LBB439_19
; %bb.16:                               ;   in Loop: Header=BB439_6 Depth=1
	v_mul_f32_e32 v24, s25, v24
	s_and_b32 vcc_lo, exec_lo, s28
	s_wait_alu 0xfffe
	s_cbranch_vccz .LBB439_30
; %bb.17:                               ;   in Loop: Header=BB439_6 Depth=1
	v_lshlrev_b64_e32 v[26:27], 2, v[2:3]
	s_delay_alu instid0(VALU_DEP_1) | instskip(SKIP_1) | instid1(VALU_DEP_2)
	v_add_co_u32 v26, vcc_lo, v13, v26
	s_wait_alu 0xfffd
	v_add_co_ci_u32_e64 v27, null, v25, v27, vcc_lo
	flat_load_b32 v28, v[26:27]
	s_wait_loadcnt_dscnt 0x0
	v_fma_f32 v28, s24, v28, v24
	flat_store_b32 v[26:27], v28
	s_cbranch_execnz .LBB439_19
.LBB439_18:                             ;   in Loop: Header=BB439_6 Depth=1
	v_lshlrev_b64_e32 v[26:27], 2, v[2:3]
	s_delay_alu instid0(VALU_DEP_1) | instskip(SKIP_1) | instid1(VALU_DEP_2)
	v_add_co_u32 v26, vcc_lo, v13, v26
	s_wait_alu 0xfffd
	v_add_co_ci_u32_e64 v27, null, v25, v27, vcc_lo
	flat_store_b32 v[26:27], v24
.LBB439_19:                             ;   in Loop: Header=BB439_6 Depth=1
	s_wait_alu 0xfffe
	s_or_b32 exec_lo, exec_lo, s14
	s_and_saveexec_b32 s14, s29
	s_cbranch_execz .LBB439_23
; %bb.20:                               ;   in Loop: Header=BB439_6 Depth=1
	v_mul_f32_e32 v23, s25, v23
	s_and_not1_b32 vcc_lo, exec_lo, s28
	s_wait_alu 0xfffe
	s_cbranch_vccnz .LBB439_31
; %bb.21:                               ;   in Loop: Header=BB439_6 Depth=1
	v_lshlrev_b64_e32 v[26:27], 2, v[4:5]
	s_delay_alu instid0(VALU_DEP_1) | instskip(SKIP_1) | instid1(VALU_DEP_2)
	v_add_co_u32 v26, vcc_lo, v13, v26
	s_wait_alu 0xfffd
	v_add_co_ci_u32_e64 v27, null, v25, v27, vcc_lo
	flat_load_b32 v24, v[26:27]
	s_wait_loadcnt_dscnt 0x0
	v_fma_f32 v24, s24, v24, v23
	flat_store_b32 v[26:27], v24
	s_cbranch_execnz .LBB439_23
.LBB439_22:                             ;   in Loop: Header=BB439_6 Depth=1
	v_lshlrev_b64_e32 v[26:27], 2, v[4:5]
	s_delay_alu instid0(VALU_DEP_1) | instskip(SKIP_1) | instid1(VALU_DEP_2)
	v_add_co_u32 v24, vcc_lo, v13, v26
	s_wait_alu 0xfffd
	v_add_co_ci_u32_e64 v25, null, v25, v27, vcc_lo
	flat_store_b32 v[24:25], v23
.LBB439_23:                             ;   in Loop: Header=BB439_6 Depth=1
	s_wait_alu 0xfffe
	s_or_b32 exec_lo, exec_lo, s14
	v_add_co_u32 v0, vcc_lo, v0, v10
	s_wait_alu 0xfffd
	v_add_co_ci_u32_e64 v23, null, v12, v11, vcc_lo
	s_and_saveexec_b32 s14, s35
	s_cbranch_execz .LBB439_27
; %bb.24:                               ;   in Loop: Header=BB439_6 Depth=1
	v_lshlrev_b64_e32 v[12:13], 2, v[2:3]
	v_mul_f32_e32 v22, s25, v22
	s_and_not1_b32 vcc_lo, exec_lo, s28
	s_wait_alu 0xfffe
	s_cbranch_vccnz .LBB439_32
; %bb.25:                               ;   in Loop: Header=BB439_6 Depth=1
	s_delay_alu instid0(VALU_DEP_2)
	v_add_co_u32 v24, vcc_lo, v0, v12
	s_wait_alu 0xfffd
	v_add_co_ci_u32_e64 v25, null, v23, v13, vcc_lo
	flat_load_b32 v26, v[24:25]
	s_wait_loadcnt_dscnt 0x0
	v_fma_f32 v26, s24, v26, v22
	flat_store_b32 v[24:25], v26
	s_cbranch_execnz .LBB439_27
.LBB439_26:                             ;   in Loop: Header=BB439_6 Depth=1
	v_add_co_u32 v12, vcc_lo, v0, v12
	s_wait_alu 0xfffd
	v_add_co_ci_u32_e64 v13, null, v23, v13, vcc_lo
	flat_store_b32 v[12:13], v22
.LBB439_27:                             ;   in Loop: Header=BB439_6 Depth=1
	s_wait_alu 0xfffe
	s_or_b32 exec_lo, exec_lo, s14
	s_and_saveexec_b32 s14, s36
	s_cbranch_execz .LBB439_5
; %bb.28:                               ;   in Loop: Header=BB439_6 Depth=1
	v_lshlrev_b64_e32 v[12:13], 2, v[4:5]
	v_mul_f32_e32 v21, s25, v21
	s_and_not1_b32 vcc_lo, exec_lo, s28
	s_wait_alu 0xfffe
	s_cbranch_vccnz .LBB439_33
; %bb.29:                               ;   in Loop: Header=BB439_6 Depth=1
	s_delay_alu instid0(VALU_DEP_2)
	v_add_co_u32 v24, vcc_lo, v0, v12
	s_wait_alu 0xfffd
	v_add_co_ci_u32_e64 v25, null, v23, v13, vcc_lo
	flat_load_b32 v22, v[24:25]
	s_wait_loadcnt_dscnt 0x0
	v_fma_f32 v22, s24, v22, v21
	flat_store_b32 v[24:25], v22
	s_cbranch_execnz .LBB439_5
	s_branch .LBB439_34
.LBB439_30:                             ;   in Loop: Header=BB439_6 Depth=1
	s_branch .LBB439_18
.LBB439_31:                             ;   in Loop: Header=BB439_6 Depth=1
	s_branch .LBB439_22
.LBB439_32:                             ;   in Loop: Header=BB439_6 Depth=1
	s_branch .LBB439_26
.LBB439_33:                             ;   in Loop: Header=BB439_6 Depth=1
.LBB439_34:                             ;   in Loop: Header=BB439_6 Depth=1
	s_delay_alu instid0(VALU_DEP_2)
	v_add_co_u32 v12, vcc_lo, v0, v12
	s_wait_alu 0xfffd
	v_add_co_ci_u32_e64 v13, null, v23, v13, vcc_lo
	flat_store_b32 v[12:13], v21
	s_branch .LBB439_5
.LBB439_35:
	s_endpgm
	.section	.rodata,"a",@progbits
	.p2align	6, 0x0
	.amdhsa_kernel _ZL29rocblas_internal_gemmt_kernelIlLi16ELi32ELi8ELc67ELc84ELc85ELb0ELb0EfPKfPKS1_PKPfEviT_T9_T10_S7_lS9_S7_lS8_T11_S7_li
		.amdhsa_group_segment_fixed_size 2048
		.amdhsa_private_segment_fixed_size 0
		.amdhsa_kernarg_size 108
		.amdhsa_user_sgpr_count 2
		.amdhsa_user_sgpr_dispatch_ptr 0
		.amdhsa_user_sgpr_queue_ptr 0
		.amdhsa_user_sgpr_kernarg_segment_ptr 1
		.amdhsa_user_sgpr_dispatch_id 0
		.amdhsa_user_sgpr_private_segment_size 0
		.amdhsa_wavefront_size32 1
		.amdhsa_uses_dynamic_stack 0
		.amdhsa_enable_private_segment 0
		.amdhsa_system_sgpr_workgroup_id_x 1
		.amdhsa_system_sgpr_workgroup_id_y 1
		.amdhsa_system_sgpr_workgroup_id_z 1
		.amdhsa_system_sgpr_workgroup_info 0
		.amdhsa_system_vgpr_workitem_id 1
		.amdhsa_next_free_vgpr 57
		.amdhsa_next_free_sgpr 38
		.amdhsa_reserve_vcc 1
		.amdhsa_float_round_mode_32 0
		.amdhsa_float_round_mode_16_64 0
		.amdhsa_float_denorm_mode_32 3
		.amdhsa_float_denorm_mode_16_64 3
		.amdhsa_fp16_overflow 0
		.amdhsa_workgroup_processor_mode 1
		.amdhsa_memory_ordered 1
		.amdhsa_forward_progress 1
		.amdhsa_inst_pref_size 15
		.amdhsa_round_robin_scheduling 0
		.amdhsa_exception_fp_ieee_invalid_op 0
		.amdhsa_exception_fp_denorm_src 0
		.amdhsa_exception_fp_ieee_div_zero 0
		.amdhsa_exception_fp_ieee_overflow 0
		.amdhsa_exception_fp_ieee_underflow 0
		.amdhsa_exception_fp_ieee_inexact 0
		.amdhsa_exception_int_div_zero 0
	.end_amdhsa_kernel
	.section	.text._ZL29rocblas_internal_gemmt_kernelIlLi16ELi32ELi8ELc67ELc84ELc85ELb0ELb0EfPKfPKS1_PKPfEviT_T9_T10_S7_lS9_S7_lS8_T11_S7_li,"axG",@progbits,_ZL29rocblas_internal_gemmt_kernelIlLi16ELi32ELi8ELc67ELc84ELc85ELb0ELb0EfPKfPKS1_PKPfEviT_T9_T10_S7_lS9_S7_lS8_T11_S7_li,comdat
.Lfunc_end439:
	.size	_ZL29rocblas_internal_gemmt_kernelIlLi16ELi32ELi8ELc67ELc84ELc85ELb0ELb0EfPKfPKS1_PKPfEviT_T9_T10_S7_lS9_S7_lS8_T11_S7_li, .Lfunc_end439-_ZL29rocblas_internal_gemmt_kernelIlLi16ELi32ELi8ELc67ELc84ELc85ELb0ELb0EfPKfPKS1_PKPfEviT_T9_T10_S7_lS9_S7_lS8_T11_S7_li
                                        ; -- End function
	.set _ZL29rocblas_internal_gemmt_kernelIlLi16ELi32ELi8ELc67ELc84ELc85ELb0ELb0EfPKfPKS1_PKPfEviT_T9_T10_S7_lS9_S7_lS8_T11_S7_li.num_vgpr, 57
	.set _ZL29rocblas_internal_gemmt_kernelIlLi16ELi32ELi8ELc67ELc84ELc85ELb0ELb0EfPKfPKS1_PKPfEviT_T9_T10_S7_lS9_S7_lS8_T11_S7_li.num_agpr, 0
	.set _ZL29rocblas_internal_gemmt_kernelIlLi16ELi32ELi8ELc67ELc84ELc85ELb0ELb0EfPKfPKS1_PKPfEviT_T9_T10_S7_lS9_S7_lS8_T11_S7_li.numbered_sgpr, 38
	.set _ZL29rocblas_internal_gemmt_kernelIlLi16ELi32ELi8ELc67ELc84ELc85ELb0ELb0EfPKfPKS1_PKPfEviT_T9_T10_S7_lS9_S7_lS8_T11_S7_li.num_named_barrier, 0
	.set _ZL29rocblas_internal_gemmt_kernelIlLi16ELi32ELi8ELc67ELc84ELc85ELb0ELb0EfPKfPKS1_PKPfEviT_T9_T10_S7_lS9_S7_lS8_T11_S7_li.private_seg_size, 0
	.set _ZL29rocblas_internal_gemmt_kernelIlLi16ELi32ELi8ELc67ELc84ELc85ELb0ELb0EfPKfPKS1_PKPfEviT_T9_T10_S7_lS9_S7_lS8_T11_S7_li.uses_vcc, 1
	.set _ZL29rocblas_internal_gemmt_kernelIlLi16ELi32ELi8ELc67ELc84ELc85ELb0ELb0EfPKfPKS1_PKPfEviT_T9_T10_S7_lS9_S7_lS8_T11_S7_li.uses_flat_scratch, 0
	.set _ZL29rocblas_internal_gemmt_kernelIlLi16ELi32ELi8ELc67ELc84ELc85ELb0ELb0EfPKfPKS1_PKPfEviT_T9_T10_S7_lS9_S7_lS8_T11_S7_li.has_dyn_sized_stack, 0
	.set _ZL29rocblas_internal_gemmt_kernelIlLi16ELi32ELi8ELc67ELc84ELc85ELb0ELb0EfPKfPKS1_PKPfEviT_T9_T10_S7_lS9_S7_lS8_T11_S7_li.has_recursion, 0
	.set _ZL29rocblas_internal_gemmt_kernelIlLi16ELi32ELi8ELc67ELc84ELc85ELb0ELb0EfPKfPKS1_PKPfEviT_T9_T10_S7_lS9_S7_lS8_T11_S7_li.has_indirect_call, 0
	.section	.AMDGPU.csdata,"",@progbits
; Kernel info:
; codeLenInByte = 1904
; TotalNumSgprs: 40
; NumVgprs: 57
; ScratchSize: 0
; MemoryBound: 0
; FloatMode: 240
; IeeeMode: 1
; LDSByteSize: 2048 bytes/workgroup (compile time only)
; SGPRBlocks: 0
; VGPRBlocks: 7
; NumSGPRsForWavesPerEU: 40
; NumVGPRsForWavesPerEU: 57
; Occupancy: 16
; WaveLimiterHint : 1
; COMPUTE_PGM_RSRC2:SCRATCH_EN: 0
; COMPUTE_PGM_RSRC2:USER_SGPR: 2
; COMPUTE_PGM_RSRC2:TRAP_HANDLER: 0
; COMPUTE_PGM_RSRC2:TGID_X_EN: 1
; COMPUTE_PGM_RSRC2:TGID_Y_EN: 1
; COMPUTE_PGM_RSRC2:TGID_Z_EN: 1
; COMPUTE_PGM_RSRC2:TIDIG_COMP_CNT: 1
	.section	.text._ZL29rocblas_internal_gemmt_kernelIlLi16ELi32ELi8ELc67ELc67ELc85ELb0ELb0EfPKfPKS1_PKPfEviT_T9_T10_S7_lS9_S7_lS8_T11_S7_li,"axG",@progbits,_ZL29rocblas_internal_gemmt_kernelIlLi16ELi32ELi8ELc67ELc67ELc85ELb0ELb0EfPKfPKS1_PKPfEviT_T9_T10_S7_lS9_S7_lS8_T11_S7_li,comdat
	.globl	_ZL29rocblas_internal_gemmt_kernelIlLi16ELi32ELi8ELc67ELc67ELc85ELb0ELb0EfPKfPKS1_PKPfEviT_T9_T10_S7_lS9_S7_lS8_T11_S7_li ; -- Begin function _ZL29rocblas_internal_gemmt_kernelIlLi16ELi32ELi8ELc67ELc67ELc85ELb0ELb0EfPKfPKS1_PKPfEviT_T9_T10_S7_lS9_S7_lS8_T11_S7_li
	.p2align	8
	.type	_ZL29rocblas_internal_gemmt_kernelIlLi16ELi32ELi8ELc67ELc67ELc85ELb0ELb0EfPKfPKS1_PKPfEviT_T9_T10_S7_lS9_S7_lS8_T11_S7_li,@function
_ZL29rocblas_internal_gemmt_kernelIlLi16ELi32ELi8ELc67ELc67ELc85ELb0ELb0EfPKfPKS1_PKPfEviT_T9_T10_S7_lS9_S7_lS8_T11_S7_li: ; @_ZL29rocblas_internal_gemmt_kernelIlLi16ELi32ELi8ELc67ELc67ELc85ELb0ELb0EfPKfPKS1_PKPfEviT_T9_T10_S7_lS9_S7_lS8_T11_S7_li
; %bb.0:
	s_clause 0x1
	s_load_b256 s[24:31], s[0:1], 0x48
	s_load_b512 s[8:23], s[0:1], 0x8
	s_wait_kmcnt 0x0
	s_load_b32 s24, s[24:25], 0x0
	s_load_b32 s25, s[10:11], 0x0
	s_wait_kmcnt 0x0
	s_cmp_neq_f32 s24, 1.0
	s_cselect_b32 s2, -1, 0
	s_delay_alu instid0(SALU_CYCLE_1)
	s_and_b32 vcc_lo, exec_lo, s2
	s_cbranch_vccnz .LBB440_2
; %bb.1:
	s_cmp_lg_u64 s[8:9], 0
	s_cselect_b32 s2, -1, 0
	s_cmp_neq_f32 s25, 0
	s_cselect_b32 s3, -1, 0
	s_delay_alu instid0(SALU_CYCLE_1)
	s_and_b32 s2, s2, s3
.LBB440_2:
	s_delay_alu instid0(SALU_CYCLE_1)
	s_and_not1_b32 vcc_lo, exec_lo, s2
	s_cbranch_vccnz .LBB440_35
; %bb.3:
	s_load_b32 s33, s[0:1], 0x68
	s_lshr_b32 s6, ttmp7, 16
	s_wait_kmcnt 0x0
	s_cmp_ge_u32 s6, s33
	s_cbranch_scc1 .LBB440_35
; %bb.4:
	v_and_b32_e32 v2, 0x3ff, v0
	v_bfe_u32 v5, v0, 10, 10
	s_load_b32 s3, s[0:1], 0x0
	s_lshl_b32 s0, ttmp7, 5
	v_and_b32_e32 v14, 7, v0
	s_and_b32 s1, s0, 0x1fffe0
	v_lshl_add_u32 v0, v5, 4, v2
	v_add_nc_u32_e32 v20, s1, v5
	s_lshl_b32 s2, ttmp9, 5
	s_cmp_neq_f32 s25, 0
	v_cmp_gt_i64_e64 s10, s[8:9], 0
	v_lshrrev_b32_e32 v4, 3, v0
	v_mad_co_u64_u32 v[8:9], null, s28, v20, 0
	v_and_b32_e32 v1, 31, v0
	v_lshrrev_b32_e32 v15, 5, v0
	v_add_nc_u32_e32 v21, 16, v20
	s_cselect_b32 s11, -1, 0
	s_ashr_i32 s4, s2, 31
	v_or_b32_e32 v6, s2, v1
	v_add_nc_u32_e32 v13, s1, v4
	s_mul_i32 s1, s14, s4
	v_mad_co_u64_u32 v[10:11], null, s28, v21, 0
	s_wait_kmcnt 0x0
	v_cmp_gt_i32_e64 s0, s3, v6
	v_mul_lo_u32 v0, s15, v6
	v_mad_co_u64_u32 v[6:7], null, s14, v6, 0
	v_lshlrev_b32_e32 v3, 2, v14
	v_cmp_gt_i32_e32 vcc_lo, s3, v20
	s_cmp_neq_f32 s24, 0
	v_lshl_add_u32 v19, v5, 5, 0x400
	s_mov_b32 s7, 0
	v_lshl_or_b32 v3, v4, 5, v3
	s_wait_alu 0xfffe
	v_add3_u32 v7, v7, s1, v0
	v_dual_mov_b32 v0, v9 :: v_dual_lshlrev_b32 v1, 2, v1
	v_cmp_gt_i32_e64 s1, s3, v13
	v_add_nc_u32_e32 v17, 0x400, v3
	s_cselect_b32 s28, -1, 0
	v_cmp_gt_i32_e64 s3, s3, v21
	v_lshl_or_b32 v16, v15, 7, v1
	v_dual_mov_b32 v1, 0 :: v_dual_lshlrev_b32 v18, 2, v2
	v_add_nc_u32_e32 v2, s2, v2
	v_lshlrev_b64_e32 v[6:7], 2, v[6:7]
	s_and_b32 s37, s11, s10
	s_delay_alu instid0(VALU_DEP_3)
	v_mad_co_u64_u32 v[3:4], null, s29, v20, v[0:1]
	v_mov_b32_e32 v0, v11
	v_cmp_le_i32_e64 s2, v2, v20
	v_add_nc_u32_e32 v4, 16, v2
	v_cmp_le_i32_e64 s4, v2, v21
	s_lshl_b64 s[10:11], s[30:31], 2
	v_mad_co_u64_u32 v[11:12], null, s29, v21, v[0:1]
	v_mov_b32_e32 v9, v3
	s_and_b32 s34, vcc_lo, s2
	v_cmp_le_i32_e64 s2, v4, v20
	v_cmp_le_i32_e64 s5, v4, v21
	v_ashrrev_i32_e32 v3, 31, v2
	v_lshlrev_b64_e32 v[8:9], 2, v[8:9]
	v_lshlrev_b64_e32 v[10:11], 2, v[10:11]
	v_ashrrev_i32_e32 v5, 31, v4
	v_lshlrev_b32_e32 v20, 2, v13
	s_and_b32 s29, vcc_lo, s2
	s_and_b32 s35, s3, s4
	s_and_b32 s36, s3, s5
	s_lshl_b64 s[2:3], s[22:23], 2
	s_lshl_b64 s[4:5], s[16:17], 2
	s_branch .LBB440_6
.LBB440_5:                              ;   in Loop: Header=BB440_6 Depth=1
	s_wait_alu 0xfffe
	s_or_b32 exec_lo, exec_lo, s14
	s_add_co_i32 s6, s6, 0x10000
	s_delay_alu instid0(SALU_CYCLE_1)
	s_cmp_lt_u32 s6, s33
	s_cbranch_scc0 .LBB440_35
.LBB440_6:                              ; =>This Loop Header: Depth=1
                                        ;     Child Loop BB440_9 Depth 2
	s_lshl_b64 s[14:15], s[6:7], 3
	v_dual_mov_b32 v24, v1 :: v_dual_mov_b32 v23, v1
	s_wait_alu 0xfffe
	s_add_nc_u64 s[16:17], s[26:27], s[14:15]
	v_dual_mov_b32 v22, v1 :: v_dual_mov_b32 v21, v1
	global_load_b64 v[12:13], v1, s[16:17]
	s_and_not1_b32 vcc_lo, exec_lo, s37
	s_wait_alu 0xfffe
	s_cbranch_vccnz .LBB440_15
; %bb.7:                                ;   in Loop: Header=BB440_6 Depth=1
	s_add_nc_u64 s[16:17], s[12:13], s[14:15]
	s_add_nc_u64 s[14:15], s[18:19], s[14:15]
	s_clause 0x1
	global_load_b64 v[24:25], v1, s[16:17]
	global_load_b64 v[26:27], v1, s[14:15]
	v_dual_mov_b32 v21, 0 :: v_dual_mov_b32 v22, 0
	v_mov_b32_e32 v23, 0
	s_mov_b64 s[14:15], 0
	s_wait_loadcnt 0x1
	v_add_co_u32 v0, vcc_lo, v24, s4
	s_wait_alu 0xfffd
	v_add_co_ci_u32_e64 v24, null, s5, v25, vcc_lo
	s_wait_loadcnt 0x0
	v_add_co_u32 v28, vcc_lo, v26, s2
	s_wait_alu 0xfffd
	v_add_co_ci_u32_e64 v29, null, s3, v27, vcc_lo
	v_add_co_u32 v25, vcc_lo, v0, v6
	s_wait_alu 0xfffd
	v_add_co_ci_u32_e64 v26, null, v24, v7, vcc_lo
	;; [unrolled: 3-line block ×3, first 2 shown]
	v_mov_b32_e32 v24, 0
	s_branch .LBB440_9
.LBB440_8:                              ;   in Loop: Header=BB440_9 Depth=2
	s_or_b32 exec_lo, exec_lo, s16
	s_wait_loadcnt_dscnt 0x0
	ds_store_b32 v17, v30
	s_wait_dscnt 0x0
	s_barrier_signal -1
	s_barrier_wait -1
	global_inv scope:SCOPE_SE
	ds_load_b128 v[29:32], v19
	ds_load_2addr_b32 v[45:46], v18 offset1:16
	ds_load_b128 v[33:36], v19 offset:512
	ds_load_2addr_b32 v[47:48], v18 offset0:32 offset1:48
	ds_load_2addr_b32 v[49:50], v18 offset0:64 offset1:80
	;; [unrolled: 1-line block ×3, first 2 shown]
	ds_load_b128 v[37:40], v19 offset:16
	ds_load_2addr_b32 v[53:54], v18 offset0:128 offset1:144
	ds_load_b128 v[41:44], v19 offset:528
	ds_load_2addr_b32 v[55:56], v18 offset0:160 offset1:176
	s_add_nc_u64 s[14:15], s[14:15], 8
	s_wait_alu 0xfffe
	v_cmp_gt_i64_e64 s16, s[8:9], s[14:15]
	s_and_b32 vcc_lo, exec_lo, s16
	s_wait_dscnt 0x8
	v_fmac_f32_e32 v23, v46, v29
	v_fmac_f32_e32 v24, v45, v29
	s_wait_dscnt 0x7
	v_fmac_f32_e32 v21, v46, v33
	v_fmac_f32_e32 v22, v45, v33
	ds_load_2addr_b32 v[45:46], v18 offset0:192 offset1:208
	s_wait_dscnt 0x7
	v_fmac_f32_e32 v23, v48, v30
	v_fmac_f32_e32 v24, v47, v30
	v_fmac_f32_e32 v21, v48, v34
	v_fmac_f32_e32 v22, v47, v34
	ds_load_2addr_b32 v[29:30], v18 offset0:224 offset1:240
	s_wait_dscnt 0x7
	v_fmac_f32_e32 v23, v50, v31
	v_fmac_f32_e32 v24, v49, v31
	;; [unrolled: 1-line block ×4, first 2 shown]
	s_wait_loadcnt_dscnt 0x0
	v_fmac_f32_e32 v23, v52, v32
	v_fmac_f32_e32 v24, v51, v32
	;; [unrolled: 1-line block ×4, first 2 shown]
	s_barrier_signal -1
	v_fmac_f32_e32 v23, v54, v37
	v_fmac_f32_e32 v24, v53, v37
	;; [unrolled: 1-line block ×4, first 2 shown]
	s_barrier_wait -1
	v_fmac_f32_e32 v23, v56, v38
	v_fmac_f32_e32 v24, v55, v38
	;; [unrolled: 1-line block ×4, first 2 shown]
	global_inv scope:SCOPE_SE
	v_fmac_f32_e32 v23, v46, v39
	v_fmac_f32_e32 v24, v45, v39
	;; [unrolled: 1-line block ×3, first 2 shown]
	s_delay_alu instid0(VALU_DEP_3) | instskip(NEXT) | instid1(VALU_DEP_3)
	v_dual_fmac_f32 v22, v45, v43 :: v_dual_fmac_f32 v23, v30, v40
	v_fmac_f32_e32 v24, v29, v40
	s_delay_alu instid0(VALU_DEP_3) | instskip(NEXT) | instid1(VALU_DEP_3)
	v_fmac_f32_e32 v21, v30, v44
	v_fmac_f32_e32 v22, v29, v44
	s_wait_alu 0xfffe
	s_cbranch_vccz .LBB440_15
.LBB440_9:                              ;   Parent Loop BB440_6 Depth=1
                                        ; =>  This Inner Loop Header: Depth=2
	v_mov_b32_e32 v29, 0
	s_and_saveexec_b32 s16, s0
	s_cbranch_execz .LBB440_13
; %bb.10:                               ;   in Loop: Header=BB440_9 Depth=2
	s_wait_alu 0xfffe
	v_dual_mov_b32 v29, 0 :: v_dual_add_nc_u32 v0, s14, v15
	s_mov_b32 s17, exec_lo
	s_delay_alu instid0(VALU_DEP_1)
	v_cmpx_gt_u64_e64 s[8:9], v[0:1]
	s_cbranch_execz .LBB440_12
; %bb.11:                               ;   in Loop: Header=BB440_9 Depth=2
	v_lshlrev_b64_e32 v[29:30], 2, v[0:1]
	s_delay_alu instid0(VALU_DEP_1) | instskip(SKIP_1) | instid1(VALU_DEP_2)
	v_add_co_u32 v29, vcc_lo, v25, v29
	s_wait_alu 0xfffd
	v_add_co_ci_u32_e64 v30, null, v26, v30, vcc_lo
	flat_load_b32 v29, v[29:30]
.LBB440_12:                             ;   in Loop: Header=BB440_9 Depth=2
	s_or_b32 exec_lo, exec_lo, s17
.LBB440_13:                             ;   in Loop: Header=BB440_9 Depth=2
	s_delay_alu instid0(SALU_CYCLE_1)
	s_or_b32 exec_lo, exec_lo, s16
	s_wait_alu 0xfffe
	v_add_nc_u32_e32 v0, s14, v14
	v_mov_b32_e32 v30, 0
	s_wait_loadcnt_dscnt 0x0
	ds_store_b32 v16, v29
	v_cmp_gt_u64_e32 vcc_lo, s[8:9], v[0:1]
	s_and_b32 s17, vcc_lo, s1
	s_delay_alu instid0(SALU_CYCLE_1)
	s_and_saveexec_b32 s16, s17
	s_cbranch_execz .LBB440_8
; %bb.14:                               ;   in Loop: Header=BB440_9 Depth=2
	v_mad_co_u64_u32 v[29:30], null, s20, v0, 0
	s_delay_alu instid0(VALU_DEP_1) | instskip(NEXT) | instid1(VALU_DEP_1)
	v_mad_co_u64_u32 v[30:31], null, s21, v0, v[30:31]
	v_lshlrev_b64_e32 v[29:30], 2, v[29:30]
	s_delay_alu instid0(VALU_DEP_1) | instskip(SKIP_1) | instid1(VALU_DEP_2)
	v_add_co_u32 v29, vcc_lo, v27, v29
	s_wait_alu 0xfffd
	v_add_co_ci_u32_e64 v30, null, v28, v30, vcc_lo
	flat_load_b32 v30, v[29:30]
	s_branch .LBB440_8
.LBB440_15:                             ;   in Loop: Header=BB440_6 Depth=1
	s_wait_loadcnt 0x0
	v_add_co_u32 v0, vcc_lo, v12, s10
	s_wait_alu 0xfffd
	v_add_co_ci_u32_e64 v12, null, s11, v13, vcc_lo
	s_delay_alu instid0(VALU_DEP_2) | instskip(SKIP_1) | instid1(VALU_DEP_2)
	v_add_co_u32 v13, vcc_lo, v0, v8
	s_wait_alu 0xfffd
	v_add_co_ci_u32_e64 v25, null, v12, v9, vcc_lo
	s_and_saveexec_b32 s14, s34
	s_cbranch_execz .LBB440_19
; %bb.16:                               ;   in Loop: Header=BB440_6 Depth=1
	v_mul_f32_e32 v24, s25, v24
	s_and_b32 vcc_lo, exec_lo, s28
	s_wait_alu 0xfffe
	s_cbranch_vccz .LBB440_30
; %bb.17:                               ;   in Loop: Header=BB440_6 Depth=1
	v_lshlrev_b64_e32 v[26:27], 2, v[2:3]
	s_delay_alu instid0(VALU_DEP_1) | instskip(SKIP_1) | instid1(VALU_DEP_2)
	v_add_co_u32 v26, vcc_lo, v13, v26
	s_wait_alu 0xfffd
	v_add_co_ci_u32_e64 v27, null, v25, v27, vcc_lo
	flat_load_b32 v28, v[26:27]
	s_wait_loadcnt_dscnt 0x0
	v_fma_f32 v28, s24, v28, v24
	flat_store_b32 v[26:27], v28
	s_cbranch_execnz .LBB440_19
.LBB440_18:                             ;   in Loop: Header=BB440_6 Depth=1
	v_lshlrev_b64_e32 v[26:27], 2, v[2:3]
	s_delay_alu instid0(VALU_DEP_1) | instskip(SKIP_1) | instid1(VALU_DEP_2)
	v_add_co_u32 v26, vcc_lo, v13, v26
	s_wait_alu 0xfffd
	v_add_co_ci_u32_e64 v27, null, v25, v27, vcc_lo
	flat_store_b32 v[26:27], v24
.LBB440_19:                             ;   in Loop: Header=BB440_6 Depth=1
	s_wait_alu 0xfffe
	s_or_b32 exec_lo, exec_lo, s14
	s_and_saveexec_b32 s14, s29
	s_cbranch_execz .LBB440_23
; %bb.20:                               ;   in Loop: Header=BB440_6 Depth=1
	v_mul_f32_e32 v23, s25, v23
	s_and_not1_b32 vcc_lo, exec_lo, s28
	s_wait_alu 0xfffe
	s_cbranch_vccnz .LBB440_31
; %bb.21:                               ;   in Loop: Header=BB440_6 Depth=1
	v_lshlrev_b64_e32 v[26:27], 2, v[4:5]
	s_delay_alu instid0(VALU_DEP_1) | instskip(SKIP_1) | instid1(VALU_DEP_2)
	v_add_co_u32 v26, vcc_lo, v13, v26
	s_wait_alu 0xfffd
	v_add_co_ci_u32_e64 v27, null, v25, v27, vcc_lo
	flat_load_b32 v24, v[26:27]
	s_wait_loadcnt_dscnt 0x0
	v_fma_f32 v24, s24, v24, v23
	flat_store_b32 v[26:27], v24
	s_cbranch_execnz .LBB440_23
.LBB440_22:                             ;   in Loop: Header=BB440_6 Depth=1
	v_lshlrev_b64_e32 v[26:27], 2, v[4:5]
	s_delay_alu instid0(VALU_DEP_1) | instskip(SKIP_1) | instid1(VALU_DEP_2)
	v_add_co_u32 v24, vcc_lo, v13, v26
	s_wait_alu 0xfffd
	v_add_co_ci_u32_e64 v25, null, v25, v27, vcc_lo
	flat_store_b32 v[24:25], v23
.LBB440_23:                             ;   in Loop: Header=BB440_6 Depth=1
	s_wait_alu 0xfffe
	s_or_b32 exec_lo, exec_lo, s14
	v_add_co_u32 v0, vcc_lo, v0, v10
	s_wait_alu 0xfffd
	v_add_co_ci_u32_e64 v23, null, v12, v11, vcc_lo
	s_and_saveexec_b32 s14, s35
	s_cbranch_execz .LBB440_27
; %bb.24:                               ;   in Loop: Header=BB440_6 Depth=1
	v_lshlrev_b64_e32 v[12:13], 2, v[2:3]
	v_mul_f32_e32 v22, s25, v22
	s_and_not1_b32 vcc_lo, exec_lo, s28
	s_wait_alu 0xfffe
	s_cbranch_vccnz .LBB440_32
; %bb.25:                               ;   in Loop: Header=BB440_6 Depth=1
	s_delay_alu instid0(VALU_DEP_2)
	v_add_co_u32 v24, vcc_lo, v0, v12
	s_wait_alu 0xfffd
	v_add_co_ci_u32_e64 v25, null, v23, v13, vcc_lo
	flat_load_b32 v26, v[24:25]
	s_wait_loadcnt_dscnt 0x0
	v_fma_f32 v26, s24, v26, v22
	flat_store_b32 v[24:25], v26
	s_cbranch_execnz .LBB440_27
.LBB440_26:                             ;   in Loop: Header=BB440_6 Depth=1
	v_add_co_u32 v12, vcc_lo, v0, v12
	s_wait_alu 0xfffd
	v_add_co_ci_u32_e64 v13, null, v23, v13, vcc_lo
	flat_store_b32 v[12:13], v22
.LBB440_27:                             ;   in Loop: Header=BB440_6 Depth=1
	s_wait_alu 0xfffe
	s_or_b32 exec_lo, exec_lo, s14
	s_and_saveexec_b32 s14, s36
	s_cbranch_execz .LBB440_5
; %bb.28:                               ;   in Loop: Header=BB440_6 Depth=1
	v_lshlrev_b64_e32 v[12:13], 2, v[4:5]
	v_mul_f32_e32 v21, s25, v21
	s_and_not1_b32 vcc_lo, exec_lo, s28
	s_wait_alu 0xfffe
	s_cbranch_vccnz .LBB440_33
; %bb.29:                               ;   in Loop: Header=BB440_6 Depth=1
	s_delay_alu instid0(VALU_DEP_2)
	v_add_co_u32 v24, vcc_lo, v0, v12
	s_wait_alu 0xfffd
	v_add_co_ci_u32_e64 v25, null, v23, v13, vcc_lo
	flat_load_b32 v22, v[24:25]
	s_wait_loadcnt_dscnt 0x0
	v_fma_f32 v22, s24, v22, v21
	flat_store_b32 v[24:25], v22
	s_cbranch_execnz .LBB440_5
	s_branch .LBB440_34
.LBB440_30:                             ;   in Loop: Header=BB440_6 Depth=1
	s_branch .LBB440_18
.LBB440_31:                             ;   in Loop: Header=BB440_6 Depth=1
	s_branch .LBB440_22
.LBB440_32:                             ;   in Loop: Header=BB440_6 Depth=1
	s_branch .LBB440_26
.LBB440_33:                             ;   in Loop: Header=BB440_6 Depth=1
.LBB440_34:                             ;   in Loop: Header=BB440_6 Depth=1
	s_delay_alu instid0(VALU_DEP_2)
	v_add_co_u32 v12, vcc_lo, v0, v12
	s_wait_alu 0xfffd
	v_add_co_ci_u32_e64 v13, null, v23, v13, vcc_lo
	flat_store_b32 v[12:13], v21
	s_branch .LBB440_5
.LBB440_35:
	s_endpgm
	.section	.rodata,"a",@progbits
	.p2align	6, 0x0
	.amdhsa_kernel _ZL29rocblas_internal_gemmt_kernelIlLi16ELi32ELi8ELc67ELc67ELc85ELb0ELb0EfPKfPKS1_PKPfEviT_T9_T10_S7_lS9_S7_lS8_T11_S7_li
		.amdhsa_group_segment_fixed_size 2048
		.amdhsa_private_segment_fixed_size 0
		.amdhsa_kernarg_size 108
		.amdhsa_user_sgpr_count 2
		.amdhsa_user_sgpr_dispatch_ptr 0
		.amdhsa_user_sgpr_queue_ptr 0
		.amdhsa_user_sgpr_kernarg_segment_ptr 1
		.amdhsa_user_sgpr_dispatch_id 0
		.amdhsa_user_sgpr_private_segment_size 0
		.amdhsa_wavefront_size32 1
		.amdhsa_uses_dynamic_stack 0
		.amdhsa_enable_private_segment 0
		.amdhsa_system_sgpr_workgroup_id_x 1
		.amdhsa_system_sgpr_workgroup_id_y 1
		.amdhsa_system_sgpr_workgroup_id_z 1
		.amdhsa_system_sgpr_workgroup_info 0
		.amdhsa_system_vgpr_workitem_id 1
		.amdhsa_next_free_vgpr 57
		.amdhsa_next_free_sgpr 38
		.amdhsa_reserve_vcc 1
		.amdhsa_float_round_mode_32 0
		.amdhsa_float_round_mode_16_64 0
		.amdhsa_float_denorm_mode_32 3
		.amdhsa_float_denorm_mode_16_64 3
		.amdhsa_fp16_overflow 0
		.amdhsa_workgroup_processor_mode 1
		.amdhsa_memory_ordered 1
		.amdhsa_forward_progress 1
		.amdhsa_inst_pref_size 15
		.amdhsa_round_robin_scheduling 0
		.amdhsa_exception_fp_ieee_invalid_op 0
		.amdhsa_exception_fp_denorm_src 0
		.amdhsa_exception_fp_ieee_div_zero 0
		.amdhsa_exception_fp_ieee_overflow 0
		.amdhsa_exception_fp_ieee_underflow 0
		.amdhsa_exception_fp_ieee_inexact 0
		.amdhsa_exception_int_div_zero 0
	.end_amdhsa_kernel
	.section	.text._ZL29rocblas_internal_gemmt_kernelIlLi16ELi32ELi8ELc67ELc67ELc85ELb0ELb0EfPKfPKS1_PKPfEviT_T9_T10_S7_lS9_S7_lS8_T11_S7_li,"axG",@progbits,_ZL29rocblas_internal_gemmt_kernelIlLi16ELi32ELi8ELc67ELc67ELc85ELb0ELb0EfPKfPKS1_PKPfEviT_T9_T10_S7_lS9_S7_lS8_T11_S7_li,comdat
.Lfunc_end440:
	.size	_ZL29rocblas_internal_gemmt_kernelIlLi16ELi32ELi8ELc67ELc67ELc85ELb0ELb0EfPKfPKS1_PKPfEviT_T9_T10_S7_lS9_S7_lS8_T11_S7_li, .Lfunc_end440-_ZL29rocblas_internal_gemmt_kernelIlLi16ELi32ELi8ELc67ELc67ELc85ELb0ELb0EfPKfPKS1_PKPfEviT_T9_T10_S7_lS9_S7_lS8_T11_S7_li
                                        ; -- End function
	.set _ZL29rocblas_internal_gemmt_kernelIlLi16ELi32ELi8ELc67ELc67ELc85ELb0ELb0EfPKfPKS1_PKPfEviT_T9_T10_S7_lS9_S7_lS8_T11_S7_li.num_vgpr, 57
	.set _ZL29rocblas_internal_gemmt_kernelIlLi16ELi32ELi8ELc67ELc67ELc85ELb0ELb0EfPKfPKS1_PKPfEviT_T9_T10_S7_lS9_S7_lS8_T11_S7_li.num_agpr, 0
	.set _ZL29rocblas_internal_gemmt_kernelIlLi16ELi32ELi8ELc67ELc67ELc85ELb0ELb0EfPKfPKS1_PKPfEviT_T9_T10_S7_lS9_S7_lS8_T11_S7_li.numbered_sgpr, 38
	.set _ZL29rocblas_internal_gemmt_kernelIlLi16ELi32ELi8ELc67ELc67ELc85ELb0ELb0EfPKfPKS1_PKPfEviT_T9_T10_S7_lS9_S7_lS8_T11_S7_li.num_named_barrier, 0
	.set _ZL29rocblas_internal_gemmt_kernelIlLi16ELi32ELi8ELc67ELc67ELc85ELb0ELb0EfPKfPKS1_PKPfEviT_T9_T10_S7_lS9_S7_lS8_T11_S7_li.private_seg_size, 0
	.set _ZL29rocblas_internal_gemmt_kernelIlLi16ELi32ELi8ELc67ELc67ELc85ELb0ELb0EfPKfPKS1_PKPfEviT_T9_T10_S7_lS9_S7_lS8_T11_S7_li.uses_vcc, 1
	.set _ZL29rocblas_internal_gemmt_kernelIlLi16ELi32ELi8ELc67ELc67ELc85ELb0ELb0EfPKfPKS1_PKPfEviT_T9_T10_S7_lS9_S7_lS8_T11_S7_li.uses_flat_scratch, 0
	.set _ZL29rocblas_internal_gemmt_kernelIlLi16ELi32ELi8ELc67ELc67ELc85ELb0ELb0EfPKfPKS1_PKPfEviT_T9_T10_S7_lS9_S7_lS8_T11_S7_li.has_dyn_sized_stack, 0
	.set _ZL29rocblas_internal_gemmt_kernelIlLi16ELi32ELi8ELc67ELc67ELc85ELb0ELb0EfPKfPKS1_PKPfEviT_T9_T10_S7_lS9_S7_lS8_T11_S7_li.has_recursion, 0
	.set _ZL29rocblas_internal_gemmt_kernelIlLi16ELi32ELi8ELc67ELc67ELc85ELb0ELb0EfPKfPKS1_PKPfEviT_T9_T10_S7_lS9_S7_lS8_T11_S7_li.has_indirect_call, 0
	.section	.AMDGPU.csdata,"",@progbits
; Kernel info:
; codeLenInByte = 1904
; TotalNumSgprs: 40
; NumVgprs: 57
; ScratchSize: 0
; MemoryBound: 0
; FloatMode: 240
; IeeeMode: 1
; LDSByteSize: 2048 bytes/workgroup (compile time only)
; SGPRBlocks: 0
; VGPRBlocks: 7
; NumSGPRsForWavesPerEU: 40
; NumVGPRsForWavesPerEU: 57
; Occupancy: 16
; WaveLimiterHint : 1
; COMPUTE_PGM_RSRC2:SCRATCH_EN: 0
; COMPUTE_PGM_RSRC2:USER_SGPR: 2
; COMPUTE_PGM_RSRC2:TRAP_HANDLER: 0
; COMPUTE_PGM_RSRC2:TGID_X_EN: 1
; COMPUTE_PGM_RSRC2:TGID_Y_EN: 1
; COMPUTE_PGM_RSRC2:TGID_Z_EN: 1
; COMPUTE_PGM_RSRC2:TIDIG_COMP_CNT: 1
	.section	.text._ZL29rocblas_internal_gemmt_kernelIlLi16ELi32ELi8ELc78ELc78ELc76ELb0ELb0EfPKfPKS1_PKPfEviT_T9_T10_S7_lS9_S7_lS8_T11_S7_li,"axG",@progbits,_ZL29rocblas_internal_gemmt_kernelIlLi16ELi32ELi8ELc78ELc78ELc76ELb0ELb0EfPKfPKS1_PKPfEviT_T9_T10_S7_lS9_S7_lS8_T11_S7_li,comdat
	.globl	_ZL29rocblas_internal_gemmt_kernelIlLi16ELi32ELi8ELc78ELc78ELc76ELb0ELb0EfPKfPKS1_PKPfEviT_T9_T10_S7_lS9_S7_lS8_T11_S7_li ; -- Begin function _ZL29rocblas_internal_gemmt_kernelIlLi16ELi32ELi8ELc78ELc78ELc76ELb0ELb0EfPKfPKS1_PKPfEviT_T9_T10_S7_lS9_S7_lS8_T11_S7_li
	.p2align	8
	.type	_ZL29rocblas_internal_gemmt_kernelIlLi16ELi32ELi8ELc78ELc78ELc76ELb0ELb0EfPKfPKS1_PKPfEviT_T9_T10_S7_lS9_S7_lS8_T11_S7_li,@function
_ZL29rocblas_internal_gemmt_kernelIlLi16ELi32ELi8ELc78ELc78ELc76ELb0ELb0EfPKfPKS1_PKPfEviT_T9_T10_S7_lS9_S7_lS8_T11_S7_li: ; @_ZL29rocblas_internal_gemmt_kernelIlLi16ELi32ELi8ELc78ELc78ELc76ELb0ELb0EfPKfPKS1_PKPfEviT_T9_T10_S7_lS9_S7_lS8_T11_S7_li
; %bb.0:
	s_clause 0x1
	s_load_b256 s[24:31], s[0:1], 0x48
	s_load_b512 s[8:23], s[0:1], 0x8
	s_wait_kmcnt 0x0
	s_load_b32 s24, s[24:25], 0x0
	s_load_b32 s25, s[10:11], 0x0
	s_wait_kmcnt 0x0
	s_cmp_neq_f32 s24, 1.0
	s_cselect_b32 s2, -1, 0
	s_delay_alu instid0(SALU_CYCLE_1)
	s_and_b32 vcc_lo, exec_lo, s2
	s_cbranch_vccnz .LBB441_2
; %bb.1:
	s_cmp_lg_u64 s[8:9], 0
	s_cselect_b32 s2, -1, 0
	s_cmp_neq_f32 s25, 0
	s_cselect_b32 s3, -1, 0
	s_delay_alu instid0(SALU_CYCLE_1)
	s_and_b32 s2, s2, s3
.LBB441_2:
	s_delay_alu instid0(SALU_CYCLE_1)
	s_and_not1_b32 vcc_lo, exec_lo, s2
	s_cbranch_vccnz .LBB441_35
; %bb.3:
	s_load_b32 s33, s[0:1], 0x68
	s_lshr_b32 s6, ttmp7, 16
	s_wait_kmcnt 0x0
	s_cmp_ge_u32 s6, s33
	s_cbranch_scc1 .LBB441_35
; %bb.4:
	v_bfe_u32 v14, v0, 10, 10
	s_load_b32 s4, s[0:1], 0x0
	s_lshl_b32 s1, ttmp7, 5
	s_lshl_b32 s0, ttmp9, 5
	s_and_b32 s1, s1, 0x1fffe0
	s_cmp_neq_f32 s25, 0
	v_add_nc_u32_e32 v15, s1, v14
	v_cmp_gt_i64_e64 s10, s[8:9], 0
	v_lshl_add_u32 v21, v14, 5, 0x400
	s_cselect_b32 s11, -1, 0
	s_cmp_neq_f32 s24, 0
	v_mad_co_u64_u32 v[10:11], null, s28, v15, 0
	v_and_b32_e32 v5, 0x3ff, v0
	v_add_nc_u32_e32 v22, 16, v15
	s_mov_b32 s7, 0
	s_delay_alu instid0(VALU_DEP_2) | instskip(NEXT) | instid1(VALU_DEP_2)
	v_lshl_add_u32 v1, v14, 4, v5
	v_mad_co_u64_u32 v[12:13], null, s28, v22, 0
	s_delay_alu instid0(VALU_DEP_2) | instskip(SKIP_2) | instid1(VALU_DEP_3)
	v_lshrrev_b32_e32 v2, 3, v1
	v_and_b32_e32 v4, 31, v1
	v_lshrrev_b32_e32 v17, 5, v1
	v_add_nc_u32_e32 v19, s1, v2
	s_delay_alu instid0(VALU_DEP_3) | instskip(SKIP_1) | instid1(VALU_DEP_3)
	v_or_b32_e32 v6, s0, v4
	v_lshlrev_b32_e32 v7, 2, v4
	v_mad_co_u64_u32 v[8:9], null, s20, v19, 0
	v_and_b32_e32 v16, 7, v0
	s_wait_kmcnt 0x0
	v_cmp_gt_i32_e64 s1, s4, v19
	v_lshl_or_b32 v18, v17, 7, v7
	v_ashrrev_i32_e32 v7, 31, v6
	s_cselect_b32 s20, -1, 0
	s_and_b32 s35, s11, s10
	v_mov_b32_e32 v1, v9
	v_lshlrev_b32_e32 v3, 2, v16
	s_lshl_b64 s[10:11], s[30:31], 2
	s_delay_alu instid0(VALU_DEP_1) | instskip(SKIP_1) | instid1(VALU_DEP_1)
	v_lshl_or_b32 v20, v2, 5, v3
	v_mov_b32_e32 v2, v11
	v_mad_co_u64_u32 v[3:4], null, s21, v19, v[1:2]
	v_add_nc_u32_e32 v0, s0, v5
	s_delay_alu instid0(VALU_DEP_4)
	v_add_nc_u32_e32 v19, 0x400, v20
	v_lshlrev_b32_e32 v20, 2, v5
	v_cmp_gt_i32_e64 s0, s4, v6
	v_lshlrev_b64_e32 v[6:7], 2, v[6:7]
	v_mad_co_u64_u32 v[1:2], null, s29, v15, v[2:3]
	v_dual_mov_b32 v9, v3 :: v_dual_add_nc_u32 v2, 16, v0
	v_cmp_le_i32_e32 vcc_lo, v15, v0
	v_cmp_gt_i32_e64 s2, s4, v0
	s_delay_alu instid0(VALU_DEP_3) | instskip(SKIP_4) | instid1(VALU_DEP_3)
	v_lshlrev_b64_e32 v[8:9], 2, v[8:9]
	v_mov_b32_e32 v11, v1
	v_mov_b32_e32 v1, v13
	s_and_b32 s21, vcc_lo, s2
	v_cmp_le_i32_e32 vcc_lo, v22, v0
	v_lshlrev_b64_e32 v[10:11], 2, v[10:11]
	s_delay_alu instid0(VALU_DEP_3)
	v_mad_co_u64_u32 v[4:5], null, s29, v22, v[1:2]
	v_mov_b32_e32 v5, 0
	v_cmp_le_i32_e64 s3, v15, v2
	v_cmp_gt_i32_e64 s4, s4, v2
	v_cmp_le_i32_e64 s5, v22, v2
	v_ashrrev_i32_e32 v1, 31, v0
	v_ashrrev_i32_e32 v3, 31, v2
	v_mov_b32_e32 v13, v4
	s_and_b32 s28, s3, s4
	s_and_b32 s29, vcc_lo, s2
	s_and_b32 s34, s5, s4
	s_lshl_b64 s[2:3], s[22:23], 2
	v_lshlrev_b64_e32 v[12:13], 2, v[12:13]
	s_lshl_b64 s[4:5], s[16:17], 2
	s_branch .LBB441_6
.LBB441_5:                              ;   in Loop: Header=BB441_6 Depth=1
	s_wait_alu 0xfffe
	s_or_b32 exec_lo, exec_lo, s16
	s_add_co_i32 s6, s6, 0x10000
	s_delay_alu instid0(SALU_CYCLE_1)
	s_cmp_lt_u32 s6, s33
	s_cbranch_scc0 .LBB441_35
.LBB441_6:                              ; =>This Loop Header: Depth=1
                                        ;     Child Loop BB441_9 Depth 2
	s_lshl_b64 s[16:17], s[6:7], 3
	v_dual_mov_b32 v25, v5 :: v_dual_mov_b32 v24, v5
	s_wait_alu 0xfffe
	s_add_nc_u64 s[22:23], s[26:27], s[16:17]
	v_dual_mov_b32 v23, v5 :: v_dual_mov_b32 v22, v5
	global_load_b64 v[14:15], v5, s[22:23]
	s_and_not1_b32 vcc_lo, exec_lo, s35
	s_wait_alu 0xfffe
	s_cbranch_vccnz .LBB441_15
; %bb.7:                                ;   in Loop: Header=BB441_6 Depth=1
	s_add_nc_u64 s[22:23], s[12:13], s[16:17]
	s_add_nc_u64 s[16:17], s[18:19], s[16:17]
	s_clause 0x1
	global_load_b64 v[25:26], v5, s[22:23]
	global_load_b64 v[27:28], v5, s[16:17]
	v_dual_mov_b32 v22, 0 :: v_dual_mov_b32 v23, 0
	v_mov_b32_e32 v24, 0
	s_mov_b64 s[16:17], 0
	s_wait_loadcnt 0x1
	v_add_co_u32 v4, vcc_lo, v25, s4
	s_wait_alu 0xfffd
	v_add_co_ci_u32_e64 v25, null, s5, v26, vcc_lo
	s_wait_loadcnt 0x0
	v_add_co_u32 v29, vcc_lo, v27, s2
	s_wait_alu 0xfffd
	v_add_co_ci_u32_e64 v30, null, s3, v28, vcc_lo
	v_add_co_u32 v26, vcc_lo, v4, v6
	s_wait_alu 0xfffd
	v_add_co_ci_u32_e64 v27, null, v25, v7, vcc_lo
	;; [unrolled: 3-line block ×3, first 2 shown]
	v_mov_b32_e32 v25, 0
	s_branch .LBB441_9
.LBB441_8:                              ;   in Loop: Header=BB441_9 Depth=2
	s_or_b32 exec_lo, exec_lo, s22
	s_wait_loadcnt_dscnt 0x0
	ds_store_b32 v19, v31
	s_wait_dscnt 0x0
	s_barrier_signal -1
	s_barrier_wait -1
	global_inv scope:SCOPE_SE
	ds_load_b128 v[30:33], v21
	ds_load_2addr_b32 v[46:47], v20 offset1:16
	ds_load_b128 v[34:37], v21 offset:512
	ds_load_2addr_b32 v[48:49], v20 offset0:32 offset1:48
	ds_load_2addr_b32 v[50:51], v20 offset0:64 offset1:80
	ds_load_2addr_b32 v[52:53], v20 offset0:96 offset1:112
	ds_load_b128 v[38:41], v21 offset:16
	ds_load_2addr_b32 v[54:55], v20 offset0:128 offset1:144
	ds_load_b128 v[42:45], v21 offset:528
	ds_load_2addr_b32 v[56:57], v20 offset0:160 offset1:176
	s_add_nc_u64 s[16:17], s[16:17], 8
	s_wait_alu 0xfffe
	v_cmp_gt_i64_e64 s22, s[8:9], s[16:17]
	s_and_b32 vcc_lo, exec_lo, s22
	s_wait_dscnt 0x8
	v_fmac_f32_e32 v24, v47, v30
	v_fmac_f32_e32 v25, v46, v30
	s_wait_dscnt 0x7
	v_fmac_f32_e32 v22, v47, v34
	v_fmac_f32_e32 v23, v46, v34
	ds_load_2addr_b32 v[46:47], v20 offset0:192 offset1:208
	s_wait_dscnt 0x7
	v_fmac_f32_e32 v24, v49, v31
	v_fmac_f32_e32 v25, v48, v31
	v_fmac_f32_e32 v22, v49, v35
	v_fmac_f32_e32 v23, v48, v35
	ds_load_2addr_b32 v[30:31], v20 offset0:224 offset1:240
	s_wait_dscnt 0x7
	v_fmac_f32_e32 v24, v51, v32
	v_fmac_f32_e32 v25, v50, v32
	;; [unrolled: 1-line block ×4, first 2 shown]
	s_wait_loadcnt_dscnt 0x0
	v_fmac_f32_e32 v24, v53, v33
	v_fmac_f32_e32 v25, v52, v33
	;; [unrolled: 1-line block ×4, first 2 shown]
	s_barrier_signal -1
	v_fmac_f32_e32 v24, v55, v38
	v_fmac_f32_e32 v25, v54, v38
	;; [unrolled: 1-line block ×4, first 2 shown]
	s_barrier_wait -1
	v_fmac_f32_e32 v24, v57, v39
	v_fmac_f32_e32 v25, v56, v39
	;; [unrolled: 1-line block ×4, first 2 shown]
	global_inv scope:SCOPE_SE
	v_fmac_f32_e32 v24, v47, v40
	v_fmac_f32_e32 v25, v46, v40
	;; [unrolled: 1-line block ×3, first 2 shown]
	s_delay_alu instid0(VALU_DEP_3) | instskip(NEXT) | instid1(VALU_DEP_3)
	v_dual_fmac_f32 v23, v46, v44 :: v_dual_fmac_f32 v24, v31, v41
	v_fmac_f32_e32 v25, v30, v41
	s_delay_alu instid0(VALU_DEP_3) | instskip(NEXT) | instid1(VALU_DEP_3)
	v_fmac_f32_e32 v22, v31, v45
	v_fmac_f32_e32 v23, v30, v45
	s_wait_alu 0xfffe
	s_cbranch_vccz .LBB441_15
.LBB441_9:                              ;   Parent Loop BB441_6 Depth=1
                                        ; =>  This Inner Loop Header: Depth=2
	v_mov_b32_e32 v30, 0
	s_and_saveexec_b32 s22, s0
	s_cbranch_execz .LBB441_13
; %bb.10:                               ;   in Loop: Header=BB441_9 Depth=2
	s_wait_alu 0xfffe
	v_add_nc_u32_e32 v4, s16, v17
	v_mov_b32_e32 v30, 0
	s_mov_b32 s23, exec_lo
	s_delay_alu instid0(VALU_DEP_2)
	v_cmpx_gt_u64_e64 s[8:9], v[4:5]
	s_cbranch_execz .LBB441_12
; %bb.11:                               ;   in Loop: Header=BB441_9 Depth=2
	v_mad_co_u64_u32 v[30:31], null, s14, v4, 0
	s_delay_alu instid0(VALU_DEP_1) | instskip(NEXT) | instid1(VALU_DEP_1)
	v_mad_co_u64_u32 v[31:32], null, s15, v4, v[31:32]
	v_lshlrev_b64_e32 v[30:31], 2, v[30:31]
	s_delay_alu instid0(VALU_DEP_1) | instskip(SKIP_1) | instid1(VALU_DEP_2)
	v_add_co_u32 v30, vcc_lo, v26, v30
	s_wait_alu 0xfffd
	v_add_co_ci_u32_e64 v31, null, v27, v31, vcc_lo
	flat_load_b32 v30, v[30:31]
.LBB441_12:                             ;   in Loop: Header=BB441_9 Depth=2
	s_or_b32 exec_lo, exec_lo, s23
.LBB441_13:                             ;   in Loop: Header=BB441_9 Depth=2
	s_delay_alu instid0(SALU_CYCLE_1)
	s_or_b32 exec_lo, exec_lo, s22
	s_wait_alu 0xfffe
	v_dual_mov_b32 v31, 0 :: v_dual_add_nc_u32 v4, s16, v16
	s_wait_loadcnt_dscnt 0x0
	ds_store_b32 v18, v30
	v_cmp_gt_u64_e32 vcc_lo, s[8:9], v[4:5]
	s_and_b32 s23, vcc_lo, s1
	s_delay_alu instid0(SALU_CYCLE_1)
	s_and_saveexec_b32 s22, s23
	s_cbranch_execz .LBB441_8
; %bb.14:                               ;   in Loop: Header=BB441_9 Depth=2
	v_lshlrev_b64_e32 v[30:31], 2, v[4:5]
	s_delay_alu instid0(VALU_DEP_1) | instskip(SKIP_1) | instid1(VALU_DEP_2)
	v_add_co_u32 v30, vcc_lo, v28, v30
	s_wait_alu 0xfffd
	v_add_co_ci_u32_e64 v31, null, v29, v31, vcc_lo
	flat_load_b32 v31, v[30:31]
	s_branch .LBB441_8
.LBB441_15:                             ;   in Loop: Header=BB441_6 Depth=1
	s_wait_loadcnt 0x0
	v_add_co_u32 v4, vcc_lo, v14, s10
	s_wait_alu 0xfffd
	v_add_co_ci_u32_e64 v14, null, s11, v15, vcc_lo
	s_delay_alu instid0(VALU_DEP_2) | instskip(SKIP_1) | instid1(VALU_DEP_2)
	v_add_co_u32 v15, vcc_lo, v4, v10
	s_wait_alu 0xfffd
	v_add_co_ci_u32_e64 v26, null, v14, v11, vcc_lo
	s_wait_alu 0xfffe
	s_and_saveexec_b32 s16, s21
	s_cbranch_execz .LBB441_19
; %bb.16:                               ;   in Loop: Header=BB441_6 Depth=1
	v_mul_f32_e32 v25, s25, v25
	s_and_b32 vcc_lo, exec_lo, s20
	s_wait_alu 0xfffe
	s_cbranch_vccz .LBB441_30
; %bb.17:                               ;   in Loop: Header=BB441_6 Depth=1
	v_lshlrev_b64_e32 v[27:28], 2, v[0:1]
	s_delay_alu instid0(VALU_DEP_1) | instskip(SKIP_1) | instid1(VALU_DEP_2)
	v_add_co_u32 v27, vcc_lo, v15, v27
	s_wait_alu 0xfffd
	v_add_co_ci_u32_e64 v28, null, v26, v28, vcc_lo
	flat_load_b32 v29, v[27:28]
	s_wait_loadcnt_dscnt 0x0
	v_fma_f32 v29, s24, v29, v25
	flat_store_b32 v[27:28], v29
	s_cbranch_execnz .LBB441_19
.LBB441_18:                             ;   in Loop: Header=BB441_6 Depth=1
	v_lshlrev_b64_e32 v[27:28], 2, v[0:1]
	s_delay_alu instid0(VALU_DEP_1) | instskip(SKIP_1) | instid1(VALU_DEP_2)
	v_add_co_u32 v27, vcc_lo, v15, v27
	s_wait_alu 0xfffd
	v_add_co_ci_u32_e64 v28, null, v26, v28, vcc_lo
	flat_store_b32 v[27:28], v25
.LBB441_19:                             ;   in Loop: Header=BB441_6 Depth=1
	s_wait_alu 0xfffe
	s_or_b32 exec_lo, exec_lo, s16
	s_and_saveexec_b32 s16, s28
	s_cbranch_execz .LBB441_23
; %bb.20:                               ;   in Loop: Header=BB441_6 Depth=1
	v_mul_f32_e32 v24, s25, v24
	s_and_not1_b32 vcc_lo, exec_lo, s20
	s_wait_alu 0xfffe
	s_cbranch_vccnz .LBB441_31
; %bb.21:                               ;   in Loop: Header=BB441_6 Depth=1
	v_lshlrev_b64_e32 v[27:28], 2, v[2:3]
	s_delay_alu instid0(VALU_DEP_1) | instskip(SKIP_1) | instid1(VALU_DEP_2)
	v_add_co_u32 v27, vcc_lo, v15, v27
	s_wait_alu 0xfffd
	v_add_co_ci_u32_e64 v28, null, v26, v28, vcc_lo
	flat_load_b32 v25, v[27:28]
	s_wait_loadcnt_dscnt 0x0
	v_fma_f32 v25, s24, v25, v24
	flat_store_b32 v[27:28], v25
	s_cbranch_execnz .LBB441_23
.LBB441_22:                             ;   in Loop: Header=BB441_6 Depth=1
	v_lshlrev_b64_e32 v[27:28], 2, v[2:3]
	s_delay_alu instid0(VALU_DEP_1) | instskip(SKIP_1) | instid1(VALU_DEP_2)
	v_add_co_u32 v25, vcc_lo, v15, v27
	s_wait_alu 0xfffd
	v_add_co_ci_u32_e64 v26, null, v26, v28, vcc_lo
	flat_store_b32 v[25:26], v24
.LBB441_23:                             ;   in Loop: Header=BB441_6 Depth=1
	s_wait_alu 0xfffe
	s_or_b32 exec_lo, exec_lo, s16
	v_add_co_u32 v4, vcc_lo, v4, v12
	s_wait_alu 0xfffd
	v_add_co_ci_u32_e64 v24, null, v14, v13, vcc_lo
	s_and_saveexec_b32 s16, s29
	s_cbranch_execz .LBB441_27
; %bb.24:                               ;   in Loop: Header=BB441_6 Depth=1
	v_lshlrev_b64_e32 v[14:15], 2, v[0:1]
	v_mul_f32_e32 v23, s25, v23
	s_and_not1_b32 vcc_lo, exec_lo, s20
	s_wait_alu 0xfffe
	s_cbranch_vccnz .LBB441_32
; %bb.25:                               ;   in Loop: Header=BB441_6 Depth=1
	s_delay_alu instid0(VALU_DEP_2)
	v_add_co_u32 v25, vcc_lo, v4, v14
	s_wait_alu 0xfffd
	v_add_co_ci_u32_e64 v26, null, v24, v15, vcc_lo
	flat_load_b32 v27, v[25:26]
	s_wait_loadcnt_dscnt 0x0
	v_fma_f32 v27, s24, v27, v23
	flat_store_b32 v[25:26], v27
	s_cbranch_execnz .LBB441_27
.LBB441_26:                             ;   in Loop: Header=BB441_6 Depth=1
	v_add_co_u32 v14, vcc_lo, v4, v14
	s_wait_alu 0xfffd
	v_add_co_ci_u32_e64 v15, null, v24, v15, vcc_lo
	flat_store_b32 v[14:15], v23
.LBB441_27:                             ;   in Loop: Header=BB441_6 Depth=1
	s_wait_alu 0xfffe
	s_or_b32 exec_lo, exec_lo, s16
	s_and_saveexec_b32 s16, s34
	s_cbranch_execz .LBB441_5
; %bb.28:                               ;   in Loop: Header=BB441_6 Depth=1
	v_lshlrev_b64_e32 v[14:15], 2, v[2:3]
	v_mul_f32_e32 v22, s25, v22
	s_and_not1_b32 vcc_lo, exec_lo, s20
	s_wait_alu 0xfffe
	s_cbranch_vccnz .LBB441_33
; %bb.29:                               ;   in Loop: Header=BB441_6 Depth=1
	s_delay_alu instid0(VALU_DEP_2)
	v_add_co_u32 v25, vcc_lo, v4, v14
	s_wait_alu 0xfffd
	v_add_co_ci_u32_e64 v26, null, v24, v15, vcc_lo
	flat_load_b32 v23, v[25:26]
	s_wait_loadcnt_dscnt 0x0
	v_fma_f32 v23, s24, v23, v22
	flat_store_b32 v[25:26], v23
	s_cbranch_execnz .LBB441_5
	s_branch .LBB441_34
.LBB441_30:                             ;   in Loop: Header=BB441_6 Depth=1
	s_branch .LBB441_18
.LBB441_31:                             ;   in Loop: Header=BB441_6 Depth=1
	s_branch .LBB441_22
.LBB441_32:                             ;   in Loop: Header=BB441_6 Depth=1
	s_branch .LBB441_26
.LBB441_33:                             ;   in Loop: Header=BB441_6 Depth=1
.LBB441_34:                             ;   in Loop: Header=BB441_6 Depth=1
	s_delay_alu instid0(VALU_DEP_2)
	v_add_co_u32 v14, vcc_lo, v4, v14
	s_wait_alu 0xfffd
	v_add_co_ci_u32_e64 v15, null, v24, v15, vcc_lo
	flat_store_b32 v[14:15], v22
	s_branch .LBB441_5
.LBB441_35:
	s_endpgm
	.section	.rodata,"a",@progbits
	.p2align	6, 0x0
	.amdhsa_kernel _ZL29rocblas_internal_gemmt_kernelIlLi16ELi32ELi8ELc78ELc78ELc76ELb0ELb0EfPKfPKS1_PKPfEviT_T9_T10_S7_lS9_S7_lS8_T11_S7_li
		.amdhsa_group_segment_fixed_size 2048
		.amdhsa_private_segment_fixed_size 0
		.amdhsa_kernarg_size 108
		.amdhsa_user_sgpr_count 2
		.amdhsa_user_sgpr_dispatch_ptr 0
		.amdhsa_user_sgpr_queue_ptr 0
		.amdhsa_user_sgpr_kernarg_segment_ptr 1
		.amdhsa_user_sgpr_dispatch_id 0
		.amdhsa_user_sgpr_private_segment_size 0
		.amdhsa_wavefront_size32 1
		.amdhsa_uses_dynamic_stack 0
		.amdhsa_enable_private_segment 0
		.amdhsa_system_sgpr_workgroup_id_x 1
		.amdhsa_system_sgpr_workgroup_id_y 1
		.amdhsa_system_sgpr_workgroup_id_z 1
		.amdhsa_system_sgpr_workgroup_info 0
		.amdhsa_system_vgpr_workitem_id 1
		.amdhsa_next_free_vgpr 58
		.amdhsa_next_free_sgpr 36
		.amdhsa_reserve_vcc 1
		.amdhsa_float_round_mode_32 0
		.amdhsa_float_round_mode_16_64 0
		.amdhsa_float_denorm_mode_32 3
		.amdhsa_float_denorm_mode_16_64 3
		.amdhsa_fp16_overflow 0
		.amdhsa_workgroup_processor_mode 1
		.amdhsa_memory_ordered 1
		.amdhsa_forward_progress 1
		.amdhsa_inst_pref_size 16
		.amdhsa_round_robin_scheduling 0
		.amdhsa_exception_fp_ieee_invalid_op 0
		.amdhsa_exception_fp_denorm_src 0
		.amdhsa_exception_fp_ieee_div_zero 0
		.amdhsa_exception_fp_ieee_overflow 0
		.amdhsa_exception_fp_ieee_underflow 0
		.amdhsa_exception_fp_ieee_inexact 0
		.amdhsa_exception_int_div_zero 0
	.end_amdhsa_kernel
	.section	.text._ZL29rocblas_internal_gemmt_kernelIlLi16ELi32ELi8ELc78ELc78ELc76ELb0ELb0EfPKfPKS1_PKPfEviT_T9_T10_S7_lS9_S7_lS8_T11_S7_li,"axG",@progbits,_ZL29rocblas_internal_gemmt_kernelIlLi16ELi32ELi8ELc78ELc78ELc76ELb0ELb0EfPKfPKS1_PKPfEviT_T9_T10_S7_lS9_S7_lS8_T11_S7_li,comdat
.Lfunc_end441:
	.size	_ZL29rocblas_internal_gemmt_kernelIlLi16ELi32ELi8ELc78ELc78ELc76ELb0ELb0EfPKfPKS1_PKPfEviT_T9_T10_S7_lS9_S7_lS8_T11_S7_li, .Lfunc_end441-_ZL29rocblas_internal_gemmt_kernelIlLi16ELi32ELi8ELc78ELc78ELc76ELb0ELb0EfPKfPKS1_PKPfEviT_T9_T10_S7_lS9_S7_lS8_T11_S7_li
                                        ; -- End function
	.set _ZL29rocblas_internal_gemmt_kernelIlLi16ELi32ELi8ELc78ELc78ELc76ELb0ELb0EfPKfPKS1_PKPfEviT_T9_T10_S7_lS9_S7_lS8_T11_S7_li.num_vgpr, 58
	.set _ZL29rocblas_internal_gemmt_kernelIlLi16ELi32ELi8ELc78ELc78ELc76ELb0ELb0EfPKfPKS1_PKPfEviT_T9_T10_S7_lS9_S7_lS8_T11_S7_li.num_agpr, 0
	.set _ZL29rocblas_internal_gemmt_kernelIlLi16ELi32ELi8ELc78ELc78ELc76ELb0ELb0EfPKfPKS1_PKPfEviT_T9_T10_S7_lS9_S7_lS8_T11_S7_li.numbered_sgpr, 36
	.set _ZL29rocblas_internal_gemmt_kernelIlLi16ELi32ELi8ELc78ELc78ELc76ELb0ELb0EfPKfPKS1_PKPfEviT_T9_T10_S7_lS9_S7_lS8_T11_S7_li.num_named_barrier, 0
	.set _ZL29rocblas_internal_gemmt_kernelIlLi16ELi32ELi8ELc78ELc78ELc76ELb0ELb0EfPKfPKS1_PKPfEviT_T9_T10_S7_lS9_S7_lS8_T11_S7_li.private_seg_size, 0
	.set _ZL29rocblas_internal_gemmt_kernelIlLi16ELi32ELi8ELc78ELc78ELc76ELb0ELb0EfPKfPKS1_PKPfEviT_T9_T10_S7_lS9_S7_lS8_T11_S7_li.uses_vcc, 1
	.set _ZL29rocblas_internal_gemmt_kernelIlLi16ELi32ELi8ELc78ELc78ELc76ELb0ELb0EfPKfPKS1_PKPfEviT_T9_T10_S7_lS9_S7_lS8_T11_S7_li.uses_flat_scratch, 0
	.set _ZL29rocblas_internal_gemmt_kernelIlLi16ELi32ELi8ELc78ELc78ELc76ELb0ELb0EfPKfPKS1_PKPfEviT_T9_T10_S7_lS9_S7_lS8_T11_S7_li.has_dyn_sized_stack, 0
	.set _ZL29rocblas_internal_gemmt_kernelIlLi16ELi32ELi8ELc78ELc78ELc76ELb0ELb0EfPKfPKS1_PKPfEviT_T9_T10_S7_lS9_S7_lS8_T11_S7_li.has_recursion, 0
	.set _ZL29rocblas_internal_gemmt_kernelIlLi16ELi32ELi8ELc78ELc78ELc76ELb0ELb0EfPKfPKS1_PKPfEviT_T9_T10_S7_lS9_S7_lS8_T11_S7_li.has_indirect_call, 0
	.section	.AMDGPU.csdata,"",@progbits
; Kernel info:
; codeLenInByte = 1924
; TotalNumSgprs: 38
; NumVgprs: 58
; ScratchSize: 0
; MemoryBound: 0
; FloatMode: 240
; IeeeMode: 1
; LDSByteSize: 2048 bytes/workgroup (compile time only)
; SGPRBlocks: 0
; VGPRBlocks: 7
; NumSGPRsForWavesPerEU: 38
; NumVGPRsForWavesPerEU: 58
; Occupancy: 16
; WaveLimiterHint : 1
; COMPUTE_PGM_RSRC2:SCRATCH_EN: 0
; COMPUTE_PGM_RSRC2:USER_SGPR: 2
; COMPUTE_PGM_RSRC2:TRAP_HANDLER: 0
; COMPUTE_PGM_RSRC2:TGID_X_EN: 1
; COMPUTE_PGM_RSRC2:TGID_Y_EN: 1
; COMPUTE_PGM_RSRC2:TGID_Z_EN: 1
; COMPUTE_PGM_RSRC2:TIDIG_COMP_CNT: 1
	.section	.text._ZL29rocblas_internal_gemmt_kernelIlLi16ELi32ELi8ELc78ELc84ELc76ELb0ELb0EfPKfPKS1_PKPfEviT_T9_T10_S7_lS9_S7_lS8_T11_S7_li,"axG",@progbits,_ZL29rocblas_internal_gemmt_kernelIlLi16ELi32ELi8ELc78ELc84ELc76ELb0ELb0EfPKfPKS1_PKPfEviT_T9_T10_S7_lS9_S7_lS8_T11_S7_li,comdat
	.globl	_ZL29rocblas_internal_gemmt_kernelIlLi16ELi32ELi8ELc78ELc84ELc76ELb0ELb0EfPKfPKS1_PKPfEviT_T9_T10_S7_lS9_S7_lS8_T11_S7_li ; -- Begin function _ZL29rocblas_internal_gemmt_kernelIlLi16ELi32ELi8ELc78ELc84ELc76ELb0ELb0EfPKfPKS1_PKPfEviT_T9_T10_S7_lS9_S7_lS8_T11_S7_li
	.p2align	8
	.type	_ZL29rocblas_internal_gemmt_kernelIlLi16ELi32ELi8ELc78ELc84ELc76ELb0ELb0EfPKfPKS1_PKPfEviT_T9_T10_S7_lS9_S7_lS8_T11_S7_li,@function
_ZL29rocblas_internal_gemmt_kernelIlLi16ELi32ELi8ELc78ELc84ELc76ELb0ELb0EfPKfPKS1_PKPfEviT_T9_T10_S7_lS9_S7_lS8_T11_S7_li: ; @_ZL29rocblas_internal_gemmt_kernelIlLi16ELi32ELi8ELc78ELc84ELc76ELb0ELb0EfPKfPKS1_PKPfEviT_T9_T10_S7_lS9_S7_lS8_T11_S7_li
; %bb.0:
	s_clause 0x1
	s_load_b256 s[24:31], s[0:1], 0x48
	s_load_b512 s[8:23], s[0:1], 0x8
	s_wait_kmcnt 0x0
	s_load_b32 s24, s[24:25], 0x0
	s_load_b32 s25, s[10:11], 0x0
	s_wait_kmcnt 0x0
	s_cmp_neq_f32 s24, 1.0
	s_cselect_b32 s2, -1, 0
	s_delay_alu instid0(SALU_CYCLE_1)
	s_and_b32 vcc_lo, exec_lo, s2
	s_cbranch_vccnz .LBB442_2
; %bb.1:
	s_cmp_lg_u64 s[8:9], 0
	s_cselect_b32 s2, -1, 0
	s_cmp_neq_f32 s25, 0
	s_cselect_b32 s3, -1, 0
	s_delay_alu instid0(SALU_CYCLE_1)
	s_and_b32 s2, s2, s3
.LBB442_2:
	s_delay_alu instid0(SALU_CYCLE_1)
	s_and_not1_b32 vcc_lo, exec_lo, s2
	s_cbranch_vccnz .LBB442_35
; %bb.3:
	s_load_b32 s33, s[0:1], 0x68
	s_lshr_b32 s6, ttmp7, 16
	s_wait_kmcnt 0x0
	s_cmp_ge_u32 s6, s33
	s_cbranch_scc1 .LBB442_35
; %bb.4:
	v_bfe_u32 v5, v0, 10, 10
	s_load_b32 s4, s[0:1], 0x0
	s_lshl_b32 s0, ttmp7, 5
	v_dual_mov_b32 v3, 0 :: v_dual_and_b32 v14, 7, v0
	s_and_b32 s0, s0, 0x1fffe0
	s_lshl_b32 s2, ttmp9, 5
	v_add_nc_u32_e32 v12, s0, v5
	s_cmp_neq_f32 s25, 0
	v_cmp_gt_i64_e64 s11, s[8:9], 0
	v_lshl_add_u32 v19, v5, 5, 0x400
	s_mov_b32 s7, 0
	v_mad_co_u64_u32 v[8:9], null, s28, v12, 0
	v_and_b32_e32 v4, 0x3ff, v0
	s_cselect_b32 s10, -1, 0
	s_cmp_neq_f32 s24, 0
	s_delay_alu instid0(VALU_DEP_1) | instskip(NEXT) | instid1(VALU_DEP_1)
	v_lshl_add_u32 v0, v5, 4, v4
	v_and_b32_e32 v1, 31, v0
	v_lshrrev_b32_e32 v2, 3, v0
	v_lshrrev_b32_e32 v15, 5, v0
	s_delay_alu instid0(VALU_DEP_3) | instskip(SKIP_3) | instid1(VALU_DEP_4)
	v_or_b32_e32 v6, s2, v1
	v_lshlrev_b32_e32 v0, 2, v1
	v_lshlrev_b32_e32 v1, 2, v14
	v_add_nc_u32_e32 v13, s0, v2
	v_ashrrev_i32_e32 v7, 31, v6
	s_wait_kmcnt 0x0
	v_cmp_gt_i32_e64 s0, s4, v6
	v_lshl_or_b32 v2, v2, 5, v1
	v_dual_mov_b32 v1, v9 :: v_dual_lshlrev_b32 v18, 2, v4
	v_cmp_gt_i32_e64 s1, s4, v13
	v_lshlrev_b64_e32 v[6:7], 2, v[6:7]
	s_delay_alu instid0(VALU_DEP_4) | instskip(NEXT) | instid1(VALU_DEP_4)
	v_add_nc_u32_e32 v17, 0x400, v2
	v_mad_co_u64_u32 v[1:2], null, s29, v12, v[1:2]
	s_delay_alu instid0(VALU_DEP_1) | instskip(NEXT) | instid1(VALU_DEP_1)
	v_dual_mov_b32 v9, v1 :: v_dual_add_nc_u32 v20, 16, v12
	v_lshlrev_b64_e32 v[8:9], 2, v[8:9]
	s_delay_alu instid0(VALU_DEP_2)
	v_mad_co_u64_u32 v[10:11], null, s28, v20, 0
	s_cselect_b32 s28, -1, 0
	s_and_b32 s37, s10, s11
	s_lshl_b64 s[10:11], s[30:31], 2
	v_mov_b32_e32 v1, v11
	v_lshl_or_b32 v16, v15, 7, v0
	v_add_nc_u32_e32 v0, s2, v4
	s_delay_alu instid0(VALU_DEP_1) | instskip(SKIP_2) | instid1(VALU_DEP_3)
	v_add_nc_u32_e32 v4, 16, v0
	v_cmp_le_i32_e32 vcc_lo, v12, v0
	v_cmp_gt_i32_e64 s2, s4, v0
	v_cmp_le_i32_e64 s3, v12, v4
	v_mad_co_u64_u32 v[11:12], null, s29, v20, v[1:2]
	v_cmp_gt_i32_e64 s4, s4, v4
	s_and_b32 s29, vcc_lo, s2
	v_cmp_le_i32_e32 vcc_lo, v20, v0
	v_cmp_le_i32_e64 s5, v20, v4
	v_ashrrev_i32_e32 v1, 31, v0
	v_ashrrev_i32_e32 v5, 31, v4
	v_lshlrev_b64_e32 v[10:11], 2, v[10:11]
	v_lshlrev_b32_e32 v20, 2, v13
	s_and_b32 s34, s3, s4
	s_and_b32 s35, vcc_lo, s2
	s_and_b32 s36, s5, s4
	s_lshl_b64 s[2:3], s[22:23], 2
	s_lshl_b64 s[4:5], s[16:17], 2
	s_branch .LBB442_6
.LBB442_5:                              ;   in Loop: Header=BB442_6 Depth=1
	s_wait_alu 0xfffe
	s_or_b32 exec_lo, exec_lo, s16
	s_add_co_i32 s6, s6, 0x10000
	s_delay_alu instid0(SALU_CYCLE_1)
	s_cmp_lt_u32 s6, s33
	s_cbranch_scc0 .LBB442_35
.LBB442_6:                              ; =>This Loop Header: Depth=1
                                        ;     Child Loop BB442_9 Depth 2
	s_lshl_b64 s[16:17], s[6:7], 3
	v_dual_mov_b32 v24, v3 :: v_dual_mov_b32 v23, v3
	s_wait_alu 0xfffe
	s_add_nc_u64 s[22:23], s[26:27], s[16:17]
	v_dual_mov_b32 v22, v3 :: v_dual_mov_b32 v21, v3
	global_load_b64 v[12:13], v3, s[22:23]
	s_and_not1_b32 vcc_lo, exec_lo, s37
	s_wait_alu 0xfffe
	s_cbranch_vccnz .LBB442_15
; %bb.7:                                ;   in Loop: Header=BB442_6 Depth=1
	s_add_nc_u64 s[22:23], s[12:13], s[16:17]
	s_add_nc_u64 s[16:17], s[18:19], s[16:17]
	s_clause 0x1
	global_load_b64 v[24:25], v3, s[22:23]
	global_load_b64 v[26:27], v3, s[16:17]
	v_dual_mov_b32 v21, 0 :: v_dual_mov_b32 v22, 0
	v_mov_b32_e32 v23, 0
	s_mov_b64 s[16:17], 0
	s_wait_loadcnt 0x1
	v_add_co_u32 v2, vcc_lo, v24, s4
	s_wait_alu 0xfffd
	v_add_co_ci_u32_e64 v24, null, s5, v25, vcc_lo
	s_wait_loadcnt 0x0
	v_add_co_u32 v28, vcc_lo, v26, s2
	s_wait_alu 0xfffd
	v_add_co_ci_u32_e64 v29, null, s3, v27, vcc_lo
	v_add_co_u32 v25, vcc_lo, v2, v6
	s_wait_alu 0xfffd
	v_add_co_ci_u32_e64 v26, null, v24, v7, vcc_lo
	;; [unrolled: 3-line block ×3, first 2 shown]
	v_mov_b32_e32 v24, 0
	s_branch .LBB442_9
.LBB442_8:                              ;   in Loop: Header=BB442_9 Depth=2
	s_or_b32 exec_lo, exec_lo, s22
	s_wait_loadcnt_dscnt 0x0
	ds_store_b32 v17, v30
	s_wait_dscnt 0x0
	s_barrier_signal -1
	s_barrier_wait -1
	global_inv scope:SCOPE_SE
	ds_load_b128 v[29:32], v19
	ds_load_2addr_b32 v[45:46], v18 offset1:16
	ds_load_b128 v[33:36], v19 offset:512
	ds_load_2addr_b32 v[47:48], v18 offset0:32 offset1:48
	ds_load_2addr_b32 v[49:50], v18 offset0:64 offset1:80
	;; [unrolled: 1-line block ×3, first 2 shown]
	ds_load_b128 v[37:40], v19 offset:16
	ds_load_2addr_b32 v[53:54], v18 offset0:128 offset1:144
	ds_load_b128 v[41:44], v19 offset:528
	ds_load_2addr_b32 v[55:56], v18 offset0:160 offset1:176
	s_add_nc_u64 s[16:17], s[16:17], 8
	s_wait_alu 0xfffe
	v_cmp_gt_i64_e64 s22, s[8:9], s[16:17]
	s_and_b32 vcc_lo, exec_lo, s22
	s_wait_dscnt 0x8
	v_fmac_f32_e32 v23, v46, v29
	v_fmac_f32_e32 v24, v45, v29
	s_wait_dscnt 0x7
	v_fmac_f32_e32 v21, v46, v33
	v_fmac_f32_e32 v22, v45, v33
	ds_load_2addr_b32 v[45:46], v18 offset0:192 offset1:208
	s_wait_dscnt 0x7
	v_fmac_f32_e32 v23, v48, v30
	v_fmac_f32_e32 v24, v47, v30
	;; [unrolled: 1-line block ×4, first 2 shown]
	ds_load_2addr_b32 v[29:30], v18 offset0:224 offset1:240
	s_wait_dscnt 0x7
	v_fmac_f32_e32 v23, v50, v31
	v_fmac_f32_e32 v24, v49, v31
	;; [unrolled: 1-line block ×4, first 2 shown]
	s_wait_loadcnt_dscnt 0x0
	v_fmac_f32_e32 v23, v52, v32
	v_fmac_f32_e32 v24, v51, v32
	;; [unrolled: 1-line block ×4, first 2 shown]
	s_barrier_signal -1
	v_fmac_f32_e32 v23, v54, v37
	v_fmac_f32_e32 v24, v53, v37
	;; [unrolled: 1-line block ×4, first 2 shown]
	s_barrier_wait -1
	v_fmac_f32_e32 v23, v56, v38
	v_fmac_f32_e32 v24, v55, v38
	;; [unrolled: 1-line block ×4, first 2 shown]
	global_inv scope:SCOPE_SE
	v_fmac_f32_e32 v23, v46, v39
	v_fmac_f32_e32 v24, v45, v39
	;; [unrolled: 1-line block ×3, first 2 shown]
	s_delay_alu instid0(VALU_DEP_3) | instskip(NEXT) | instid1(VALU_DEP_3)
	v_dual_fmac_f32 v22, v45, v43 :: v_dual_fmac_f32 v23, v30, v40
	v_fmac_f32_e32 v24, v29, v40
	s_delay_alu instid0(VALU_DEP_3) | instskip(NEXT) | instid1(VALU_DEP_3)
	v_fmac_f32_e32 v21, v30, v44
	v_fmac_f32_e32 v22, v29, v44
	s_wait_alu 0xfffe
	s_cbranch_vccz .LBB442_15
.LBB442_9:                              ;   Parent Loop BB442_6 Depth=1
                                        ; =>  This Inner Loop Header: Depth=2
	v_mov_b32_e32 v29, 0
	s_and_saveexec_b32 s22, s0
	s_cbranch_execz .LBB442_13
; %bb.10:                               ;   in Loop: Header=BB442_9 Depth=2
	s_wait_alu 0xfffe
	v_dual_mov_b32 v29, 0 :: v_dual_add_nc_u32 v2, s16, v15
	s_mov_b32 s23, exec_lo
	s_delay_alu instid0(VALU_DEP_1)
	v_cmpx_gt_u64_e64 s[8:9], v[2:3]
	s_cbranch_execz .LBB442_12
; %bb.11:                               ;   in Loop: Header=BB442_9 Depth=2
	v_mad_co_u64_u32 v[29:30], null, s14, v2, 0
	s_delay_alu instid0(VALU_DEP_1) | instskip(NEXT) | instid1(VALU_DEP_1)
	v_mad_co_u64_u32 v[30:31], null, s15, v2, v[30:31]
	v_lshlrev_b64_e32 v[29:30], 2, v[29:30]
	s_delay_alu instid0(VALU_DEP_1) | instskip(SKIP_1) | instid1(VALU_DEP_2)
	v_add_co_u32 v29, vcc_lo, v25, v29
	s_wait_alu 0xfffd
	v_add_co_ci_u32_e64 v30, null, v26, v30, vcc_lo
	flat_load_b32 v29, v[29:30]
.LBB442_12:                             ;   in Loop: Header=BB442_9 Depth=2
	s_or_b32 exec_lo, exec_lo, s23
.LBB442_13:                             ;   in Loop: Header=BB442_9 Depth=2
	s_delay_alu instid0(SALU_CYCLE_1)
	s_or_b32 exec_lo, exec_lo, s22
	s_wait_alu 0xfffe
	v_add_nc_u32_e32 v2, s16, v14
	v_mov_b32_e32 v30, 0
	s_wait_loadcnt_dscnt 0x0
	ds_store_b32 v16, v29
	v_cmp_gt_u64_e32 vcc_lo, s[8:9], v[2:3]
	s_and_b32 s23, vcc_lo, s1
	s_delay_alu instid0(SALU_CYCLE_1)
	s_and_saveexec_b32 s22, s23
	s_cbranch_execz .LBB442_8
; %bb.14:                               ;   in Loop: Header=BB442_9 Depth=2
	v_mad_co_u64_u32 v[29:30], null, s20, v2, 0
	s_delay_alu instid0(VALU_DEP_1) | instskip(NEXT) | instid1(VALU_DEP_1)
	v_mad_co_u64_u32 v[30:31], null, s21, v2, v[30:31]
	v_lshlrev_b64_e32 v[29:30], 2, v[29:30]
	s_delay_alu instid0(VALU_DEP_1) | instskip(SKIP_1) | instid1(VALU_DEP_2)
	v_add_co_u32 v29, vcc_lo, v27, v29
	s_wait_alu 0xfffd
	v_add_co_ci_u32_e64 v30, null, v28, v30, vcc_lo
	flat_load_b32 v30, v[29:30]
	s_branch .LBB442_8
.LBB442_15:                             ;   in Loop: Header=BB442_6 Depth=1
	s_wait_loadcnt 0x0
	v_add_co_u32 v2, vcc_lo, v12, s10
	s_wait_alu 0xfffd
	v_add_co_ci_u32_e64 v12, null, s11, v13, vcc_lo
	s_delay_alu instid0(VALU_DEP_2) | instskip(SKIP_1) | instid1(VALU_DEP_2)
	v_add_co_u32 v13, vcc_lo, v2, v8
	s_wait_alu 0xfffd
	v_add_co_ci_u32_e64 v25, null, v12, v9, vcc_lo
	s_wait_alu 0xfffe
	s_and_saveexec_b32 s16, s29
	s_cbranch_execz .LBB442_19
; %bb.16:                               ;   in Loop: Header=BB442_6 Depth=1
	v_mul_f32_e32 v24, s25, v24
	s_and_b32 vcc_lo, exec_lo, s28
	s_wait_alu 0xfffe
	s_cbranch_vccz .LBB442_30
; %bb.17:                               ;   in Loop: Header=BB442_6 Depth=1
	v_lshlrev_b64_e32 v[26:27], 2, v[0:1]
	s_delay_alu instid0(VALU_DEP_1) | instskip(SKIP_1) | instid1(VALU_DEP_2)
	v_add_co_u32 v26, vcc_lo, v13, v26
	s_wait_alu 0xfffd
	v_add_co_ci_u32_e64 v27, null, v25, v27, vcc_lo
	flat_load_b32 v28, v[26:27]
	s_wait_loadcnt_dscnt 0x0
	v_fma_f32 v28, s24, v28, v24
	flat_store_b32 v[26:27], v28
	s_cbranch_execnz .LBB442_19
.LBB442_18:                             ;   in Loop: Header=BB442_6 Depth=1
	v_lshlrev_b64_e32 v[26:27], 2, v[0:1]
	s_delay_alu instid0(VALU_DEP_1) | instskip(SKIP_1) | instid1(VALU_DEP_2)
	v_add_co_u32 v26, vcc_lo, v13, v26
	s_wait_alu 0xfffd
	v_add_co_ci_u32_e64 v27, null, v25, v27, vcc_lo
	flat_store_b32 v[26:27], v24
.LBB442_19:                             ;   in Loop: Header=BB442_6 Depth=1
	s_wait_alu 0xfffe
	s_or_b32 exec_lo, exec_lo, s16
	s_and_saveexec_b32 s16, s34
	s_cbranch_execz .LBB442_23
; %bb.20:                               ;   in Loop: Header=BB442_6 Depth=1
	v_mul_f32_e32 v23, s25, v23
	s_and_not1_b32 vcc_lo, exec_lo, s28
	s_wait_alu 0xfffe
	s_cbranch_vccnz .LBB442_31
; %bb.21:                               ;   in Loop: Header=BB442_6 Depth=1
	v_lshlrev_b64_e32 v[26:27], 2, v[4:5]
	s_delay_alu instid0(VALU_DEP_1) | instskip(SKIP_1) | instid1(VALU_DEP_2)
	v_add_co_u32 v26, vcc_lo, v13, v26
	s_wait_alu 0xfffd
	v_add_co_ci_u32_e64 v27, null, v25, v27, vcc_lo
	flat_load_b32 v24, v[26:27]
	s_wait_loadcnt_dscnt 0x0
	v_fma_f32 v24, s24, v24, v23
	flat_store_b32 v[26:27], v24
	s_cbranch_execnz .LBB442_23
.LBB442_22:                             ;   in Loop: Header=BB442_6 Depth=1
	v_lshlrev_b64_e32 v[26:27], 2, v[4:5]
	s_delay_alu instid0(VALU_DEP_1) | instskip(SKIP_1) | instid1(VALU_DEP_2)
	v_add_co_u32 v24, vcc_lo, v13, v26
	s_wait_alu 0xfffd
	v_add_co_ci_u32_e64 v25, null, v25, v27, vcc_lo
	flat_store_b32 v[24:25], v23
.LBB442_23:                             ;   in Loop: Header=BB442_6 Depth=1
	s_wait_alu 0xfffe
	s_or_b32 exec_lo, exec_lo, s16
	v_add_co_u32 v2, vcc_lo, v2, v10
	s_wait_alu 0xfffd
	v_add_co_ci_u32_e64 v23, null, v12, v11, vcc_lo
	s_and_saveexec_b32 s16, s35
	s_cbranch_execz .LBB442_27
; %bb.24:                               ;   in Loop: Header=BB442_6 Depth=1
	v_lshlrev_b64_e32 v[12:13], 2, v[0:1]
	v_mul_f32_e32 v22, s25, v22
	s_and_not1_b32 vcc_lo, exec_lo, s28
	s_wait_alu 0xfffe
	s_cbranch_vccnz .LBB442_32
; %bb.25:                               ;   in Loop: Header=BB442_6 Depth=1
	s_delay_alu instid0(VALU_DEP_2)
	v_add_co_u32 v24, vcc_lo, v2, v12
	s_wait_alu 0xfffd
	v_add_co_ci_u32_e64 v25, null, v23, v13, vcc_lo
	flat_load_b32 v26, v[24:25]
	s_wait_loadcnt_dscnt 0x0
	v_fma_f32 v26, s24, v26, v22
	flat_store_b32 v[24:25], v26
	s_cbranch_execnz .LBB442_27
.LBB442_26:                             ;   in Loop: Header=BB442_6 Depth=1
	v_add_co_u32 v12, vcc_lo, v2, v12
	s_wait_alu 0xfffd
	v_add_co_ci_u32_e64 v13, null, v23, v13, vcc_lo
	flat_store_b32 v[12:13], v22
.LBB442_27:                             ;   in Loop: Header=BB442_6 Depth=1
	s_wait_alu 0xfffe
	s_or_b32 exec_lo, exec_lo, s16
	s_and_saveexec_b32 s16, s36
	s_cbranch_execz .LBB442_5
; %bb.28:                               ;   in Loop: Header=BB442_6 Depth=1
	v_lshlrev_b64_e32 v[12:13], 2, v[4:5]
	v_mul_f32_e32 v21, s25, v21
	s_and_not1_b32 vcc_lo, exec_lo, s28
	s_wait_alu 0xfffe
	s_cbranch_vccnz .LBB442_33
; %bb.29:                               ;   in Loop: Header=BB442_6 Depth=1
	s_delay_alu instid0(VALU_DEP_2)
	v_add_co_u32 v24, vcc_lo, v2, v12
	s_wait_alu 0xfffd
	v_add_co_ci_u32_e64 v25, null, v23, v13, vcc_lo
	flat_load_b32 v22, v[24:25]
	s_wait_loadcnt_dscnt 0x0
	v_fma_f32 v22, s24, v22, v21
	flat_store_b32 v[24:25], v22
	s_cbranch_execnz .LBB442_5
	s_branch .LBB442_34
.LBB442_30:                             ;   in Loop: Header=BB442_6 Depth=1
	s_branch .LBB442_18
.LBB442_31:                             ;   in Loop: Header=BB442_6 Depth=1
	s_branch .LBB442_22
.LBB442_32:                             ;   in Loop: Header=BB442_6 Depth=1
	s_branch .LBB442_26
.LBB442_33:                             ;   in Loop: Header=BB442_6 Depth=1
.LBB442_34:                             ;   in Loop: Header=BB442_6 Depth=1
	s_delay_alu instid0(VALU_DEP_2)
	v_add_co_u32 v12, vcc_lo, v2, v12
	s_wait_alu 0xfffd
	v_add_co_ci_u32_e64 v13, null, v23, v13, vcc_lo
	flat_store_b32 v[12:13], v21
	s_branch .LBB442_5
.LBB442_35:
	s_endpgm
	.section	.rodata,"a",@progbits
	.p2align	6, 0x0
	.amdhsa_kernel _ZL29rocblas_internal_gemmt_kernelIlLi16ELi32ELi8ELc78ELc84ELc76ELb0ELb0EfPKfPKS1_PKPfEviT_T9_T10_S7_lS9_S7_lS8_T11_S7_li
		.amdhsa_group_segment_fixed_size 2048
		.amdhsa_private_segment_fixed_size 0
		.amdhsa_kernarg_size 108
		.amdhsa_user_sgpr_count 2
		.amdhsa_user_sgpr_dispatch_ptr 0
		.amdhsa_user_sgpr_queue_ptr 0
		.amdhsa_user_sgpr_kernarg_segment_ptr 1
		.amdhsa_user_sgpr_dispatch_id 0
		.amdhsa_user_sgpr_private_segment_size 0
		.amdhsa_wavefront_size32 1
		.amdhsa_uses_dynamic_stack 0
		.amdhsa_enable_private_segment 0
		.amdhsa_system_sgpr_workgroup_id_x 1
		.amdhsa_system_sgpr_workgroup_id_y 1
		.amdhsa_system_sgpr_workgroup_id_z 1
		.amdhsa_system_sgpr_workgroup_info 0
		.amdhsa_system_vgpr_workitem_id 1
		.amdhsa_next_free_vgpr 57
		.amdhsa_next_free_sgpr 38
		.amdhsa_reserve_vcc 1
		.amdhsa_float_round_mode_32 0
		.amdhsa_float_round_mode_16_64 0
		.amdhsa_float_denorm_mode_32 3
		.amdhsa_float_denorm_mode_16_64 3
		.amdhsa_fp16_overflow 0
		.amdhsa_workgroup_processor_mode 1
		.amdhsa_memory_ordered 1
		.amdhsa_forward_progress 1
		.amdhsa_inst_pref_size 15
		.amdhsa_round_robin_scheduling 0
		.amdhsa_exception_fp_ieee_invalid_op 0
		.amdhsa_exception_fp_denorm_src 0
		.amdhsa_exception_fp_ieee_div_zero 0
		.amdhsa_exception_fp_ieee_overflow 0
		.amdhsa_exception_fp_ieee_underflow 0
		.amdhsa_exception_fp_ieee_inexact 0
		.amdhsa_exception_int_div_zero 0
	.end_amdhsa_kernel
	.section	.text._ZL29rocblas_internal_gemmt_kernelIlLi16ELi32ELi8ELc78ELc84ELc76ELb0ELb0EfPKfPKS1_PKPfEviT_T9_T10_S7_lS9_S7_lS8_T11_S7_li,"axG",@progbits,_ZL29rocblas_internal_gemmt_kernelIlLi16ELi32ELi8ELc78ELc84ELc76ELb0ELb0EfPKfPKS1_PKPfEviT_T9_T10_S7_lS9_S7_lS8_T11_S7_li,comdat
.Lfunc_end442:
	.size	_ZL29rocblas_internal_gemmt_kernelIlLi16ELi32ELi8ELc78ELc84ELc76ELb0ELb0EfPKfPKS1_PKPfEviT_T9_T10_S7_lS9_S7_lS8_T11_S7_li, .Lfunc_end442-_ZL29rocblas_internal_gemmt_kernelIlLi16ELi32ELi8ELc78ELc84ELc76ELb0ELb0EfPKfPKS1_PKPfEviT_T9_T10_S7_lS9_S7_lS8_T11_S7_li
                                        ; -- End function
	.set _ZL29rocblas_internal_gemmt_kernelIlLi16ELi32ELi8ELc78ELc84ELc76ELb0ELb0EfPKfPKS1_PKPfEviT_T9_T10_S7_lS9_S7_lS8_T11_S7_li.num_vgpr, 57
	.set _ZL29rocblas_internal_gemmt_kernelIlLi16ELi32ELi8ELc78ELc84ELc76ELb0ELb0EfPKfPKS1_PKPfEviT_T9_T10_S7_lS9_S7_lS8_T11_S7_li.num_agpr, 0
	.set _ZL29rocblas_internal_gemmt_kernelIlLi16ELi32ELi8ELc78ELc84ELc76ELb0ELb0EfPKfPKS1_PKPfEviT_T9_T10_S7_lS9_S7_lS8_T11_S7_li.numbered_sgpr, 38
	.set _ZL29rocblas_internal_gemmt_kernelIlLi16ELi32ELi8ELc78ELc84ELc76ELb0ELb0EfPKfPKS1_PKPfEviT_T9_T10_S7_lS9_S7_lS8_T11_S7_li.num_named_barrier, 0
	.set _ZL29rocblas_internal_gemmt_kernelIlLi16ELi32ELi8ELc78ELc84ELc76ELb0ELb0EfPKfPKS1_PKPfEviT_T9_T10_S7_lS9_S7_lS8_T11_S7_li.private_seg_size, 0
	.set _ZL29rocblas_internal_gemmt_kernelIlLi16ELi32ELi8ELc78ELc84ELc76ELb0ELb0EfPKfPKS1_PKPfEviT_T9_T10_S7_lS9_S7_lS8_T11_S7_li.uses_vcc, 1
	.set _ZL29rocblas_internal_gemmt_kernelIlLi16ELi32ELi8ELc78ELc84ELc76ELb0ELb0EfPKfPKS1_PKPfEviT_T9_T10_S7_lS9_S7_lS8_T11_S7_li.uses_flat_scratch, 0
	.set _ZL29rocblas_internal_gemmt_kernelIlLi16ELi32ELi8ELc78ELc84ELc76ELb0ELb0EfPKfPKS1_PKPfEviT_T9_T10_S7_lS9_S7_lS8_T11_S7_li.has_dyn_sized_stack, 0
	.set _ZL29rocblas_internal_gemmt_kernelIlLi16ELi32ELi8ELc78ELc84ELc76ELb0ELb0EfPKfPKS1_PKPfEviT_T9_T10_S7_lS9_S7_lS8_T11_S7_li.has_recursion, 0
	.set _ZL29rocblas_internal_gemmt_kernelIlLi16ELi32ELi8ELc78ELc84ELc76ELb0ELb0EfPKfPKS1_PKPfEviT_T9_T10_S7_lS9_S7_lS8_T11_S7_li.has_indirect_call, 0
	.section	.AMDGPU.csdata,"",@progbits
; Kernel info:
; codeLenInByte = 1912
; TotalNumSgprs: 40
; NumVgprs: 57
; ScratchSize: 0
; MemoryBound: 0
; FloatMode: 240
; IeeeMode: 1
; LDSByteSize: 2048 bytes/workgroup (compile time only)
; SGPRBlocks: 0
; VGPRBlocks: 7
; NumSGPRsForWavesPerEU: 40
; NumVGPRsForWavesPerEU: 57
; Occupancy: 16
; WaveLimiterHint : 1
; COMPUTE_PGM_RSRC2:SCRATCH_EN: 0
; COMPUTE_PGM_RSRC2:USER_SGPR: 2
; COMPUTE_PGM_RSRC2:TRAP_HANDLER: 0
; COMPUTE_PGM_RSRC2:TGID_X_EN: 1
; COMPUTE_PGM_RSRC2:TGID_Y_EN: 1
; COMPUTE_PGM_RSRC2:TGID_Z_EN: 1
; COMPUTE_PGM_RSRC2:TIDIG_COMP_CNT: 1
	.section	.text._ZL29rocblas_internal_gemmt_kernelIlLi16ELi32ELi8ELc78ELc67ELc76ELb0ELb0EfPKfPKS1_PKPfEviT_T9_T10_S7_lS9_S7_lS8_T11_S7_li,"axG",@progbits,_ZL29rocblas_internal_gemmt_kernelIlLi16ELi32ELi8ELc78ELc67ELc76ELb0ELb0EfPKfPKS1_PKPfEviT_T9_T10_S7_lS9_S7_lS8_T11_S7_li,comdat
	.globl	_ZL29rocblas_internal_gemmt_kernelIlLi16ELi32ELi8ELc78ELc67ELc76ELb0ELb0EfPKfPKS1_PKPfEviT_T9_T10_S7_lS9_S7_lS8_T11_S7_li ; -- Begin function _ZL29rocblas_internal_gemmt_kernelIlLi16ELi32ELi8ELc78ELc67ELc76ELb0ELb0EfPKfPKS1_PKPfEviT_T9_T10_S7_lS9_S7_lS8_T11_S7_li
	.p2align	8
	.type	_ZL29rocblas_internal_gemmt_kernelIlLi16ELi32ELi8ELc78ELc67ELc76ELb0ELb0EfPKfPKS1_PKPfEviT_T9_T10_S7_lS9_S7_lS8_T11_S7_li,@function
_ZL29rocblas_internal_gemmt_kernelIlLi16ELi32ELi8ELc78ELc67ELc76ELb0ELb0EfPKfPKS1_PKPfEviT_T9_T10_S7_lS9_S7_lS8_T11_S7_li: ; @_ZL29rocblas_internal_gemmt_kernelIlLi16ELi32ELi8ELc78ELc67ELc76ELb0ELb0EfPKfPKS1_PKPfEviT_T9_T10_S7_lS9_S7_lS8_T11_S7_li
; %bb.0:
	s_clause 0x1
	s_load_b256 s[24:31], s[0:1], 0x48
	s_load_b512 s[8:23], s[0:1], 0x8
	s_wait_kmcnt 0x0
	s_load_b32 s24, s[24:25], 0x0
	s_load_b32 s25, s[10:11], 0x0
	s_wait_kmcnt 0x0
	s_cmp_neq_f32 s24, 1.0
	s_cselect_b32 s2, -1, 0
	s_delay_alu instid0(SALU_CYCLE_1)
	s_and_b32 vcc_lo, exec_lo, s2
	s_cbranch_vccnz .LBB443_2
; %bb.1:
	s_cmp_lg_u64 s[8:9], 0
	s_cselect_b32 s2, -1, 0
	s_cmp_neq_f32 s25, 0
	s_cselect_b32 s3, -1, 0
	s_delay_alu instid0(SALU_CYCLE_1)
	s_and_b32 s2, s2, s3
.LBB443_2:
	s_delay_alu instid0(SALU_CYCLE_1)
	s_and_not1_b32 vcc_lo, exec_lo, s2
	s_cbranch_vccnz .LBB443_35
; %bb.3:
	s_load_b32 s33, s[0:1], 0x68
	s_lshr_b32 s6, ttmp7, 16
	s_wait_kmcnt 0x0
	s_cmp_ge_u32 s6, s33
	s_cbranch_scc1 .LBB443_35
; %bb.4:
	v_bfe_u32 v5, v0, 10, 10
	s_load_b32 s4, s[0:1], 0x0
	s_lshl_b32 s0, ttmp7, 5
	v_dual_mov_b32 v3, 0 :: v_dual_and_b32 v14, 7, v0
	s_and_b32 s0, s0, 0x1fffe0
	s_lshl_b32 s2, ttmp9, 5
	v_add_nc_u32_e32 v12, s0, v5
	s_cmp_neq_f32 s25, 0
	v_cmp_gt_i64_e64 s11, s[8:9], 0
	v_lshl_add_u32 v19, v5, 5, 0x400
	s_mov_b32 s7, 0
	v_mad_co_u64_u32 v[8:9], null, s28, v12, 0
	v_and_b32_e32 v4, 0x3ff, v0
	s_cselect_b32 s10, -1, 0
	s_cmp_neq_f32 s24, 0
	s_delay_alu instid0(VALU_DEP_1) | instskip(NEXT) | instid1(VALU_DEP_1)
	v_lshl_add_u32 v0, v5, 4, v4
	v_and_b32_e32 v1, 31, v0
	v_lshrrev_b32_e32 v2, 3, v0
	v_lshrrev_b32_e32 v15, 5, v0
	s_delay_alu instid0(VALU_DEP_3) | instskip(SKIP_3) | instid1(VALU_DEP_4)
	v_or_b32_e32 v6, s2, v1
	v_lshlrev_b32_e32 v0, 2, v1
	v_lshlrev_b32_e32 v1, 2, v14
	v_add_nc_u32_e32 v13, s0, v2
	v_ashrrev_i32_e32 v7, 31, v6
	s_wait_kmcnt 0x0
	v_cmp_gt_i32_e64 s0, s4, v6
	v_lshl_or_b32 v2, v2, 5, v1
	v_dual_mov_b32 v1, v9 :: v_dual_lshlrev_b32 v18, 2, v4
	v_cmp_gt_i32_e64 s1, s4, v13
	v_lshlrev_b64_e32 v[6:7], 2, v[6:7]
	s_delay_alu instid0(VALU_DEP_4) | instskip(NEXT) | instid1(VALU_DEP_4)
	v_add_nc_u32_e32 v17, 0x400, v2
	v_mad_co_u64_u32 v[1:2], null, s29, v12, v[1:2]
	s_delay_alu instid0(VALU_DEP_1) | instskip(NEXT) | instid1(VALU_DEP_1)
	v_dual_mov_b32 v9, v1 :: v_dual_add_nc_u32 v20, 16, v12
	v_lshlrev_b64_e32 v[8:9], 2, v[8:9]
	s_delay_alu instid0(VALU_DEP_2)
	v_mad_co_u64_u32 v[10:11], null, s28, v20, 0
	s_cselect_b32 s28, -1, 0
	s_and_b32 s37, s10, s11
	s_lshl_b64 s[10:11], s[30:31], 2
	v_mov_b32_e32 v1, v11
	v_lshl_or_b32 v16, v15, 7, v0
	v_add_nc_u32_e32 v0, s2, v4
	s_delay_alu instid0(VALU_DEP_1) | instskip(SKIP_2) | instid1(VALU_DEP_3)
	v_add_nc_u32_e32 v4, 16, v0
	v_cmp_le_i32_e32 vcc_lo, v12, v0
	v_cmp_gt_i32_e64 s2, s4, v0
	v_cmp_le_i32_e64 s3, v12, v4
	v_mad_co_u64_u32 v[11:12], null, s29, v20, v[1:2]
	v_cmp_gt_i32_e64 s4, s4, v4
	s_and_b32 s29, vcc_lo, s2
	v_cmp_le_i32_e32 vcc_lo, v20, v0
	v_cmp_le_i32_e64 s5, v20, v4
	v_ashrrev_i32_e32 v1, 31, v0
	v_ashrrev_i32_e32 v5, 31, v4
	v_lshlrev_b64_e32 v[10:11], 2, v[10:11]
	v_lshlrev_b32_e32 v20, 2, v13
	s_and_b32 s34, s3, s4
	s_and_b32 s35, vcc_lo, s2
	s_and_b32 s36, s5, s4
	s_lshl_b64 s[2:3], s[22:23], 2
	s_lshl_b64 s[4:5], s[16:17], 2
	s_branch .LBB443_6
.LBB443_5:                              ;   in Loop: Header=BB443_6 Depth=1
	s_wait_alu 0xfffe
	s_or_b32 exec_lo, exec_lo, s16
	s_add_co_i32 s6, s6, 0x10000
	s_delay_alu instid0(SALU_CYCLE_1)
	s_cmp_lt_u32 s6, s33
	s_cbranch_scc0 .LBB443_35
.LBB443_6:                              ; =>This Loop Header: Depth=1
                                        ;     Child Loop BB443_9 Depth 2
	s_lshl_b64 s[16:17], s[6:7], 3
	v_dual_mov_b32 v24, v3 :: v_dual_mov_b32 v23, v3
	s_wait_alu 0xfffe
	s_add_nc_u64 s[22:23], s[26:27], s[16:17]
	v_dual_mov_b32 v22, v3 :: v_dual_mov_b32 v21, v3
	global_load_b64 v[12:13], v3, s[22:23]
	s_and_not1_b32 vcc_lo, exec_lo, s37
	s_wait_alu 0xfffe
	s_cbranch_vccnz .LBB443_15
; %bb.7:                                ;   in Loop: Header=BB443_6 Depth=1
	s_add_nc_u64 s[22:23], s[12:13], s[16:17]
	s_add_nc_u64 s[16:17], s[18:19], s[16:17]
	s_clause 0x1
	global_load_b64 v[24:25], v3, s[22:23]
	global_load_b64 v[26:27], v3, s[16:17]
	v_dual_mov_b32 v21, 0 :: v_dual_mov_b32 v22, 0
	v_mov_b32_e32 v23, 0
	s_mov_b64 s[16:17], 0
	s_wait_loadcnt 0x1
	v_add_co_u32 v2, vcc_lo, v24, s4
	s_wait_alu 0xfffd
	v_add_co_ci_u32_e64 v24, null, s5, v25, vcc_lo
	s_wait_loadcnt 0x0
	v_add_co_u32 v28, vcc_lo, v26, s2
	s_wait_alu 0xfffd
	v_add_co_ci_u32_e64 v29, null, s3, v27, vcc_lo
	v_add_co_u32 v25, vcc_lo, v2, v6
	s_wait_alu 0xfffd
	v_add_co_ci_u32_e64 v26, null, v24, v7, vcc_lo
	;; [unrolled: 3-line block ×3, first 2 shown]
	v_mov_b32_e32 v24, 0
	s_branch .LBB443_9
.LBB443_8:                              ;   in Loop: Header=BB443_9 Depth=2
	s_or_b32 exec_lo, exec_lo, s22
	s_wait_loadcnt_dscnt 0x0
	ds_store_b32 v17, v30
	s_wait_dscnt 0x0
	s_barrier_signal -1
	s_barrier_wait -1
	global_inv scope:SCOPE_SE
	ds_load_b128 v[29:32], v19
	ds_load_2addr_b32 v[45:46], v18 offset1:16
	ds_load_b128 v[33:36], v19 offset:512
	ds_load_2addr_b32 v[47:48], v18 offset0:32 offset1:48
	ds_load_2addr_b32 v[49:50], v18 offset0:64 offset1:80
	;; [unrolled: 1-line block ×3, first 2 shown]
	ds_load_b128 v[37:40], v19 offset:16
	ds_load_2addr_b32 v[53:54], v18 offset0:128 offset1:144
	ds_load_b128 v[41:44], v19 offset:528
	ds_load_2addr_b32 v[55:56], v18 offset0:160 offset1:176
	s_add_nc_u64 s[16:17], s[16:17], 8
	s_wait_alu 0xfffe
	v_cmp_gt_i64_e64 s22, s[8:9], s[16:17]
	s_and_b32 vcc_lo, exec_lo, s22
	s_wait_dscnt 0x8
	v_fmac_f32_e32 v23, v46, v29
	v_fmac_f32_e32 v24, v45, v29
	s_wait_dscnt 0x7
	v_fmac_f32_e32 v21, v46, v33
	v_fmac_f32_e32 v22, v45, v33
	ds_load_2addr_b32 v[45:46], v18 offset0:192 offset1:208
	s_wait_dscnt 0x7
	v_fmac_f32_e32 v23, v48, v30
	v_fmac_f32_e32 v24, v47, v30
	;; [unrolled: 1-line block ×4, first 2 shown]
	ds_load_2addr_b32 v[29:30], v18 offset0:224 offset1:240
	s_wait_dscnt 0x7
	v_fmac_f32_e32 v23, v50, v31
	v_fmac_f32_e32 v24, v49, v31
	v_fmac_f32_e32 v21, v50, v35
	v_fmac_f32_e32 v22, v49, v35
	s_wait_loadcnt_dscnt 0x0
	v_fmac_f32_e32 v23, v52, v32
	v_fmac_f32_e32 v24, v51, v32
	;; [unrolled: 1-line block ×4, first 2 shown]
	s_barrier_signal -1
	v_fmac_f32_e32 v23, v54, v37
	v_fmac_f32_e32 v24, v53, v37
	;; [unrolled: 1-line block ×4, first 2 shown]
	s_barrier_wait -1
	v_fmac_f32_e32 v23, v56, v38
	v_fmac_f32_e32 v24, v55, v38
	;; [unrolled: 1-line block ×4, first 2 shown]
	global_inv scope:SCOPE_SE
	v_fmac_f32_e32 v23, v46, v39
	v_fmac_f32_e32 v24, v45, v39
	v_fmac_f32_e32 v21, v46, v43
	s_delay_alu instid0(VALU_DEP_3) | instskip(NEXT) | instid1(VALU_DEP_3)
	v_dual_fmac_f32 v22, v45, v43 :: v_dual_fmac_f32 v23, v30, v40
	v_fmac_f32_e32 v24, v29, v40
	s_delay_alu instid0(VALU_DEP_3) | instskip(NEXT) | instid1(VALU_DEP_3)
	v_fmac_f32_e32 v21, v30, v44
	v_fmac_f32_e32 v22, v29, v44
	s_wait_alu 0xfffe
	s_cbranch_vccz .LBB443_15
.LBB443_9:                              ;   Parent Loop BB443_6 Depth=1
                                        ; =>  This Inner Loop Header: Depth=2
	v_mov_b32_e32 v29, 0
	s_and_saveexec_b32 s22, s0
	s_cbranch_execz .LBB443_13
; %bb.10:                               ;   in Loop: Header=BB443_9 Depth=2
	s_wait_alu 0xfffe
	v_dual_mov_b32 v29, 0 :: v_dual_add_nc_u32 v2, s16, v15
	s_mov_b32 s23, exec_lo
	s_delay_alu instid0(VALU_DEP_1)
	v_cmpx_gt_u64_e64 s[8:9], v[2:3]
	s_cbranch_execz .LBB443_12
; %bb.11:                               ;   in Loop: Header=BB443_9 Depth=2
	v_mad_co_u64_u32 v[29:30], null, s14, v2, 0
	s_delay_alu instid0(VALU_DEP_1) | instskip(NEXT) | instid1(VALU_DEP_1)
	v_mad_co_u64_u32 v[30:31], null, s15, v2, v[30:31]
	v_lshlrev_b64_e32 v[29:30], 2, v[29:30]
	s_delay_alu instid0(VALU_DEP_1) | instskip(SKIP_1) | instid1(VALU_DEP_2)
	v_add_co_u32 v29, vcc_lo, v25, v29
	s_wait_alu 0xfffd
	v_add_co_ci_u32_e64 v30, null, v26, v30, vcc_lo
	flat_load_b32 v29, v[29:30]
.LBB443_12:                             ;   in Loop: Header=BB443_9 Depth=2
	s_or_b32 exec_lo, exec_lo, s23
.LBB443_13:                             ;   in Loop: Header=BB443_9 Depth=2
	s_delay_alu instid0(SALU_CYCLE_1)
	s_or_b32 exec_lo, exec_lo, s22
	s_wait_alu 0xfffe
	v_add_nc_u32_e32 v2, s16, v14
	v_mov_b32_e32 v30, 0
	s_wait_loadcnt_dscnt 0x0
	ds_store_b32 v16, v29
	v_cmp_gt_u64_e32 vcc_lo, s[8:9], v[2:3]
	s_and_b32 s23, vcc_lo, s1
	s_delay_alu instid0(SALU_CYCLE_1)
	s_and_saveexec_b32 s22, s23
	s_cbranch_execz .LBB443_8
; %bb.14:                               ;   in Loop: Header=BB443_9 Depth=2
	v_mad_co_u64_u32 v[29:30], null, s20, v2, 0
	s_delay_alu instid0(VALU_DEP_1) | instskip(NEXT) | instid1(VALU_DEP_1)
	v_mad_co_u64_u32 v[30:31], null, s21, v2, v[30:31]
	v_lshlrev_b64_e32 v[29:30], 2, v[29:30]
	s_delay_alu instid0(VALU_DEP_1) | instskip(SKIP_1) | instid1(VALU_DEP_2)
	v_add_co_u32 v29, vcc_lo, v27, v29
	s_wait_alu 0xfffd
	v_add_co_ci_u32_e64 v30, null, v28, v30, vcc_lo
	flat_load_b32 v30, v[29:30]
	s_branch .LBB443_8
.LBB443_15:                             ;   in Loop: Header=BB443_6 Depth=1
	s_wait_loadcnt 0x0
	v_add_co_u32 v2, vcc_lo, v12, s10
	s_wait_alu 0xfffd
	v_add_co_ci_u32_e64 v12, null, s11, v13, vcc_lo
	s_delay_alu instid0(VALU_DEP_2) | instskip(SKIP_1) | instid1(VALU_DEP_2)
	v_add_co_u32 v13, vcc_lo, v2, v8
	s_wait_alu 0xfffd
	v_add_co_ci_u32_e64 v25, null, v12, v9, vcc_lo
	s_wait_alu 0xfffe
	s_and_saveexec_b32 s16, s29
	s_cbranch_execz .LBB443_19
; %bb.16:                               ;   in Loop: Header=BB443_6 Depth=1
	v_mul_f32_e32 v24, s25, v24
	s_and_b32 vcc_lo, exec_lo, s28
	s_wait_alu 0xfffe
	s_cbranch_vccz .LBB443_30
; %bb.17:                               ;   in Loop: Header=BB443_6 Depth=1
	v_lshlrev_b64_e32 v[26:27], 2, v[0:1]
	s_delay_alu instid0(VALU_DEP_1) | instskip(SKIP_1) | instid1(VALU_DEP_2)
	v_add_co_u32 v26, vcc_lo, v13, v26
	s_wait_alu 0xfffd
	v_add_co_ci_u32_e64 v27, null, v25, v27, vcc_lo
	flat_load_b32 v28, v[26:27]
	s_wait_loadcnt_dscnt 0x0
	v_fma_f32 v28, s24, v28, v24
	flat_store_b32 v[26:27], v28
	s_cbranch_execnz .LBB443_19
.LBB443_18:                             ;   in Loop: Header=BB443_6 Depth=1
	v_lshlrev_b64_e32 v[26:27], 2, v[0:1]
	s_delay_alu instid0(VALU_DEP_1) | instskip(SKIP_1) | instid1(VALU_DEP_2)
	v_add_co_u32 v26, vcc_lo, v13, v26
	s_wait_alu 0xfffd
	v_add_co_ci_u32_e64 v27, null, v25, v27, vcc_lo
	flat_store_b32 v[26:27], v24
.LBB443_19:                             ;   in Loop: Header=BB443_6 Depth=1
	s_wait_alu 0xfffe
	s_or_b32 exec_lo, exec_lo, s16
	s_and_saveexec_b32 s16, s34
	s_cbranch_execz .LBB443_23
; %bb.20:                               ;   in Loop: Header=BB443_6 Depth=1
	v_mul_f32_e32 v23, s25, v23
	s_and_not1_b32 vcc_lo, exec_lo, s28
	s_wait_alu 0xfffe
	s_cbranch_vccnz .LBB443_31
; %bb.21:                               ;   in Loop: Header=BB443_6 Depth=1
	v_lshlrev_b64_e32 v[26:27], 2, v[4:5]
	s_delay_alu instid0(VALU_DEP_1) | instskip(SKIP_1) | instid1(VALU_DEP_2)
	v_add_co_u32 v26, vcc_lo, v13, v26
	s_wait_alu 0xfffd
	v_add_co_ci_u32_e64 v27, null, v25, v27, vcc_lo
	flat_load_b32 v24, v[26:27]
	s_wait_loadcnt_dscnt 0x0
	v_fma_f32 v24, s24, v24, v23
	flat_store_b32 v[26:27], v24
	s_cbranch_execnz .LBB443_23
.LBB443_22:                             ;   in Loop: Header=BB443_6 Depth=1
	v_lshlrev_b64_e32 v[26:27], 2, v[4:5]
	s_delay_alu instid0(VALU_DEP_1) | instskip(SKIP_1) | instid1(VALU_DEP_2)
	v_add_co_u32 v24, vcc_lo, v13, v26
	s_wait_alu 0xfffd
	v_add_co_ci_u32_e64 v25, null, v25, v27, vcc_lo
	flat_store_b32 v[24:25], v23
.LBB443_23:                             ;   in Loop: Header=BB443_6 Depth=1
	s_wait_alu 0xfffe
	s_or_b32 exec_lo, exec_lo, s16
	v_add_co_u32 v2, vcc_lo, v2, v10
	s_wait_alu 0xfffd
	v_add_co_ci_u32_e64 v23, null, v12, v11, vcc_lo
	s_and_saveexec_b32 s16, s35
	s_cbranch_execz .LBB443_27
; %bb.24:                               ;   in Loop: Header=BB443_6 Depth=1
	v_lshlrev_b64_e32 v[12:13], 2, v[0:1]
	v_mul_f32_e32 v22, s25, v22
	s_and_not1_b32 vcc_lo, exec_lo, s28
	s_wait_alu 0xfffe
	s_cbranch_vccnz .LBB443_32
; %bb.25:                               ;   in Loop: Header=BB443_6 Depth=1
	s_delay_alu instid0(VALU_DEP_2)
	v_add_co_u32 v24, vcc_lo, v2, v12
	s_wait_alu 0xfffd
	v_add_co_ci_u32_e64 v25, null, v23, v13, vcc_lo
	flat_load_b32 v26, v[24:25]
	s_wait_loadcnt_dscnt 0x0
	v_fma_f32 v26, s24, v26, v22
	flat_store_b32 v[24:25], v26
	s_cbranch_execnz .LBB443_27
.LBB443_26:                             ;   in Loop: Header=BB443_6 Depth=1
	v_add_co_u32 v12, vcc_lo, v2, v12
	s_wait_alu 0xfffd
	v_add_co_ci_u32_e64 v13, null, v23, v13, vcc_lo
	flat_store_b32 v[12:13], v22
.LBB443_27:                             ;   in Loop: Header=BB443_6 Depth=1
	s_wait_alu 0xfffe
	s_or_b32 exec_lo, exec_lo, s16
	s_and_saveexec_b32 s16, s36
	s_cbranch_execz .LBB443_5
; %bb.28:                               ;   in Loop: Header=BB443_6 Depth=1
	v_lshlrev_b64_e32 v[12:13], 2, v[4:5]
	v_mul_f32_e32 v21, s25, v21
	s_and_not1_b32 vcc_lo, exec_lo, s28
	s_wait_alu 0xfffe
	s_cbranch_vccnz .LBB443_33
; %bb.29:                               ;   in Loop: Header=BB443_6 Depth=1
	s_delay_alu instid0(VALU_DEP_2)
	v_add_co_u32 v24, vcc_lo, v2, v12
	s_wait_alu 0xfffd
	v_add_co_ci_u32_e64 v25, null, v23, v13, vcc_lo
	flat_load_b32 v22, v[24:25]
	s_wait_loadcnt_dscnt 0x0
	v_fma_f32 v22, s24, v22, v21
	flat_store_b32 v[24:25], v22
	s_cbranch_execnz .LBB443_5
	s_branch .LBB443_34
.LBB443_30:                             ;   in Loop: Header=BB443_6 Depth=1
	s_branch .LBB443_18
.LBB443_31:                             ;   in Loop: Header=BB443_6 Depth=1
	s_branch .LBB443_22
.LBB443_32:                             ;   in Loop: Header=BB443_6 Depth=1
	s_branch .LBB443_26
.LBB443_33:                             ;   in Loop: Header=BB443_6 Depth=1
.LBB443_34:                             ;   in Loop: Header=BB443_6 Depth=1
	s_delay_alu instid0(VALU_DEP_2)
	v_add_co_u32 v12, vcc_lo, v2, v12
	s_wait_alu 0xfffd
	v_add_co_ci_u32_e64 v13, null, v23, v13, vcc_lo
	flat_store_b32 v[12:13], v21
	s_branch .LBB443_5
.LBB443_35:
	s_endpgm
	.section	.rodata,"a",@progbits
	.p2align	6, 0x0
	.amdhsa_kernel _ZL29rocblas_internal_gemmt_kernelIlLi16ELi32ELi8ELc78ELc67ELc76ELb0ELb0EfPKfPKS1_PKPfEviT_T9_T10_S7_lS9_S7_lS8_T11_S7_li
		.amdhsa_group_segment_fixed_size 2048
		.amdhsa_private_segment_fixed_size 0
		.amdhsa_kernarg_size 108
		.amdhsa_user_sgpr_count 2
		.amdhsa_user_sgpr_dispatch_ptr 0
		.amdhsa_user_sgpr_queue_ptr 0
		.amdhsa_user_sgpr_kernarg_segment_ptr 1
		.amdhsa_user_sgpr_dispatch_id 0
		.amdhsa_user_sgpr_private_segment_size 0
		.amdhsa_wavefront_size32 1
		.amdhsa_uses_dynamic_stack 0
		.amdhsa_enable_private_segment 0
		.amdhsa_system_sgpr_workgroup_id_x 1
		.amdhsa_system_sgpr_workgroup_id_y 1
		.amdhsa_system_sgpr_workgroup_id_z 1
		.amdhsa_system_sgpr_workgroup_info 0
		.amdhsa_system_vgpr_workitem_id 1
		.amdhsa_next_free_vgpr 57
		.amdhsa_next_free_sgpr 38
		.amdhsa_reserve_vcc 1
		.amdhsa_float_round_mode_32 0
		.amdhsa_float_round_mode_16_64 0
		.amdhsa_float_denorm_mode_32 3
		.amdhsa_float_denorm_mode_16_64 3
		.amdhsa_fp16_overflow 0
		.amdhsa_workgroup_processor_mode 1
		.amdhsa_memory_ordered 1
		.amdhsa_forward_progress 1
		.amdhsa_inst_pref_size 15
		.amdhsa_round_robin_scheduling 0
		.amdhsa_exception_fp_ieee_invalid_op 0
		.amdhsa_exception_fp_denorm_src 0
		.amdhsa_exception_fp_ieee_div_zero 0
		.amdhsa_exception_fp_ieee_overflow 0
		.amdhsa_exception_fp_ieee_underflow 0
		.amdhsa_exception_fp_ieee_inexact 0
		.amdhsa_exception_int_div_zero 0
	.end_amdhsa_kernel
	.section	.text._ZL29rocblas_internal_gemmt_kernelIlLi16ELi32ELi8ELc78ELc67ELc76ELb0ELb0EfPKfPKS1_PKPfEviT_T9_T10_S7_lS9_S7_lS8_T11_S7_li,"axG",@progbits,_ZL29rocblas_internal_gemmt_kernelIlLi16ELi32ELi8ELc78ELc67ELc76ELb0ELb0EfPKfPKS1_PKPfEviT_T9_T10_S7_lS9_S7_lS8_T11_S7_li,comdat
.Lfunc_end443:
	.size	_ZL29rocblas_internal_gemmt_kernelIlLi16ELi32ELi8ELc78ELc67ELc76ELb0ELb0EfPKfPKS1_PKPfEviT_T9_T10_S7_lS9_S7_lS8_T11_S7_li, .Lfunc_end443-_ZL29rocblas_internal_gemmt_kernelIlLi16ELi32ELi8ELc78ELc67ELc76ELb0ELb0EfPKfPKS1_PKPfEviT_T9_T10_S7_lS9_S7_lS8_T11_S7_li
                                        ; -- End function
	.set _ZL29rocblas_internal_gemmt_kernelIlLi16ELi32ELi8ELc78ELc67ELc76ELb0ELb0EfPKfPKS1_PKPfEviT_T9_T10_S7_lS9_S7_lS8_T11_S7_li.num_vgpr, 57
	.set _ZL29rocblas_internal_gemmt_kernelIlLi16ELi32ELi8ELc78ELc67ELc76ELb0ELb0EfPKfPKS1_PKPfEviT_T9_T10_S7_lS9_S7_lS8_T11_S7_li.num_agpr, 0
	.set _ZL29rocblas_internal_gemmt_kernelIlLi16ELi32ELi8ELc78ELc67ELc76ELb0ELb0EfPKfPKS1_PKPfEviT_T9_T10_S7_lS9_S7_lS8_T11_S7_li.numbered_sgpr, 38
	.set _ZL29rocblas_internal_gemmt_kernelIlLi16ELi32ELi8ELc78ELc67ELc76ELb0ELb0EfPKfPKS1_PKPfEviT_T9_T10_S7_lS9_S7_lS8_T11_S7_li.num_named_barrier, 0
	.set _ZL29rocblas_internal_gemmt_kernelIlLi16ELi32ELi8ELc78ELc67ELc76ELb0ELb0EfPKfPKS1_PKPfEviT_T9_T10_S7_lS9_S7_lS8_T11_S7_li.private_seg_size, 0
	.set _ZL29rocblas_internal_gemmt_kernelIlLi16ELi32ELi8ELc78ELc67ELc76ELb0ELb0EfPKfPKS1_PKPfEviT_T9_T10_S7_lS9_S7_lS8_T11_S7_li.uses_vcc, 1
	.set _ZL29rocblas_internal_gemmt_kernelIlLi16ELi32ELi8ELc78ELc67ELc76ELb0ELb0EfPKfPKS1_PKPfEviT_T9_T10_S7_lS9_S7_lS8_T11_S7_li.uses_flat_scratch, 0
	.set _ZL29rocblas_internal_gemmt_kernelIlLi16ELi32ELi8ELc78ELc67ELc76ELb0ELb0EfPKfPKS1_PKPfEviT_T9_T10_S7_lS9_S7_lS8_T11_S7_li.has_dyn_sized_stack, 0
	.set _ZL29rocblas_internal_gemmt_kernelIlLi16ELi32ELi8ELc78ELc67ELc76ELb0ELb0EfPKfPKS1_PKPfEviT_T9_T10_S7_lS9_S7_lS8_T11_S7_li.has_recursion, 0
	.set _ZL29rocblas_internal_gemmt_kernelIlLi16ELi32ELi8ELc78ELc67ELc76ELb0ELb0EfPKfPKS1_PKPfEviT_T9_T10_S7_lS9_S7_lS8_T11_S7_li.has_indirect_call, 0
	.section	.AMDGPU.csdata,"",@progbits
; Kernel info:
; codeLenInByte = 1912
; TotalNumSgprs: 40
; NumVgprs: 57
; ScratchSize: 0
; MemoryBound: 0
; FloatMode: 240
; IeeeMode: 1
; LDSByteSize: 2048 bytes/workgroup (compile time only)
; SGPRBlocks: 0
; VGPRBlocks: 7
; NumSGPRsForWavesPerEU: 40
; NumVGPRsForWavesPerEU: 57
; Occupancy: 16
; WaveLimiterHint : 1
; COMPUTE_PGM_RSRC2:SCRATCH_EN: 0
; COMPUTE_PGM_RSRC2:USER_SGPR: 2
; COMPUTE_PGM_RSRC2:TRAP_HANDLER: 0
; COMPUTE_PGM_RSRC2:TGID_X_EN: 1
; COMPUTE_PGM_RSRC2:TGID_Y_EN: 1
; COMPUTE_PGM_RSRC2:TGID_Z_EN: 1
; COMPUTE_PGM_RSRC2:TIDIG_COMP_CNT: 1
	.section	.text._ZL29rocblas_internal_gemmt_kernelIlLi16ELi32ELi8ELc84ELc78ELc76ELb0ELb0EfPKfPKS1_PKPfEviT_T9_T10_S7_lS9_S7_lS8_T11_S7_li,"axG",@progbits,_ZL29rocblas_internal_gemmt_kernelIlLi16ELi32ELi8ELc84ELc78ELc76ELb0ELb0EfPKfPKS1_PKPfEviT_T9_T10_S7_lS9_S7_lS8_T11_S7_li,comdat
	.globl	_ZL29rocblas_internal_gemmt_kernelIlLi16ELi32ELi8ELc84ELc78ELc76ELb0ELb0EfPKfPKS1_PKPfEviT_T9_T10_S7_lS9_S7_lS8_T11_S7_li ; -- Begin function _ZL29rocblas_internal_gemmt_kernelIlLi16ELi32ELi8ELc84ELc78ELc76ELb0ELb0EfPKfPKS1_PKPfEviT_T9_T10_S7_lS9_S7_lS8_T11_S7_li
	.p2align	8
	.type	_ZL29rocblas_internal_gemmt_kernelIlLi16ELi32ELi8ELc84ELc78ELc76ELb0ELb0EfPKfPKS1_PKPfEviT_T9_T10_S7_lS9_S7_lS8_T11_S7_li,@function
_ZL29rocblas_internal_gemmt_kernelIlLi16ELi32ELi8ELc84ELc78ELc76ELb0ELb0EfPKfPKS1_PKPfEviT_T9_T10_S7_lS9_S7_lS8_T11_S7_li: ; @_ZL29rocblas_internal_gemmt_kernelIlLi16ELi32ELi8ELc84ELc78ELc76ELb0ELb0EfPKfPKS1_PKPfEviT_T9_T10_S7_lS9_S7_lS8_T11_S7_li
; %bb.0:
	s_clause 0x1
	s_load_b256 s[24:31], s[0:1], 0x48
	s_load_b512 s[8:23], s[0:1], 0x8
	s_wait_kmcnt 0x0
	s_load_b32 s24, s[24:25], 0x0
	s_load_b32 s25, s[10:11], 0x0
	s_wait_kmcnt 0x0
	s_cmp_neq_f32 s24, 1.0
	s_cselect_b32 s2, -1, 0
	s_delay_alu instid0(SALU_CYCLE_1)
	s_and_b32 vcc_lo, exec_lo, s2
	s_cbranch_vccnz .LBB444_2
; %bb.1:
	s_cmp_lg_u64 s[8:9], 0
	s_cselect_b32 s2, -1, 0
	s_cmp_neq_f32 s25, 0
	s_cselect_b32 s3, -1, 0
	s_delay_alu instid0(SALU_CYCLE_1)
	s_and_b32 s2, s2, s3
.LBB444_2:
	s_delay_alu instid0(SALU_CYCLE_1)
	s_and_not1_b32 vcc_lo, exec_lo, s2
	s_cbranch_vccnz .LBB444_35
; %bb.3:
	s_load_b32 s33, s[0:1], 0x68
	s_lshr_b32 s6, ttmp7, 16
	s_wait_kmcnt 0x0
	s_cmp_ge_u32 s6, s33
	s_cbranch_scc1 .LBB444_35
; %bb.4:
	v_and_b32_e32 v5, 0x3ff, v0
	v_bfe_u32 v14, v0, 10, 10
	s_load_b32 s4, s[0:1], 0x0
	s_lshl_b32 s0, ttmp7, 5
	s_lshl_b32 s2, ttmp9, 5
	s_and_b32 s1, s0, 0x1fffe0
	v_lshl_add_u32 v1, v14, 4, v5
	v_add_nc_u32_e32 v15, s1, v14
	s_cmp_neq_f32 s25, 0
	v_cmp_gt_i64_e64 s10, s[8:9], 0
	v_lshl_add_u32 v21, v14, 5, 0x400
	v_lshrrev_b32_e32 v2, 3, v1
	v_mad_co_u64_u32 v[10:11], null, s28, v15, 0
	v_and_b32_e32 v16, 7, v0
	v_and_b32_e32 v0, 31, v1
	v_lshrrev_b32_e32 v17, 5, v1
	v_add_nc_u32_e32 v4, s1, v2
	v_add_nc_u32_e32 v22, 16, v15
	s_cselect_b32 s11, -1, 0
	v_or_b32_e32 v3, s2, v0
	s_ashr_i32 s1, s2, 31
	v_mad_co_u64_u32 v[8:9], null, s20, v4, 0
	s_wait_alu 0xfffe
	s_mul_i32 s1, s14, s1
	v_mul_lo_u32 v1, s15, v3
	v_mad_co_u64_u32 v[6:7], null, s14, v3, 0
	s_wait_kmcnt 0x0
	v_cmp_gt_i32_e64 s0, s4, v3
	v_mad_co_u64_u32 v[12:13], null, s28, v22, 0
	v_lshlrev_b32_e32 v0, 2, v0
	s_cmp_neq_f32 s24, 0
	s_mov_b32 s7, 0
	s_wait_alu 0xfffe
	v_add3_u32 v7, v7, s1, v1
	v_mov_b32_e32 v1, v11
	v_lshlrev_b32_e32 v3, 2, v16
	v_lshl_or_b32 v18, v17, 7, v0
	v_mov_b32_e32 v0, v9
	v_cmp_gt_i32_e64 s1, s4, v4
	v_lshlrev_b32_e32 v20, 2, v5
	v_lshl_or_b32 v2, v2, 5, v3
	s_cselect_b32 s20, -1, 0
	v_lshlrev_b64_e32 v[6:7], 2, v[6:7]
	s_and_b32 s35, s11, s10
	s_lshl_b64 s[10:11], s[30:31], 2
	v_add_nc_u32_e32 v19, 0x400, v2
	v_mad_co_u64_u32 v[2:3], null, s21, v4, v[0:1]
	v_add_nc_u32_e32 v0, s2, v5
	s_delay_alu instid0(VALU_DEP_2) | instskip(NEXT) | instid1(VALU_DEP_2)
	v_mad_co_u64_u32 v[3:4], null, s29, v15, v[1:2]
	v_dual_mov_b32 v9, v2 :: v_dual_add_nc_u32 v2, 16, v0
	v_mov_b32_e32 v1, v13
	s_delay_alu instid0(VALU_DEP_2) | instskip(NEXT) | instid1(VALU_DEP_4)
	v_lshlrev_b64_e32 v[8:9], 2, v[8:9]
	v_mov_b32_e32 v11, v3
	s_delay_alu instid0(VALU_DEP_3)
	v_mad_co_u64_u32 v[4:5], null, s29, v22, v[1:2]
	v_mov_b32_e32 v5, 0
	v_cmp_le_i32_e32 vcc_lo, v15, v0
	v_cmp_gt_i32_e64 s2, s4, v0
	v_cmp_le_i32_e64 s3, v15, v2
	v_cmp_gt_i32_e64 s4, s4, v2
	v_lshlrev_b64_e32 v[10:11], 2, v[10:11]
	v_mov_b32_e32 v13, v4
	s_and_b32 s21, vcc_lo, s2
	v_cmp_le_i32_e32 vcc_lo, v22, v0
	v_cmp_le_i32_e64 s5, v22, v2
	v_ashrrev_i32_e32 v1, 31, v0
	v_lshlrev_b64_e32 v[12:13], 2, v[12:13]
	v_ashrrev_i32_e32 v3, 31, v2
	s_and_b32 s28, s3, s4
	s_and_b32 s29, vcc_lo, s2
	s_and_b32 s34, s5, s4
	s_lshl_b64 s[2:3], s[22:23], 2
	s_lshl_b64 s[4:5], s[16:17], 2
	s_branch .LBB444_6
.LBB444_5:                              ;   in Loop: Header=BB444_6 Depth=1
	s_wait_alu 0xfffe
	s_or_b32 exec_lo, exec_lo, s14
	s_add_co_i32 s6, s6, 0x10000
	s_delay_alu instid0(SALU_CYCLE_1)
	s_cmp_lt_u32 s6, s33
	s_cbranch_scc0 .LBB444_35
.LBB444_6:                              ; =>This Loop Header: Depth=1
                                        ;     Child Loop BB444_9 Depth 2
	s_lshl_b64 s[14:15], s[6:7], 3
	v_dual_mov_b32 v25, v5 :: v_dual_mov_b32 v24, v5
	s_wait_alu 0xfffe
	s_add_nc_u64 s[16:17], s[26:27], s[14:15]
	v_dual_mov_b32 v23, v5 :: v_dual_mov_b32 v22, v5
	global_load_b64 v[14:15], v5, s[16:17]
	s_and_not1_b32 vcc_lo, exec_lo, s35
	s_wait_alu 0xfffe
	s_cbranch_vccnz .LBB444_15
; %bb.7:                                ;   in Loop: Header=BB444_6 Depth=1
	s_add_nc_u64 s[16:17], s[12:13], s[14:15]
	s_add_nc_u64 s[14:15], s[18:19], s[14:15]
	s_clause 0x1
	global_load_b64 v[25:26], v5, s[16:17]
	global_load_b64 v[27:28], v5, s[14:15]
	v_dual_mov_b32 v22, 0 :: v_dual_mov_b32 v23, 0
	v_mov_b32_e32 v24, 0
	s_mov_b64 s[14:15], 0
	s_wait_loadcnt 0x1
	v_add_co_u32 v4, vcc_lo, v25, s4
	s_wait_alu 0xfffd
	v_add_co_ci_u32_e64 v25, null, s5, v26, vcc_lo
	s_wait_loadcnt 0x0
	v_add_co_u32 v29, vcc_lo, v27, s2
	s_wait_alu 0xfffd
	v_add_co_ci_u32_e64 v30, null, s3, v28, vcc_lo
	v_add_co_u32 v26, vcc_lo, v4, v6
	s_wait_alu 0xfffd
	v_add_co_ci_u32_e64 v27, null, v25, v7, vcc_lo
	;; [unrolled: 3-line block ×3, first 2 shown]
	v_mov_b32_e32 v25, 0
	s_branch .LBB444_9
.LBB444_8:                              ;   in Loop: Header=BB444_9 Depth=2
	s_or_b32 exec_lo, exec_lo, s16
	s_wait_loadcnt_dscnt 0x0
	ds_store_b32 v19, v31
	s_wait_dscnt 0x0
	s_barrier_signal -1
	s_barrier_wait -1
	global_inv scope:SCOPE_SE
	ds_load_b128 v[30:33], v21
	ds_load_2addr_b32 v[46:47], v20 offset1:16
	ds_load_b128 v[34:37], v21 offset:512
	ds_load_2addr_b32 v[48:49], v20 offset0:32 offset1:48
	ds_load_2addr_b32 v[50:51], v20 offset0:64 offset1:80
	;; [unrolled: 1-line block ×3, first 2 shown]
	ds_load_b128 v[38:41], v21 offset:16
	ds_load_2addr_b32 v[54:55], v20 offset0:128 offset1:144
	ds_load_b128 v[42:45], v21 offset:528
	ds_load_2addr_b32 v[56:57], v20 offset0:160 offset1:176
	s_add_nc_u64 s[14:15], s[14:15], 8
	s_wait_alu 0xfffe
	v_cmp_gt_i64_e64 s16, s[8:9], s[14:15]
	s_and_b32 vcc_lo, exec_lo, s16
	s_wait_dscnt 0x8
	v_fmac_f32_e32 v24, v47, v30
	v_fmac_f32_e32 v25, v46, v30
	s_wait_dscnt 0x7
	v_fmac_f32_e32 v22, v47, v34
	v_fmac_f32_e32 v23, v46, v34
	ds_load_2addr_b32 v[46:47], v20 offset0:192 offset1:208
	s_wait_dscnt 0x7
	v_fmac_f32_e32 v24, v49, v31
	v_fmac_f32_e32 v25, v48, v31
	;; [unrolled: 1-line block ×4, first 2 shown]
	ds_load_2addr_b32 v[30:31], v20 offset0:224 offset1:240
	s_wait_dscnt 0x7
	v_fmac_f32_e32 v24, v51, v32
	v_fmac_f32_e32 v25, v50, v32
	;; [unrolled: 1-line block ×4, first 2 shown]
	s_wait_loadcnt_dscnt 0x0
	v_fmac_f32_e32 v24, v53, v33
	v_fmac_f32_e32 v25, v52, v33
	;; [unrolled: 1-line block ×4, first 2 shown]
	s_barrier_signal -1
	v_fmac_f32_e32 v24, v55, v38
	v_fmac_f32_e32 v25, v54, v38
	;; [unrolled: 1-line block ×4, first 2 shown]
	s_barrier_wait -1
	v_fmac_f32_e32 v24, v57, v39
	v_fmac_f32_e32 v25, v56, v39
	;; [unrolled: 1-line block ×4, first 2 shown]
	global_inv scope:SCOPE_SE
	v_fmac_f32_e32 v24, v47, v40
	v_fmac_f32_e32 v25, v46, v40
	;; [unrolled: 1-line block ×3, first 2 shown]
	s_delay_alu instid0(VALU_DEP_3) | instskip(NEXT) | instid1(VALU_DEP_3)
	v_dual_fmac_f32 v23, v46, v44 :: v_dual_fmac_f32 v24, v31, v41
	v_fmac_f32_e32 v25, v30, v41
	s_delay_alu instid0(VALU_DEP_3) | instskip(NEXT) | instid1(VALU_DEP_3)
	v_fmac_f32_e32 v22, v31, v45
	v_fmac_f32_e32 v23, v30, v45
	s_wait_alu 0xfffe
	s_cbranch_vccz .LBB444_15
.LBB444_9:                              ;   Parent Loop BB444_6 Depth=1
                                        ; =>  This Inner Loop Header: Depth=2
	v_mov_b32_e32 v30, 0
	s_and_saveexec_b32 s16, s0
	s_cbranch_execz .LBB444_13
; %bb.10:                               ;   in Loop: Header=BB444_9 Depth=2
	s_wait_alu 0xfffe
	v_add_nc_u32_e32 v4, s14, v17
	v_mov_b32_e32 v30, 0
	s_mov_b32 s17, exec_lo
	s_delay_alu instid0(VALU_DEP_2)
	v_cmpx_gt_u64_e64 s[8:9], v[4:5]
	s_cbranch_execz .LBB444_12
; %bb.11:                               ;   in Loop: Header=BB444_9 Depth=2
	v_lshlrev_b64_e32 v[30:31], 2, v[4:5]
	s_delay_alu instid0(VALU_DEP_1) | instskip(SKIP_1) | instid1(VALU_DEP_2)
	v_add_co_u32 v30, vcc_lo, v26, v30
	s_wait_alu 0xfffd
	v_add_co_ci_u32_e64 v31, null, v27, v31, vcc_lo
	flat_load_b32 v30, v[30:31]
.LBB444_12:                             ;   in Loop: Header=BB444_9 Depth=2
	s_or_b32 exec_lo, exec_lo, s17
.LBB444_13:                             ;   in Loop: Header=BB444_9 Depth=2
	s_delay_alu instid0(SALU_CYCLE_1)
	s_or_b32 exec_lo, exec_lo, s16
	s_wait_alu 0xfffe
	v_dual_mov_b32 v31, 0 :: v_dual_add_nc_u32 v4, s14, v16
	s_wait_loadcnt_dscnt 0x0
	ds_store_b32 v18, v30
	v_cmp_gt_u64_e32 vcc_lo, s[8:9], v[4:5]
	s_and_b32 s17, vcc_lo, s1
	s_delay_alu instid0(SALU_CYCLE_1)
	s_and_saveexec_b32 s16, s17
	s_cbranch_execz .LBB444_8
; %bb.14:                               ;   in Loop: Header=BB444_9 Depth=2
	v_lshlrev_b64_e32 v[30:31], 2, v[4:5]
	s_delay_alu instid0(VALU_DEP_1) | instskip(SKIP_1) | instid1(VALU_DEP_2)
	v_add_co_u32 v30, vcc_lo, v28, v30
	s_wait_alu 0xfffd
	v_add_co_ci_u32_e64 v31, null, v29, v31, vcc_lo
	flat_load_b32 v31, v[30:31]
	s_branch .LBB444_8
.LBB444_15:                             ;   in Loop: Header=BB444_6 Depth=1
	s_wait_loadcnt 0x0
	v_add_co_u32 v4, vcc_lo, v14, s10
	s_wait_alu 0xfffd
	v_add_co_ci_u32_e64 v14, null, s11, v15, vcc_lo
	s_delay_alu instid0(VALU_DEP_2) | instskip(SKIP_1) | instid1(VALU_DEP_2)
	v_add_co_u32 v15, vcc_lo, v4, v10
	s_wait_alu 0xfffd
	v_add_co_ci_u32_e64 v26, null, v14, v11, vcc_lo
	s_and_saveexec_b32 s14, s21
	s_cbranch_execz .LBB444_19
; %bb.16:                               ;   in Loop: Header=BB444_6 Depth=1
	v_mul_f32_e32 v25, s25, v25
	s_and_b32 vcc_lo, exec_lo, s20
	s_wait_alu 0xfffe
	s_cbranch_vccz .LBB444_30
; %bb.17:                               ;   in Loop: Header=BB444_6 Depth=1
	v_lshlrev_b64_e32 v[27:28], 2, v[0:1]
	s_delay_alu instid0(VALU_DEP_1) | instskip(SKIP_1) | instid1(VALU_DEP_2)
	v_add_co_u32 v27, vcc_lo, v15, v27
	s_wait_alu 0xfffd
	v_add_co_ci_u32_e64 v28, null, v26, v28, vcc_lo
	flat_load_b32 v29, v[27:28]
	s_wait_loadcnt_dscnt 0x0
	v_fma_f32 v29, s24, v29, v25
	flat_store_b32 v[27:28], v29
	s_cbranch_execnz .LBB444_19
.LBB444_18:                             ;   in Loop: Header=BB444_6 Depth=1
	v_lshlrev_b64_e32 v[27:28], 2, v[0:1]
	s_delay_alu instid0(VALU_DEP_1) | instskip(SKIP_1) | instid1(VALU_DEP_2)
	v_add_co_u32 v27, vcc_lo, v15, v27
	s_wait_alu 0xfffd
	v_add_co_ci_u32_e64 v28, null, v26, v28, vcc_lo
	flat_store_b32 v[27:28], v25
.LBB444_19:                             ;   in Loop: Header=BB444_6 Depth=1
	s_wait_alu 0xfffe
	s_or_b32 exec_lo, exec_lo, s14
	s_and_saveexec_b32 s14, s28
	s_cbranch_execz .LBB444_23
; %bb.20:                               ;   in Loop: Header=BB444_6 Depth=1
	v_mul_f32_e32 v24, s25, v24
	s_and_not1_b32 vcc_lo, exec_lo, s20
	s_wait_alu 0xfffe
	s_cbranch_vccnz .LBB444_31
; %bb.21:                               ;   in Loop: Header=BB444_6 Depth=1
	v_lshlrev_b64_e32 v[27:28], 2, v[2:3]
	s_delay_alu instid0(VALU_DEP_1) | instskip(SKIP_1) | instid1(VALU_DEP_2)
	v_add_co_u32 v27, vcc_lo, v15, v27
	s_wait_alu 0xfffd
	v_add_co_ci_u32_e64 v28, null, v26, v28, vcc_lo
	flat_load_b32 v25, v[27:28]
	s_wait_loadcnt_dscnt 0x0
	v_fma_f32 v25, s24, v25, v24
	flat_store_b32 v[27:28], v25
	s_cbranch_execnz .LBB444_23
.LBB444_22:                             ;   in Loop: Header=BB444_6 Depth=1
	v_lshlrev_b64_e32 v[27:28], 2, v[2:3]
	s_delay_alu instid0(VALU_DEP_1) | instskip(SKIP_1) | instid1(VALU_DEP_2)
	v_add_co_u32 v25, vcc_lo, v15, v27
	s_wait_alu 0xfffd
	v_add_co_ci_u32_e64 v26, null, v26, v28, vcc_lo
	flat_store_b32 v[25:26], v24
.LBB444_23:                             ;   in Loop: Header=BB444_6 Depth=1
	s_wait_alu 0xfffe
	s_or_b32 exec_lo, exec_lo, s14
	v_add_co_u32 v4, vcc_lo, v4, v12
	s_wait_alu 0xfffd
	v_add_co_ci_u32_e64 v24, null, v14, v13, vcc_lo
	s_and_saveexec_b32 s14, s29
	s_cbranch_execz .LBB444_27
; %bb.24:                               ;   in Loop: Header=BB444_6 Depth=1
	v_lshlrev_b64_e32 v[14:15], 2, v[0:1]
	v_mul_f32_e32 v23, s25, v23
	s_and_not1_b32 vcc_lo, exec_lo, s20
	s_wait_alu 0xfffe
	s_cbranch_vccnz .LBB444_32
; %bb.25:                               ;   in Loop: Header=BB444_6 Depth=1
	s_delay_alu instid0(VALU_DEP_2)
	v_add_co_u32 v25, vcc_lo, v4, v14
	s_wait_alu 0xfffd
	v_add_co_ci_u32_e64 v26, null, v24, v15, vcc_lo
	flat_load_b32 v27, v[25:26]
	s_wait_loadcnt_dscnt 0x0
	v_fma_f32 v27, s24, v27, v23
	flat_store_b32 v[25:26], v27
	s_cbranch_execnz .LBB444_27
.LBB444_26:                             ;   in Loop: Header=BB444_6 Depth=1
	v_add_co_u32 v14, vcc_lo, v4, v14
	s_wait_alu 0xfffd
	v_add_co_ci_u32_e64 v15, null, v24, v15, vcc_lo
	flat_store_b32 v[14:15], v23
.LBB444_27:                             ;   in Loop: Header=BB444_6 Depth=1
	s_wait_alu 0xfffe
	s_or_b32 exec_lo, exec_lo, s14
	s_and_saveexec_b32 s14, s34
	s_cbranch_execz .LBB444_5
; %bb.28:                               ;   in Loop: Header=BB444_6 Depth=1
	v_lshlrev_b64_e32 v[14:15], 2, v[2:3]
	v_mul_f32_e32 v22, s25, v22
	s_and_not1_b32 vcc_lo, exec_lo, s20
	s_wait_alu 0xfffe
	s_cbranch_vccnz .LBB444_33
; %bb.29:                               ;   in Loop: Header=BB444_6 Depth=1
	s_delay_alu instid0(VALU_DEP_2)
	v_add_co_u32 v25, vcc_lo, v4, v14
	s_wait_alu 0xfffd
	v_add_co_ci_u32_e64 v26, null, v24, v15, vcc_lo
	flat_load_b32 v23, v[25:26]
	s_wait_loadcnt_dscnt 0x0
	v_fma_f32 v23, s24, v23, v22
	flat_store_b32 v[25:26], v23
	s_cbranch_execnz .LBB444_5
	s_branch .LBB444_34
.LBB444_30:                             ;   in Loop: Header=BB444_6 Depth=1
	s_branch .LBB444_18
.LBB444_31:                             ;   in Loop: Header=BB444_6 Depth=1
	s_branch .LBB444_22
.LBB444_32:                             ;   in Loop: Header=BB444_6 Depth=1
	s_branch .LBB444_26
.LBB444_33:                             ;   in Loop: Header=BB444_6 Depth=1
.LBB444_34:                             ;   in Loop: Header=BB444_6 Depth=1
	s_delay_alu instid0(VALU_DEP_2)
	v_add_co_u32 v14, vcc_lo, v4, v14
	s_wait_alu 0xfffd
	v_add_co_ci_u32_e64 v15, null, v24, v15, vcc_lo
	flat_store_b32 v[14:15], v22
	s_branch .LBB444_5
.LBB444_35:
	s_endpgm
	.section	.rodata,"a",@progbits
	.p2align	6, 0x0
	.amdhsa_kernel _ZL29rocblas_internal_gemmt_kernelIlLi16ELi32ELi8ELc84ELc78ELc76ELb0ELb0EfPKfPKS1_PKPfEviT_T9_T10_S7_lS9_S7_lS8_T11_S7_li
		.amdhsa_group_segment_fixed_size 2048
		.amdhsa_private_segment_fixed_size 0
		.amdhsa_kernarg_size 108
		.amdhsa_user_sgpr_count 2
		.amdhsa_user_sgpr_dispatch_ptr 0
		.amdhsa_user_sgpr_queue_ptr 0
		.amdhsa_user_sgpr_kernarg_segment_ptr 1
		.amdhsa_user_sgpr_dispatch_id 0
		.amdhsa_user_sgpr_private_segment_size 0
		.amdhsa_wavefront_size32 1
		.amdhsa_uses_dynamic_stack 0
		.amdhsa_enable_private_segment 0
		.amdhsa_system_sgpr_workgroup_id_x 1
		.amdhsa_system_sgpr_workgroup_id_y 1
		.amdhsa_system_sgpr_workgroup_id_z 1
		.amdhsa_system_sgpr_workgroup_info 0
		.amdhsa_system_vgpr_workitem_id 1
		.amdhsa_next_free_vgpr 58
		.amdhsa_next_free_sgpr 36
		.amdhsa_reserve_vcc 1
		.amdhsa_float_round_mode_32 0
		.amdhsa_float_round_mode_16_64 0
		.amdhsa_float_denorm_mode_32 3
		.amdhsa_float_denorm_mode_16_64 3
		.amdhsa_fp16_overflow 0
		.amdhsa_workgroup_processor_mode 1
		.amdhsa_memory_ordered 1
		.amdhsa_forward_progress 1
		.amdhsa_inst_pref_size 15
		.amdhsa_round_robin_scheduling 0
		.amdhsa_exception_fp_ieee_invalid_op 0
		.amdhsa_exception_fp_denorm_src 0
		.amdhsa_exception_fp_ieee_div_zero 0
		.amdhsa_exception_fp_ieee_overflow 0
		.amdhsa_exception_fp_ieee_underflow 0
		.amdhsa_exception_fp_ieee_inexact 0
		.amdhsa_exception_int_div_zero 0
	.end_amdhsa_kernel
	.section	.text._ZL29rocblas_internal_gemmt_kernelIlLi16ELi32ELi8ELc84ELc78ELc76ELb0ELb0EfPKfPKS1_PKPfEviT_T9_T10_S7_lS9_S7_lS8_T11_S7_li,"axG",@progbits,_ZL29rocblas_internal_gemmt_kernelIlLi16ELi32ELi8ELc84ELc78ELc76ELb0ELb0EfPKfPKS1_PKPfEviT_T9_T10_S7_lS9_S7_lS8_T11_S7_li,comdat
.Lfunc_end444:
	.size	_ZL29rocblas_internal_gemmt_kernelIlLi16ELi32ELi8ELc84ELc78ELc76ELb0ELb0EfPKfPKS1_PKPfEviT_T9_T10_S7_lS9_S7_lS8_T11_S7_li, .Lfunc_end444-_ZL29rocblas_internal_gemmt_kernelIlLi16ELi32ELi8ELc84ELc78ELc76ELb0ELb0EfPKfPKS1_PKPfEviT_T9_T10_S7_lS9_S7_lS8_T11_S7_li
                                        ; -- End function
	.set _ZL29rocblas_internal_gemmt_kernelIlLi16ELi32ELi8ELc84ELc78ELc76ELb0ELb0EfPKfPKS1_PKPfEviT_T9_T10_S7_lS9_S7_lS8_T11_S7_li.num_vgpr, 58
	.set _ZL29rocblas_internal_gemmt_kernelIlLi16ELi32ELi8ELc84ELc78ELc76ELb0ELb0EfPKfPKS1_PKPfEviT_T9_T10_S7_lS9_S7_lS8_T11_S7_li.num_agpr, 0
	.set _ZL29rocblas_internal_gemmt_kernelIlLi16ELi32ELi8ELc84ELc78ELc76ELb0ELb0EfPKfPKS1_PKPfEviT_T9_T10_S7_lS9_S7_lS8_T11_S7_li.numbered_sgpr, 36
	.set _ZL29rocblas_internal_gemmt_kernelIlLi16ELi32ELi8ELc84ELc78ELc76ELb0ELb0EfPKfPKS1_PKPfEviT_T9_T10_S7_lS9_S7_lS8_T11_S7_li.num_named_barrier, 0
	.set _ZL29rocblas_internal_gemmt_kernelIlLi16ELi32ELi8ELc84ELc78ELc76ELb0ELb0EfPKfPKS1_PKPfEviT_T9_T10_S7_lS9_S7_lS8_T11_S7_li.private_seg_size, 0
	.set _ZL29rocblas_internal_gemmt_kernelIlLi16ELi32ELi8ELc84ELc78ELc76ELb0ELb0EfPKfPKS1_PKPfEviT_T9_T10_S7_lS9_S7_lS8_T11_S7_li.uses_vcc, 1
	.set _ZL29rocblas_internal_gemmt_kernelIlLi16ELi32ELi8ELc84ELc78ELc76ELb0ELb0EfPKfPKS1_PKPfEviT_T9_T10_S7_lS9_S7_lS8_T11_S7_li.uses_flat_scratch, 0
	.set _ZL29rocblas_internal_gemmt_kernelIlLi16ELi32ELi8ELc84ELc78ELc76ELb0ELb0EfPKfPKS1_PKPfEviT_T9_T10_S7_lS9_S7_lS8_T11_S7_li.has_dyn_sized_stack, 0
	.set _ZL29rocblas_internal_gemmt_kernelIlLi16ELi32ELi8ELc84ELc78ELc76ELb0ELb0EfPKfPKS1_PKPfEviT_T9_T10_S7_lS9_S7_lS8_T11_S7_li.has_recursion, 0
	.set _ZL29rocblas_internal_gemmt_kernelIlLi16ELi32ELi8ELc84ELc78ELc76ELb0ELb0EfPKfPKS1_PKPfEviT_T9_T10_S7_lS9_S7_lS8_T11_S7_li.has_indirect_call, 0
	.section	.AMDGPU.csdata,"",@progbits
; Kernel info:
; codeLenInByte = 1920
; TotalNumSgprs: 38
; NumVgprs: 58
; ScratchSize: 0
; MemoryBound: 0
; FloatMode: 240
; IeeeMode: 1
; LDSByteSize: 2048 bytes/workgroup (compile time only)
; SGPRBlocks: 0
; VGPRBlocks: 7
; NumSGPRsForWavesPerEU: 38
; NumVGPRsForWavesPerEU: 58
; Occupancy: 16
; WaveLimiterHint : 1
; COMPUTE_PGM_RSRC2:SCRATCH_EN: 0
; COMPUTE_PGM_RSRC2:USER_SGPR: 2
; COMPUTE_PGM_RSRC2:TRAP_HANDLER: 0
; COMPUTE_PGM_RSRC2:TGID_X_EN: 1
; COMPUTE_PGM_RSRC2:TGID_Y_EN: 1
; COMPUTE_PGM_RSRC2:TGID_Z_EN: 1
; COMPUTE_PGM_RSRC2:TIDIG_COMP_CNT: 1
	.section	.text._ZL29rocblas_internal_gemmt_kernelIlLi16ELi32ELi8ELc84ELc84ELc76ELb0ELb0EfPKfPKS1_PKPfEviT_T9_T10_S7_lS9_S7_lS8_T11_S7_li,"axG",@progbits,_ZL29rocblas_internal_gemmt_kernelIlLi16ELi32ELi8ELc84ELc84ELc76ELb0ELb0EfPKfPKS1_PKPfEviT_T9_T10_S7_lS9_S7_lS8_T11_S7_li,comdat
	.globl	_ZL29rocblas_internal_gemmt_kernelIlLi16ELi32ELi8ELc84ELc84ELc76ELb0ELb0EfPKfPKS1_PKPfEviT_T9_T10_S7_lS9_S7_lS8_T11_S7_li ; -- Begin function _ZL29rocblas_internal_gemmt_kernelIlLi16ELi32ELi8ELc84ELc84ELc76ELb0ELb0EfPKfPKS1_PKPfEviT_T9_T10_S7_lS9_S7_lS8_T11_S7_li
	.p2align	8
	.type	_ZL29rocblas_internal_gemmt_kernelIlLi16ELi32ELi8ELc84ELc84ELc76ELb0ELb0EfPKfPKS1_PKPfEviT_T9_T10_S7_lS9_S7_lS8_T11_S7_li,@function
_ZL29rocblas_internal_gemmt_kernelIlLi16ELi32ELi8ELc84ELc84ELc76ELb0ELb0EfPKfPKS1_PKPfEviT_T9_T10_S7_lS9_S7_lS8_T11_S7_li: ; @_ZL29rocblas_internal_gemmt_kernelIlLi16ELi32ELi8ELc84ELc84ELc76ELb0ELb0EfPKfPKS1_PKPfEviT_T9_T10_S7_lS9_S7_lS8_T11_S7_li
; %bb.0:
	s_clause 0x1
	s_load_b256 s[24:31], s[0:1], 0x48
	s_load_b512 s[8:23], s[0:1], 0x8
	s_wait_kmcnt 0x0
	s_load_b32 s24, s[24:25], 0x0
	s_load_b32 s25, s[10:11], 0x0
	s_wait_kmcnt 0x0
	s_cmp_neq_f32 s24, 1.0
	s_cselect_b32 s2, -1, 0
	s_delay_alu instid0(SALU_CYCLE_1)
	s_and_b32 vcc_lo, exec_lo, s2
	s_cbranch_vccnz .LBB445_2
; %bb.1:
	s_cmp_lg_u64 s[8:9], 0
	s_cselect_b32 s2, -1, 0
	s_cmp_neq_f32 s25, 0
	s_cselect_b32 s3, -1, 0
	s_delay_alu instid0(SALU_CYCLE_1)
	s_and_b32 s2, s2, s3
.LBB445_2:
	s_delay_alu instid0(SALU_CYCLE_1)
	s_and_not1_b32 vcc_lo, exec_lo, s2
	s_cbranch_vccnz .LBB445_35
; %bb.3:
	s_load_b32 s33, s[0:1], 0x68
	s_lshr_b32 s6, ttmp7, 16
	s_wait_kmcnt 0x0
	s_cmp_ge_u32 s6, s33
	s_cbranch_scc1 .LBB445_35
; %bb.4:
	v_bfe_u32 v5, v0, 10, 10
	s_load_b32 s4, s[0:1], 0x0
	s_lshl_b32 s0, ttmp7, 5
	v_and_b32_e32 v14, 7, v0
	s_and_b32 s0, s0, 0x1fffe0
	s_lshl_b32 s2, ttmp9, 5
	v_add_nc_u32_e32 v12, s0, v5
	s_cmp_neq_f32 s25, 0
	v_cmp_gt_i64_e64 s10, s[8:9], 0
	v_lshl_add_u32 v19, v5, 5, 0x400
	s_mov_b32 s7, 0
	v_mad_co_u64_u32 v[8:9], null, s28, v12, 0
	v_and_b32_e32 v4, 0x3ff, v0
	s_cselect_b32 s11, -1, 0
	s_ashr_i32 s1, s2, 31
	s_cmp_neq_f32 s24, 0
	s_wait_alu 0xfffe
	s_mul_i32 s1, s14, s1
	v_lshl_add_u32 v0, v5, 4, v4
	s_delay_alu instid0(VALU_DEP_1) | instskip(SKIP_2) | instid1(VALU_DEP_3)
	v_and_b32_e32 v1, 31, v0
	v_lshrrev_b32_e32 v2, 3, v0
	v_lshrrev_b32_e32 v15, 5, v0
	v_or_b32_e32 v3, s2, v1
	v_lshlrev_b32_e32 v0, 2, v1
	s_delay_alu instid0(VALU_DEP_4) | instskip(NEXT) | instid1(VALU_DEP_3)
	v_add_nc_u32_e32 v13, s0, v2
	v_mul_lo_u32 v1, s15, v3
	v_mad_co_u64_u32 v[6:7], null, s14, v3, 0
	s_wait_kmcnt 0x0
	v_cmp_gt_i32_e64 s0, s4, v3
	v_dual_mov_b32 v3, 0 :: v_dual_lshlrev_b32 v10, 2, v14
	s_wait_alu 0xfffe
	s_delay_alu instid0(VALU_DEP_3) | instskip(NEXT) | instid1(VALU_DEP_2)
	v_add3_u32 v7, v7, s1, v1
	v_lshl_or_b32 v2, v2, 5, v10
	v_dual_mov_b32 v1, v9 :: v_dual_lshlrev_b32 v18, 2, v4
	v_cmp_gt_i32_e64 s1, s4, v13
	s_delay_alu instid0(VALU_DEP_4) | instskip(NEXT) | instid1(VALU_DEP_4)
	v_lshlrev_b64_e32 v[6:7], 2, v[6:7]
	v_add_nc_u32_e32 v17, 0x400, v2
	s_delay_alu instid0(VALU_DEP_4) | instskip(NEXT) | instid1(VALU_DEP_1)
	v_mad_co_u64_u32 v[1:2], null, s29, v12, v[1:2]
	v_dual_mov_b32 v9, v1 :: v_dual_add_nc_u32 v20, 16, v12
	s_delay_alu instid0(VALU_DEP_1) | instskip(NEXT) | instid1(VALU_DEP_2)
	v_lshlrev_b64_e32 v[8:9], 2, v[8:9]
	v_mad_co_u64_u32 v[10:11], null, s28, v20, 0
	s_cselect_b32 s28, -1, 0
	s_and_b32 s37, s11, s10
	s_lshl_b64 s[10:11], s[30:31], 2
	v_mov_b32_e32 v1, v11
	v_lshl_or_b32 v16, v15, 7, v0
	v_add_nc_u32_e32 v0, s2, v4
	s_delay_alu instid0(VALU_DEP_1) | instskip(SKIP_2) | instid1(VALU_DEP_3)
	v_add_nc_u32_e32 v4, 16, v0
	v_cmp_le_i32_e32 vcc_lo, v12, v0
	v_cmp_gt_i32_e64 s2, s4, v0
	v_cmp_le_i32_e64 s3, v12, v4
	v_mad_co_u64_u32 v[11:12], null, s29, v20, v[1:2]
	v_cmp_gt_i32_e64 s4, s4, v4
	s_and_b32 s29, vcc_lo, s2
	v_cmp_le_i32_e32 vcc_lo, v20, v0
	v_cmp_le_i32_e64 s5, v20, v4
	v_ashrrev_i32_e32 v1, 31, v0
	v_ashrrev_i32_e32 v5, 31, v4
	v_lshlrev_b64_e32 v[10:11], 2, v[10:11]
	v_lshlrev_b32_e32 v20, 2, v13
	s_and_b32 s34, s3, s4
	s_and_b32 s35, vcc_lo, s2
	s_and_b32 s36, s5, s4
	s_lshl_b64 s[2:3], s[22:23], 2
	s_lshl_b64 s[4:5], s[16:17], 2
	s_branch .LBB445_6
.LBB445_5:                              ;   in Loop: Header=BB445_6 Depth=1
	s_wait_alu 0xfffe
	s_or_b32 exec_lo, exec_lo, s14
	s_add_co_i32 s6, s6, 0x10000
	s_delay_alu instid0(SALU_CYCLE_1)
	s_cmp_lt_u32 s6, s33
	s_cbranch_scc0 .LBB445_35
.LBB445_6:                              ; =>This Loop Header: Depth=1
                                        ;     Child Loop BB445_9 Depth 2
	s_lshl_b64 s[14:15], s[6:7], 3
	v_dual_mov_b32 v24, v3 :: v_dual_mov_b32 v23, v3
	s_wait_alu 0xfffe
	s_add_nc_u64 s[16:17], s[26:27], s[14:15]
	v_dual_mov_b32 v22, v3 :: v_dual_mov_b32 v21, v3
	global_load_b64 v[12:13], v3, s[16:17]
	s_and_not1_b32 vcc_lo, exec_lo, s37
	s_wait_alu 0xfffe
	s_cbranch_vccnz .LBB445_15
; %bb.7:                                ;   in Loop: Header=BB445_6 Depth=1
	s_add_nc_u64 s[16:17], s[12:13], s[14:15]
	s_add_nc_u64 s[14:15], s[18:19], s[14:15]
	s_clause 0x1
	global_load_b64 v[24:25], v3, s[16:17]
	global_load_b64 v[26:27], v3, s[14:15]
	v_dual_mov_b32 v21, 0 :: v_dual_mov_b32 v22, 0
	v_mov_b32_e32 v23, 0
	s_mov_b64 s[14:15], 0
	s_wait_loadcnt 0x1
	v_add_co_u32 v2, vcc_lo, v24, s4
	s_wait_alu 0xfffd
	v_add_co_ci_u32_e64 v24, null, s5, v25, vcc_lo
	s_wait_loadcnt 0x0
	v_add_co_u32 v28, vcc_lo, v26, s2
	s_wait_alu 0xfffd
	v_add_co_ci_u32_e64 v29, null, s3, v27, vcc_lo
	v_add_co_u32 v25, vcc_lo, v2, v6
	s_wait_alu 0xfffd
	v_add_co_ci_u32_e64 v26, null, v24, v7, vcc_lo
	;; [unrolled: 3-line block ×3, first 2 shown]
	v_mov_b32_e32 v24, 0
	s_branch .LBB445_9
.LBB445_8:                              ;   in Loop: Header=BB445_9 Depth=2
	s_or_b32 exec_lo, exec_lo, s16
	s_wait_loadcnt_dscnt 0x0
	ds_store_b32 v17, v30
	s_wait_dscnt 0x0
	s_barrier_signal -1
	s_barrier_wait -1
	global_inv scope:SCOPE_SE
	ds_load_b128 v[29:32], v19
	ds_load_2addr_b32 v[45:46], v18 offset1:16
	ds_load_b128 v[33:36], v19 offset:512
	ds_load_2addr_b32 v[47:48], v18 offset0:32 offset1:48
	ds_load_2addr_b32 v[49:50], v18 offset0:64 offset1:80
	;; [unrolled: 1-line block ×3, first 2 shown]
	ds_load_b128 v[37:40], v19 offset:16
	ds_load_2addr_b32 v[53:54], v18 offset0:128 offset1:144
	ds_load_b128 v[41:44], v19 offset:528
	ds_load_2addr_b32 v[55:56], v18 offset0:160 offset1:176
	s_add_nc_u64 s[14:15], s[14:15], 8
	s_wait_alu 0xfffe
	v_cmp_gt_i64_e64 s16, s[8:9], s[14:15]
	s_and_b32 vcc_lo, exec_lo, s16
	s_wait_dscnt 0x8
	v_fmac_f32_e32 v23, v46, v29
	v_fmac_f32_e32 v24, v45, v29
	s_wait_dscnt 0x7
	v_fmac_f32_e32 v21, v46, v33
	v_fmac_f32_e32 v22, v45, v33
	ds_load_2addr_b32 v[45:46], v18 offset0:192 offset1:208
	s_wait_dscnt 0x7
	v_fmac_f32_e32 v23, v48, v30
	v_fmac_f32_e32 v24, v47, v30
	;; [unrolled: 1-line block ×4, first 2 shown]
	ds_load_2addr_b32 v[29:30], v18 offset0:224 offset1:240
	s_wait_dscnt 0x7
	v_fmac_f32_e32 v23, v50, v31
	v_fmac_f32_e32 v24, v49, v31
	;; [unrolled: 1-line block ×4, first 2 shown]
	s_wait_loadcnt_dscnt 0x0
	v_fmac_f32_e32 v23, v52, v32
	v_fmac_f32_e32 v24, v51, v32
	;; [unrolled: 1-line block ×4, first 2 shown]
	s_barrier_signal -1
	v_fmac_f32_e32 v23, v54, v37
	v_fmac_f32_e32 v24, v53, v37
	;; [unrolled: 1-line block ×4, first 2 shown]
	s_barrier_wait -1
	v_fmac_f32_e32 v23, v56, v38
	v_fmac_f32_e32 v24, v55, v38
	;; [unrolled: 1-line block ×4, first 2 shown]
	global_inv scope:SCOPE_SE
	v_fmac_f32_e32 v23, v46, v39
	v_fmac_f32_e32 v24, v45, v39
	;; [unrolled: 1-line block ×3, first 2 shown]
	s_delay_alu instid0(VALU_DEP_3) | instskip(NEXT) | instid1(VALU_DEP_3)
	v_dual_fmac_f32 v22, v45, v43 :: v_dual_fmac_f32 v23, v30, v40
	v_fmac_f32_e32 v24, v29, v40
	s_delay_alu instid0(VALU_DEP_3) | instskip(NEXT) | instid1(VALU_DEP_3)
	v_fmac_f32_e32 v21, v30, v44
	v_fmac_f32_e32 v22, v29, v44
	s_wait_alu 0xfffe
	s_cbranch_vccz .LBB445_15
.LBB445_9:                              ;   Parent Loop BB445_6 Depth=1
                                        ; =>  This Inner Loop Header: Depth=2
	v_mov_b32_e32 v29, 0
	s_and_saveexec_b32 s16, s0
	s_cbranch_execz .LBB445_13
; %bb.10:                               ;   in Loop: Header=BB445_9 Depth=2
	s_wait_alu 0xfffe
	v_dual_mov_b32 v29, 0 :: v_dual_add_nc_u32 v2, s14, v15
	s_mov_b32 s17, exec_lo
	s_delay_alu instid0(VALU_DEP_1)
	v_cmpx_gt_u64_e64 s[8:9], v[2:3]
	s_cbranch_execz .LBB445_12
; %bb.11:                               ;   in Loop: Header=BB445_9 Depth=2
	v_lshlrev_b64_e32 v[29:30], 2, v[2:3]
	s_delay_alu instid0(VALU_DEP_1) | instskip(SKIP_1) | instid1(VALU_DEP_2)
	v_add_co_u32 v29, vcc_lo, v25, v29
	s_wait_alu 0xfffd
	v_add_co_ci_u32_e64 v30, null, v26, v30, vcc_lo
	flat_load_b32 v29, v[29:30]
.LBB445_12:                             ;   in Loop: Header=BB445_9 Depth=2
	s_or_b32 exec_lo, exec_lo, s17
.LBB445_13:                             ;   in Loop: Header=BB445_9 Depth=2
	s_delay_alu instid0(SALU_CYCLE_1)
	s_or_b32 exec_lo, exec_lo, s16
	s_wait_alu 0xfffe
	v_add_nc_u32_e32 v2, s14, v14
	v_mov_b32_e32 v30, 0
	s_wait_loadcnt_dscnt 0x0
	ds_store_b32 v16, v29
	v_cmp_gt_u64_e32 vcc_lo, s[8:9], v[2:3]
	s_and_b32 s17, vcc_lo, s1
	s_delay_alu instid0(SALU_CYCLE_1)
	s_and_saveexec_b32 s16, s17
	s_cbranch_execz .LBB445_8
; %bb.14:                               ;   in Loop: Header=BB445_9 Depth=2
	v_mad_co_u64_u32 v[29:30], null, s20, v2, 0
	s_delay_alu instid0(VALU_DEP_1) | instskip(NEXT) | instid1(VALU_DEP_1)
	v_mad_co_u64_u32 v[30:31], null, s21, v2, v[30:31]
	v_lshlrev_b64_e32 v[29:30], 2, v[29:30]
	s_delay_alu instid0(VALU_DEP_1) | instskip(SKIP_1) | instid1(VALU_DEP_2)
	v_add_co_u32 v29, vcc_lo, v27, v29
	s_wait_alu 0xfffd
	v_add_co_ci_u32_e64 v30, null, v28, v30, vcc_lo
	flat_load_b32 v30, v[29:30]
	s_branch .LBB445_8
.LBB445_15:                             ;   in Loop: Header=BB445_6 Depth=1
	s_wait_loadcnt 0x0
	v_add_co_u32 v2, vcc_lo, v12, s10
	s_wait_alu 0xfffd
	v_add_co_ci_u32_e64 v12, null, s11, v13, vcc_lo
	s_delay_alu instid0(VALU_DEP_2) | instskip(SKIP_1) | instid1(VALU_DEP_2)
	v_add_co_u32 v13, vcc_lo, v2, v8
	s_wait_alu 0xfffd
	v_add_co_ci_u32_e64 v25, null, v12, v9, vcc_lo
	s_and_saveexec_b32 s14, s29
	s_cbranch_execz .LBB445_19
; %bb.16:                               ;   in Loop: Header=BB445_6 Depth=1
	v_mul_f32_e32 v24, s25, v24
	s_and_b32 vcc_lo, exec_lo, s28
	s_wait_alu 0xfffe
	s_cbranch_vccz .LBB445_30
; %bb.17:                               ;   in Loop: Header=BB445_6 Depth=1
	v_lshlrev_b64_e32 v[26:27], 2, v[0:1]
	s_delay_alu instid0(VALU_DEP_1) | instskip(SKIP_1) | instid1(VALU_DEP_2)
	v_add_co_u32 v26, vcc_lo, v13, v26
	s_wait_alu 0xfffd
	v_add_co_ci_u32_e64 v27, null, v25, v27, vcc_lo
	flat_load_b32 v28, v[26:27]
	s_wait_loadcnt_dscnt 0x0
	v_fma_f32 v28, s24, v28, v24
	flat_store_b32 v[26:27], v28
	s_cbranch_execnz .LBB445_19
.LBB445_18:                             ;   in Loop: Header=BB445_6 Depth=1
	v_lshlrev_b64_e32 v[26:27], 2, v[0:1]
	s_delay_alu instid0(VALU_DEP_1) | instskip(SKIP_1) | instid1(VALU_DEP_2)
	v_add_co_u32 v26, vcc_lo, v13, v26
	s_wait_alu 0xfffd
	v_add_co_ci_u32_e64 v27, null, v25, v27, vcc_lo
	flat_store_b32 v[26:27], v24
.LBB445_19:                             ;   in Loop: Header=BB445_6 Depth=1
	s_wait_alu 0xfffe
	s_or_b32 exec_lo, exec_lo, s14
	s_and_saveexec_b32 s14, s34
	s_cbranch_execz .LBB445_23
; %bb.20:                               ;   in Loop: Header=BB445_6 Depth=1
	v_mul_f32_e32 v23, s25, v23
	s_and_not1_b32 vcc_lo, exec_lo, s28
	s_wait_alu 0xfffe
	s_cbranch_vccnz .LBB445_31
; %bb.21:                               ;   in Loop: Header=BB445_6 Depth=1
	v_lshlrev_b64_e32 v[26:27], 2, v[4:5]
	s_delay_alu instid0(VALU_DEP_1) | instskip(SKIP_1) | instid1(VALU_DEP_2)
	v_add_co_u32 v26, vcc_lo, v13, v26
	s_wait_alu 0xfffd
	v_add_co_ci_u32_e64 v27, null, v25, v27, vcc_lo
	flat_load_b32 v24, v[26:27]
	s_wait_loadcnt_dscnt 0x0
	v_fma_f32 v24, s24, v24, v23
	flat_store_b32 v[26:27], v24
	s_cbranch_execnz .LBB445_23
.LBB445_22:                             ;   in Loop: Header=BB445_6 Depth=1
	v_lshlrev_b64_e32 v[26:27], 2, v[4:5]
	s_delay_alu instid0(VALU_DEP_1) | instskip(SKIP_1) | instid1(VALU_DEP_2)
	v_add_co_u32 v24, vcc_lo, v13, v26
	s_wait_alu 0xfffd
	v_add_co_ci_u32_e64 v25, null, v25, v27, vcc_lo
	flat_store_b32 v[24:25], v23
.LBB445_23:                             ;   in Loop: Header=BB445_6 Depth=1
	s_wait_alu 0xfffe
	s_or_b32 exec_lo, exec_lo, s14
	v_add_co_u32 v2, vcc_lo, v2, v10
	s_wait_alu 0xfffd
	v_add_co_ci_u32_e64 v23, null, v12, v11, vcc_lo
	s_and_saveexec_b32 s14, s35
	s_cbranch_execz .LBB445_27
; %bb.24:                               ;   in Loop: Header=BB445_6 Depth=1
	v_lshlrev_b64_e32 v[12:13], 2, v[0:1]
	v_mul_f32_e32 v22, s25, v22
	s_and_not1_b32 vcc_lo, exec_lo, s28
	s_wait_alu 0xfffe
	s_cbranch_vccnz .LBB445_32
; %bb.25:                               ;   in Loop: Header=BB445_6 Depth=1
	s_delay_alu instid0(VALU_DEP_2)
	v_add_co_u32 v24, vcc_lo, v2, v12
	s_wait_alu 0xfffd
	v_add_co_ci_u32_e64 v25, null, v23, v13, vcc_lo
	flat_load_b32 v26, v[24:25]
	s_wait_loadcnt_dscnt 0x0
	v_fma_f32 v26, s24, v26, v22
	flat_store_b32 v[24:25], v26
	s_cbranch_execnz .LBB445_27
.LBB445_26:                             ;   in Loop: Header=BB445_6 Depth=1
	v_add_co_u32 v12, vcc_lo, v2, v12
	s_wait_alu 0xfffd
	v_add_co_ci_u32_e64 v13, null, v23, v13, vcc_lo
	flat_store_b32 v[12:13], v22
.LBB445_27:                             ;   in Loop: Header=BB445_6 Depth=1
	s_wait_alu 0xfffe
	s_or_b32 exec_lo, exec_lo, s14
	s_and_saveexec_b32 s14, s36
	s_cbranch_execz .LBB445_5
; %bb.28:                               ;   in Loop: Header=BB445_6 Depth=1
	v_lshlrev_b64_e32 v[12:13], 2, v[4:5]
	v_mul_f32_e32 v21, s25, v21
	s_and_not1_b32 vcc_lo, exec_lo, s28
	s_wait_alu 0xfffe
	s_cbranch_vccnz .LBB445_33
; %bb.29:                               ;   in Loop: Header=BB445_6 Depth=1
	s_delay_alu instid0(VALU_DEP_2)
	v_add_co_u32 v24, vcc_lo, v2, v12
	s_wait_alu 0xfffd
	v_add_co_ci_u32_e64 v25, null, v23, v13, vcc_lo
	flat_load_b32 v22, v[24:25]
	s_wait_loadcnt_dscnt 0x0
	v_fma_f32 v22, s24, v22, v21
	flat_store_b32 v[24:25], v22
	s_cbranch_execnz .LBB445_5
	s_branch .LBB445_34
.LBB445_30:                             ;   in Loop: Header=BB445_6 Depth=1
	s_branch .LBB445_18
.LBB445_31:                             ;   in Loop: Header=BB445_6 Depth=1
	s_branch .LBB445_22
.LBB445_32:                             ;   in Loop: Header=BB445_6 Depth=1
	s_branch .LBB445_26
.LBB445_33:                             ;   in Loop: Header=BB445_6 Depth=1
.LBB445_34:                             ;   in Loop: Header=BB445_6 Depth=1
	s_delay_alu instid0(VALU_DEP_2)
	v_add_co_u32 v12, vcc_lo, v2, v12
	s_wait_alu 0xfffd
	v_add_co_ci_u32_e64 v13, null, v23, v13, vcc_lo
	flat_store_b32 v[12:13], v21
	s_branch .LBB445_5
.LBB445_35:
	s_endpgm
	.section	.rodata,"a",@progbits
	.p2align	6, 0x0
	.amdhsa_kernel _ZL29rocblas_internal_gemmt_kernelIlLi16ELi32ELi8ELc84ELc84ELc76ELb0ELb0EfPKfPKS1_PKPfEviT_T9_T10_S7_lS9_S7_lS8_T11_S7_li
		.amdhsa_group_segment_fixed_size 2048
		.amdhsa_private_segment_fixed_size 0
		.amdhsa_kernarg_size 108
		.amdhsa_user_sgpr_count 2
		.amdhsa_user_sgpr_dispatch_ptr 0
		.amdhsa_user_sgpr_queue_ptr 0
		.amdhsa_user_sgpr_kernarg_segment_ptr 1
		.amdhsa_user_sgpr_dispatch_id 0
		.amdhsa_user_sgpr_private_segment_size 0
		.amdhsa_wavefront_size32 1
		.amdhsa_uses_dynamic_stack 0
		.amdhsa_enable_private_segment 0
		.amdhsa_system_sgpr_workgroup_id_x 1
		.amdhsa_system_sgpr_workgroup_id_y 1
		.amdhsa_system_sgpr_workgroup_id_z 1
		.amdhsa_system_sgpr_workgroup_info 0
		.amdhsa_system_vgpr_workitem_id 1
		.amdhsa_next_free_vgpr 57
		.amdhsa_next_free_sgpr 38
		.amdhsa_reserve_vcc 1
		.amdhsa_float_round_mode_32 0
		.amdhsa_float_round_mode_16_64 0
		.amdhsa_float_denorm_mode_32 3
		.amdhsa_float_denorm_mode_16_64 3
		.amdhsa_fp16_overflow 0
		.amdhsa_workgroup_processor_mode 1
		.amdhsa_memory_ordered 1
		.amdhsa_forward_progress 1
		.amdhsa_inst_pref_size 16
		.amdhsa_round_robin_scheduling 0
		.amdhsa_exception_fp_ieee_invalid_op 0
		.amdhsa_exception_fp_denorm_src 0
		.amdhsa_exception_fp_ieee_div_zero 0
		.amdhsa_exception_fp_ieee_overflow 0
		.amdhsa_exception_fp_ieee_underflow 0
		.amdhsa_exception_fp_ieee_inexact 0
		.amdhsa_exception_int_div_zero 0
	.end_amdhsa_kernel
	.section	.text._ZL29rocblas_internal_gemmt_kernelIlLi16ELi32ELi8ELc84ELc84ELc76ELb0ELb0EfPKfPKS1_PKPfEviT_T9_T10_S7_lS9_S7_lS8_T11_S7_li,"axG",@progbits,_ZL29rocblas_internal_gemmt_kernelIlLi16ELi32ELi8ELc84ELc84ELc76ELb0ELb0EfPKfPKS1_PKPfEviT_T9_T10_S7_lS9_S7_lS8_T11_S7_li,comdat
.Lfunc_end445:
	.size	_ZL29rocblas_internal_gemmt_kernelIlLi16ELi32ELi8ELc84ELc84ELc76ELb0ELb0EfPKfPKS1_PKPfEviT_T9_T10_S7_lS9_S7_lS8_T11_S7_li, .Lfunc_end445-_ZL29rocblas_internal_gemmt_kernelIlLi16ELi32ELi8ELc84ELc84ELc76ELb0ELb0EfPKfPKS1_PKPfEviT_T9_T10_S7_lS9_S7_lS8_T11_S7_li
                                        ; -- End function
	.set _ZL29rocblas_internal_gemmt_kernelIlLi16ELi32ELi8ELc84ELc84ELc76ELb0ELb0EfPKfPKS1_PKPfEviT_T9_T10_S7_lS9_S7_lS8_T11_S7_li.num_vgpr, 57
	.set _ZL29rocblas_internal_gemmt_kernelIlLi16ELi32ELi8ELc84ELc84ELc76ELb0ELb0EfPKfPKS1_PKPfEviT_T9_T10_S7_lS9_S7_lS8_T11_S7_li.num_agpr, 0
	.set _ZL29rocblas_internal_gemmt_kernelIlLi16ELi32ELi8ELc84ELc84ELc76ELb0ELb0EfPKfPKS1_PKPfEviT_T9_T10_S7_lS9_S7_lS8_T11_S7_li.numbered_sgpr, 38
	.set _ZL29rocblas_internal_gemmt_kernelIlLi16ELi32ELi8ELc84ELc84ELc76ELb0ELb0EfPKfPKS1_PKPfEviT_T9_T10_S7_lS9_S7_lS8_T11_S7_li.num_named_barrier, 0
	.set _ZL29rocblas_internal_gemmt_kernelIlLi16ELi32ELi8ELc84ELc84ELc76ELb0ELb0EfPKfPKS1_PKPfEviT_T9_T10_S7_lS9_S7_lS8_T11_S7_li.private_seg_size, 0
	.set _ZL29rocblas_internal_gemmt_kernelIlLi16ELi32ELi8ELc84ELc84ELc76ELb0ELb0EfPKfPKS1_PKPfEviT_T9_T10_S7_lS9_S7_lS8_T11_S7_li.uses_vcc, 1
	.set _ZL29rocblas_internal_gemmt_kernelIlLi16ELi32ELi8ELc84ELc84ELc76ELb0ELb0EfPKfPKS1_PKPfEviT_T9_T10_S7_lS9_S7_lS8_T11_S7_li.uses_flat_scratch, 0
	.set _ZL29rocblas_internal_gemmt_kernelIlLi16ELi32ELi8ELc84ELc84ELc76ELb0ELb0EfPKfPKS1_PKPfEviT_T9_T10_S7_lS9_S7_lS8_T11_S7_li.has_dyn_sized_stack, 0
	.set _ZL29rocblas_internal_gemmt_kernelIlLi16ELi32ELi8ELc84ELc84ELc76ELb0ELb0EfPKfPKS1_PKPfEviT_T9_T10_S7_lS9_S7_lS8_T11_S7_li.has_recursion, 0
	.set _ZL29rocblas_internal_gemmt_kernelIlLi16ELi32ELi8ELc84ELc84ELc76ELb0ELb0EfPKfPKS1_PKPfEviT_T9_T10_S7_lS9_S7_lS8_T11_S7_li.has_indirect_call, 0
	.section	.AMDGPU.csdata,"",@progbits
; Kernel info:
; codeLenInByte = 1928
; TotalNumSgprs: 40
; NumVgprs: 57
; ScratchSize: 0
; MemoryBound: 0
; FloatMode: 240
; IeeeMode: 1
; LDSByteSize: 2048 bytes/workgroup (compile time only)
; SGPRBlocks: 0
; VGPRBlocks: 7
; NumSGPRsForWavesPerEU: 40
; NumVGPRsForWavesPerEU: 57
; Occupancy: 16
; WaveLimiterHint : 1
; COMPUTE_PGM_RSRC2:SCRATCH_EN: 0
; COMPUTE_PGM_RSRC2:USER_SGPR: 2
; COMPUTE_PGM_RSRC2:TRAP_HANDLER: 0
; COMPUTE_PGM_RSRC2:TGID_X_EN: 1
; COMPUTE_PGM_RSRC2:TGID_Y_EN: 1
; COMPUTE_PGM_RSRC2:TGID_Z_EN: 1
; COMPUTE_PGM_RSRC2:TIDIG_COMP_CNT: 1
	.section	.text._ZL29rocblas_internal_gemmt_kernelIlLi16ELi32ELi8ELc84ELc67ELc76ELb0ELb0EfPKfPKS1_PKPfEviT_T9_T10_S7_lS9_S7_lS8_T11_S7_li,"axG",@progbits,_ZL29rocblas_internal_gemmt_kernelIlLi16ELi32ELi8ELc84ELc67ELc76ELb0ELb0EfPKfPKS1_PKPfEviT_T9_T10_S7_lS9_S7_lS8_T11_S7_li,comdat
	.globl	_ZL29rocblas_internal_gemmt_kernelIlLi16ELi32ELi8ELc84ELc67ELc76ELb0ELb0EfPKfPKS1_PKPfEviT_T9_T10_S7_lS9_S7_lS8_T11_S7_li ; -- Begin function _ZL29rocblas_internal_gemmt_kernelIlLi16ELi32ELi8ELc84ELc67ELc76ELb0ELb0EfPKfPKS1_PKPfEviT_T9_T10_S7_lS9_S7_lS8_T11_S7_li
	.p2align	8
	.type	_ZL29rocblas_internal_gemmt_kernelIlLi16ELi32ELi8ELc84ELc67ELc76ELb0ELb0EfPKfPKS1_PKPfEviT_T9_T10_S7_lS9_S7_lS8_T11_S7_li,@function
_ZL29rocblas_internal_gemmt_kernelIlLi16ELi32ELi8ELc84ELc67ELc76ELb0ELb0EfPKfPKS1_PKPfEviT_T9_T10_S7_lS9_S7_lS8_T11_S7_li: ; @_ZL29rocblas_internal_gemmt_kernelIlLi16ELi32ELi8ELc84ELc67ELc76ELb0ELb0EfPKfPKS1_PKPfEviT_T9_T10_S7_lS9_S7_lS8_T11_S7_li
; %bb.0:
	s_clause 0x1
	s_load_b256 s[24:31], s[0:1], 0x48
	s_load_b512 s[8:23], s[0:1], 0x8
	s_wait_kmcnt 0x0
	s_load_b32 s24, s[24:25], 0x0
	s_load_b32 s25, s[10:11], 0x0
	s_wait_kmcnt 0x0
	s_cmp_neq_f32 s24, 1.0
	s_cselect_b32 s2, -1, 0
	s_delay_alu instid0(SALU_CYCLE_1)
	s_and_b32 vcc_lo, exec_lo, s2
	s_cbranch_vccnz .LBB446_2
; %bb.1:
	s_cmp_lg_u64 s[8:9], 0
	s_cselect_b32 s2, -1, 0
	s_cmp_neq_f32 s25, 0
	s_cselect_b32 s3, -1, 0
	s_delay_alu instid0(SALU_CYCLE_1)
	s_and_b32 s2, s2, s3
.LBB446_2:
	s_delay_alu instid0(SALU_CYCLE_1)
	s_and_not1_b32 vcc_lo, exec_lo, s2
	s_cbranch_vccnz .LBB446_35
; %bb.3:
	s_load_b32 s33, s[0:1], 0x68
	s_lshr_b32 s6, ttmp7, 16
	s_wait_kmcnt 0x0
	s_cmp_ge_u32 s6, s33
	s_cbranch_scc1 .LBB446_35
; %bb.4:
	v_bfe_u32 v5, v0, 10, 10
	s_load_b32 s4, s[0:1], 0x0
	s_lshl_b32 s0, ttmp7, 5
	v_and_b32_e32 v14, 7, v0
	s_and_b32 s0, s0, 0x1fffe0
	s_lshl_b32 s2, ttmp9, 5
	v_add_nc_u32_e32 v12, s0, v5
	s_cmp_neq_f32 s25, 0
	v_cmp_gt_i64_e64 s10, s[8:9], 0
	v_lshl_add_u32 v19, v5, 5, 0x400
	s_mov_b32 s7, 0
	v_mad_co_u64_u32 v[8:9], null, s28, v12, 0
	v_and_b32_e32 v4, 0x3ff, v0
	s_cselect_b32 s11, -1, 0
	s_ashr_i32 s1, s2, 31
	s_cmp_neq_f32 s24, 0
	s_wait_alu 0xfffe
	s_mul_i32 s1, s14, s1
	v_lshl_add_u32 v0, v5, 4, v4
	s_delay_alu instid0(VALU_DEP_1) | instskip(SKIP_2) | instid1(VALU_DEP_3)
	v_and_b32_e32 v1, 31, v0
	v_lshrrev_b32_e32 v2, 3, v0
	v_lshrrev_b32_e32 v15, 5, v0
	v_or_b32_e32 v3, s2, v1
	v_lshlrev_b32_e32 v0, 2, v1
	s_delay_alu instid0(VALU_DEP_4) | instskip(NEXT) | instid1(VALU_DEP_3)
	v_add_nc_u32_e32 v13, s0, v2
	v_mul_lo_u32 v1, s15, v3
	v_mad_co_u64_u32 v[6:7], null, s14, v3, 0
	s_wait_kmcnt 0x0
	v_cmp_gt_i32_e64 s0, s4, v3
	v_dual_mov_b32 v3, 0 :: v_dual_lshlrev_b32 v10, 2, v14
	s_wait_alu 0xfffe
	s_delay_alu instid0(VALU_DEP_3) | instskip(NEXT) | instid1(VALU_DEP_2)
	v_add3_u32 v7, v7, s1, v1
	v_lshl_or_b32 v2, v2, 5, v10
	v_dual_mov_b32 v1, v9 :: v_dual_lshlrev_b32 v18, 2, v4
	v_cmp_gt_i32_e64 s1, s4, v13
	s_delay_alu instid0(VALU_DEP_4) | instskip(NEXT) | instid1(VALU_DEP_4)
	v_lshlrev_b64_e32 v[6:7], 2, v[6:7]
	v_add_nc_u32_e32 v17, 0x400, v2
	s_delay_alu instid0(VALU_DEP_4) | instskip(NEXT) | instid1(VALU_DEP_1)
	v_mad_co_u64_u32 v[1:2], null, s29, v12, v[1:2]
	v_dual_mov_b32 v9, v1 :: v_dual_add_nc_u32 v20, 16, v12
	s_delay_alu instid0(VALU_DEP_1) | instskip(NEXT) | instid1(VALU_DEP_2)
	v_lshlrev_b64_e32 v[8:9], 2, v[8:9]
	v_mad_co_u64_u32 v[10:11], null, s28, v20, 0
	s_cselect_b32 s28, -1, 0
	s_and_b32 s37, s11, s10
	s_lshl_b64 s[10:11], s[30:31], 2
	v_mov_b32_e32 v1, v11
	v_lshl_or_b32 v16, v15, 7, v0
	v_add_nc_u32_e32 v0, s2, v4
	s_delay_alu instid0(VALU_DEP_1) | instskip(SKIP_2) | instid1(VALU_DEP_3)
	v_add_nc_u32_e32 v4, 16, v0
	v_cmp_le_i32_e32 vcc_lo, v12, v0
	v_cmp_gt_i32_e64 s2, s4, v0
	v_cmp_le_i32_e64 s3, v12, v4
	v_mad_co_u64_u32 v[11:12], null, s29, v20, v[1:2]
	v_cmp_gt_i32_e64 s4, s4, v4
	s_and_b32 s29, vcc_lo, s2
	v_cmp_le_i32_e32 vcc_lo, v20, v0
	v_cmp_le_i32_e64 s5, v20, v4
	v_ashrrev_i32_e32 v1, 31, v0
	v_ashrrev_i32_e32 v5, 31, v4
	v_lshlrev_b64_e32 v[10:11], 2, v[10:11]
	v_lshlrev_b32_e32 v20, 2, v13
	s_and_b32 s34, s3, s4
	s_and_b32 s35, vcc_lo, s2
	s_and_b32 s36, s5, s4
	s_lshl_b64 s[2:3], s[22:23], 2
	s_lshl_b64 s[4:5], s[16:17], 2
	s_branch .LBB446_6
.LBB446_5:                              ;   in Loop: Header=BB446_6 Depth=1
	s_wait_alu 0xfffe
	s_or_b32 exec_lo, exec_lo, s14
	s_add_co_i32 s6, s6, 0x10000
	s_delay_alu instid0(SALU_CYCLE_1)
	s_cmp_lt_u32 s6, s33
	s_cbranch_scc0 .LBB446_35
.LBB446_6:                              ; =>This Loop Header: Depth=1
                                        ;     Child Loop BB446_9 Depth 2
	s_lshl_b64 s[14:15], s[6:7], 3
	v_dual_mov_b32 v24, v3 :: v_dual_mov_b32 v23, v3
	s_wait_alu 0xfffe
	s_add_nc_u64 s[16:17], s[26:27], s[14:15]
	v_dual_mov_b32 v22, v3 :: v_dual_mov_b32 v21, v3
	global_load_b64 v[12:13], v3, s[16:17]
	s_and_not1_b32 vcc_lo, exec_lo, s37
	s_wait_alu 0xfffe
	s_cbranch_vccnz .LBB446_15
; %bb.7:                                ;   in Loop: Header=BB446_6 Depth=1
	s_add_nc_u64 s[16:17], s[12:13], s[14:15]
	s_add_nc_u64 s[14:15], s[18:19], s[14:15]
	s_clause 0x1
	global_load_b64 v[24:25], v3, s[16:17]
	global_load_b64 v[26:27], v3, s[14:15]
	v_dual_mov_b32 v21, 0 :: v_dual_mov_b32 v22, 0
	v_mov_b32_e32 v23, 0
	s_mov_b64 s[14:15], 0
	s_wait_loadcnt 0x1
	v_add_co_u32 v2, vcc_lo, v24, s4
	s_wait_alu 0xfffd
	v_add_co_ci_u32_e64 v24, null, s5, v25, vcc_lo
	s_wait_loadcnt 0x0
	v_add_co_u32 v28, vcc_lo, v26, s2
	s_wait_alu 0xfffd
	v_add_co_ci_u32_e64 v29, null, s3, v27, vcc_lo
	v_add_co_u32 v25, vcc_lo, v2, v6
	s_wait_alu 0xfffd
	v_add_co_ci_u32_e64 v26, null, v24, v7, vcc_lo
	;; [unrolled: 3-line block ×3, first 2 shown]
	v_mov_b32_e32 v24, 0
	s_branch .LBB446_9
.LBB446_8:                              ;   in Loop: Header=BB446_9 Depth=2
	s_or_b32 exec_lo, exec_lo, s16
	s_wait_loadcnt_dscnt 0x0
	ds_store_b32 v17, v30
	s_wait_dscnt 0x0
	s_barrier_signal -1
	s_barrier_wait -1
	global_inv scope:SCOPE_SE
	ds_load_b128 v[29:32], v19
	ds_load_2addr_b32 v[45:46], v18 offset1:16
	ds_load_b128 v[33:36], v19 offset:512
	ds_load_2addr_b32 v[47:48], v18 offset0:32 offset1:48
	ds_load_2addr_b32 v[49:50], v18 offset0:64 offset1:80
	;; [unrolled: 1-line block ×3, first 2 shown]
	ds_load_b128 v[37:40], v19 offset:16
	ds_load_2addr_b32 v[53:54], v18 offset0:128 offset1:144
	ds_load_b128 v[41:44], v19 offset:528
	ds_load_2addr_b32 v[55:56], v18 offset0:160 offset1:176
	s_add_nc_u64 s[14:15], s[14:15], 8
	s_wait_alu 0xfffe
	v_cmp_gt_i64_e64 s16, s[8:9], s[14:15]
	s_and_b32 vcc_lo, exec_lo, s16
	s_wait_dscnt 0x8
	v_fmac_f32_e32 v23, v46, v29
	v_fmac_f32_e32 v24, v45, v29
	s_wait_dscnt 0x7
	v_fmac_f32_e32 v21, v46, v33
	v_fmac_f32_e32 v22, v45, v33
	ds_load_2addr_b32 v[45:46], v18 offset0:192 offset1:208
	s_wait_dscnt 0x7
	v_fmac_f32_e32 v23, v48, v30
	v_fmac_f32_e32 v24, v47, v30
	;; [unrolled: 1-line block ×4, first 2 shown]
	ds_load_2addr_b32 v[29:30], v18 offset0:224 offset1:240
	s_wait_dscnt 0x7
	v_fmac_f32_e32 v23, v50, v31
	v_fmac_f32_e32 v24, v49, v31
	;; [unrolled: 1-line block ×4, first 2 shown]
	s_wait_loadcnt_dscnt 0x0
	v_fmac_f32_e32 v23, v52, v32
	v_fmac_f32_e32 v24, v51, v32
	;; [unrolled: 1-line block ×4, first 2 shown]
	s_barrier_signal -1
	v_fmac_f32_e32 v23, v54, v37
	v_fmac_f32_e32 v24, v53, v37
	;; [unrolled: 1-line block ×4, first 2 shown]
	s_barrier_wait -1
	v_fmac_f32_e32 v23, v56, v38
	v_fmac_f32_e32 v24, v55, v38
	;; [unrolled: 1-line block ×4, first 2 shown]
	global_inv scope:SCOPE_SE
	v_fmac_f32_e32 v23, v46, v39
	v_fmac_f32_e32 v24, v45, v39
	;; [unrolled: 1-line block ×3, first 2 shown]
	s_delay_alu instid0(VALU_DEP_3) | instskip(NEXT) | instid1(VALU_DEP_3)
	v_dual_fmac_f32 v22, v45, v43 :: v_dual_fmac_f32 v23, v30, v40
	v_fmac_f32_e32 v24, v29, v40
	s_delay_alu instid0(VALU_DEP_3) | instskip(NEXT) | instid1(VALU_DEP_3)
	v_fmac_f32_e32 v21, v30, v44
	v_fmac_f32_e32 v22, v29, v44
	s_wait_alu 0xfffe
	s_cbranch_vccz .LBB446_15
.LBB446_9:                              ;   Parent Loop BB446_6 Depth=1
                                        ; =>  This Inner Loop Header: Depth=2
	v_mov_b32_e32 v29, 0
	s_and_saveexec_b32 s16, s0
	s_cbranch_execz .LBB446_13
; %bb.10:                               ;   in Loop: Header=BB446_9 Depth=2
	s_wait_alu 0xfffe
	v_dual_mov_b32 v29, 0 :: v_dual_add_nc_u32 v2, s14, v15
	s_mov_b32 s17, exec_lo
	s_delay_alu instid0(VALU_DEP_1)
	v_cmpx_gt_u64_e64 s[8:9], v[2:3]
	s_cbranch_execz .LBB446_12
; %bb.11:                               ;   in Loop: Header=BB446_9 Depth=2
	v_lshlrev_b64_e32 v[29:30], 2, v[2:3]
	s_delay_alu instid0(VALU_DEP_1) | instskip(SKIP_1) | instid1(VALU_DEP_2)
	v_add_co_u32 v29, vcc_lo, v25, v29
	s_wait_alu 0xfffd
	v_add_co_ci_u32_e64 v30, null, v26, v30, vcc_lo
	flat_load_b32 v29, v[29:30]
.LBB446_12:                             ;   in Loop: Header=BB446_9 Depth=2
	s_or_b32 exec_lo, exec_lo, s17
.LBB446_13:                             ;   in Loop: Header=BB446_9 Depth=2
	s_delay_alu instid0(SALU_CYCLE_1)
	s_or_b32 exec_lo, exec_lo, s16
	s_wait_alu 0xfffe
	v_add_nc_u32_e32 v2, s14, v14
	v_mov_b32_e32 v30, 0
	s_wait_loadcnt_dscnt 0x0
	ds_store_b32 v16, v29
	v_cmp_gt_u64_e32 vcc_lo, s[8:9], v[2:3]
	s_and_b32 s17, vcc_lo, s1
	s_delay_alu instid0(SALU_CYCLE_1)
	s_and_saveexec_b32 s16, s17
	s_cbranch_execz .LBB446_8
; %bb.14:                               ;   in Loop: Header=BB446_9 Depth=2
	v_mad_co_u64_u32 v[29:30], null, s20, v2, 0
	s_delay_alu instid0(VALU_DEP_1) | instskip(NEXT) | instid1(VALU_DEP_1)
	v_mad_co_u64_u32 v[30:31], null, s21, v2, v[30:31]
	v_lshlrev_b64_e32 v[29:30], 2, v[29:30]
	s_delay_alu instid0(VALU_DEP_1) | instskip(SKIP_1) | instid1(VALU_DEP_2)
	v_add_co_u32 v29, vcc_lo, v27, v29
	s_wait_alu 0xfffd
	v_add_co_ci_u32_e64 v30, null, v28, v30, vcc_lo
	flat_load_b32 v30, v[29:30]
	s_branch .LBB446_8
.LBB446_15:                             ;   in Loop: Header=BB446_6 Depth=1
	s_wait_loadcnt 0x0
	v_add_co_u32 v2, vcc_lo, v12, s10
	s_wait_alu 0xfffd
	v_add_co_ci_u32_e64 v12, null, s11, v13, vcc_lo
	s_delay_alu instid0(VALU_DEP_2) | instskip(SKIP_1) | instid1(VALU_DEP_2)
	v_add_co_u32 v13, vcc_lo, v2, v8
	s_wait_alu 0xfffd
	v_add_co_ci_u32_e64 v25, null, v12, v9, vcc_lo
	s_and_saveexec_b32 s14, s29
	s_cbranch_execz .LBB446_19
; %bb.16:                               ;   in Loop: Header=BB446_6 Depth=1
	v_mul_f32_e32 v24, s25, v24
	s_and_b32 vcc_lo, exec_lo, s28
	s_wait_alu 0xfffe
	s_cbranch_vccz .LBB446_30
; %bb.17:                               ;   in Loop: Header=BB446_6 Depth=1
	v_lshlrev_b64_e32 v[26:27], 2, v[0:1]
	s_delay_alu instid0(VALU_DEP_1) | instskip(SKIP_1) | instid1(VALU_DEP_2)
	v_add_co_u32 v26, vcc_lo, v13, v26
	s_wait_alu 0xfffd
	v_add_co_ci_u32_e64 v27, null, v25, v27, vcc_lo
	flat_load_b32 v28, v[26:27]
	s_wait_loadcnt_dscnt 0x0
	v_fma_f32 v28, s24, v28, v24
	flat_store_b32 v[26:27], v28
	s_cbranch_execnz .LBB446_19
.LBB446_18:                             ;   in Loop: Header=BB446_6 Depth=1
	v_lshlrev_b64_e32 v[26:27], 2, v[0:1]
	s_delay_alu instid0(VALU_DEP_1) | instskip(SKIP_1) | instid1(VALU_DEP_2)
	v_add_co_u32 v26, vcc_lo, v13, v26
	s_wait_alu 0xfffd
	v_add_co_ci_u32_e64 v27, null, v25, v27, vcc_lo
	flat_store_b32 v[26:27], v24
.LBB446_19:                             ;   in Loop: Header=BB446_6 Depth=1
	s_wait_alu 0xfffe
	s_or_b32 exec_lo, exec_lo, s14
	s_and_saveexec_b32 s14, s34
	s_cbranch_execz .LBB446_23
; %bb.20:                               ;   in Loop: Header=BB446_6 Depth=1
	v_mul_f32_e32 v23, s25, v23
	s_and_not1_b32 vcc_lo, exec_lo, s28
	s_wait_alu 0xfffe
	s_cbranch_vccnz .LBB446_31
; %bb.21:                               ;   in Loop: Header=BB446_6 Depth=1
	v_lshlrev_b64_e32 v[26:27], 2, v[4:5]
	s_delay_alu instid0(VALU_DEP_1) | instskip(SKIP_1) | instid1(VALU_DEP_2)
	v_add_co_u32 v26, vcc_lo, v13, v26
	s_wait_alu 0xfffd
	v_add_co_ci_u32_e64 v27, null, v25, v27, vcc_lo
	flat_load_b32 v24, v[26:27]
	s_wait_loadcnt_dscnt 0x0
	v_fma_f32 v24, s24, v24, v23
	flat_store_b32 v[26:27], v24
	s_cbranch_execnz .LBB446_23
.LBB446_22:                             ;   in Loop: Header=BB446_6 Depth=1
	v_lshlrev_b64_e32 v[26:27], 2, v[4:5]
	s_delay_alu instid0(VALU_DEP_1) | instskip(SKIP_1) | instid1(VALU_DEP_2)
	v_add_co_u32 v24, vcc_lo, v13, v26
	s_wait_alu 0xfffd
	v_add_co_ci_u32_e64 v25, null, v25, v27, vcc_lo
	flat_store_b32 v[24:25], v23
.LBB446_23:                             ;   in Loop: Header=BB446_6 Depth=1
	s_wait_alu 0xfffe
	s_or_b32 exec_lo, exec_lo, s14
	v_add_co_u32 v2, vcc_lo, v2, v10
	s_wait_alu 0xfffd
	v_add_co_ci_u32_e64 v23, null, v12, v11, vcc_lo
	s_and_saveexec_b32 s14, s35
	s_cbranch_execz .LBB446_27
; %bb.24:                               ;   in Loop: Header=BB446_6 Depth=1
	v_lshlrev_b64_e32 v[12:13], 2, v[0:1]
	v_mul_f32_e32 v22, s25, v22
	s_and_not1_b32 vcc_lo, exec_lo, s28
	s_wait_alu 0xfffe
	s_cbranch_vccnz .LBB446_32
; %bb.25:                               ;   in Loop: Header=BB446_6 Depth=1
	s_delay_alu instid0(VALU_DEP_2)
	v_add_co_u32 v24, vcc_lo, v2, v12
	s_wait_alu 0xfffd
	v_add_co_ci_u32_e64 v25, null, v23, v13, vcc_lo
	flat_load_b32 v26, v[24:25]
	s_wait_loadcnt_dscnt 0x0
	v_fma_f32 v26, s24, v26, v22
	flat_store_b32 v[24:25], v26
	s_cbranch_execnz .LBB446_27
.LBB446_26:                             ;   in Loop: Header=BB446_6 Depth=1
	v_add_co_u32 v12, vcc_lo, v2, v12
	s_wait_alu 0xfffd
	v_add_co_ci_u32_e64 v13, null, v23, v13, vcc_lo
	flat_store_b32 v[12:13], v22
.LBB446_27:                             ;   in Loop: Header=BB446_6 Depth=1
	s_wait_alu 0xfffe
	s_or_b32 exec_lo, exec_lo, s14
	s_and_saveexec_b32 s14, s36
	s_cbranch_execz .LBB446_5
; %bb.28:                               ;   in Loop: Header=BB446_6 Depth=1
	v_lshlrev_b64_e32 v[12:13], 2, v[4:5]
	v_mul_f32_e32 v21, s25, v21
	s_and_not1_b32 vcc_lo, exec_lo, s28
	s_wait_alu 0xfffe
	s_cbranch_vccnz .LBB446_33
; %bb.29:                               ;   in Loop: Header=BB446_6 Depth=1
	s_delay_alu instid0(VALU_DEP_2)
	v_add_co_u32 v24, vcc_lo, v2, v12
	s_wait_alu 0xfffd
	v_add_co_ci_u32_e64 v25, null, v23, v13, vcc_lo
	flat_load_b32 v22, v[24:25]
	s_wait_loadcnt_dscnt 0x0
	v_fma_f32 v22, s24, v22, v21
	flat_store_b32 v[24:25], v22
	s_cbranch_execnz .LBB446_5
	s_branch .LBB446_34
.LBB446_30:                             ;   in Loop: Header=BB446_6 Depth=1
	s_branch .LBB446_18
.LBB446_31:                             ;   in Loop: Header=BB446_6 Depth=1
	s_branch .LBB446_22
.LBB446_32:                             ;   in Loop: Header=BB446_6 Depth=1
	s_branch .LBB446_26
.LBB446_33:                             ;   in Loop: Header=BB446_6 Depth=1
.LBB446_34:                             ;   in Loop: Header=BB446_6 Depth=1
	s_delay_alu instid0(VALU_DEP_2)
	v_add_co_u32 v12, vcc_lo, v2, v12
	s_wait_alu 0xfffd
	v_add_co_ci_u32_e64 v13, null, v23, v13, vcc_lo
	flat_store_b32 v[12:13], v21
	s_branch .LBB446_5
.LBB446_35:
	s_endpgm
	.section	.rodata,"a",@progbits
	.p2align	6, 0x0
	.amdhsa_kernel _ZL29rocblas_internal_gemmt_kernelIlLi16ELi32ELi8ELc84ELc67ELc76ELb0ELb0EfPKfPKS1_PKPfEviT_T9_T10_S7_lS9_S7_lS8_T11_S7_li
		.amdhsa_group_segment_fixed_size 2048
		.amdhsa_private_segment_fixed_size 0
		.amdhsa_kernarg_size 108
		.amdhsa_user_sgpr_count 2
		.amdhsa_user_sgpr_dispatch_ptr 0
		.amdhsa_user_sgpr_queue_ptr 0
		.amdhsa_user_sgpr_kernarg_segment_ptr 1
		.amdhsa_user_sgpr_dispatch_id 0
		.amdhsa_user_sgpr_private_segment_size 0
		.amdhsa_wavefront_size32 1
		.amdhsa_uses_dynamic_stack 0
		.amdhsa_enable_private_segment 0
		.amdhsa_system_sgpr_workgroup_id_x 1
		.amdhsa_system_sgpr_workgroup_id_y 1
		.amdhsa_system_sgpr_workgroup_id_z 1
		.amdhsa_system_sgpr_workgroup_info 0
		.amdhsa_system_vgpr_workitem_id 1
		.amdhsa_next_free_vgpr 57
		.amdhsa_next_free_sgpr 38
		.amdhsa_reserve_vcc 1
		.amdhsa_float_round_mode_32 0
		.amdhsa_float_round_mode_16_64 0
		.amdhsa_float_denorm_mode_32 3
		.amdhsa_float_denorm_mode_16_64 3
		.amdhsa_fp16_overflow 0
		.amdhsa_workgroup_processor_mode 1
		.amdhsa_memory_ordered 1
		.amdhsa_forward_progress 1
		.amdhsa_inst_pref_size 16
		.amdhsa_round_robin_scheduling 0
		.amdhsa_exception_fp_ieee_invalid_op 0
		.amdhsa_exception_fp_denorm_src 0
		.amdhsa_exception_fp_ieee_div_zero 0
		.amdhsa_exception_fp_ieee_overflow 0
		.amdhsa_exception_fp_ieee_underflow 0
		.amdhsa_exception_fp_ieee_inexact 0
		.amdhsa_exception_int_div_zero 0
	.end_amdhsa_kernel
	.section	.text._ZL29rocblas_internal_gemmt_kernelIlLi16ELi32ELi8ELc84ELc67ELc76ELb0ELb0EfPKfPKS1_PKPfEviT_T9_T10_S7_lS9_S7_lS8_T11_S7_li,"axG",@progbits,_ZL29rocblas_internal_gemmt_kernelIlLi16ELi32ELi8ELc84ELc67ELc76ELb0ELb0EfPKfPKS1_PKPfEviT_T9_T10_S7_lS9_S7_lS8_T11_S7_li,comdat
.Lfunc_end446:
	.size	_ZL29rocblas_internal_gemmt_kernelIlLi16ELi32ELi8ELc84ELc67ELc76ELb0ELb0EfPKfPKS1_PKPfEviT_T9_T10_S7_lS9_S7_lS8_T11_S7_li, .Lfunc_end446-_ZL29rocblas_internal_gemmt_kernelIlLi16ELi32ELi8ELc84ELc67ELc76ELb0ELb0EfPKfPKS1_PKPfEviT_T9_T10_S7_lS9_S7_lS8_T11_S7_li
                                        ; -- End function
	.set _ZL29rocblas_internal_gemmt_kernelIlLi16ELi32ELi8ELc84ELc67ELc76ELb0ELb0EfPKfPKS1_PKPfEviT_T9_T10_S7_lS9_S7_lS8_T11_S7_li.num_vgpr, 57
	.set _ZL29rocblas_internal_gemmt_kernelIlLi16ELi32ELi8ELc84ELc67ELc76ELb0ELb0EfPKfPKS1_PKPfEviT_T9_T10_S7_lS9_S7_lS8_T11_S7_li.num_agpr, 0
	.set _ZL29rocblas_internal_gemmt_kernelIlLi16ELi32ELi8ELc84ELc67ELc76ELb0ELb0EfPKfPKS1_PKPfEviT_T9_T10_S7_lS9_S7_lS8_T11_S7_li.numbered_sgpr, 38
	.set _ZL29rocblas_internal_gemmt_kernelIlLi16ELi32ELi8ELc84ELc67ELc76ELb0ELb0EfPKfPKS1_PKPfEviT_T9_T10_S7_lS9_S7_lS8_T11_S7_li.num_named_barrier, 0
	.set _ZL29rocblas_internal_gemmt_kernelIlLi16ELi32ELi8ELc84ELc67ELc76ELb0ELb0EfPKfPKS1_PKPfEviT_T9_T10_S7_lS9_S7_lS8_T11_S7_li.private_seg_size, 0
	.set _ZL29rocblas_internal_gemmt_kernelIlLi16ELi32ELi8ELc84ELc67ELc76ELb0ELb0EfPKfPKS1_PKPfEviT_T9_T10_S7_lS9_S7_lS8_T11_S7_li.uses_vcc, 1
	.set _ZL29rocblas_internal_gemmt_kernelIlLi16ELi32ELi8ELc84ELc67ELc76ELb0ELb0EfPKfPKS1_PKPfEviT_T9_T10_S7_lS9_S7_lS8_T11_S7_li.uses_flat_scratch, 0
	.set _ZL29rocblas_internal_gemmt_kernelIlLi16ELi32ELi8ELc84ELc67ELc76ELb0ELb0EfPKfPKS1_PKPfEviT_T9_T10_S7_lS9_S7_lS8_T11_S7_li.has_dyn_sized_stack, 0
	.set _ZL29rocblas_internal_gemmt_kernelIlLi16ELi32ELi8ELc84ELc67ELc76ELb0ELb0EfPKfPKS1_PKPfEviT_T9_T10_S7_lS9_S7_lS8_T11_S7_li.has_recursion, 0
	.set _ZL29rocblas_internal_gemmt_kernelIlLi16ELi32ELi8ELc84ELc67ELc76ELb0ELb0EfPKfPKS1_PKPfEviT_T9_T10_S7_lS9_S7_lS8_T11_S7_li.has_indirect_call, 0
	.section	.AMDGPU.csdata,"",@progbits
; Kernel info:
; codeLenInByte = 1928
; TotalNumSgprs: 40
; NumVgprs: 57
; ScratchSize: 0
; MemoryBound: 0
; FloatMode: 240
; IeeeMode: 1
; LDSByteSize: 2048 bytes/workgroup (compile time only)
; SGPRBlocks: 0
; VGPRBlocks: 7
; NumSGPRsForWavesPerEU: 40
; NumVGPRsForWavesPerEU: 57
; Occupancy: 16
; WaveLimiterHint : 1
; COMPUTE_PGM_RSRC2:SCRATCH_EN: 0
; COMPUTE_PGM_RSRC2:USER_SGPR: 2
; COMPUTE_PGM_RSRC2:TRAP_HANDLER: 0
; COMPUTE_PGM_RSRC2:TGID_X_EN: 1
; COMPUTE_PGM_RSRC2:TGID_Y_EN: 1
; COMPUTE_PGM_RSRC2:TGID_Z_EN: 1
; COMPUTE_PGM_RSRC2:TIDIG_COMP_CNT: 1
	.section	.text._ZL29rocblas_internal_gemmt_kernelIlLi16ELi32ELi8ELc67ELc78ELc76ELb0ELb0EfPKfPKS1_PKPfEviT_T9_T10_S7_lS9_S7_lS8_T11_S7_li,"axG",@progbits,_ZL29rocblas_internal_gemmt_kernelIlLi16ELi32ELi8ELc67ELc78ELc76ELb0ELb0EfPKfPKS1_PKPfEviT_T9_T10_S7_lS9_S7_lS8_T11_S7_li,comdat
	.globl	_ZL29rocblas_internal_gemmt_kernelIlLi16ELi32ELi8ELc67ELc78ELc76ELb0ELb0EfPKfPKS1_PKPfEviT_T9_T10_S7_lS9_S7_lS8_T11_S7_li ; -- Begin function _ZL29rocblas_internal_gemmt_kernelIlLi16ELi32ELi8ELc67ELc78ELc76ELb0ELb0EfPKfPKS1_PKPfEviT_T9_T10_S7_lS9_S7_lS8_T11_S7_li
	.p2align	8
	.type	_ZL29rocblas_internal_gemmt_kernelIlLi16ELi32ELi8ELc67ELc78ELc76ELb0ELb0EfPKfPKS1_PKPfEviT_T9_T10_S7_lS9_S7_lS8_T11_S7_li,@function
_ZL29rocblas_internal_gemmt_kernelIlLi16ELi32ELi8ELc67ELc78ELc76ELb0ELb0EfPKfPKS1_PKPfEviT_T9_T10_S7_lS9_S7_lS8_T11_S7_li: ; @_ZL29rocblas_internal_gemmt_kernelIlLi16ELi32ELi8ELc67ELc78ELc76ELb0ELb0EfPKfPKS1_PKPfEviT_T9_T10_S7_lS9_S7_lS8_T11_S7_li
; %bb.0:
	s_clause 0x1
	s_load_b256 s[24:31], s[0:1], 0x48
	s_load_b512 s[8:23], s[0:1], 0x8
	s_wait_kmcnt 0x0
	s_load_b32 s24, s[24:25], 0x0
	s_load_b32 s25, s[10:11], 0x0
	s_wait_kmcnt 0x0
	s_cmp_neq_f32 s24, 1.0
	s_cselect_b32 s2, -1, 0
	s_delay_alu instid0(SALU_CYCLE_1)
	s_and_b32 vcc_lo, exec_lo, s2
	s_cbranch_vccnz .LBB447_2
; %bb.1:
	s_cmp_lg_u64 s[8:9], 0
	s_cselect_b32 s2, -1, 0
	s_cmp_neq_f32 s25, 0
	s_cselect_b32 s3, -1, 0
	s_delay_alu instid0(SALU_CYCLE_1)
	s_and_b32 s2, s2, s3
.LBB447_2:
	s_delay_alu instid0(SALU_CYCLE_1)
	s_and_not1_b32 vcc_lo, exec_lo, s2
	s_cbranch_vccnz .LBB447_35
; %bb.3:
	s_load_b32 s33, s[0:1], 0x68
	s_lshr_b32 s6, ttmp7, 16
	s_wait_kmcnt 0x0
	s_cmp_ge_u32 s6, s33
	s_cbranch_scc1 .LBB447_35
; %bb.4:
	v_and_b32_e32 v5, 0x3ff, v0
	v_bfe_u32 v14, v0, 10, 10
	s_load_b32 s4, s[0:1], 0x0
	s_lshl_b32 s0, ttmp7, 5
	s_lshl_b32 s2, ttmp9, 5
	s_and_b32 s1, s0, 0x1fffe0
	v_lshl_add_u32 v1, v14, 4, v5
	v_add_nc_u32_e32 v15, s1, v14
	s_cmp_neq_f32 s25, 0
	v_cmp_gt_i64_e64 s10, s[8:9], 0
	v_lshl_add_u32 v21, v14, 5, 0x400
	v_lshrrev_b32_e32 v2, 3, v1
	v_mad_co_u64_u32 v[10:11], null, s28, v15, 0
	v_and_b32_e32 v16, 7, v0
	v_and_b32_e32 v0, 31, v1
	v_lshrrev_b32_e32 v17, 5, v1
	v_add_nc_u32_e32 v4, s1, v2
	v_add_nc_u32_e32 v22, 16, v15
	s_cselect_b32 s11, -1, 0
	v_or_b32_e32 v3, s2, v0
	s_ashr_i32 s1, s2, 31
	v_mad_co_u64_u32 v[8:9], null, s20, v4, 0
	s_wait_alu 0xfffe
	s_mul_i32 s1, s14, s1
	v_mul_lo_u32 v1, s15, v3
	v_mad_co_u64_u32 v[6:7], null, s14, v3, 0
	s_wait_kmcnt 0x0
	v_cmp_gt_i32_e64 s0, s4, v3
	v_mad_co_u64_u32 v[12:13], null, s28, v22, 0
	v_lshlrev_b32_e32 v0, 2, v0
	s_cmp_neq_f32 s24, 0
	s_mov_b32 s7, 0
	s_wait_alu 0xfffe
	v_add3_u32 v7, v7, s1, v1
	v_mov_b32_e32 v1, v11
	v_lshlrev_b32_e32 v3, 2, v16
	v_lshl_or_b32 v18, v17, 7, v0
	v_mov_b32_e32 v0, v9
	v_cmp_gt_i32_e64 s1, s4, v4
	v_lshlrev_b32_e32 v20, 2, v5
	v_lshl_or_b32 v2, v2, 5, v3
	s_cselect_b32 s20, -1, 0
	v_lshlrev_b64_e32 v[6:7], 2, v[6:7]
	s_and_b32 s35, s11, s10
	s_lshl_b64 s[10:11], s[30:31], 2
	v_add_nc_u32_e32 v19, 0x400, v2
	v_mad_co_u64_u32 v[2:3], null, s21, v4, v[0:1]
	v_add_nc_u32_e32 v0, s2, v5
	s_delay_alu instid0(VALU_DEP_2) | instskip(NEXT) | instid1(VALU_DEP_2)
	v_mad_co_u64_u32 v[3:4], null, s29, v15, v[1:2]
	v_dual_mov_b32 v9, v2 :: v_dual_add_nc_u32 v2, 16, v0
	v_mov_b32_e32 v1, v13
	s_delay_alu instid0(VALU_DEP_2) | instskip(NEXT) | instid1(VALU_DEP_4)
	v_lshlrev_b64_e32 v[8:9], 2, v[8:9]
	v_mov_b32_e32 v11, v3
	s_delay_alu instid0(VALU_DEP_3)
	v_mad_co_u64_u32 v[4:5], null, s29, v22, v[1:2]
	v_mov_b32_e32 v5, 0
	v_cmp_le_i32_e32 vcc_lo, v15, v0
	v_cmp_gt_i32_e64 s2, s4, v0
	v_cmp_le_i32_e64 s3, v15, v2
	v_cmp_gt_i32_e64 s4, s4, v2
	v_lshlrev_b64_e32 v[10:11], 2, v[10:11]
	v_mov_b32_e32 v13, v4
	s_and_b32 s21, vcc_lo, s2
	v_cmp_le_i32_e32 vcc_lo, v22, v0
	v_cmp_le_i32_e64 s5, v22, v2
	v_ashrrev_i32_e32 v1, 31, v0
	v_lshlrev_b64_e32 v[12:13], 2, v[12:13]
	v_ashrrev_i32_e32 v3, 31, v2
	s_and_b32 s28, s3, s4
	s_and_b32 s29, vcc_lo, s2
	s_and_b32 s34, s5, s4
	s_lshl_b64 s[2:3], s[22:23], 2
	s_lshl_b64 s[4:5], s[16:17], 2
	s_branch .LBB447_6
.LBB447_5:                              ;   in Loop: Header=BB447_6 Depth=1
	s_wait_alu 0xfffe
	s_or_b32 exec_lo, exec_lo, s14
	s_add_co_i32 s6, s6, 0x10000
	s_delay_alu instid0(SALU_CYCLE_1)
	s_cmp_lt_u32 s6, s33
	s_cbranch_scc0 .LBB447_35
.LBB447_6:                              ; =>This Loop Header: Depth=1
                                        ;     Child Loop BB447_9 Depth 2
	s_lshl_b64 s[14:15], s[6:7], 3
	v_dual_mov_b32 v25, v5 :: v_dual_mov_b32 v24, v5
	s_wait_alu 0xfffe
	s_add_nc_u64 s[16:17], s[26:27], s[14:15]
	v_dual_mov_b32 v23, v5 :: v_dual_mov_b32 v22, v5
	global_load_b64 v[14:15], v5, s[16:17]
	s_and_not1_b32 vcc_lo, exec_lo, s35
	s_wait_alu 0xfffe
	s_cbranch_vccnz .LBB447_15
; %bb.7:                                ;   in Loop: Header=BB447_6 Depth=1
	s_add_nc_u64 s[16:17], s[12:13], s[14:15]
	s_add_nc_u64 s[14:15], s[18:19], s[14:15]
	s_clause 0x1
	global_load_b64 v[25:26], v5, s[16:17]
	global_load_b64 v[27:28], v5, s[14:15]
	v_dual_mov_b32 v22, 0 :: v_dual_mov_b32 v23, 0
	v_mov_b32_e32 v24, 0
	s_mov_b64 s[14:15], 0
	s_wait_loadcnt 0x1
	v_add_co_u32 v4, vcc_lo, v25, s4
	s_wait_alu 0xfffd
	v_add_co_ci_u32_e64 v25, null, s5, v26, vcc_lo
	s_wait_loadcnt 0x0
	v_add_co_u32 v29, vcc_lo, v27, s2
	s_wait_alu 0xfffd
	v_add_co_ci_u32_e64 v30, null, s3, v28, vcc_lo
	v_add_co_u32 v26, vcc_lo, v4, v6
	s_wait_alu 0xfffd
	v_add_co_ci_u32_e64 v27, null, v25, v7, vcc_lo
	;; [unrolled: 3-line block ×3, first 2 shown]
	v_mov_b32_e32 v25, 0
	s_branch .LBB447_9
.LBB447_8:                              ;   in Loop: Header=BB447_9 Depth=2
	s_or_b32 exec_lo, exec_lo, s16
	s_wait_loadcnt_dscnt 0x0
	ds_store_b32 v19, v31
	s_wait_dscnt 0x0
	s_barrier_signal -1
	s_barrier_wait -1
	global_inv scope:SCOPE_SE
	ds_load_b128 v[30:33], v21
	ds_load_2addr_b32 v[46:47], v20 offset1:16
	ds_load_b128 v[34:37], v21 offset:512
	ds_load_2addr_b32 v[48:49], v20 offset0:32 offset1:48
	ds_load_2addr_b32 v[50:51], v20 offset0:64 offset1:80
	;; [unrolled: 1-line block ×3, first 2 shown]
	ds_load_b128 v[38:41], v21 offset:16
	ds_load_2addr_b32 v[54:55], v20 offset0:128 offset1:144
	ds_load_b128 v[42:45], v21 offset:528
	ds_load_2addr_b32 v[56:57], v20 offset0:160 offset1:176
	s_add_nc_u64 s[14:15], s[14:15], 8
	s_wait_alu 0xfffe
	v_cmp_gt_i64_e64 s16, s[8:9], s[14:15]
	s_and_b32 vcc_lo, exec_lo, s16
	s_wait_dscnt 0x8
	v_fmac_f32_e32 v24, v47, v30
	v_fmac_f32_e32 v25, v46, v30
	s_wait_dscnt 0x7
	v_fmac_f32_e32 v22, v47, v34
	v_fmac_f32_e32 v23, v46, v34
	ds_load_2addr_b32 v[46:47], v20 offset0:192 offset1:208
	s_wait_dscnt 0x7
	v_fmac_f32_e32 v24, v49, v31
	v_fmac_f32_e32 v25, v48, v31
	;; [unrolled: 1-line block ×4, first 2 shown]
	ds_load_2addr_b32 v[30:31], v20 offset0:224 offset1:240
	s_wait_dscnt 0x7
	v_fmac_f32_e32 v24, v51, v32
	v_fmac_f32_e32 v25, v50, v32
	;; [unrolled: 1-line block ×4, first 2 shown]
	s_wait_loadcnt_dscnt 0x0
	v_fmac_f32_e32 v24, v53, v33
	v_fmac_f32_e32 v25, v52, v33
	;; [unrolled: 1-line block ×4, first 2 shown]
	s_barrier_signal -1
	v_fmac_f32_e32 v24, v55, v38
	v_fmac_f32_e32 v25, v54, v38
	;; [unrolled: 1-line block ×4, first 2 shown]
	s_barrier_wait -1
	v_fmac_f32_e32 v24, v57, v39
	v_fmac_f32_e32 v25, v56, v39
	;; [unrolled: 1-line block ×4, first 2 shown]
	global_inv scope:SCOPE_SE
	v_fmac_f32_e32 v24, v47, v40
	v_fmac_f32_e32 v25, v46, v40
	;; [unrolled: 1-line block ×3, first 2 shown]
	s_delay_alu instid0(VALU_DEP_3) | instskip(NEXT) | instid1(VALU_DEP_3)
	v_dual_fmac_f32 v23, v46, v44 :: v_dual_fmac_f32 v24, v31, v41
	v_fmac_f32_e32 v25, v30, v41
	s_delay_alu instid0(VALU_DEP_3) | instskip(NEXT) | instid1(VALU_DEP_3)
	v_fmac_f32_e32 v22, v31, v45
	v_fmac_f32_e32 v23, v30, v45
	s_wait_alu 0xfffe
	s_cbranch_vccz .LBB447_15
.LBB447_9:                              ;   Parent Loop BB447_6 Depth=1
                                        ; =>  This Inner Loop Header: Depth=2
	v_mov_b32_e32 v30, 0
	s_and_saveexec_b32 s16, s0
	s_cbranch_execz .LBB447_13
; %bb.10:                               ;   in Loop: Header=BB447_9 Depth=2
	s_wait_alu 0xfffe
	v_add_nc_u32_e32 v4, s14, v17
	v_mov_b32_e32 v30, 0
	s_mov_b32 s17, exec_lo
	s_delay_alu instid0(VALU_DEP_2)
	v_cmpx_gt_u64_e64 s[8:9], v[4:5]
	s_cbranch_execz .LBB447_12
; %bb.11:                               ;   in Loop: Header=BB447_9 Depth=2
	v_lshlrev_b64_e32 v[30:31], 2, v[4:5]
	s_delay_alu instid0(VALU_DEP_1) | instskip(SKIP_1) | instid1(VALU_DEP_2)
	v_add_co_u32 v30, vcc_lo, v26, v30
	s_wait_alu 0xfffd
	v_add_co_ci_u32_e64 v31, null, v27, v31, vcc_lo
	flat_load_b32 v30, v[30:31]
.LBB447_12:                             ;   in Loop: Header=BB447_9 Depth=2
	s_or_b32 exec_lo, exec_lo, s17
.LBB447_13:                             ;   in Loop: Header=BB447_9 Depth=2
	s_delay_alu instid0(SALU_CYCLE_1)
	s_or_b32 exec_lo, exec_lo, s16
	s_wait_alu 0xfffe
	v_dual_mov_b32 v31, 0 :: v_dual_add_nc_u32 v4, s14, v16
	s_wait_loadcnt_dscnt 0x0
	ds_store_b32 v18, v30
	v_cmp_gt_u64_e32 vcc_lo, s[8:9], v[4:5]
	s_and_b32 s17, vcc_lo, s1
	s_delay_alu instid0(SALU_CYCLE_1)
	s_and_saveexec_b32 s16, s17
	s_cbranch_execz .LBB447_8
; %bb.14:                               ;   in Loop: Header=BB447_9 Depth=2
	v_lshlrev_b64_e32 v[30:31], 2, v[4:5]
	s_delay_alu instid0(VALU_DEP_1) | instskip(SKIP_1) | instid1(VALU_DEP_2)
	v_add_co_u32 v30, vcc_lo, v28, v30
	s_wait_alu 0xfffd
	v_add_co_ci_u32_e64 v31, null, v29, v31, vcc_lo
	flat_load_b32 v31, v[30:31]
	s_branch .LBB447_8
.LBB447_15:                             ;   in Loop: Header=BB447_6 Depth=1
	s_wait_loadcnt 0x0
	v_add_co_u32 v4, vcc_lo, v14, s10
	s_wait_alu 0xfffd
	v_add_co_ci_u32_e64 v14, null, s11, v15, vcc_lo
	s_delay_alu instid0(VALU_DEP_2) | instskip(SKIP_1) | instid1(VALU_DEP_2)
	v_add_co_u32 v15, vcc_lo, v4, v10
	s_wait_alu 0xfffd
	v_add_co_ci_u32_e64 v26, null, v14, v11, vcc_lo
	s_and_saveexec_b32 s14, s21
	s_cbranch_execz .LBB447_19
; %bb.16:                               ;   in Loop: Header=BB447_6 Depth=1
	v_mul_f32_e32 v25, s25, v25
	s_and_b32 vcc_lo, exec_lo, s20
	s_wait_alu 0xfffe
	s_cbranch_vccz .LBB447_30
; %bb.17:                               ;   in Loop: Header=BB447_6 Depth=1
	v_lshlrev_b64_e32 v[27:28], 2, v[0:1]
	s_delay_alu instid0(VALU_DEP_1) | instskip(SKIP_1) | instid1(VALU_DEP_2)
	v_add_co_u32 v27, vcc_lo, v15, v27
	s_wait_alu 0xfffd
	v_add_co_ci_u32_e64 v28, null, v26, v28, vcc_lo
	flat_load_b32 v29, v[27:28]
	s_wait_loadcnt_dscnt 0x0
	v_fma_f32 v29, s24, v29, v25
	flat_store_b32 v[27:28], v29
	s_cbranch_execnz .LBB447_19
.LBB447_18:                             ;   in Loop: Header=BB447_6 Depth=1
	v_lshlrev_b64_e32 v[27:28], 2, v[0:1]
	s_delay_alu instid0(VALU_DEP_1) | instskip(SKIP_1) | instid1(VALU_DEP_2)
	v_add_co_u32 v27, vcc_lo, v15, v27
	s_wait_alu 0xfffd
	v_add_co_ci_u32_e64 v28, null, v26, v28, vcc_lo
	flat_store_b32 v[27:28], v25
.LBB447_19:                             ;   in Loop: Header=BB447_6 Depth=1
	s_wait_alu 0xfffe
	s_or_b32 exec_lo, exec_lo, s14
	s_and_saveexec_b32 s14, s28
	s_cbranch_execz .LBB447_23
; %bb.20:                               ;   in Loop: Header=BB447_6 Depth=1
	v_mul_f32_e32 v24, s25, v24
	s_and_not1_b32 vcc_lo, exec_lo, s20
	s_wait_alu 0xfffe
	s_cbranch_vccnz .LBB447_31
; %bb.21:                               ;   in Loop: Header=BB447_6 Depth=1
	v_lshlrev_b64_e32 v[27:28], 2, v[2:3]
	s_delay_alu instid0(VALU_DEP_1) | instskip(SKIP_1) | instid1(VALU_DEP_2)
	v_add_co_u32 v27, vcc_lo, v15, v27
	s_wait_alu 0xfffd
	v_add_co_ci_u32_e64 v28, null, v26, v28, vcc_lo
	flat_load_b32 v25, v[27:28]
	s_wait_loadcnt_dscnt 0x0
	v_fma_f32 v25, s24, v25, v24
	flat_store_b32 v[27:28], v25
	s_cbranch_execnz .LBB447_23
.LBB447_22:                             ;   in Loop: Header=BB447_6 Depth=1
	v_lshlrev_b64_e32 v[27:28], 2, v[2:3]
	s_delay_alu instid0(VALU_DEP_1) | instskip(SKIP_1) | instid1(VALU_DEP_2)
	v_add_co_u32 v25, vcc_lo, v15, v27
	s_wait_alu 0xfffd
	v_add_co_ci_u32_e64 v26, null, v26, v28, vcc_lo
	flat_store_b32 v[25:26], v24
.LBB447_23:                             ;   in Loop: Header=BB447_6 Depth=1
	s_wait_alu 0xfffe
	s_or_b32 exec_lo, exec_lo, s14
	v_add_co_u32 v4, vcc_lo, v4, v12
	s_wait_alu 0xfffd
	v_add_co_ci_u32_e64 v24, null, v14, v13, vcc_lo
	s_and_saveexec_b32 s14, s29
	s_cbranch_execz .LBB447_27
; %bb.24:                               ;   in Loop: Header=BB447_6 Depth=1
	v_lshlrev_b64_e32 v[14:15], 2, v[0:1]
	v_mul_f32_e32 v23, s25, v23
	s_and_not1_b32 vcc_lo, exec_lo, s20
	s_wait_alu 0xfffe
	s_cbranch_vccnz .LBB447_32
; %bb.25:                               ;   in Loop: Header=BB447_6 Depth=1
	s_delay_alu instid0(VALU_DEP_2)
	v_add_co_u32 v25, vcc_lo, v4, v14
	s_wait_alu 0xfffd
	v_add_co_ci_u32_e64 v26, null, v24, v15, vcc_lo
	flat_load_b32 v27, v[25:26]
	s_wait_loadcnt_dscnt 0x0
	v_fma_f32 v27, s24, v27, v23
	flat_store_b32 v[25:26], v27
	s_cbranch_execnz .LBB447_27
.LBB447_26:                             ;   in Loop: Header=BB447_6 Depth=1
	v_add_co_u32 v14, vcc_lo, v4, v14
	s_wait_alu 0xfffd
	v_add_co_ci_u32_e64 v15, null, v24, v15, vcc_lo
	flat_store_b32 v[14:15], v23
.LBB447_27:                             ;   in Loop: Header=BB447_6 Depth=1
	s_wait_alu 0xfffe
	s_or_b32 exec_lo, exec_lo, s14
	s_and_saveexec_b32 s14, s34
	s_cbranch_execz .LBB447_5
; %bb.28:                               ;   in Loop: Header=BB447_6 Depth=1
	v_lshlrev_b64_e32 v[14:15], 2, v[2:3]
	v_mul_f32_e32 v22, s25, v22
	s_and_not1_b32 vcc_lo, exec_lo, s20
	s_wait_alu 0xfffe
	s_cbranch_vccnz .LBB447_33
; %bb.29:                               ;   in Loop: Header=BB447_6 Depth=1
	s_delay_alu instid0(VALU_DEP_2)
	v_add_co_u32 v25, vcc_lo, v4, v14
	s_wait_alu 0xfffd
	v_add_co_ci_u32_e64 v26, null, v24, v15, vcc_lo
	flat_load_b32 v23, v[25:26]
	s_wait_loadcnt_dscnt 0x0
	v_fma_f32 v23, s24, v23, v22
	flat_store_b32 v[25:26], v23
	s_cbranch_execnz .LBB447_5
	s_branch .LBB447_34
.LBB447_30:                             ;   in Loop: Header=BB447_6 Depth=1
	s_branch .LBB447_18
.LBB447_31:                             ;   in Loop: Header=BB447_6 Depth=1
	s_branch .LBB447_22
.LBB447_32:                             ;   in Loop: Header=BB447_6 Depth=1
	s_branch .LBB447_26
.LBB447_33:                             ;   in Loop: Header=BB447_6 Depth=1
.LBB447_34:                             ;   in Loop: Header=BB447_6 Depth=1
	s_delay_alu instid0(VALU_DEP_2)
	v_add_co_u32 v14, vcc_lo, v4, v14
	s_wait_alu 0xfffd
	v_add_co_ci_u32_e64 v15, null, v24, v15, vcc_lo
	flat_store_b32 v[14:15], v22
	s_branch .LBB447_5
.LBB447_35:
	s_endpgm
	.section	.rodata,"a",@progbits
	.p2align	6, 0x0
	.amdhsa_kernel _ZL29rocblas_internal_gemmt_kernelIlLi16ELi32ELi8ELc67ELc78ELc76ELb0ELb0EfPKfPKS1_PKPfEviT_T9_T10_S7_lS9_S7_lS8_T11_S7_li
		.amdhsa_group_segment_fixed_size 2048
		.amdhsa_private_segment_fixed_size 0
		.amdhsa_kernarg_size 108
		.amdhsa_user_sgpr_count 2
		.amdhsa_user_sgpr_dispatch_ptr 0
		.amdhsa_user_sgpr_queue_ptr 0
		.amdhsa_user_sgpr_kernarg_segment_ptr 1
		.amdhsa_user_sgpr_dispatch_id 0
		.amdhsa_user_sgpr_private_segment_size 0
		.amdhsa_wavefront_size32 1
		.amdhsa_uses_dynamic_stack 0
		.amdhsa_enable_private_segment 0
		.amdhsa_system_sgpr_workgroup_id_x 1
		.amdhsa_system_sgpr_workgroup_id_y 1
		.amdhsa_system_sgpr_workgroup_id_z 1
		.amdhsa_system_sgpr_workgroup_info 0
		.amdhsa_system_vgpr_workitem_id 1
		.amdhsa_next_free_vgpr 58
		.amdhsa_next_free_sgpr 36
		.amdhsa_reserve_vcc 1
		.amdhsa_float_round_mode_32 0
		.amdhsa_float_round_mode_16_64 0
		.amdhsa_float_denorm_mode_32 3
		.amdhsa_float_denorm_mode_16_64 3
		.amdhsa_fp16_overflow 0
		.amdhsa_workgroup_processor_mode 1
		.amdhsa_memory_ordered 1
		.amdhsa_forward_progress 1
		.amdhsa_inst_pref_size 15
		.amdhsa_round_robin_scheduling 0
		.amdhsa_exception_fp_ieee_invalid_op 0
		.amdhsa_exception_fp_denorm_src 0
		.amdhsa_exception_fp_ieee_div_zero 0
		.amdhsa_exception_fp_ieee_overflow 0
		.amdhsa_exception_fp_ieee_underflow 0
		.amdhsa_exception_fp_ieee_inexact 0
		.amdhsa_exception_int_div_zero 0
	.end_amdhsa_kernel
	.section	.text._ZL29rocblas_internal_gemmt_kernelIlLi16ELi32ELi8ELc67ELc78ELc76ELb0ELb0EfPKfPKS1_PKPfEviT_T9_T10_S7_lS9_S7_lS8_T11_S7_li,"axG",@progbits,_ZL29rocblas_internal_gemmt_kernelIlLi16ELi32ELi8ELc67ELc78ELc76ELb0ELb0EfPKfPKS1_PKPfEviT_T9_T10_S7_lS9_S7_lS8_T11_S7_li,comdat
.Lfunc_end447:
	.size	_ZL29rocblas_internal_gemmt_kernelIlLi16ELi32ELi8ELc67ELc78ELc76ELb0ELb0EfPKfPKS1_PKPfEviT_T9_T10_S7_lS9_S7_lS8_T11_S7_li, .Lfunc_end447-_ZL29rocblas_internal_gemmt_kernelIlLi16ELi32ELi8ELc67ELc78ELc76ELb0ELb0EfPKfPKS1_PKPfEviT_T9_T10_S7_lS9_S7_lS8_T11_S7_li
                                        ; -- End function
	.set _ZL29rocblas_internal_gemmt_kernelIlLi16ELi32ELi8ELc67ELc78ELc76ELb0ELb0EfPKfPKS1_PKPfEviT_T9_T10_S7_lS9_S7_lS8_T11_S7_li.num_vgpr, 58
	.set _ZL29rocblas_internal_gemmt_kernelIlLi16ELi32ELi8ELc67ELc78ELc76ELb0ELb0EfPKfPKS1_PKPfEviT_T9_T10_S7_lS9_S7_lS8_T11_S7_li.num_agpr, 0
	.set _ZL29rocblas_internal_gemmt_kernelIlLi16ELi32ELi8ELc67ELc78ELc76ELb0ELb0EfPKfPKS1_PKPfEviT_T9_T10_S7_lS9_S7_lS8_T11_S7_li.numbered_sgpr, 36
	.set _ZL29rocblas_internal_gemmt_kernelIlLi16ELi32ELi8ELc67ELc78ELc76ELb0ELb0EfPKfPKS1_PKPfEviT_T9_T10_S7_lS9_S7_lS8_T11_S7_li.num_named_barrier, 0
	.set _ZL29rocblas_internal_gemmt_kernelIlLi16ELi32ELi8ELc67ELc78ELc76ELb0ELb0EfPKfPKS1_PKPfEviT_T9_T10_S7_lS9_S7_lS8_T11_S7_li.private_seg_size, 0
	.set _ZL29rocblas_internal_gemmt_kernelIlLi16ELi32ELi8ELc67ELc78ELc76ELb0ELb0EfPKfPKS1_PKPfEviT_T9_T10_S7_lS9_S7_lS8_T11_S7_li.uses_vcc, 1
	.set _ZL29rocblas_internal_gemmt_kernelIlLi16ELi32ELi8ELc67ELc78ELc76ELb0ELb0EfPKfPKS1_PKPfEviT_T9_T10_S7_lS9_S7_lS8_T11_S7_li.uses_flat_scratch, 0
	.set _ZL29rocblas_internal_gemmt_kernelIlLi16ELi32ELi8ELc67ELc78ELc76ELb0ELb0EfPKfPKS1_PKPfEviT_T9_T10_S7_lS9_S7_lS8_T11_S7_li.has_dyn_sized_stack, 0
	.set _ZL29rocblas_internal_gemmt_kernelIlLi16ELi32ELi8ELc67ELc78ELc76ELb0ELb0EfPKfPKS1_PKPfEviT_T9_T10_S7_lS9_S7_lS8_T11_S7_li.has_recursion, 0
	.set _ZL29rocblas_internal_gemmt_kernelIlLi16ELi32ELi8ELc67ELc78ELc76ELb0ELb0EfPKfPKS1_PKPfEviT_T9_T10_S7_lS9_S7_lS8_T11_S7_li.has_indirect_call, 0
	.section	.AMDGPU.csdata,"",@progbits
; Kernel info:
; codeLenInByte = 1920
; TotalNumSgprs: 38
; NumVgprs: 58
; ScratchSize: 0
; MemoryBound: 0
; FloatMode: 240
; IeeeMode: 1
; LDSByteSize: 2048 bytes/workgroup (compile time only)
; SGPRBlocks: 0
; VGPRBlocks: 7
; NumSGPRsForWavesPerEU: 38
; NumVGPRsForWavesPerEU: 58
; Occupancy: 16
; WaveLimiterHint : 1
; COMPUTE_PGM_RSRC2:SCRATCH_EN: 0
; COMPUTE_PGM_RSRC2:USER_SGPR: 2
; COMPUTE_PGM_RSRC2:TRAP_HANDLER: 0
; COMPUTE_PGM_RSRC2:TGID_X_EN: 1
; COMPUTE_PGM_RSRC2:TGID_Y_EN: 1
; COMPUTE_PGM_RSRC2:TGID_Z_EN: 1
; COMPUTE_PGM_RSRC2:TIDIG_COMP_CNT: 1
	.section	.text._ZL29rocblas_internal_gemmt_kernelIlLi16ELi32ELi8ELc67ELc84ELc76ELb0ELb0EfPKfPKS1_PKPfEviT_T9_T10_S7_lS9_S7_lS8_T11_S7_li,"axG",@progbits,_ZL29rocblas_internal_gemmt_kernelIlLi16ELi32ELi8ELc67ELc84ELc76ELb0ELb0EfPKfPKS1_PKPfEviT_T9_T10_S7_lS9_S7_lS8_T11_S7_li,comdat
	.globl	_ZL29rocblas_internal_gemmt_kernelIlLi16ELi32ELi8ELc67ELc84ELc76ELb0ELb0EfPKfPKS1_PKPfEviT_T9_T10_S7_lS9_S7_lS8_T11_S7_li ; -- Begin function _ZL29rocblas_internal_gemmt_kernelIlLi16ELi32ELi8ELc67ELc84ELc76ELb0ELb0EfPKfPKS1_PKPfEviT_T9_T10_S7_lS9_S7_lS8_T11_S7_li
	.p2align	8
	.type	_ZL29rocblas_internal_gemmt_kernelIlLi16ELi32ELi8ELc67ELc84ELc76ELb0ELb0EfPKfPKS1_PKPfEviT_T9_T10_S7_lS9_S7_lS8_T11_S7_li,@function
_ZL29rocblas_internal_gemmt_kernelIlLi16ELi32ELi8ELc67ELc84ELc76ELb0ELb0EfPKfPKS1_PKPfEviT_T9_T10_S7_lS9_S7_lS8_T11_S7_li: ; @_ZL29rocblas_internal_gemmt_kernelIlLi16ELi32ELi8ELc67ELc84ELc76ELb0ELb0EfPKfPKS1_PKPfEviT_T9_T10_S7_lS9_S7_lS8_T11_S7_li
; %bb.0:
	s_clause 0x1
	s_load_b256 s[24:31], s[0:1], 0x48
	s_load_b512 s[8:23], s[0:1], 0x8
	s_wait_kmcnt 0x0
	s_load_b32 s24, s[24:25], 0x0
	s_load_b32 s25, s[10:11], 0x0
	s_wait_kmcnt 0x0
	s_cmp_neq_f32 s24, 1.0
	s_cselect_b32 s2, -1, 0
	s_delay_alu instid0(SALU_CYCLE_1)
	s_and_b32 vcc_lo, exec_lo, s2
	s_cbranch_vccnz .LBB448_2
; %bb.1:
	s_cmp_lg_u64 s[8:9], 0
	s_cselect_b32 s2, -1, 0
	s_cmp_neq_f32 s25, 0
	s_cselect_b32 s3, -1, 0
	s_delay_alu instid0(SALU_CYCLE_1)
	s_and_b32 s2, s2, s3
.LBB448_2:
	s_delay_alu instid0(SALU_CYCLE_1)
	s_and_not1_b32 vcc_lo, exec_lo, s2
	s_cbranch_vccnz .LBB448_35
; %bb.3:
	s_load_b32 s33, s[0:1], 0x68
	s_lshr_b32 s6, ttmp7, 16
	s_wait_kmcnt 0x0
	s_cmp_ge_u32 s6, s33
	s_cbranch_scc1 .LBB448_35
; %bb.4:
	v_bfe_u32 v5, v0, 10, 10
	s_load_b32 s4, s[0:1], 0x0
	s_lshl_b32 s0, ttmp7, 5
	v_and_b32_e32 v14, 7, v0
	s_and_b32 s0, s0, 0x1fffe0
	s_lshl_b32 s2, ttmp9, 5
	v_add_nc_u32_e32 v12, s0, v5
	s_cmp_neq_f32 s25, 0
	v_cmp_gt_i64_e64 s10, s[8:9], 0
	v_lshl_add_u32 v19, v5, 5, 0x400
	s_mov_b32 s7, 0
	v_mad_co_u64_u32 v[8:9], null, s28, v12, 0
	v_and_b32_e32 v4, 0x3ff, v0
	s_cselect_b32 s11, -1, 0
	s_ashr_i32 s1, s2, 31
	s_cmp_neq_f32 s24, 0
	s_wait_alu 0xfffe
	s_mul_i32 s1, s14, s1
	v_lshl_add_u32 v0, v5, 4, v4
	s_delay_alu instid0(VALU_DEP_1) | instskip(SKIP_2) | instid1(VALU_DEP_3)
	v_and_b32_e32 v1, 31, v0
	v_lshrrev_b32_e32 v2, 3, v0
	v_lshrrev_b32_e32 v15, 5, v0
	v_or_b32_e32 v3, s2, v1
	v_lshlrev_b32_e32 v0, 2, v1
	s_delay_alu instid0(VALU_DEP_4) | instskip(NEXT) | instid1(VALU_DEP_3)
	v_add_nc_u32_e32 v13, s0, v2
	v_mul_lo_u32 v1, s15, v3
	v_mad_co_u64_u32 v[6:7], null, s14, v3, 0
	s_wait_kmcnt 0x0
	v_cmp_gt_i32_e64 s0, s4, v3
	v_dual_mov_b32 v3, 0 :: v_dual_lshlrev_b32 v10, 2, v14
	s_wait_alu 0xfffe
	s_delay_alu instid0(VALU_DEP_3) | instskip(NEXT) | instid1(VALU_DEP_2)
	v_add3_u32 v7, v7, s1, v1
	v_lshl_or_b32 v2, v2, 5, v10
	v_dual_mov_b32 v1, v9 :: v_dual_lshlrev_b32 v18, 2, v4
	v_cmp_gt_i32_e64 s1, s4, v13
	s_delay_alu instid0(VALU_DEP_4) | instskip(NEXT) | instid1(VALU_DEP_4)
	v_lshlrev_b64_e32 v[6:7], 2, v[6:7]
	v_add_nc_u32_e32 v17, 0x400, v2
	s_delay_alu instid0(VALU_DEP_4) | instskip(NEXT) | instid1(VALU_DEP_1)
	v_mad_co_u64_u32 v[1:2], null, s29, v12, v[1:2]
	v_dual_mov_b32 v9, v1 :: v_dual_add_nc_u32 v20, 16, v12
	s_delay_alu instid0(VALU_DEP_1) | instskip(NEXT) | instid1(VALU_DEP_2)
	v_lshlrev_b64_e32 v[8:9], 2, v[8:9]
	v_mad_co_u64_u32 v[10:11], null, s28, v20, 0
	s_cselect_b32 s28, -1, 0
	s_and_b32 s37, s11, s10
	s_lshl_b64 s[10:11], s[30:31], 2
	v_mov_b32_e32 v1, v11
	v_lshl_or_b32 v16, v15, 7, v0
	v_add_nc_u32_e32 v0, s2, v4
	s_delay_alu instid0(VALU_DEP_1) | instskip(SKIP_2) | instid1(VALU_DEP_3)
	v_add_nc_u32_e32 v4, 16, v0
	v_cmp_le_i32_e32 vcc_lo, v12, v0
	v_cmp_gt_i32_e64 s2, s4, v0
	v_cmp_le_i32_e64 s3, v12, v4
	v_mad_co_u64_u32 v[11:12], null, s29, v20, v[1:2]
	v_cmp_gt_i32_e64 s4, s4, v4
	s_and_b32 s29, vcc_lo, s2
	v_cmp_le_i32_e32 vcc_lo, v20, v0
	v_cmp_le_i32_e64 s5, v20, v4
	v_ashrrev_i32_e32 v1, 31, v0
	v_ashrrev_i32_e32 v5, 31, v4
	v_lshlrev_b64_e32 v[10:11], 2, v[10:11]
	v_lshlrev_b32_e32 v20, 2, v13
	s_and_b32 s34, s3, s4
	s_and_b32 s35, vcc_lo, s2
	s_and_b32 s36, s5, s4
	s_lshl_b64 s[2:3], s[22:23], 2
	s_lshl_b64 s[4:5], s[16:17], 2
	s_branch .LBB448_6
.LBB448_5:                              ;   in Loop: Header=BB448_6 Depth=1
	s_wait_alu 0xfffe
	s_or_b32 exec_lo, exec_lo, s14
	s_add_co_i32 s6, s6, 0x10000
	s_delay_alu instid0(SALU_CYCLE_1)
	s_cmp_lt_u32 s6, s33
	s_cbranch_scc0 .LBB448_35
.LBB448_6:                              ; =>This Loop Header: Depth=1
                                        ;     Child Loop BB448_9 Depth 2
	s_lshl_b64 s[14:15], s[6:7], 3
	v_dual_mov_b32 v24, v3 :: v_dual_mov_b32 v23, v3
	s_wait_alu 0xfffe
	s_add_nc_u64 s[16:17], s[26:27], s[14:15]
	v_dual_mov_b32 v22, v3 :: v_dual_mov_b32 v21, v3
	global_load_b64 v[12:13], v3, s[16:17]
	s_and_not1_b32 vcc_lo, exec_lo, s37
	s_wait_alu 0xfffe
	s_cbranch_vccnz .LBB448_15
; %bb.7:                                ;   in Loop: Header=BB448_6 Depth=1
	s_add_nc_u64 s[16:17], s[12:13], s[14:15]
	s_add_nc_u64 s[14:15], s[18:19], s[14:15]
	s_clause 0x1
	global_load_b64 v[24:25], v3, s[16:17]
	global_load_b64 v[26:27], v3, s[14:15]
	v_dual_mov_b32 v21, 0 :: v_dual_mov_b32 v22, 0
	v_mov_b32_e32 v23, 0
	s_mov_b64 s[14:15], 0
	s_wait_loadcnt 0x1
	v_add_co_u32 v2, vcc_lo, v24, s4
	s_wait_alu 0xfffd
	v_add_co_ci_u32_e64 v24, null, s5, v25, vcc_lo
	s_wait_loadcnt 0x0
	v_add_co_u32 v28, vcc_lo, v26, s2
	s_wait_alu 0xfffd
	v_add_co_ci_u32_e64 v29, null, s3, v27, vcc_lo
	v_add_co_u32 v25, vcc_lo, v2, v6
	s_wait_alu 0xfffd
	v_add_co_ci_u32_e64 v26, null, v24, v7, vcc_lo
	;; [unrolled: 3-line block ×3, first 2 shown]
	v_mov_b32_e32 v24, 0
	s_branch .LBB448_9
.LBB448_8:                              ;   in Loop: Header=BB448_9 Depth=2
	s_or_b32 exec_lo, exec_lo, s16
	s_wait_loadcnt_dscnt 0x0
	ds_store_b32 v17, v30
	s_wait_dscnt 0x0
	s_barrier_signal -1
	s_barrier_wait -1
	global_inv scope:SCOPE_SE
	ds_load_b128 v[29:32], v19
	ds_load_2addr_b32 v[45:46], v18 offset1:16
	ds_load_b128 v[33:36], v19 offset:512
	ds_load_2addr_b32 v[47:48], v18 offset0:32 offset1:48
	ds_load_2addr_b32 v[49:50], v18 offset0:64 offset1:80
	;; [unrolled: 1-line block ×3, first 2 shown]
	ds_load_b128 v[37:40], v19 offset:16
	ds_load_2addr_b32 v[53:54], v18 offset0:128 offset1:144
	ds_load_b128 v[41:44], v19 offset:528
	ds_load_2addr_b32 v[55:56], v18 offset0:160 offset1:176
	s_add_nc_u64 s[14:15], s[14:15], 8
	s_wait_alu 0xfffe
	v_cmp_gt_i64_e64 s16, s[8:9], s[14:15]
	s_and_b32 vcc_lo, exec_lo, s16
	s_wait_dscnt 0x8
	v_fmac_f32_e32 v23, v46, v29
	v_fmac_f32_e32 v24, v45, v29
	s_wait_dscnt 0x7
	v_fmac_f32_e32 v21, v46, v33
	v_fmac_f32_e32 v22, v45, v33
	ds_load_2addr_b32 v[45:46], v18 offset0:192 offset1:208
	s_wait_dscnt 0x7
	v_fmac_f32_e32 v23, v48, v30
	v_fmac_f32_e32 v24, v47, v30
	;; [unrolled: 1-line block ×4, first 2 shown]
	ds_load_2addr_b32 v[29:30], v18 offset0:224 offset1:240
	s_wait_dscnt 0x7
	v_fmac_f32_e32 v23, v50, v31
	v_fmac_f32_e32 v24, v49, v31
	;; [unrolled: 1-line block ×4, first 2 shown]
	s_wait_loadcnt_dscnt 0x0
	v_fmac_f32_e32 v23, v52, v32
	v_fmac_f32_e32 v24, v51, v32
	v_fmac_f32_e32 v21, v52, v36
	v_fmac_f32_e32 v22, v51, v36
	s_barrier_signal -1
	v_fmac_f32_e32 v23, v54, v37
	v_fmac_f32_e32 v24, v53, v37
	;; [unrolled: 1-line block ×4, first 2 shown]
	s_barrier_wait -1
	v_fmac_f32_e32 v23, v56, v38
	v_fmac_f32_e32 v24, v55, v38
	;; [unrolled: 1-line block ×4, first 2 shown]
	global_inv scope:SCOPE_SE
	v_fmac_f32_e32 v23, v46, v39
	v_fmac_f32_e32 v24, v45, v39
	;; [unrolled: 1-line block ×3, first 2 shown]
	s_delay_alu instid0(VALU_DEP_3) | instskip(NEXT) | instid1(VALU_DEP_3)
	v_dual_fmac_f32 v22, v45, v43 :: v_dual_fmac_f32 v23, v30, v40
	v_fmac_f32_e32 v24, v29, v40
	s_delay_alu instid0(VALU_DEP_3) | instskip(NEXT) | instid1(VALU_DEP_3)
	v_fmac_f32_e32 v21, v30, v44
	v_fmac_f32_e32 v22, v29, v44
	s_wait_alu 0xfffe
	s_cbranch_vccz .LBB448_15
.LBB448_9:                              ;   Parent Loop BB448_6 Depth=1
                                        ; =>  This Inner Loop Header: Depth=2
	v_mov_b32_e32 v29, 0
	s_and_saveexec_b32 s16, s0
	s_cbranch_execz .LBB448_13
; %bb.10:                               ;   in Loop: Header=BB448_9 Depth=2
	s_wait_alu 0xfffe
	v_dual_mov_b32 v29, 0 :: v_dual_add_nc_u32 v2, s14, v15
	s_mov_b32 s17, exec_lo
	s_delay_alu instid0(VALU_DEP_1)
	v_cmpx_gt_u64_e64 s[8:9], v[2:3]
	s_cbranch_execz .LBB448_12
; %bb.11:                               ;   in Loop: Header=BB448_9 Depth=2
	v_lshlrev_b64_e32 v[29:30], 2, v[2:3]
	s_delay_alu instid0(VALU_DEP_1) | instskip(SKIP_1) | instid1(VALU_DEP_2)
	v_add_co_u32 v29, vcc_lo, v25, v29
	s_wait_alu 0xfffd
	v_add_co_ci_u32_e64 v30, null, v26, v30, vcc_lo
	flat_load_b32 v29, v[29:30]
.LBB448_12:                             ;   in Loop: Header=BB448_9 Depth=2
	s_or_b32 exec_lo, exec_lo, s17
.LBB448_13:                             ;   in Loop: Header=BB448_9 Depth=2
	s_delay_alu instid0(SALU_CYCLE_1)
	s_or_b32 exec_lo, exec_lo, s16
	s_wait_alu 0xfffe
	v_add_nc_u32_e32 v2, s14, v14
	v_mov_b32_e32 v30, 0
	s_wait_loadcnt_dscnt 0x0
	ds_store_b32 v16, v29
	v_cmp_gt_u64_e32 vcc_lo, s[8:9], v[2:3]
	s_and_b32 s17, vcc_lo, s1
	s_delay_alu instid0(SALU_CYCLE_1)
	s_and_saveexec_b32 s16, s17
	s_cbranch_execz .LBB448_8
; %bb.14:                               ;   in Loop: Header=BB448_9 Depth=2
	v_mad_co_u64_u32 v[29:30], null, s20, v2, 0
	s_delay_alu instid0(VALU_DEP_1) | instskip(NEXT) | instid1(VALU_DEP_1)
	v_mad_co_u64_u32 v[30:31], null, s21, v2, v[30:31]
	v_lshlrev_b64_e32 v[29:30], 2, v[29:30]
	s_delay_alu instid0(VALU_DEP_1) | instskip(SKIP_1) | instid1(VALU_DEP_2)
	v_add_co_u32 v29, vcc_lo, v27, v29
	s_wait_alu 0xfffd
	v_add_co_ci_u32_e64 v30, null, v28, v30, vcc_lo
	flat_load_b32 v30, v[29:30]
	s_branch .LBB448_8
.LBB448_15:                             ;   in Loop: Header=BB448_6 Depth=1
	s_wait_loadcnt 0x0
	v_add_co_u32 v2, vcc_lo, v12, s10
	s_wait_alu 0xfffd
	v_add_co_ci_u32_e64 v12, null, s11, v13, vcc_lo
	s_delay_alu instid0(VALU_DEP_2) | instskip(SKIP_1) | instid1(VALU_DEP_2)
	v_add_co_u32 v13, vcc_lo, v2, v8
	s_wait_alu 0xfffd
	v_add_co_ci_u32_e64 v25, null, v12, v9, vcc_lo
	s_and_saveexec_b32 s14, s29
	s_cbranch_execz .LBB448_19
; %bb.16:                               ;   in Loop: Header=BB448_6 Depth=1
	v_mul_f32_e32 v24, s25, v24
	s_and_b32 vcc_lo, exec_lo, s28
	s_wait_alu 0xfffe
	s_cbranch_vccz .LBB448_30
; %bb.17:                               ;   in Loop: Header=BB448_6 Depth=1
	v_lshlrev_b64_e32 v[26:27], 2, v[0:1]
	s_delay_alu instid0(VALU_DEP_1) | instskip(SKIP_1) | instid1(VALU_DEP_2)
	v_add_co_u32 v26, vcc_lo, v13, v26
	s_wait_alu 0xfffd
	v_add_co_ci_u32_e64 v27, null, v25, v27, vcc_lo
	flat_load_b32 v28, v[26:27]
	s_wait_loadcnt_dscnt 0x0
	v_fma_f32 v28, s24, v28, v24
	flat_store_b32 v[26:27], v28
	s_cbranch_execnz .LBB448_19
.LBB448_18:                             ;   in Loop: Header=BB448_6 Depth=1
	v_lshlrev_b64_e32 v[26:27], 2, v[0:1]
	s_delay_alu instid0(VALU_DEP_1) | instskip(SKIP_1) | instid1(VALU_DEP_2)
	v_add_co_u32 v26, vcc_lo, v13, v26
	s_wait_alu 0xfffd
	v_add_co_ci_u32_e64 v27, null, v25, v27, vcc_lo
	flat_store_b32 v[26:27], v24
.LBB448_19:                             ;   in Loop: Header=BB448_6 Depth=1
	s_wait_alu 0xfffe
	s_or_b32 exec_lo, exec_lo, s14
	s_and_saveexec_b32 s14, s34
	s_cbranch_execz .LBB448_23
; %bb.20:                               ;   in Loop: Header=BB448_6 Depth=1
	v_mul_f32_e32 v23, s25, v23
	s_and_not1_b32 vcc_lo, exec_lo, s28
	s_wait_alu 0xfffe
	s_cbranch_vccnz .LBB448_31
; %bb.21:                               ;   in Loop: Header=BB448_6 Depth=1
	v_lshlrev_b64_e32 v[26:27], 2, v[4:5]
	s_delay_alu instid0(VALU_DEP_1) | instskip(SKIP_1) | instid1(VALU_DEP_2)
	v_add_co_u32 v26, vcc_lo, v13, v26
	s_wait_alu 0xfffd
	v_add_co_ci_u32_e64 v27, null, v25, v27, vcc_lo
	flat_load_b32 v24, v[26:27]
	s_wait_loadcnt_dscnt 0x0
	v_fma_f32 v24, s24, v24, v23
	flat_store_b32 v[26:27], v24
	s_cbranch_execnz .LBB448_23
.LBB448_22:                             ;   in Loop: Header=BB448_6 Depth=1
	v_lshlrev_b64_e32 v[26:27], 2, v[4:5]
	s_delay_alu instid0(VALU_DEP_1) | instskip(SKIP_1) | instid1(VALU_DEP_2)
	v_add_co_u32 v24, vcc_lo, v13, v26
	s_wait_alu 0xfffd
	v_add_co_ci_u32_e64 v25, null, v25, v27, vcc_lo
	flat_store_b32 v[24:25], v23
.LBB448_23:                             ;   in Loop: Header=BB448_6 Depth=1
	s_wait_alu 0xfffe
	s_or_b32 exec_lo, exec_lo, s14
	v_add_co_u32 v2, vcc_lo, v2, v10
	s_wait_alu 0xfffd
	v_add_co_ci_u32_e64 v23, null, v12, v11, vcc_lo
	s_and_saveexec_b32 s14, s35
	s_cbranch_execz .LBB448_27
; %bb.24:                               ;   in Loop: Header=BB448_6 Depth=1
	v_lshlrev_b64_e32 v[12:13], 2, v[0:1]
	v_mul_f32_e32 v22, s25, v22
	s_and_not1_b32 vcc_lo, exec_lo, s28
	s_wait_alu 0xfffe
	s_cbranch_vccnz .LBB448_32
; %bb.25:                               ;   in Loop: Header=BB448_6 Depth=1
	s_delay_alu instid0(VALU_DEP_2)
	v_add_co_u32 v24, vcc_lo, v2, v12
	s_wait_alu 0xfffd
	v_add_co_ci_u32_e64 v25, null, v23, v13, vcc_lo
	flat_load_b32 v26, v[24:25]
	s_wait_loadcnt_dscnt 0x0
	v_fma_f32 v26, s24, v26, v22
	flat_store_b32 v[24:25], v26
	s_cbranch_execnz .LBB448_27
.LBB448_26:                             ;   in Loop: Header=BB448_6 Depth=1
	v_add_co_u32 v12, vcc_lo, v2, v12
	s_wait_alu 0xfffd
	v_add_co_ci_u32_e64 v13, null, v23, v13, vcc_lo
	flat_store_b32 v[12:13], v22
.LBB448_27:                             ;   in Loop: Header=BB448_6 Depth=1
	s_wait_alu 0xfffe
	s_or_b32 exec_lo, exec_lo, s14
	s_and_saveexec_b32 s14, s36
	s_cbranch_execz .LBB448_5
; %bb.28:                               ;   in Loop: Header=BB448_6 Depth=1
	v_lshlrev_b64_e32 v[12:13], 2, v[4:5]
	v_mul_f32_e32 v21, s25, v21
	s_and_not1_b32 vcc_lo, exec_lo, s28
	s_wait_alu 0xfffe
	s_cbranch_vccnz .LBB448_33
; %bb.29:                               ;   in Loop: Header=BB448_6 Depth=1
	s_delay_alu instid0(VALU_DEP_2)
	v_add_co_u32 v24, vcc_lo, v2, v12
	s_wait_alu 0xfffd
	v_add_co_ci_u32_e64 v25, null, v23, v13, vcc_lo
	flat_load_b32 v22, v[24:25]
	s_wait_loadcnt_dscnt 0x0
	v_fma_f32 v22, s24, v22, v21
	flat_store_b32 v[24:25], v22
	s_cbranch_execnz .LBB448_5
	s_branch .LBB448_34
.LBB448_30:                             ;   in Loop: Header=BB448_6 Depth=1
	s_branch .LBB448_18
.LBB448_31:                             ;   in Loop: Header=BB448_6 Depth=1
	s_branch .LBB448_22
.LBB448_32:                             ;   in Loop: Header=BB448_6 Depth=1
	s_branch .LBB448_26
.LBB448_33:                             ;   in Loop: Header=BB448_6 Depth=1
.LBB448_34:                             ;   in Loop: Header=BB448_6 Depth=1
	s_delay_alu instid0(VALU_DEP_2)
	v_add_co_u32 v12, vcc_lo, v2, v12
	s_wait_alu 0xfffd
	v_add_co_ci_u32_e64 v13, null, v23, v13, vcc_lo
	flat_store_b32 v[12:13], v21
	s_branch .LBB448_5
.LBB448_35:
	s_endpgm
	.section	.rodata,"a",@progbits
	.p2align	6, 0x0
	.amdhsa_kernel _ZL29rocblas_internal_gemmt_kernelIlLi16ELi32ELi8ELc67ELc84ELc76ELb0ELb0EfPKfPKS1_PKPfEviT_T9_T10_S7_lS9_S7_lS8_T11_S7_li
		.amdhsa_group_segment_fixed_size 2048
		.amdhsa_private_segment_fixed_size 0
		.amdhsa_kernarg_size 108
		.amdhsa_user_sgpr_count 2
		.amdhsa_user_sgpr_dispatch_ptr 0
		.amdhsa_user_sgpr_queue_ptr 0
		.amdhsa_user_sgpr_kernarg_segment_ptr 1
		.amdhsa_user_sgpr_dispatch_id 0
		.amdhsa_user_sgpr_private_segment_size 0
		.amdhsa_wavefront_size32 1
		.amdhsa_uses_dynamic_stack 0
		.amdhsa_enable_private_segment 0
		.amdhsa_system_sgpr_workgroup_id_x 1
		.amdhsa_system_sgpr_workgroup_id_y 1
		.amdhsa_system_sgpr_workgroup_id_z 1
		.amdhsa_system_sgpr_workgroup_info 0
		.amdhsa_system_vgpr_workitem_id 1
		.amdhsa_next_free_vgpr 57
		.amdhsa_next_free_sgpr 38
		.amdhsa_reserve_vcc 1
		.amdhsa_float_round_mode_32 0
		.amdhsa_float_round_mode_16_64 0
		.amdhsa_float_denorm_mode_32 3
		.amdhsa_float_denorm_mode_16_64 3
		.amdhsa_fp16_overflow 0
		.amdhsa_workgroup_processor_mode 1
		.amdhsa_memory_ordered 1
		.amdhsa_forward_progress 1
		.amdhsa_inst_pref_size 16
		.amdhsa_round_robin_scheduling 0
		.amdhsa_exception_fp_ieee_invalid_op 0
		.amdhsa_exception_fp_denorm_src 0
		.amdhsa_exception_fp_ieee_div_zero 0
		.amdhsa_exception_fp_ieee_overflow 0
		.amdhsa_exception_fp_ieee_underflow 0
		.amdhsa_exception_fp_ieee_inexact 0
		.amdhsa_exception_int_div_zero 0
	.end_amdhsa_kernel
	.section	.text._ZL29rocblas_internal_gemmt_kernelIlLi16ELi32ELi8ELc67ELc84ELc76ELb0ELb0EfPKfPKS1_PKPfEviT_T9_T10_S7_lS9_S7_lS8_T11_S7_li,"axG",@progbits,_ZL29rocblas_internal_gemmt_kernelIlLi16ELi32ELi8ELc67ELc84ELc76ELb0ELb0EfPKfPKS1_PKPfEviT_T9_T10_S7_lS9_S7_lS8_T11_S7_li,comdat
.Lfunc_end448:
	.size	_ZL29rocblas_internal_gemmt_kernelIlLi16ELi32ELi8ELc67ELc84ELc76ELb0ELb0EfPKfPKS1_PKPfEviT_T9_T10_S7_lS9_S7_lS8_T11_S7_li, .Lfunc_end448-_ZL29rocblas_internal_gemmt_kernelIlLi16ELi32ELi8ELc67ELc84ELc76ELb0ELb0EfPKfPKS1_PKPfEviT_T9_T10_S7_lS9_S7_lS8_T11_S7_li
                                        ; -- End function
	.set _ZL29rocblas_internal_gemmt_kernelIlLi16ELi32ELi8ELc67ELc84ELc76ELb0ELb0EfPKfPKS1_PKPfEviT_T9_T10_S7_lS9_S7_lS8_T11_S7_li.num_vgpr, 57
	.set _ZL29rocblas_internal_gemmt_kernelIlLi16ELi32ELi8ELc67ELc84ELc76ELb0ELb0EfPKfPKS1_PKPfEviT_T9_T10_S7_lS9_S7_lS8_T11_S7_li.num_agpr, 0
	.set _ZL29rocblas_internal_gemmt_kernelIlLi16ELi32ELi8ELc67ELc84ELc76ELb0ELb0EfPKfPKS1_PKPfEviT_T9_T10_S7_lS9_S7_lS8_T11_S7_li.numbered_sgpr, 38
	.set _ZL29rocblas_internal_gemmt_kernelIlLi16ELi32ELi8ELc67ELc84ELc76ELb0ELb0EfPKfPKS1_PKPfEviT_T9_T10_S7_lS9_S7_lS8_T11_S7_li.num_named_barrier, 0
	.set _ZL29rocblas_internal_gemmt_kernelIlLi16ELi32ELi8ELc67ELc84ELc76ELb0ELb0EfPKfPKS1_PKPfEviT_T9_T10_S7_lS9_S7_lS8_T11_S7_li.private_seg_size, 0
	.set _ZL29rocblas_internal_gemmt_kernelIlLi16ELi32ELi8ELc67ELc84ELc76ELb0ELb0EfPKfPKS1_PKPfEviT_T9_T10_S7_lS9_S7_lS8_T11_S7_li.uses_vcc, 1
	.set _ZL29rocblas_internal_gemmt_kernelIlLi16ELi32ELi8ELc67ELc84ELc76ELb0ELb0EfPKfPKS1_PKPfEviT_T9_T10_S7_lS9_S7_lS8_T11_S7_li.uses_flat_scratch, 0
	.set _ZL29rocblas_internal_gemmt_kernelIlLi16ELi32ELi8ELc67ELc84ELc76ELb0ELb0EfPKfPKS1_PKPfEviT_T9_T10_S7_lS9_S7_lS8_T11_S7_li.has_dyn_sized_stack, 0
	.set _ZL29rocblas_internal_gemmt_kernelIlLi16ELi32ELi8ELc67ELc84ELc76ELb0ELb0EfPKfPKS1_PKPfEviT_T9_T10_S7_lS9_S7_lS8_T11_S7_li.has_recursion, 0
	.set _ZL29rocblas_internal_gemmt_kernelIlLi16ELi32ELi8ELc67ELc84ELc76ELb0ELb0EfPKfPKS1_PKPfEviT_T9_T10_S7_lS9_S7_lS8_T11_S7_li.has_indirect_call, 0
	.section	.AMDGPU.csdata,"",@progbits
; Kernel info:
; codeLenInByte = 1928
; TotalNumSgprs: 40
; NumVgprs: 57
; ScratchSize: 0
; MemoryBound: 0
; FloatMode: 240
; IeeeMode: 1
; LDSByteSize: 2048 bytes/workgroup (compile time only)
; SGPRBlocks: 0
; VGPRBlocks: 7
; NumSGPRsForWavesPerEU: 40
; NumVGPRsForWavesPerEU: 57
; Occupancy: 16
; WaveLimiterHint : 1
; COMPUTE_PGM_RSRC2:SCRATCH_EN: 0
; COMPUTE_PGM_RSRC2:USER_SGPR: 2
; COMPUTE_PGM_RSRC2:TRAP_HANDLER: 0
; COMPUTE_PGM_RSRC2:TGID_X_EN: 1
; COMPUTE_PGM_RSRC2:TGID_Y_EN: 1
; COMPUTE_PGM_RSRC2:TGID_Z_EN: 1
; COMPUTE_PGM_RSRC2:TIDIG_COMP_CNT: 1
	.section	.text._ZL29rocblas_internal_gemmt_kernelIlLi16ELi32ELi8ELc67ELc67ELc76ELb0ELb0EfPKfPKS1_PKPfEviT_T9_T10_S7_lS9_S7_lS8_T11_S7_li,"axG",@progbits,_ZL29rocblas_internal_gemmt_kernelIlLi16ELi32ELi8ELc67ELc67ELc76ELb0ELb0EfPKfPKS1_PKPfEviT_T9_T10_S7_lS9_S7_lS8_T11_S7_li,comdat
	.globl	_ZL29rocblas_internal_gemmt_kernelIlLi16ELi32ELi8ELc67ELc67ELc76ELb0ELb0EfPKfPKS1_PKPfEviT_T9_T10_S7_lS9_S7_lS8_T11_S7_li ; -- Begin function _ZL29rocblas_internal_gemmt_kernelIlLi16ELi32ELi8ELc67ELc67ELc76ELb0ELb0EfPKfPKS1_PKPfEviT_T9_T10_S7_lS9_S7_lS8_T11_S7_li
	.p2align	8
	.type	_ZL29rocblas_internal_gemmt_kernelIlLi16ELi32ELi8ELc67ELc67ELc76ELb0ELb0EfPKfPKS1_PKPfEviT_T9_T10_S7_lS9_S7_lS8_T11_S7_li,@function
_ZL29rocblas_internal_gemmt_kernelIlLi16ELi32ELi8ELc67ELc67ELc76ELb0ELb0EfPKfPKS1_PKPfEviT_T9_T10_S7_lS9_S7_lS8_T11_S7_li: ; @_ZL29rocblas_internal_gemmt_kernelIlLi16ELi32ELi8ELc67ELc67ELc76ELb0ELb0EfPKfPKS1_PKPfEviT_T9_T10_S7_lS9_S7_lS8_T11_S7_li
; %bb.0:
	s_clause 0x1
	s_load_b256 s[24:31], s[0:1], 0x48
	s_load_b512 s[8:23], s[0:1], 0x8
	s_wait_kmcnt 0x0
	s_load_b32 s24, s[24:25], 0x0
	s_load_b32 s25, s[10:11], 0x0
	s_wait_kmcnt 0x0
	s_cmp_neq_f32 s24, 1.0
	s_cselect_b32 s2, -1, 0
	s_delay_alu instid0(SALU_CYCLE_1)
	s_and_b32 vcc_lo, exec_lo, s2
	s_cbranch_vccnz .LBB449_2
; %bb.1:
	s_cmp_lg_u64 s[8:9], 0
	s_cselect_b32 s2, -1, 0
	s_cmp_neq_f32 s25, 0
	s_cselect_b32 s3, -1, 0
	s_delay_alu instid0(SALU_CYCLE_1)
	s_and_b32 s2, s2, s3
.LBB449_2:
	s_delay_alu instid0(SALU_CYCLE_1)
	s_and_not1_b32 vcc_lo, exec_lo, s2
	s_cbranch_vccnz .LBB449_35
; %bb.3:
	s_load_b32 s33, s[0:1], 0x68
	s_lshr_b32 s6, ttmp7, 16
	s_wait_kmcnt 0x0
	s_cmp_ge_u32 s6, s33
	s_cbranch_scc1 .LBB449_35
; %bb.4:
	v_bfe_u32 v5, v0, 10, 10
	s_load_b32 s4, s[0:1], 0x0
	s_lshl_b32 s0, ttmp7, 5
	v_and_b32_e32 v14, 7, v0
	s_and_b32 s0, s0, 0x1fffe0
	s_lshl_b32 s2, ttmp9, 5
	v_add_nc_u32_e32 v12, s0, v5
	s_cmp_neq_f32 s25, 0
	v_cmp_gt_i64_e64 s10, s[8:9], 0
	v_lshl_add_u32 v19, v5, 5, 0x400
	s_mov_b32 s7, 0
	v_mad_co_u64_u32 v[8:9], null, s28, v12, 0
	v_and_b32_e32 v4, 0x3ff, v0
	s_cselect_b32 s11, -1, 0
	s_ashr_i32 s1, s2, 31
	s_cmp_neq_f32 s24, 0
	s_wait_alu 0xfffe
	s_mul_i32 s1, s14, s1
	v_lshl_add_u32 v0, v5, 4, v4
	s_delay_alu instid0(VALU_DEP_1) | instskip(SKIP_2) | instid1(VALU_DEP_3)
	v_and_b32_e32 v1, 31, v0
	v_lshrrev_b32_e32 v2, 3, v0
	v_lshrrev_b32_e32 v15, 5, v0
	v_or_b32_e32 v3, s2, v1
	v_lshlrev_b32_e32 v0, 2, v1
	s_delay_alu instid0(VALU_DEP_4) | instskip(NEXT) | instid1(VALU_DEP_3)
	v_add_nc_u32_e32 v13, s0, v2
	v_mul_lo_u32 v1, s15, v3
	v_mad_co_u64_u32 v[6:7], null, s14, v3, 0
	s_wait_kmcnt 0x0
	v_cmp_gt_i32_e64 s0, s4, v3
	v_dual_mov_b32 v3, 0 :: v_dual_lshlrev_b32 v10, 2, v14
	s_wait_alu 0xfffe
	s_delay_alu instid0(VALU_DEP_3) | instskip(NEXT) | instid1(VALU_DEP_2)
	v_add3_u32 v7, v7, s1, v1
	v_lshl_or_b32 v2, v2, 5, v10
	v_dual_mov_b32 v1, v9 :: v_dual_lshlrev_b32 v18, 2, v4
	v_cmp_gt_i32_e64 s1, s4, v13
	s_delay_alu instid0(VALU_DEP_4) | instskip(NEXT) | instid1(VALU_DEP_4)
	v_lshlrev_b64_e32 v[6:7], 2, v[6:7]
	v_add_nc_u32_e32 v17, 0x400, v2
	s_delay_alu instid0(VALU_DEP_4) | instskip(NEXT) | instid1(VALU_DEP_1)
	v_mad_co_u64_u32 v[1:2], null, s29, v12, v[1:2]
	v_dual_mov_b32 v9, v1 :: v_dual_add_nc_u32 v20, 16, v12
	s_delay_alu instid0(VALU_DEP_1) | instskip(NEXT) | instid1(VALU_DEP_2)
	v_lshlrev_b64_e32 v[8:9], 2, v[8:9]
	v_mad_co_u64_u32 v[10:11], null, s28, v20, 0
	s_cselect_b32 s28, -1, 0
	s_and_b32 s37, s11, s10
	s_lshl_b64 s[10:11], s[30:31], 2
	v_mov_b32_e32 v1, v11
	v_lshl_or_b32 v16, v15, 7, v0
	v_add_nc_u32_e32 v0, s2, v4
	s_delay_alu instid0(VALU_DEP_1) | instskip(SKIP_2) | instid1(VALU_DEP_3)
	v_add_nc_u32_e32 v4, 16, v0
	v_cmp_le_i32_e32 vcc_lo, v12, v0
	v_cmp_gt_i32_e64 s2, s4, v0
	v_cmp_le_i32_e64 s3, v12, v4
	v_mad_co_u64_u32 v[11:12], null, s29, v20, v[1:2]
	v_cmp_gt_i32_e64 s4, s4, v4
	s_and_b32 s29, vcc_lo, s2
	v_cmp_le_i32_e32 vcc_lo, v20, v0
	v_cmp_le_i32_e64 s5, v20, v4
	v_ashrrev_i32_e32 v1, 31, v0
	v_ashrrev_i32_e32 v5, 31, v4
	v_lshlrev_b64_e32 v[10:11], 2, v[10:11]
	v_lshlrev_b32_e32 v20, 2, v13
	s_and_b32 s34, s3, s4
	s_and_b32 s35, vcc_lo, s2
	s_and_b32 s36, s5, s4
	s_lshl_b64 s[2:3], s[22:23], 2
	s_lshl_b64 s[4:5], s[16:17], 2
	s_branch .LBB449_6
.LBB449_5:                              ;   in Loop: Header=BB449_6 Depth=1
	s_wait_alu 0xfffe
	s_or_b32 exec_lo, exec_lo, s14
	s_add_co_i32 s6, s6, 0x10000
	s_delay_alu instid0(SALU_CYCLE_1)
	s_cmp_lt_u32 s6, s33
	s_cbranch_scc0 .LBB449_35
.LBB449_6:                              ; =>This Loop Header: Depth=1
                                        ;     Child Loop BB449_9 Depth 2
	s_lshl_b64 s[14:15], s[6:7], 3
	v_dual_mov_b32 v24, v3 :: v_dual_mov_b32 v23, v3
	s_wait_alu 0xfffe
	s_add_nc_u64 s[16:17], s[26:27], s[14:15]
	v_dual_mov_b32 v22, v3 :: v_dual_mov_b32 v21, v3
	global_load_b64 v[12:13], v3, s[16:17]
	s_and_not1_b32 vcc_lo, exec_lo, s37
	s_wait_alu 0xfffe
	s_cbranch_vccnz .LBB449_15
; %bb.7:                                ;   in Loop: Header=BB449_6 Depth=1
	s_add_nc_u64 s[16:17], s[12:13], s[14:15]
	s_add_nc_u64 s[14:15], s[18:19], s[14:15]
	s_clause 0x1
	global_load_b64 v[24:25], v3, s[16:17]
	global_load_b64 v[26:27], v3, s[14:15]
	v_dual_mov_b32 v21, 0 :: v_dual_mov_b32 v22, 0
	v_mov_b32_e32 v23, 0
	s_mov_b64 s[14:15], 0
	s_wait_loadcnt 0x1
	v_add_co_u32 v2, vcc_lo, v24, s4
	s_wait_alu 0xfffd
	v_add_co_ci_u32_e64 v24, null, s5, v25, vcc_lo
	s_wait_loadcnt 0x0
	v_add_co_u32 v28, vcc_lo, v26, s2
	s_wait_alu 0xfffd
	v_add_co_ci_u32_e64 v29, null, s3, v27, vcc_lo
	v_add_co_u32 v25, vcc_lo, v2, v6
	s_wait_alu 0xfffd
	v_add_co_ci_u32_e64 v26, null, v24, v7, vcc_lo
	;; [unrolled: 3-line block ×3, first 2 shown]
	v_mov_b32_e32 v24, 0
	s_branch .LBB449_9
.LBB449_8:                              ;   in Loop: Header=BB449_9 Depth=2
	s_or_b32 exec_lo, exec_lo, s16
	s_wait_loadcnt_dscnt 0x0
	ds_store_b32 v17, v30
	s_wait_dscnt 0x0
	s_barrier_signal -1
	s_barrier_wait -1
	global_inv scope:SCOPE_SE
	ds_load_b128 v[29:32], v19
	ds_load_2addr_b32 v[45:46], v18 offset1:16
	ds_load_b128 v[33:36], v19 offset:512
	ds_load_2addr_b32 v[47:48], v18 offset0:32 offset1:48
	ds_load_2addr_b32 v[49:50], v18 offset0:64 offset1:80
	;; [unrolled: 1-line block ×3, first 2 shown]
	ds_load_b128 v[37:40], v19 offset:16
	ds_load_2addr_b32 v[53:54], v18 offset0:128 offset1:144
	ds_load_b128 v[41:44], v19 offset:528
	ds_load_2addr_b32 v[55:56], v18 offset0:160 offset1:176
	s_add_nc_u64 s[14:15], s[14:15], 8
	s_wait_alu 0xfffe
	v_cmp_gt_i64_e64 s16, s[8:9], s[14:15]
	s_and_b32 vcc_lo, exec_lo, s16
	s_wait_dscnt 0x8
	v_fmac_f32_e32 v23, v46, v29
	v_fmac_f32_e32 v24, v45, v29
	s_wait_dscnt 0x7
	v_fmac_f32_e32 v21, v46, v33
	v_fmac_f32_e32 v22, v45, v33
	ds_load_2addr_b32 v[45:46], v18 offset0:192 offset1:208
	s_wait_dscnt 0x7
	v_fmac_f32_e32 v23, v48, v30
	v_fmac_f32_e32 v24, v47, v30
	;; [unrolled: 1-line block ×4, first 2 shown]
	ds_load_2addr_b32 v[29:30], v18 offset0:224 offset1:240
	s_wait_dscnt 0x7
	v_fmac_f32_e32 v23, v50, v31
	v_fmac_f32_e32 v24, v49, v31
	;; [unrolled: 1-line block ×4, first 2 shown]
	s_wait_loadcnt_dscnt 0x0
	v_fmac_f32_e32 v23, v52, v32
	v_fmac_f32_e32 v24, v51, v32
	;; [unrolled: 1-line block ×4, first 2 shown]
	s_barrier_signal -1
	v_fmac_f32_e32 v23, v54, v37
	v_fmac_f32_e32 v24, v53, v37
	;; [unrolled: 1-line block ×4, first 2 shown]
	s_barrier_wait -1
	v_fmac_f32_e32 v23, v56, v38
	v_fmac_f32_e32 v24, v55, v38
	;; [unrolled: 1-line block ×4, first 2 shown]
	global_inv scope:SCOPE_SE
	v_fmac_f32_e32 v23, v46, v39
	v_fmac_f32_e32 v24, v45, v39
	;; [unrolled: 1-line block ×3, first 2 shown]
	s_delay_alu instid0(VALU_DEP_3) | instskip(NEXT) | instid1(VALU_DEP_3)
	v_dual_fmac_f32 v22, v45, v43 :: v_dual_fmac_f32 v23, v30, v40
	v_fmac_f32_e32 v24, v29, v40
	s_delay_alu instid0(VALU_DEP_3) | instskip(NEXT) | instid1(VALU_DEP_3)
	v_fmac_f32_e32 v21, v30, v44
	v_fmac_f32_e32 v22, v29, v44
	s_wait_alu 0xfffe
	s_cbranch_vccz .LBB449_15
.LBB449_9:                              ;   Parent Loop BB449_6 Depth=1
                                        ; =>  This Inner Loop Header: Depth=2
	v_mov_b32_e32 v29, 0
	s_and_saveexec_b32 s16, s0
	s_cbranch_execz .LBB449_13
; %bb.10:                               ;   in Loop: Header=BB449_9 Depth=2
	s_wait_alu 0xfffe
	v_dual_mov_b32 v29, 0 :: v_dual_add_nc_u32 v2, s14, v15
	s_mov_b32 s17, exec_lo
	s_delay_alu instid0(VALU_DEP_1)
	v_cmpx_gt_u64_e64 s[8:9], v[2:3]
	s_cbranch_execz .LBB449_12
; %bb.11:                               ;   in Loop: Header=BB449_9 Depth=2
	v_lshlrev_b64_e32 v[29:30], 2, v[2:3]
	s_delay_alu instid0(VALU_DEP_1) | instskip(SKIP_1) | instid1(VALU_DEP_2)
	v_add_co_u32 v29, vcc_lo, v25, v29
	s_wait_alu 0xfffd
	v_add_co_ci_u32_e64 v30, null, v26, v30, vcc_lo
	flat_load_b32 v29, v[29:30]
.LBB449_12:                             ;   in Loop: Header=BB449_9 Depth=2
	s_or_b32 exec_lo, exec_lo, s17
.LBB449_13:                             ;   in Loop: Header=BB449_9 Depth=2
	s_delay_alu instid0(SALU_CYCLE_1)
	s_or_b32 exec_lo, exec_lo, s16
	s_wait_alu 0xfffe
	v_add_nc_u32_e32 v2, s14, v14
	v_mov_b32_e32 v30, 0
	s_wait_loadcnt_dscnt 0x0
	ds_store_b32 v16, v29
	v_cmp_gt_u64_e32 vcc_lo, s[8:9], v[2:3]
	s_and_b32 s17, vcc_lo, s1
	s_delay_alu instid0(SALU_CYCLE_1)
	s_and_saveexec_b32 s16, s17
	s_cbranch_execz .LBB449_8
; %bb.14:                               ;   in Loop: Header=BB449_9 Depth=2
	v_mad_co_u64_u32 v[29:30], null, s20, v2, 0
	s_delay_alu instid0(VALU_DEP_1) | instskip(NEXT) | instid1(VALU_DEP_1)
	v_mad_co_u64_u32 v[30:31], null, s21, v2, v[30:31]
	v_lshlrev_b64_e32 v[29:30], 2, v[29:30]
	s_delay_alu instid0(VALU_DEP_1) | instskip(SKIP_1) | instid1(VALU_DEP_2)
	v_add_co_u32 v29, vcc_lo, v27, v29
	s_wait_alu 0xfffd
	v_add_co_ci_u32_e64 v30, null, v28, v30, vcc_lo
	flat_load_b32 v30, v[29:30]
	s_branch .LBB449_8
.LBB449_15:                             ;   in Loop: Header=BB449_6 Depth=1
	s_wait_loadcnt 0x0
	v_add_co_u32 v2, vcc_lo, v12, s10
	s_wait_alu 0xfffd
	v_add_co_ci_u32_e64 v12, null, s11, v13, vcc_lo
	s_delay_alu instid0(VALU_DEP_2) | instskip(SKIP_1) | instid1(VALU_DEP_2)
	v_add_co_u32 v13, vcc_lo, v2, v8
	s_wait_alu 0xfffd
	v_add_co_ci_u32_e64 v25, null, v12, v9, vcc_lo
	s_and_saveexec_b32 s14, s29
	s_cbranch_execz .LBB449_19
; %bb.16:                               ;   in Loop: Header=BB449_6 Depth=1
	v_mul_f32_e32 v24, s25, v24
	s_and_b32 vcc_lo, exec_lo, s28
	s_wait_alu 0xfffe
	s_cbranch_vccz .LBB449_30
; %bb.17:                               ;   in Loop: Header=BB449_6 Depth=1
	v_lshlrev_b64_e32 v[26:27], 2, v[0:1]
	s_delay_alu instid0(VALU_DEP_1) | instskip(SKIP_1) | instid1(VALU_DEP_2)
	v_add_co_u32 v26, vcc_lo, v13, v26
	s_wait_alu 0xfffd
	v_add_co_ci_u32_e64 v27, null, v25, v27, vcc_lo
	flat_load_b32 v28, v[26:27]
	s_wait_loadcnt_dscnt 0x0
	v_fma_f32 v28, s24, v28, v24
	flat_store_b32 v[26:27], v28
	s_cbranch_execnz .LBB449_19
.LBB449_18:                             ;   in Loop: Header=BB449_6 Depth=1
	v_lshlrev_b64_e32 v[26:27], 2, v[0:1]
	s_delay_alu instid0(VALU_DEP_1) | instskip(SKIP_1) | instid1(VALU_DEP_2)
	v_add_co_u32 v26, vcc_lo, v13, v26
	s_wait_alu 0xfffd
	v_add_co_ci_u32_e64 v27, null, v25, v27, vcc_lo
	flat_store_b32 v[26:27], v24
.LBB449_19:                             ;   in Loop: Header=BB449_6 Depth=1
	s_wait_alu 0xfffe
	s_or_b32 exec_lo, exec_lo, s14
	s_and_saveexec_b32 s14, s34
	s_cbranch_execz .LBB449_23
; %bb.20:                               ;   in Loop: Header=BB449_6 Depth=1
	v_mul_f32_e32 v23, s25, v23
	s_and_not1_b32 vcc_lo, exec_lo, s28
	s_wait_alu 0xfffe
	s_cbranch_vccnz .LBB449_31
; %bb.21:                               ;   in Loop: Header=BB449_6 Depth=1
	v_lshlrev_b64_e32 v[26:27], 2, v[4:5]
	s_delay_alu instid0(VALU_DEP_1) | instskip(SKIP_1) | instid1(VALU_DEP_2)
	v_add_co_u32 v26, vcc_lo, v13, v26
	s_wait_alu 0xfffd
	v_add_co_ci_u32_e64 v27, null, v25, v27, vcc_lo
	flat_load_b32 v24, v[26:27]
	s_wait_loadcnt_dscnt 0x0
	v_fma_f32 v24, s24, v24, v23
	flat_store_b32 v[26:27], v24
	s_cbranch_execnz .LBB449_23
.LBB449_22:                             ;   in Loop: Header=BB449_6 Depth=1
	v_lshlrev_b64_e32 v[26:27], 2, v[4:5]
	s_delay_alu instid0(VALU_DEP_1) | instskip(SKIP_1) | instid1(VALU_DEP_2)
	v_add_co_u32 v24, vcc_lo, v13, v26
	s_wait_alu 0xfffd
	v_add_co_ci_u32_e64 v25, null, v25, v27, vcc_lo
	flat_store_b32 v[24:25], v23
.LBB449_23:                             ;   in Loop: Header=BB449_6 Depth=1
	s_wait_alu 0xfffe
	s_or_b32 exec_lo, exec_lo, s14
	v_add_co_u32 v2, vcc_lo, v2, v10
	s_wait_alu 0xfffd
	v_add_co_ci_u32_e64 v23, null, v12, v11, vcc_lo
	s_and_saveexec_b32 s14, s35
	s_cbranch_execz .LBB449_27
; %bb.24:                               ;   in Loop: Header=BB449_6 Depth=1
	v_lshlrev_b64_e32 v[12:13], 2, v[0:1]
	v_mul_f32_e32 v22, s25, v22
	s_and_not1_b32 vcc_lo, exec_lo, s28
	s_wait_alu 0xfffe
	s_cbranch_vccnz .LBB449_32
; %bb.25:                               ;   in Loop: Header=BB449_6 Depth=1
	s_delay_alu instid0(VALU_DEP_2)
	v_add_co_u32 v24, vcc_lo, v2, v12
	s_wait_alu 0xfffd
	v_add_co_ci_u32_e64 v25, null, v23, v13, vcc_lo
	flat_load_b32 v26, v[24:25]
	s_wait_loadcnt_dscnt 0x0
	v_fma_f32 v26, s24, v26, v22
	flat_store_b32 v[24:25], v26
	s_cbranch_execnz .LBB449_27
.LBB449_26:                             ;   in Loop: Header=BB449_6 Depth=1
	v_add_co_u32 v12, vcc_lo, v2, v12
	s_wait_alu 0xfffd
	v_add_co_ci_u32_e64 v13, null, v23, v13, vcc_lo
	flat_store_b32 v[12:13], v22
.LBB449_27:                             ;   in Loop: Header=BB449_6 Depth=1
	s_wait_alu 0xfffe
	s_or_b32 exec_lo, exec_lo, s14
	s_and_saveexec_b32 s14, s36
	s_cbranch_execz .LBB449_5
; %bb.28:                               ;   in Loop: Header=BB449_6 Depth=1
	v_lshlrev_b64_e32 v[12:13], 2, v[4:5]
	v_mul_f32_e32 v21, s25, v21
	s_and_not1_b32 vcc_lo, exec_lo, s28
	s_wait_alu 0xfffe
	s_cbranch_vccnz .LBB449_33
; %bb.29:                               ;   in Loop: Header=BB449_6 Depth=1
	s_delay_alu instid0(VALU_DEP_2)
	v_add_co_u32 v24, vcc_lo, v2, v12
	s_wait_alu 0xfffd
	v_add_co_ci_u32_e64 v25, null, v23, v13, vcc_lo
	flat_load_b32 v22, v[24:25]
	s_wait_loadcnt_dscnt 0x0
	v_fma_f32 v22, s24, v22, v21
	flat_store_b32 v[24:25], v22
	s_cbranch_execnz .LBB449_5
	s_branch .LBB449_34
.LBB449_30:                             ;   in Loop: Header=BB449_6 Depth=1
	s_branch .LBB449_18
.LBB449_31:                             ;   in Loop: Header=BB449_6 Depth=1
	s_branch .LBB449_22
.LBB449_32:                             ;   in Loop: Header=BB449_6 Depth=1
	s_branch .LBB449_26
.LBB449_33:                             ;   in Loop: Header=BB449_6 Depth=1
.LBB449_34:                             ;   in Loop: Header=BB449_6 Depth=1
	s_delay_alu instid0(VALU_DEP_2)
	v_add_co_u32 v12, vcc_lo, v2, v12
	s_wait_alu 0xfffd
	v_add_co_ci_u32_e64 v13, null, v23, v13, vcc_lo
	flat_store_b32 v[12:13], v21
	s_branch .LBB449_5
.LBB449_35:
	s_endpgm
	.section	.rodata,"a",@progbits
	.p2align	6, 0x0
	.amdhsa_kernel _ZL29rocblas_internal_gemmt_kernelIlLi16ELi32ELi8ELc67ELc67ELc76ELb0ELb0EfPKfPKS1_PKPfEviT_T9_T10_S7_lS9_S7_lS8_T11_S7_li
		.amdhsa_group_segment_fixed_size 2048
		.amdhsa_private_segment_fixed_size 0
		.amdhsa_kernarg_size 108
		.amdhsa_user_sgpr_count 2
		.amdhsa_user_sgpr_dispatch_ptr 0
		.amdhsa_user_sgpr_queue_ptr 0
		.amdhsa_user_sgpr_kernarg_segment_ptr 1
		.amdhsa_user_sgpr_dispatch_id 0
		.amdhsa_user_sgpr_private_segment_size 0
		.amdhsa_wavefront_size32 1
		.amdhsa_uses_dynamic_stack 0
		.amdhsa_enable_private_segment 0
		.amdhsa_system_sgpr_workgroup_id_x 1
		.amdhsa_system_sgpr_workgroup_id_y 1
		.amdhsa_system_sgpr_workgroup_id_z 1
		.amdhsa_system_sgpr_workgroup_info 0
		.amdhsa_system_vgpr_workitem_id 1
		.amdhsa_next_free_vgpr 57
		.amdhsa_next_free_sgpr 38
		.amdhsa_reserve_vcc 1
		.amdhsa_float_round_mode_32 0
		.amdhsa_float_round_mode_16_64 0
		.amdhsa_float_denorm_mode_32 3
		.amdhsa_float_denorm_mode_16_64 3
		.amdhsa_fp16_overflow 0
		.amdhsa_workgroup_processor_mode 1
		.amdhsa_memory_ordered 1
		.amdhsa_forward_progress 1
		.amdhsa_inst_pref_size 16
		.amdhsa_round_robin_scheduling 0
		.amdhsa_exception_fp_ieee_invalid_op 0
		.amdhsa_exception_fp_denorm_src 0
		.amdhsa_exception_fp_ieee_div_zero 0
		.amdhsa_exception_fp_ieee_overflow 0
		.amdhsa_exception_fp_ieee_underflow 0
		.amdhsa_exception_fp_ieee_inexact 0
		.amdhsa_exception_int_div_zero 0
	.end_amdhsa_kernel
	.section	.text._ZL29rocblas_internal_gemmt_kernelIlLi16ELi32ELi8ELc67ELc67ELc76ELb0ELb0EfPKfPKS1_PKPfEviT_T9_T10_S7_lS9_S7_lS8_T11_S7_li,"axG",@progbits,_ZL29rocblas_internal_gemmt_kernelIlLi16ELi32ELi8ELc67ELc67ELc76ELb0ELb0EfPKfPKS1_PKPfEviT_T9_T10_S7_lS9_S7_lS8_T11_S7_li,comdat
.Lfunc_end449:
	.size	_ZL29rocblas_internal_gemmt_kernelIlLi16ELi32ELi8ELc67ELc67ELc76ELb0ELb0EfPKfPKS1_PKPfEviT_T9_T10_S7_lS9_S7_lS8_T11_S7_li, .Lfunc_end449-_ZL29rocblas_internal_gemmt_kernelIlLi16ELi32ELi8ELc67ELc67ELc76ELb0ELb0EfPKfPKS1_PKPfEviT_T9_T10_S7_lS9_S7_lS8_T11_S7_li
                                        ; -- End function
	.set _ZL29rocblas_internal_gemmt_kernelIlLi16ELi32ELi8ELc67ELc67ELc76ELb0ELb0EfPKfPKS1_PKPfEviT_T9_T10_S7_lS9_S7_lS8_T11_S7_li.num_vgpr, 57
	.set _ZL29rocblas_internal_gemmt_kernelIlLi16ELi32ELi8ELc67ELc67ELc76ELb0ELb0EfPKfPKS1_PKPfEviT_T9_T10_S7_lS9_S7_lS8_T11_S7_li.num_agpr, 0
	.set _ZL29rocblas_internal_gemmt_kernelIlLi16ELi32ELi8ELc67ELc67ELc76ELb0ELb0EfPKfPKS1_PKPfEviT_T9_T10_S7_lS9_S7_lS8_T11_S7_li.numbered_sgpr, 38
	.set _ZL29rocblas_internal_gemmt_kernelIlLi16ELi32ELi8ELc67ELc67ELc76ELb0ELb0EfPKfPKS1_PKPfEviT_T9_T10_S7_lS9_S7_lS8_T11_S7_li.num_named_barrier, 0
	.set _ZL29rocblas_internal_gemmt_kernelIlLi16ELi32ELi8ELc67ELc67ELc76ELb0ELb0EfPKfPKS1_PKPfEviT_T9_T10_S7_lS9_S7_lS8_T11_S7_li.private_seg_size, 0
	.set _ZL29rocblas_internal_gemmt_kernelIlLi16ELi32ELi8ELc67ELc67ELc76ELb0ELb0EfPKfPKS1_PKPfEviT_T9_T10_S7_lS9_S7_lS8_T11_S7_li.uses_vcc, 1
	.set _ZL29rocblas_internal_gemmt_kernelIlLi16ELi32ELi8ELc67ELc67ELc76ELb0ELb0EfPKfPKS1_PKPfEviT_T9_T10_S7_lS9_S7_lS8_T11_S7_li.uses_flat_scratch, 0
	.set _ZL29rocblas_internal_gemmt_kernelIlLi16ELi32ELi8ELc67ELc67ELc76ELb0ELb0EfPKfPKS1_PKPfEviT_T9_T10_S7_lS9_S7_lS8_T11_S7_li.has_dyn_sized_stack, 0
	.set _ZL29rocblas_internal_gemmt_kernelIlLi16ELi32ELi8ELc67ELc67ELc76ELb0ELb0EfPKfPKS1_PKPfEviT_T9_T10_S7_lS9_S7_lS8_T11_S7_li.has_recursion, 0
	.set _ZL29rocblas_internal_gemmt_kernelIlLi16ELi32ELi8ELc67ELc67ELc76ELb0ELb0EfPKfPKS1_PKPfEviT_T9_T10_S7_lS9_S7_lS8_T11_S7_li.has_indirect_call, 0
	.section	.AMDGPU.csdata,"",@progbits
; Kernel info:
; codeLenInByte = 1928
; TotalNumSgprs: 40
; NumVgprs: 57
; ScratchSize: 0
; MemoryBound: 0
; FloatMode: 240
; IeeeMode: 1
; LDSByteSize: 2048 bytes/workgroup (compile time only)
; SGPRBlocks: 0
; VGPRBlocks: 7
; NumSGPRsForWavesPerEU: 40
; NumVGPRsForWavesPerEU: 57
; Occupancy: 16
; WaveLimiterHint : 1
; COMPUTE_PGM_RSRC2:SCRATCH_EN: 0
; COMPUTE_PGM_RSRC2:USER_SGPR: 2
; COMPUTE_PGM_RSRC2:TRAP_HANDLER: 0
; COMPUTE_PGM_RSRC2:TGID_X_EN: 1
; COMPUTE_PGM_RSRC2:TGID_Y_EN: 1
; COMPUTE_PGM_RSRC2:TGID_Z_EN: 1
; COMPUTE_PGM_RSRC2:TIDIG_COMP_CNT: 1
	.section	.text._ZL29rocblas_internal_gemmt_kernelIlLi16ELi32ELi8ELc78ELc78ELc85ELb0ELb0EffPKPKfPKPfEviT_T9_T10_S7_lS9_S7_lS8_T11_S7_li,"axG",@progbits,_ZL29rocblas_internal_gemmt_kernelIlLi16ELi32ELi8ELc78ELc78ELc85ELb0ELb0EffPKPKfPKPfEviT_T9_T10_S7_lS9_S7_lS8_T11_S7_li,comdat
	.globl	_ZL29rocblas_internal_gemmt_kernelIlLi16ELi32ELi8ELc78ELc78ELc85ELb0ELb0EffPKPKfPKPfEviT_T9_T10_S7_lS9_S7_lS8_T11_S7_li ; -- Begin function _ZL29rocblas_internal_gemmt_kernelIlLi16ELi32ELi8ELc78ELc78ELc85ELb0ELb0EffPKPKfPKPfEviT_T9_T10_S7_lS9_S7_lS8_T11_S7_li
	.p2align	8
	.type	_ZL29rocblas_internal_gemmt_kernelIlLi16ELi32ELi8ELc78ELc78ELc85ELb0ELb0EffPKPKfPKPfEviT_T9_T10_S7_lS9_S7_lS8_T11_S7_li,@function
_ZL29rocblas_internal_gemmt_kernelIlLi16ELi32ELi8ELc78ELc78ELc85ELb0ELb0EffPKPKfPKPfEviT_T9_T10_S7_lS9_S7_lS8_T11_S7_li: ; @_ZL29rocblas_internal_gemmt_kernelIlLi16ELi32ELi8ELc78ELc78ELc85ELb0ELb0EffPKPKfPKPfEviT_T9_T10_S7_lS9_S7_lS8_T11_S7_li
; %bb.0:
	s_clause 0x1
	s_load_b32 s23, s[0:1], 0x48
	s_load_b96 s[20:22], s[0:1], 0x8
	s_wait_kmcnt 0x0
	s_cmp_neq_f32 s23, 1.0
	s_cselect_b32 s2, -1, 0
	s_delay_alu instid0(SALU_CYCLE_1)
	s_and_b32 vcc_lo, exec_lo, s2
	s_cbranch_vccnz .LBB450_2
; %bb.1:
	s_cmp_lg_u64 s[20:21], 0
	s_cselect_b32 s2, -1, 0
	s_cmp_neq_f32 s22, 0
	s_cselect_b32 s3, -1, 0
	s_delay_alu instid0(SALU_CYCLE_1)
	s_and_b32 s2, s2, s3
.LBB450_2:
	s_delay_alu instid0(SALU_CYCLE_1)
	s_and_not1_b32 vcc_lo, exec_lo, s2
	s_cbranch_vccnz .LBB450_35
; %bb.3:
	s_load_b32 s28, s[0:1], 0x68
	s_lshr_b32 s24, ttmp7, 16
	s_wait_kmcnt 0x0
	s_cmp_ge_u32 s24, s28
	s_cbranch_scc1 .LBB450_35
; %bb.4:
	v_and_b32_e32 v1, 0x3ff, v0
	v_bfe_u32 v3, v0, 10, 10
	s_clause 0x4
	s_load_b128 s[4:7], s[0:1], 0x38
	s_load_b32 s3, s[0:1], 0x0
	s_load_b256 s[8:15], s[0:1], 0x18
	s_load_b128 s[16:19], s[0:1], 0x50
	s_load_b64 s[26:27], s[0:1], 0x60
	s_lshl_b32 s1, ttmp7, 5
	v_lshl_add_u32 v2, v3, 4, v1
	s_and_b32 s1, s1, 0x1fffe0
	s_lshl_b32 s0, ttmp9, 5
	v_lshlrev_b32_e32 v17, 2, v1
	v_lshl_add_u32 v21, v3, 5, 0x400
	v_lshrrev_b32_e32 v4, 3, v2
	v_and_b32_e32 v10, 31, v2
	v_lshrrev_b32_e32 v18, 5, v2
	s_cmp_neq_f32 s22, 0
	v_cmp_gt_i64_e64 s33, s[20:21], 0
	v_add_nc_u32_e32 v5, s1, v4
	v_or_b32_e32 v6, s0, v10
	s_cselect_b32 s34, -1, 0
	s_cmp_neq_f32 s23, 0
	s_mov_b32 s25, 0
	s_wait_kmcnt 0x0
	v_mad_co_u64_u32 v[8:9], null, s4, v5, 0
	v_and_b32_e32 v16, 7, v0
	v_add_nc_u32_e32 v0, s0, v1
	v_cmp_gt_i32_e64 s0, s3, v6
	s_delay_alu instid0(VALU_DEP_4) | instskip(SKIP_2) | instid1(VALU_DEP_3)
	v_mov_b32_e32 v1, v9
	v_lshlrev_b32_e32 v9, 2, v10
	v_lshlrev_b32_e32 v7, 2, v16
	v_mad_co_u64_u32 v[1:2], null, s5, v5, v[1:2]
	v_add_nc_u32_e32 v14, s1, v3
	s_delay_alu instid0(VALU_DEP_4) | instskip(NEXT) | instid1(VALU_DEP_4)
	v_lshl_or_b32 v19, v18, 7, v9
	v_lshl_or_b32 v2, v4, 5, v7
	v_cmp_gt_i32_e64 s1, s3, v5
	v_ashrrev_i32_e32 v7, 31, v6
	v_mov_b32_e32 v9, v1
	v_add_nc_u32_e32 v15, 16, v14
	v_mad_co_u64_u32 v[10:11], null, s18, v14, 0
	v_add_nc_u32_e32 v20, 0x400, v2
	v_cmp_gt_i32_e32 vcc_lo, s3, v14
	s_delay_alu instid0(VALU_DEP_4)
	v_mad_co_u64_u32 v[12:13], null, s18, v15, 0
	s_cselect_b32 s18, -1, 0
	v_cmp_gt_i32_e64 s3, s3, v15
	v_mov_b32_e32 v2, v11
	v_lshlrev_b64_e32 v[6:7], 2, v[6:7]
	v_lshlrev_b64_e32 v[8:9], 2, v[8:9]
	s_and_b32 s33, s34, s33
	s_delay_alu instid0(VALU_DEP_3) | instskip(SKIP_1) | instid1(VALU_DEP_1)
	v_mad_co_u64_u32 v[1:2], null, s19, v14, v[2:3]
	v_mov_b32_e32 v3, v13
	v_mad_co_u64_u32 v[4:5], null, s19, v15, v[3:4]
	s_delay_alu instid0(VALU_DEP_3) | instskip(SKIP_3) | instid1(VALU_DEP_4)
	v_mov_b32_e32 v11, v1
	v_cmp_le_i32_e64 s2, v0, v14
	v_dual_mov_b32 v5, 0 :: v_dual_add_nc_u32 v2, 16, v0
	v_cmp_le_i32_e64 s4, v0, v15
	v_lshlrev_b64_e32 v[10:11], 2, v[10:11]
	v_mov_b32_e32 v13, v4
	s_and_b32 s29, vcc_lo, s2
	v_cmp_le_i32_e64 s2, v2, v14
	v_cmp_le_i32_e64 s5, v2, v15
	v_ashrrev_i32_e32 v1, 31, v0
	v_lshlrev_b64_e32 v[12:13], 2, v[12:13]
	v_ashrrev_i32_e32 v3, 31, v2
	s_and_b32 s19, vcc_lo, s2
	s_and_b32 s30, s3, s4
	s_and_b32 s31, s3, s5
	s_lshl_b64 s[2:3], s[6:7], 2
	s_lshl_b64 s[4:5], s[12:13], 2
	;; [unrolled: 1-line block ×3, first 2 shown]
	s_branch .LBB450_6
.LBB450_5:                              ;   in Loop: Header=BB450_6 Depth=1
	s_wait_alu 0xfffe
	s_or_b32 exec_lo, exec_lo, s12
	s_add_co_i32 s24, s24, 0x10000
	s_delay_alu instid0(SALU_CYCLE_1)
	s_cmp_lt_u32 s24, s28
	s_cbranch_scc0 .LBB450_35
.LBB450_6:                              ; =>This Loop Header: Depth=1
                                        ;     Child Loop BB450_9 Depth 2
	s_lshl_b64 s[12:13], s[24:25], 3
	v_dual_mov_b32 v25, v5 :: v_dual_mov_b32 v24, v5
	s_wait_alu 0xfffe
	s_add_nc_u64 s[26:27], s[16:17], s[12:13]
	v_dual_mov_b32 v23, v5 :: v_dual_mov_b32 v22, v5
	global_load_b64 v[14:15], v5, s[26:27]
	s_and_not1_b32 vcc_lo, exec_lo, s33
	s_wait_alu 0xfffe
	s_cbranch_vccnz .LBB450_15
; %bb.7:                                ;   in Loop: Header=BB450_6 Depth=1
	s_add_nc_u64 s[26:27], s[8:9], s[12:13]
	s_add_nc_u64 s[12:13], s[14:15], s[12:13]
	s_clause 0x1
	global_load_b64 v[25:26], v5, s[26:27]
	global_load_b64 v[27:28], v5, s[12:13]
	v_dual_mov_b32 v22, 0 :: v_dual_mov_b32 v23, 0
	v_mov_b32_e32 v24, 0
	s_mov_b64 s[12:13], 0
	s_wait_loadcnt 0x1
	v_add_co_u32 v4, vcc_lo, v25, s4
	s_wait_alu 0xfffd
	v_add_co_ci_u32_e64 v25, null, s5, v26, vcc_lo
	s_wait_loadcnt 0x0
	v_add_co_u32 v29, vcc_lo, v27, s2
	s_wait_alu 0xfffd
	v_add_co_ci_u32_e64 v30, null, s3, v28, vcc_lo
	v_add_co_u32 v26, vcc_lo, v4, v6
	s_wait_alu 0xfffd
	v_add_co_ci_u32_e64 v27, null, v25, v7, vcc_lo
	;; [unrolled: 3-line block ×3, first 2 shown]
	v_mov_b32_e32 v25, 0
	s_branch .LBB450_9
.LBB450_8:                              ;   in Loop: Header=BB450_9 Depth=2
	s_or_b32 exec_lo, exec_lo, s26
	s_wait_loadcnt_dscnt 0x0
	ds_store_b32 v20, v31
	s_wait_dscnt 0x0
	s_barrier_signal -1
	s_barrier_wait -1
	global_inv scope:SCOPE_SE
	ds_load_b128 v[30:33], v21
	ds_load_2addr_b32 v[46:47], v17 offset1:16
	ds_load_b128 v[34:37], v21 offset:512
	ds_load_2addr_b32 v[48:49], v17 offset0:32 offset1:48
	ds_load_2addr_b32 v[50:51], v17 offset0:64 offset1:80
	;; [unrolled: 1-line block ×3, first 2 shown]
	ds_load_b128 v[38:41], v21 offset:16
	ds_load_2addr_b32 v[54:55], v17 offset0:128 offset1:144
	ds_load_b128 v[42:45], v21 offset:528
	ds_load_2addr_b32 v[56:57], v17 offset0:160 offset1:176
	s_add_nc_u64 s[12:13], s[12:13], 8
	s_wait_alu 0xfffe
	v_cmp_gt_i64_e64 s26, s[20:21], s[12:13]
	s_and_b32 vcc_lo, exec_lo, s26
	s_wait_dscnt 0x8
	v_fmac_f32_e32 v24, v47, v30
	v_fmac_f32_e32 v25, v46, v30
	s_wait_dscnt 0x7
	v_fmac_f32_e32 v22, v47, v34
	v_fmac_f32_e32 v23, v46, v34
	ds_load_2addr_b32 v[46:47], v17 offset0:192 offset1:208
	s_wait_dscnt 0x7
	v_fmac_f32_e32 v24, v49, v31
	v_fmac_f32_e32 v25, v48, v31
	;; [unrolled: 1-line block ×4, first 2 shown]
	ds_load_2addr_b32 v[30:31], v17 offset0:224 offset1:240
	s_wait_dscnt 0x7
	v_fmac_f32_e32 v24, v51, v32
	v_fmac_f32_e32 v25, v50, v32
	;; [unrolled: 1-line block ×4, first 2 shown]
	s_wait_loadcnt_dscnt 0x0
	v_fmac_f32_e32 v24, v53, v33
	v_fmac_f32_e32 v25, v52, v33
	;; [unrolled: 1-line block ×4, first 2 shown]
	s_barrier_signal -1
	v_fmac_f32_e32 v24, v55, v38
	v_fmac_f32_e32 v25, v54, v38
	;; [unrolled: 1-line block ×4, first 2 shown]
	s_barrier_wait -1
	v_fmac_f32_e32 v24, v57, v39
	v_fmac_f32_e32 v25, v56, v39
	;; [unrolled: 1-line block ×4, first 2 shown]
	global_inv scope:SCOPE_SE
	v_fmac_f32_e32 v24, v47, v40
	v_fmac_f32_e32 v25, v46, v40
	;; [unrolled: 1-line block ×3, first 2 shown]
	s_delay_alu instid0(VALU_DEP_3) | instskip(NEXT) | instid1(VALU_DEP_3)
	v_dual_fmac_f32 v23, v46, v44 :: v_dual_fmac_f32 v24, v31, v41
	v_fmac_f32_e32 v25, v30, v41
	s_delay_alu instid0(VALU_DEP_3) | instskip(NEXT) | instid1(VALU_DEP_3)
	v_fmac_f32_e32 v22, v31, v45
	v_fmac_f32_e32 v23, v30, v45
	s_wait_alu 0xfffe
	s_cbranch_vccz .LBB450_15
.LBB450_9:                              ;   Parent Loop BB450_6 Depth=1
                                        ; =>  This Inner Loop Header: Depth=2
	v_mov_b32_e32 v30, 0
	s_and_saveexec_b32 s26, s0
	s_cbranch_execz .LBB450_13
; %bb.10:                               ;   in Loop: Header=BB450_9 Depth=2
	s_wait_alu 0xfffe
	v_add_nc_u32_e32 v4, s12, v18
	v_mov_b32_e32 v30, 0
	s_mov_b32 s27, exec_lo
	s_delay_alu instid0(VALU_DEP_2)
	v_cmpx_gt_u64_e64 s[20:21], v[4:5]
	s_cbranch_execz .LBB450_12
; %bb.11:                               ;   in Loop: Header=BB450_9 Depth=2
	v_mad_co_u64_u32 v[30:31], null, s10, v4, 0
	s_delay_alu instid0(VALU_DEP_1) | instskip(NEXT) | instid1(VALU_DEP_1)
	v_mad_co_u64_u32 v[31:32], null, s11, v4, v[31:32]
	v_lshlrev_b64_e32 v[30:31], 2, v[30:31]
	s_delay_alu instid0(VALU_DEP_1) | instskip(SKIP_1) | instid1(VALU_DEP_2)
	v_add_co_u32 v30, vcc_lo, v26, v30
	s_wait_alu 0xfffd
	v_add_co_ci_u32_e64 v31, null, v27, v31, vcc_lo
	flat_load_b32 v30, v[30:31]
.LBB450_12:                             ;   in Loop: Header=BB450_9 Depth=2
	s_or_b32 exec_lo, exec_lo, s27
.LBB450_13:                             ;   in Loop: Header=BB450_9 Depth=2
	s_delay_alu instid0(SALU_CYCLE_1)
	s_or_b32 exec_lo, exec_lo, s26
	s_wait_alu 0xfffe
	v_dual_mov_b32 v31, 0 :: v_dual_add_nc_u32 v4, s12, v16
	s_wait_loadcnt_dscnt 0x0
	ds_store_b32 v19, v30
	v_cmp_gt_u64_e32 vcc_lo, s[20:21], v[4:5]
	s_and_b32 s27, vcc_lo, s1
	s_delay_alu instid0(SALU_CYCLE_1)
	s_and_saveexec_b32 s26, s27
	s_cbranch_execz .LBB450_8
; %bb.14:                               ;   in Loop: Header=BB450_9 Depth=2
	v_lshlrev_b64_e32 v[30:31], 2, v[4:5]
	s_delay_alu instid0(VALU_DEP_1) | instskip(SKIP_1) | instid1(VALU_DEP_2)
	v_add_co_u32 v30, vcc_lo, v28, v30
	s_wait_alu 0xfffd
	v_add_co_ci_u32_e64 v31, null, v29, v31, vcc_lo
	flat_load_b32 v31, v[30:31]
	s_branch .LBB450_8
.LBB450_15:                             ;   in Loop: Header=BB450_6 Depth=1
	s_wait_loadcnt 0x0
	v_add_co_u32 v4, vcc_lo, v14, s6
	s_wait_alu 0xfffd
	v_add_co_ci_u32_e64 v14, null, s7, v15, vcc_lo
	s_delay_alu instid0(VALU_DEP_2) | instskip(SKIP_1) | instid1(VALU_DEP_2)
	v_add_co_u32 v15, vcc_lo, v4, v10
	s_wait_alu 0xfffd
	v_add_co_ci_u32_e64 v26, null, v14, v11, vcc_lo
	s_and_saveexec_b32 s12, s29
	s_cbranch_execz .LBB450_19
; %bb.16:                               ;   in Loop: Header=BB450_6 Depth=1
	v_mul_f32_e32 v25, s22, v25
	s_wait_alu 0xfffe
	s_and_b32 vcc_lo, exec_lo, s18
	s_wait_alu 0xfffe
	s_cbranch_vccz .LBB450_30
; %bb.17:                               ;   in Loop: Header=BB450_6 Depth=1
	v_lshlrev_b64_e32 v[27:28], 2, v[0:1]
	s_delay_alu instid0(VALU_DEP_1) | instskip(SKIP_1) | instid1(VALU_DEP_2)
	v_add_co_u32 v27, vcc_lo, v15, v27
	s_wait_alu 0xfffd
	v_add_co_ci_u32_e64 v28, null, v26, v28, vcc_lo
	flat_load_b32 v29, v[27:28]
	s_wait_loadcnt_dscnt 0x0
	v_fma_f32 v29, s23, v29, v25
	flat_store_b32 v[27:28], v29
	s_cbranch_execnz .LBB450_19
.LBB450_18:                             ;   in Loop: Header=BB450_6 Depth=1
	v_lshlrev_b64_e32 v[27:28], 2, v[0:1]
	s_delay_alu instid0(VALU_DEP_1) | instskip(SKIP_1) | instid1(VALU_DEP_2)
	v_add_co_u32 v27, vcc_lo, v15, v27
	s_wait_alu 0xfffd
	v_add_co_ci_u32_e64 v28, null, v26, v28, vcc_lo
	flat_store_b32 v[27:28], v25
.LBB450_19:                             ;   in Loop: Header=BB450_6 Depth=1
	s_wait_alu 0xfffe
	s_or_b32 exec_lo, exec_lo, s12
	s_and_saveexec_b32 s12, s19
	s_cbranch_execz .LBB450_23
; %bb.20:                               ;   in Loop: Header=BB450_6 Depth=1
	v_mul_f32_e32 v24, s22, v24
	s_and_not1_b32 vcc_lo, exec_lo, s18
	s_wait_alu 0xfffe
	s_cbranch_vccnz .LBB450_31
; %bb.21:                               ;   in Loop: Header=BB450_6 Depth=1
	v_lshlrev_b64_e32 v[27:28], 2, v[2:3]
	s_delay_alu instid0(VALU_DEP_1) | instskip(SKIP_1) | instid1(VALU_DEP_2)
	v_add_co_u32 v27, vcc_lo, v15, v27
	s_wait_alu 0xfffd
	v_add_co_ci_u32_e64 v28, null, v26, v28, vcc_lo
	flat_load_b32 v25, v[27:28]
	s_wait_loadcnt_dscnt 0x0
	v_fma_f32 v25, s23, v25, v24
	flat_store_b32 v[27:28], v25
	s_cbranch_execnz .LBB450_23
.LBB450_22:                             ;   in Loop: Header=BB450_6 Depth=1
	v_lshlrev_b64_e32 v[27:28], 2, v[2:3]
	s_delay_alu instid0(VALU_DEP_1) | instskip(SKIP_1) | instid1(VALU_DEP_2)
	v_add_co_u32 v25, vcc_lo, v15, v27
	s_wait_alu 0xfffd
	v_add_co_ci_u32_e64 v26, null, v26, v28, vcc_lo
	flat_store_b32 v[25:26], v24
.LBB450_23:                             ;   in Loop: Header=BB450_6 Depth=1
	s_wait_alu 0xfffe
	s_or_b32 exec_lo, exec_lo, s12
	v_add_co_u32 v4, vcc_lo, v4, v12
	s_wait_alu 0xfffd
	v_add_co_ci_u32_e64 v24, null, v14, v13, vcc_lo
	s_and_saveexec_b32 s12, s30
	s_cbranch_execz .LBB450_27
; %bb.24:                               ;   in Loop: Header=BB450_6 Depth=1
	v_lshlrev_b64_e32 v[14:15], 2, v[0:1]
	v_mul_f32_e32 v23, s22, v23
	s_and_not1_b32 vcc_lo, exec_lo, s18
	s_wait_alu 0xfffe
	s_cbranch_vccnz .LBB450_32
; %bb.25:                               ;   in Loop: Header=BB450_6 Depth=1
	s_delay_alu instid0(VALU_DEP_2)
	v_add_co_u32 v25, vcc_lo, v4, v14
	s_wait_alu 0xfffd
	v_add_co_ci_u32_e64 v26, null, v24, v15, vcc_lo
	flat_load_b32 v27, v[25:26]
	s_wait_loadcnt_dscnt 0x0
	v_fma_f32 v27, s23, v27, v23
	flat_store_b32 v[25:26], v27
	s_cbranch_execnz .LBB450_27
.LBB450_26:                             ;   in Loop: Header=BB450_6 Depth=1
	v_add_co_u32 v14, vcc_lo, v4, v14
	s_wait_alu 0xfffd
	v_add_co_ci_u32_e64 v15, null, v24, v15, vcc_lo
	flat_store_b32 v[14:15], v23
.LBB450_27:                             ;   in Loop: Header=BB450_6 Depth=1
	s_wait_alu 0xfffe
	s_or_b32 exec_lo, exec_lo, s12
	s_and_saveexec_b32 s12, s31
	s_cbranch_execz .LBB450_5
; %bb.28:                               ;   in Loop: Header=BB450_6 Depth=1
	v_lshlrev_b64_e32 v[14:15], 2, v[2:3]
	v_mul_f32_e32 v22, s22, v22
	s_and_not1_b32 vcc_lo, exec_lo, s18
	s_wait_alu 0xfffe
	s_cbranch_vccnz .LBB450_33
; %bb.29:                               ;   in Loop: Header=BB450_6 Depth=1
	s_delay_alu instid0(VALU_DEP_2)
	v_add_co_u32 v25, vcc_lo, v4, v14
	s_wait_alu 0xfffd
	v_add_co_ci_u32_e64 v26, null, v24, v15, vcc_lo
	flat_load_b32 v23, v[25:26]
	s_wait_loadcnt_dscnt 0x0
	v_fma_f32 v23, s23, v23, v22
	flat_store_b32 v[25:26], v23
	s_cbranch_execnz .LBB450_5
	s_branch .LBB450_34
.LBB450_30:                             ;   in Loop: Header=BB450_6 Depth=1
	s_branch .LBB450_18
.LBB450_31:                             ;   in Loop: Header=BB450_6 Depth=1
	s_branch .LBB450_22
.LBB450_32:                             ;   in Loop: Header=BB450_6 Depth=1
	s_branch .LBB450_26
.LBB450_33:                             ;   in Loop: Header=BB450_6 Depth=1
.LBB450_34:                             ;   in Loop: Header=BB450_6 Depth=1
	s_delay_alu instid0(VALU_DEP_2)
	v_add_co_u32 v14, vcc_lo, v4, v14
	s_wait_alu 0xfffd
	v_add_co_ci_u32_e64 v15, null, v24, v15, vcc_lo
	flat_store_b32 v[14:15], v22
	s_branch .LBB450_5
.LBB450_35:
	s_endpgm
	.section	.rodata,"a",@progbits
	.p2align	6, 0x0
	.amdhsa_kernel _ZL29rocblas_internal_gemmt_kernelIlLi16ELi32ELi8ELc78ELc78ELc85ELb0ELb0EffPKPKfPKPfEviT_T9_T10_S7_lS9_S7_lS8_T11_S7_li
		.amdhsa_group_segment_fixed_size 2048
		.amdhsa_private_segment_fixed_size 0
		.amdhsa_kernarg_size 108
		.amdhsa_user_sgpr_count 2
		.amdhsa_user_sgpr_dispatch_ptr 0
		.amdhsa_user_sgpr_queue_ptr 0
		.amdhsa_user_sgpr_kernarg_segment_ptr 1
		.amdhsa_user_sgpr_dispatch_id 0
		.amdhsa_user_sgpr_private_segment_size 0
		.amdhsa_wavefront_size32 1
		.amdhsa_uses_dynamic_stack 0
		.amdhsa_enable_private_segment 0
		.amdhsa_system_sgpr_workgroup_id_x 1
		.amdhsa_system_sgpr_workgroup_id_y 1
		.amdhsa_system_sgpr_workgroup_id_z 1
		.amdhsa_system_sgpr_workgroup_info 0
		.amdhsa_system_vgpr_workitem_id 1
		.amdhsa_next_free_vgpr 58
		.amdhsa_next_free_sgpr 35
		.amdhsa_reserve_vcc 1
		.amdhsa_float_round_mode_32 0
		.amdhsa_float_round_mode_16_64 0
		.amdhsa_float_denorm_mode_32 3
		.amdhsa_float_denorm_mode_16_64 3
		.amdhsa_fp16_overflow 0
		.amdhsa_workgroup_processor_mode 1
		.amdhsa_memory_ordered 1
		.amdhsa_forward_progress 1
		.amdhsa_inst_pref_size 16
		.amdhsa_round_robin_scheduling 0
		.amdhsa_exception_fp_ieee_invalid_op 0
		.amdhsa_exception_fp_denorm_src 0
		.amdhsa_exception_fp_ieee_div_zero 0
		.amdhsa_exception_fp_ieee_overflow 0
		.amdhsa_exception_fp_ieee_underflow 0
		.amdhsa_exception_fp_ieee_inexact 0
		.amdhsa_exception_int_div_zero 0
	.end_amdhsa_kernel
	.section	.text._ZL29rocblas_internal_gemmt_kernelIlLi16ELi32ELi8ELc78ELc78ELc85ELb0ELb0EffPKPKfPKPfEviT_T9_T10_S7_lS9_S7_lS8_T11_S7_li,"axG",@progbits,_ZL29rocblas_internal_gemmt_kernelIlLi16ELi32ELi8ELc78ELc78ELc85ELb0ELb0EffPKPKfPKPfEviT_T9_T10_S7_lS9_S7_lS8_T11_S7_li,comdat
.Lfunc_end450:
	.size	_ZL29rocblas_internal_gemmt_kernelIlLi16ELi32ELi8ELc78ELc78ELc85ELb0ELb0EffPKPKfPKPfEviT_T9_T10_S7_lS9_S7_lS8_T11_S7_li, .Lfunc_end450-_ZL29rocblas_internal_gemmt_kernelIlLi16ELi32ELi8ELc78ELc78ELc85ELb0ELb0EffPKPKfPKPfEviT_T9_T10_S7_lS9_S7_lS8_T11_S7_li
                                        ; -- End function
	.set _ZL29rocblas_internal_gemmt_kernelIlLi16ELi32ELi8ELc78ELc78ELc85ELb0ELb0EffPKPKfPKPfEviT_T9_T10_S7_lS9_S7_lS8_T11_S7_li.num_vgpr, 58
	.set _ZL29rocblas_internal_gemmt_kernelIlLi16ELi32ELi8ELc78ELc78ELc85ELb0ELb0EffPKPKfPKPfEviT_T9_T10_S7_lS9_S7_lS8_T11_S7_li.num_agpr, 0
	.set _ZL29rocblas_internal_gemmt_kernelIlLi16ELi32ELi8ELc78ELc78ELc85ELb0ELb0EffPKPKfPKPfEviT_T9_T10_S7_lS9_S7_lS8_T11_S7_li.numbered_sgpr, 35
	.set _ZL29rocblas_internal_gemmt_kernelIlLi16ELi32ELi8ELc78ELc78ELc85ELb0ELb0EffPKPKfPKPfEviT_T9_T10_S7_lS9_S7_lS8_T11_S7_li.num_named_barrier, 0
	.set _ZL29rocblas_internal_gemmt_kernelIlLi16ELi32ELi8ELc78ELc78ELc85ELb0ELb0EffPKPKfPKPfEviT_T9_T10_S7_lS9_S7_lS8_T11_S7_li.private_seg_size, 0
	.set _ZL29rocblas_internal_gemmt_kernelIlLi16ELi32ELi8ELc78ELc78ELc85ELb0ELb0EffPKPKfPKPfEviT_T9_T10_S7_lS9_S7_lS8_T11_S7_li.uses_vcc, 1
	.set _ZL29rocblas_internal_gemmt_kernelIlLi16ELi32ELi8ELc78ELc78ELc85ELb0ELb0EffPKPKfPKPfEviT_T9_T10_S7_lS9_S7_lS8_T11_S7_li.uses_flat_scratch, 0
	.set _ZL29rocblas_internal_gemmt_kernelIlLi16ELi32ELi8ELc78ELc78ELc85ELb0ELb0EffPKPKfPKPfEviT_T9_T10_S7_lS9_S7_lS8_T11_S7_li.has_dyn_sized_stack, 0
	.set _ZL29rocblas_internal_gemmt_kernelIlLi16ELi32ELi8ELc78ELc78ELc85ELb0ELb0EffPKPKfPKPfEviT_T9_T10_S7_lS9_S7_lS8_T11_S7_li.has_recursion, 0
	.set _ZL29rocblas_internal_gemmt_kernelIlLi16ELi32ELi8ELc78ELc78ELc85ELb0ELb0EffPKPKfPKPfEviT_T9_T10_S7_lS9_S7_lS8_T11_S7_li.has_indirect_call, 0
	.section	.AMDGPU.csdata,"",@progbits
; Kernel info:
; codeLenInByte = 1936
; TotalNumSgprs: 37
; NumVgprs: 58
; ScratchSize: 0
; MemoryBound: 0
; FloatMode: 240
; IeeeMode: 1
; LDSByteSize: 2048 bytes/workgroup (compile time only)
; SGPRBlocks: 0
; VGPRBlocks: 7
; NumSGPRsForWavesPerEU: 37
; NumVGPRsForWavesPerEU: 58
; Occupancy: 16
; WaveLimiterHint : 1
; COMPUTE_PGM_RSRC2:SCRATCH_EN: 0
; COMPUTE_PGM_RSRC2:USER_SGPR: 2
; COMPUTE_PGM_RSRC2:TRAP_HANDLER: 0
; COMPUTE_PGM_RSRC2:TGID_X_EN: 1
; COMPUTE_PGM_RSRC2:TGID_Y_EN: 1
; COMPUTE_PGM_RSRC2:TGID_Z_EN: 1
; COMPUTE_PGM_RSRC2:TIDIG_COMP_CNT: 1
	.section	.text._ZL29rocblas_internal_gemmt_kernelIlLi16ELi32ELi8ELc78ELc84ELc85ELb0ELb0EffPKPKfPKPfEviT_T9_T10_S7_lS9_S7_lS8_T11_S7_li,"axG",@progbits,_ZL29rocblas_internal_gemmt_kernelIlLi16ELi32ELi8ELc78ELc84ELc85ELb0ELb0EffPKPKfPKPfEviT_T9_T10_S7_lS9_S7_lS8_T11_S7_li,comdat
	.globl	_ZL29rocblas_internal_gemmt_kernelIlLi16ELi32ELi8ELc78ELc84ELc85ELb0ELb0EffPKPKfPKPfEviT_T9_T10_S7_lS9_S7_lS8_T11_S7_li ; -- Begin function _ZL29rocblas_internal_gemmt_kernelIlLi16ELi32ELi8ELc78ELc84ELc85ELb0ELb0EffPKPKfPKPfEviT_T9_T10_S7_lS9_S7_lS8_T11_S7_li
	.p2align	8
	.type	_ZL29rocblas_internal_gemmt_kernelIlLi16ELi32ELi8ELc78ELc84ELc85ELb0ELb0EffPKPKfPKPfEviT_T9_T10_S7_lS9_S7_lS8_T11_S7_li,@function
_ZL29rocblas_internal_gemmt_kernelIlLi16ELi32ELi8ELc78ELc84ELc85ELb0ELb0EffPKPKfPKPfEviT_T9_T10_S7_lS9_S7_lS8_T11_S7_li: ; @_ZL29rocblas_internal_gemmt_kernelIlLi16ELi32ELi8ELc78ELc84ELc85ELb0ELb0EffPKPKfPKPfEviT_T9_T10_S7_lS9_S7_lS8_T11_S7_li
; %bb.0:
	s_clause 0x1
	s_load_b32 s27, s[0:1], 0x48
	s_load_b96 s[24:26], s[0:1], 0x8
	s_wait_kmcnt 0x0
	s_cmp_neq_f32 s27, 1.0
	s_cselect_b32 s2, -1, 0
	s_delay_alu instid0(SALU_CYCLE_1)
	s_and_b32 vcc_lo, exec_lo, s2
	s_cbranch_vccnz .LBB451_2
; %bb.1:
	s_cmp_lg_u64 s[24:25], 0
	s_cselect_b32 s2, -1, 0
	s_cmp_neq_f32 s26, 0
	s_cselect_b32 s3, -1, 0
	s_delay_alu instid0(SALU_CYCLE_1)
	s_and_b32 s2, s2, s3
.LBB451_2:
	s_delay_alu instid0(SALU_CYCLE_1)
	s_and_not1_b32 vcc_lo, exec_lo, s2
	s_cbranch_vccnz .LBB451_35
; %bb.3:
	s_load_b32 s30, s[0:1], 0x68
	s_lshr_b32 s6, ttmp7, 16
	s_wait_kmcnt 0x0
	s_cmp_ge_u32 s6, s30
	s_cbranch_scc1 .LBB451_35
; %bb.4:
	s_clause 0x3
	s_load_b256 s[8:15], s[0:1], 0x18
	s_load_b128 s[16:19], s[0:1], 0x38
	s_load_b128 s[20:23], s[0:1], 0x50
	s_load_b64 s[28:29], s[0:1], 0x60
	v_bfe_u32 v5, v0, 10, 10
	s_load_b32 s3, s[0:1], 0x0
	s_lshl_b32 s0, ttmp7, 5
	v_and_b32_e32 v2, 0x3ff, v0
	s_and_b32 s0, s0, 0x1fffe0
	v_and_b32_e32 v14, 7, v0
	v_add_nc_u32_e32 v20, s0, v5
	s_lshl_b32 s2, ttmp9, 5
	v_lshl_add_u32 v0, v5, 4, v2
	s_cmp_neq_f32 s26, 0
	v_cmp_gt_i64_e64 s36, s[24:25], 0
	v_add_nc_u32_e32 v21, 16, v20
	v_lshl_add_u32 v19, v5, 5, 0x400
	v_lshrrev_b32_e32 v15, 5, v0
	v_lshrrev_b32_e32 v1, 3, v0
	v_and_b32_e32 v0, 31, v0
	s_cselect_b32 s35, -1, 0
	s_cmp_neq_f32 s27, 0
	s_wait_kmcnt 0x0
	v_mad_co_u64_u32 v[10:11], null, s22, v21, 0
	v_lshlrev_b32_e32 v3, 2, v14
	v_mad_co_u64_u32 v[8:9], null, s22, v20, 0
	v_or_b32_e32 v6, s2, v0
	v_add_nc_u32_e32 v13, s0, v1
	v_lshlrev_b32_e32 v0, 2, v0
	v_lshl_or_b32 v1, v1, 5, v3
	v_cmp_gt_i32_e32 vcc_lo, s3, v20
	v_ashrrev_i32_e32 v7, 31, v6
	v_cmp_gt_i32_e64 s0, s3, v6
	v_lshl_or_b32 v16, v15, 7, v0
	v_add_nc_u32_e32 v17, 0x400, v1
	v_dual_mov_b32 v1, 0 :: v_dual_mov_b32 v0, v9
	v_lshlrev_b32_e32 v18, 2, v2
	v_add_nc_u32_e32 v2, s2, v2
	v_cmp_gt_i32_e64 s1, s3, v13
	s_cselect_b32 s22, -1, 0
	v_mad_co_u64_u32 v[3:4], null, s23, v20, v[0:1]
	v_mov_b32_e32 v0, v11
	v_cmp_le_i32_e64 s2, v2, v20
	v_add_nc_u32_e32 v4, 16, v2
	v_cmp_gt_i32_e64 s3, s3, v21
	v_cmp_le_i32_e64 s4, v2, v21
	v_mad_co_u64_u32 v[11:12], null, s23, v21, v[0:1]
	v_mov_b32_e32 v9, v3
	s_and_b32 s31, vcc_lo, s2
	v_cmp_le_i32_e64 s2, v4, v20
	v_cmp_le_i32_e64 s5, v4, v21
	v_lshlrev_b64_e32 v[6:7], 2, v[6:7]
	v_lshlrev_b64_e32 v[8:9], 2, v[8:9]
	v_lshlrev_b64_e32 v[10:11], 2, v[10:11]
	v_ashrrev_i32_e32 v3, 31, v2
	v_ashrrev_i32_e32 v5, 31, v4
	v_lshlrev_b32_e32 v20, 2, v13
	s_mov_b32 s7, 0
	s_and_b32 s23, vcc_lo, s2
	s_and_b32 s33, s3, s4
	s_and_b32 s34, s3, s5
	;; [unrolled: 1-line block ×3, first 2 shown]
	s_lshl_b64 s[2:3], s[18:19], 2
	s_lshl_b64 s[4:5], s[12:13], 2
	;; [unrolled: 1-line block ×3, first 2 shown]
	s_branch .LBB451_6
.LBB451_5:                              ;   in Loop: Header=BB451_6 Depth=1
	s_wait_alu 0xfffe
	s_or_b32 exec_lo, exec_lo, s18
	s_add_co_i32 s6, s6, 0x10000
	s_delay_alu instid0(SALU_CYCLE_1)
	s_cmp_lt_u32 s6, s30
	s_cbranch_scc0 .LBB451_35
.LBB451_6:                              ; =>This Loop Header: Depth=1
                                        ;     Child Loop BB451_9 Depth 2
	s_lshl_b64 s[18:19], s[6:7], 3
	v_dual_mov_b32 v24, v1 :: v_dual_mov_b32 v23, v1
	s_wait_alu 0xfffe
	s_add_nc_u64 s[28:29], s[20:21], s[18:19]
	v_dual_mov_b32 v22, v1 :: v_dual_mov_b32 v21, v1
	global_load_b64 v[12:13], v1, s[28:29]
	s_and_not1_b32 vcc_lo, exec_lo, s35
	s_wait_alu 0xfffe
	s_cbranch_vccnz .LBB451_15
; %bb.7:                                ;   in Loop: Header=BB451_6 Depth=1
	s_add_nc_u64 s[28:29], s[8:9], s[18:19]
	s_add_nc_u64 s[18:19], s[14:15], s[18:19]
	s_clause 0x1
	global_load_b64 v[24:25], v1, s[28:29]
	global_load_b64 v[26:27], v1, s[18:19]
	v_dual_mov_b32 v21, 0 :: v_dual_mov_b32 v22, 0
	v_mov_b32_e32 v23, 0
	s_mov_b64 s[18:19], 0
	s_wait_loadcnt 0x1
	v_add_co_u32 v0, vcc_lo, v24, s4
	s_wait_alu 0xfffd
	v_add_co_ci_u32_e64 v24, null, s5, v25, vcc_lo
	s_wait_loadcnt 0x0
	v_add_co_u32 v28, vcc_lo, v26, s2
	s_wait_alu 0xfffd
	v_add_co_ci_u32_e64 v29, null, s3, v27, vcc_lo
	v_add_co_u32 v25, vcc_lo, v0, v6
	s_wait_alu 0xfffd
	v_add_co_ci_u32_e64 v26, null, v24, v7, vcc_lo
	;; [unrolled: 3-line block ×3, first 2 shown]
	v_mov_b32_e32 v24, 0
	s_branch .LBB451_9
.LBB451_8:                              ;   in Loop: Header=BB451_9 Depth=2
	s_or_b32 exec_lo, exec_lo, s28
	s_wait_loadcnt_dscnt 0x0
	ds_store_b32 v17, v30
	s_wait_dscnt 0x0
	s_barrier_signal -1
	s_barrier_wait -1
	global_inv scope:SCOPE_SE
	ds_load_b128 v[29:32], v19
	ds_load_2addr_b32 v[45:46], v18 offset1:16
	ds_load_b128 v[33:36], v19 offset:512
	ds_load_2addr_b32 v[47:48], v18 offset0:32 offset1:48
	ds_load_2addr_b32 v[49:50], v18 offset0:64 offset1:80
	;; [unrolled: 1-line block ×3, first 2 shown]
	ds_load_b128 v[37:40], v19 offset:16
	ds_load_2addr_b32 v[53:54], v18 offset0:128 offset1:144
	ds_load_b128 v[41:44], v19 offset:528
	ds_load_2addr_b32 v[55:56], v18 offset0:160 offset1:176
	s_add_nc_u64 s[18:19], s[18:19], 8
	s_wait_alu 0xfffe
	v_cmp_gt_i64_e64 s28, s[24:25], s[18:19]
	s_and_b32 vcc_lo, exec_lo, s28
	s_wait_dscnt 0x8
	v_fmac_f32_e32 v23, v46, v29
	v_fmac_f32_e32 v24, v45, v29
	s_wait_dscnt 0x7
	v_fmac_f32_e32 v21, v46, v33
	v_fmac_f32_e32 v22, v45, v33
	ds_load_2addr_b32 v[45:46], v18 offset0:192 offset1:208
	s_wait_dscnt 0x7
	v_fmac_f32_e32 v23, v48, v30
	v_fmac_f32_e32 v24, v47, v30
	v_fmac_f32_e32 v21, v48, v34
	v_fmac_f32_e32 v22, v47, v34
	ds_load_2addr_b32 v[29:30], v18 offset0:224 offset1:240
	s_wait_dscnt 0x7
	v_fmac_f32_e32 v23, v50, v31
	v_fmac_f32_e32 v24, v49, v31
	;; [unrolled: 1-line block ×4, first 2 shown]
	s_wait_loadcnt_dscnt 0x0
	v_fmac_f32_e32 v23, v52, v32
	v_fmac_f32_e32 v24, v51, v32
	;; [unrolled: 1-line block ×4, first 2 shown]
	s_barrier_signal -1
	v_fmac_f32_e32 v23, v54, v37
	v_fmac_f32_e32 v24, v53, v37
	;; [unrolled: 1-line block ×4, first 2 shown]
	s_barrier_wait -1
	v_fmac_f32_e32 v23, v56, v38
	v_fmac_f32_e32 v24, v55, v38
	;; [unrolled: 1-line block ×4, first 2 shown]
	global_inv scope:SCOPE_SE
	v_fmac_f32_e32 v23, v46, v39
	v_fmac_f32_e32 v24, v45, v39
	;; [unrolled: 1-line block ×3, first 2 shown]
	s_delay_alu instid0(VALU_DEP_3) | instskip(NEXT) | instid1(VALU_DEP_3)
	v_dual_fmac_f32 v22, v45, v43 :: v_dual_fmac_f32 v23, v30, v40
	v_fmac_f32_e32 v24, v29, v40
	s_delay_alu instid0(VALU_DEP_3) | instskip(NEXT) | instid1(VALU_DEP_3)
	v_fmac_f32_e32 v21, v30, v44
	v_fmac_f32_e32 v22, v29, v44
	s_wait_alu 0xfffe
	s_cbranch_vccz .LBB451_15
.LBB451_9:                              ;   Parent Loop BB451_6 Depth=1
                                        ; =>  This Inner Loop Header: Depth=2
	v_mov_b32_e32 v29, 0
	s_and_saveexec_b32 s28, s0
	s_cbranch_execz .LBB451_13
; %bb.10:                               ;   in Loop: Header=BB451_9 Depth=2
	s_wait_alu 0xfffe
	v_dual_mov_b32 v29, 0 :: v_dual_add_nc_u32 v0, s18, v15
	s_mov_b32 s29, exec_lo
	s_delay_alu instid0(VALU_DEP_1)
	v_cmpx_gt_u64_e64 s[24:25], v[0:1]
	s_cbranch_execz .LBB451_12
; %bb.11:                               ;   in Loop: Header=BB451_9 Depth=2
	v_mad_co_u64_u32 v[29:30], null, s10, v0, 0
	s_delay_alu instid0(VALU_DEP_1) | instskip(NEXT) | instid1(VALU_DEP_1)
	v_mad_co_u64_u32 v[30:31], null, s11, v0, v[30:31]
	v_lshlrev_b64_e32 v[29:30], 2, v[29:30]
	s_delay_alu instid0(VALU_DEP_1) | instskip(SKIP_1) | instid1(VALU_DEP_2)
	v_add_co_u32 v29, vcc_lo, v25, v29
	s_wait_alu 0xfffd
	v_add_co_ci_u32_e64 v30, null, v26, v30, vcc_lo
	flat_load_b32 v29, v[29:30]
.LBB451_12:                             ;   in Loop: Header=BB451_9 Depth=2
	s_or_b32 exec_lo, exec_lo, s29
.LBB451_13:                             ;   in Loop: Header=BB451_9 Depth=2
	s_delay_alu instid0(SALU_CYCLE_1)
	s_or_b32 exec_lo, exec_lo, s28
	s_wait_alu 0xfffe
	v_add_nc_u32_e32 v0, s18, v14
	v_mov_b32_e32 v30, 0
	s_wait_loadcnt_dscnt 0x0
	ds_store_b32 v16, v29
	v_cmp_gt_u64_e32 vcc_lo, s[24:25], v[0:1]
	s_and_b32 s29, vcc_lo, s1
	s_delay_alu instid0(SALU_CYCLE_1)
	s_and_saveexec_b32 s28, s29
	s_cbranch_execz .LBB451_8
; %bb.14:                               ;   in Loop: Header=BB451_9 Depth=2
	v_mad_co_u64_u32 v[29:30], null, s16, v0, 0
	s_delay_alu instid0(VALU_DEP_1) | instskip(NEXT) | instid1(VALU_DEP_1)
	v_mad_co_u64_u32 v[30:31], null, s17, v0, v[30:31]
	v_lshlrev_b64_e32 v[29:30], 2, v[29:30]
	s_delay_alu instid0(VALU_DEP_1) | instskip(SKIP_1) | instid1(VALU_DEP_2)
	v_add_co_u32 v29, vcc_lo, v27, v29
	s_wait_alu 0xfffd
	v_add_co_ci_u32_e64 v30, null, v28, v30, vcc_lo
	flat_load_b32 v30, v[29:30]
	s_branch .LBB451_8
.LBB451_15:                             ;   in Loop: Header=BB451_6 Depth=1
	s_wait_loadcnt 0x0
	v_add_co_u32 v0, vcc_lo, v12, s12
	s_wait_alu 0xfffd
	v_add_co_ci_u32_e64 v12, null, s13, v13, vcc_lo
	s_delay_alu instid0(VALU_DEP_2) | instskip(SKIP_1) | instid1(VALU_DEP_2)
	v_add_co_u32 v13, vcc_lo, v0, v8
	s_wait_alu 0xfffd
	v_add_co_ci_u32_e64 v25, null, v12, v9, vcc_lo
	s_and_saveexec_b32 s18, s31
	s_cbranch_execz .LBB451_19
; %bb.16:                               ;   in Loop: Header=BB451_6 Depth=1
	v_mul_f32_e32 v24, s26, v24
	s_wait_alu 0xfffe
	s_and_b32 vcc_lo, exec_lo, s22
	s_wait_alu 0xfffe
	s_cbranch_vccz .LBB451_30
; %bb.17:                               ;   in Loop: Header=BB451_6 Depth=1
	v_lshlrev_b64_e32 v[26:27], 2, v[2:3]
	s_delay_alu instid0(VALU_DEP_1) | instskip(SKIP_1) | instid1(VALU_DEP_2)
	v_add_co_u32 v26, vcc_lo, v13, v26
	s_wait_alu 0xfffd
	v_add_co_ci_u32_e64 v27, null, v25, v27, vcc_lo
	flat_load_b32 v28, v[26:27]
	s_wait_loadcnt_dscnt 0x0
	v_fma_f32 v28, s27, v28, v24
	flat_store_b32 v[26:27], v28
	s_cbranch_execnz .LBB451_19
.LBB451_18:                             ;   in Loop: Header=BB451_6 Depth=1
	v_lshlrev_b64_e32 v[26:27], 2, v[2:3]
	s_delay_alu instid0(VALU_DEP_1) | instskip(SKIP_1) | instid1(VALU_DEP_2)
	v_add_co_u32 v26, vcc_lo, v13, v26
	s_wait_alu 0xfffd
	v_add_co_ci_u32_e64 v27, null, v25, v27, vcc_lo
	flat_store_b32 v[26:27], v24
.LBB451_19:                             ;   in Loop: Header=BB451_6 Depth=1
	s_wait_alu 0xfffe
	s_or_b32 exec_lo, exec_lo, s18
	s_and_saveexec_b32 s18, s23
	s_cbranch_execz .LBB451_23
; %bb.20:                               ;   in Loop: Header=BB451_6 Depth=1
	v_mul_f32_e32 v23, s26, v23
	s_and_not1_b32 vcc_lo, exec_lo, s22
	s_wait_alu 0xfffe
	s_cbranch_vccnz .LBB451_31
; %bb.21:                               ;   in Loop: Header=BB451_6 Depth=1
	v_lshlrev_b64_e32 v[26:27], 2, v[4:5]
	s_delay_alu instid0(VALU_DEP_1) | instskip(SKIP_1) | instid1(VALU_DEP_2)
	v_add_co_u32 v26, vcc_lo, v13, v26
	s_wait_alu 0xfffd
	v_add_co_ci_u32_e64 v27, null, v25, v27, vcc_lo
	flat_load_b32 v24, v[26:27]
	s_wait_loadcnt_dscnt 0x0
	v_fma_f32 v24, s27, v24, v23
	flat_store_b32 v[26:27], v24
	s_cbranch_execnz .LBB451_23
.LBB451_22:                             ;   in Loop: Header=BB451_6 Depth=1
	v_lshlrev_b64_e32 v[26:27], 2, v[4:5]
	s_delay_alu instid0(VALU_DEP_1) | instskip(SKIP_1) | instid1(VALU_DEP_2)
	v_add_co_u32 v24, vcc_lo, v13, v26
	s_wait_alu 0xfffd
	v_add_co_ci_u32_e64 v25, null, v25, v27, vcc_lo
	flat_store_b32 v[24:25], v23
.LBB451_23:                             ;   in Loop: Header=BB451_6 Depth=1
	s_wait_alu 0xfffe
	s_or_b32 exec_lo, exec_lo, s18
	v_add_co_u32 v0, vcc_lo, v0, v10
	s_wait_alu 0xfffd
	v_add_co_ci_u32_e64 v23, null, v12, v11, vcc_lo
	s_and_saveexec_b32 s18, s33
	s_cbranch_execz .LBB451_27
; %bb.24:                               ;   in Loop: Header=BB451_6 Depth=1
	v_lshlrev_b64_e32 v[12:13], 2, v[2:3]
	v_mul_f32_e32 v22, s26, v22
	s_and_not1_b32 vcc_lo, exec_lo, s22
	s_wait_alu 0xfffe
	s_cbranch_vccnz .LBB451_32
; %bb.25:                               ;   in Loop: Header=BB451_6 Depth=1
	s_delay_alu instid0(VALU_DEP_2)
	v_add_co_u32 v24, vcc_lo, v0, v12
	s_wait_alu 0xfffd
	v_add_co_ci_u32_e64 v25, null, v23, v13, vcc_lo
	flat_load_b32 v26, v[24:25]
	s_wait_loadcnt_dscnt 0x0
	v_fma_f32 v26, s27, v26, v22
	flat_store_b32 v[24:25], v26
	s_cbranch_execnz .LBB451_27
.LBB451_26:                             ;   in Loop: Header=BB451_6 Depth=1
	v_add_co_u32 v12, vcc_lo, v0, v12
	s_wait_alu 0xfffd
	v_add_co_ci_u32_e64 v13, null, v23, v13, vcc_lo
	flat_store_b32 v[12:13], v22
.LBB451_27:                             ;   in Loop: Header=BB451_6 Depth=1
	s_wait_alu 0xfffe
	s_or_b32 exec_lo, exec_lo, s18
	s_and_saveexec_b32 s18, s34
	s_cbranch_execz .LBB451_5
; %bb.28:                               ;   in Loop: Header=BB451_6 Depth=1
	v_lshlrev_b64_e32 v[12:13], 2, v[4:5]
	v_mul_f32_e32 v21, s26, v21
	s_and_not1_b32 vcc_lo, exec_lo, s22
	s_wait_alu 0xfffe
	s_cbranch_vccnz .LBB451_33
; %bb.29:                               ;   in Loop: Header=BB451_6 Depth=1
	s_delay_alu instid0(VALU_DEP_2)
	v_add_co_u32 v24, vcc_lo, v0, v12
	s_wait_alu 0xfffd
	v_add_co_ci_u32_e64 v25, null, v23, v13, vcc_lo
	flat_load_b32 v22, v[24:25]
	s_wait_loadcnt_dscnt 0x0
	v_fma_f32 v22, s27, v22, v21
	flat_store_b32 v[24:25], v22
	s_cbranch_execnz .LBB451_5
	s_branch .LBB451_34
.LBB451_30:                             ;   in Loop: Header=BB451_6 Depth=1
	s_branch .LBB451_18
.LBB451_31:                             ;   in Loop: Header=BB451_6 Depth=1
	s_branch .LBB451_22
.LBB451_32:                             ;   in Loop: Header=BB451_6 Depth=1
	s_branch .LBB451_26
.LBB451_33:                             ;   in Loop: Header=BB451_6 Depth=1
.LBB451_34:                             ;   in Loop: Header=BB451_6 Depth=1
	s_delay_alu instid0(VALU_DEP_2)
	v_add_co_u32 v12, vcc_lo, v0, v12
	s_wait_alu 0xfffd
	v_add_co_ci_u32_e64 v13, null, v23, v13, vcc_lo
	flat_store_b32 v[12:13], v21
	s_branch .LBB451_5
.LBB451_35:
	s_endpgm
	.section	.rodata,"a",@progbits
	.p2align	6, 0x0
	.amdhsa_kernel _ZL29rocblas_internal_gemmt_kernelIlLi16ELi32ELi8ELc78ELc84ELc85ELb0ELb0EffPKPKfPKPfEviT_T9_T10_S7_lS9_S7_lS8_T11_S7_li
		.amdhsa_group_segment_fixed_size 2048
		.amdhsa_private_segment_fixed_size 0
		.amdhsa_kernarg_size 108
		.amdhsa_user_sgpr_count 2
		.amdhsa_user_sgpr_dispatch_ptr 0
		.amdhsa_user_sgpr_queue_ptr 0
		.amdhsa_user_sgpr_kernarg_segment_ptr 1
		.amdhsa_user_sgpr_dispatch_id 0
		.amdhsa_user_sgpr_private_segment_size 0
		.amdhsa_wavefront_size32 1
		.amdhsa_uses_dynamic_stack 0
		.amdhsa_enable_private_segment 0
		.amdhsa_system_sgpr_workgroup_id_x 1
		.amdhsa_system_sgpr_workgroup_id_y 1
		.amdhsa_system_sgpr_workgroup_id_z 1
		.amdhsa_system_sgpr_workgroup_info 0
		.amdhsa_system_vgpr_workitem_id 1
		.amdhsa_next_free_vgpr 57
		.amdhsa_next_free_sgpr 37
		.amdhsa_reserve_vcc 1
		.amdhsa_float_round_mode_32 0
		.amdhsa_float_round_mode_16_64 0
		.amdhsa_float_denorm_mode_32 3
		.amdhsa_float_denorm_mode_16_64 3
		.amdhsa_fp16_overflow 0
		.amdhsa_workgroup_processor_mode 1
		.amdhsa_memory_ordered 1
		.amdhsa_forward_progress 1
		.amdhsa_inst_pref_size 15
		.amdhsa_round_robin_scheduling 0
		.amdhsa_exception_fp_ieee_invalid_op 0
		.amdhsa_exception_fp_denorm_src 0
		.amdhsa_exception_fp_ieee_div_zero 0
		.amdhsa_exception_fp_ieee_overflow 0
		.amdhsa_exception_fp_ieee_underflow 0
		.amdhsa_exception_fp_ieee_inexact 0
		.amdhsa_exception_int_div_zero 0
	.end_amdhsa_kernel
	.section	.text._ZL29rocblas_internal_gemmt_kernelIlLi16ELi32ELi8ELc78ELc84ELc85ELb0ELb0EffPKPKfPKPfEviT_T9_T10_S7_lS9_S7_lS8_T11_S7_li,"axG",@progbits,_ZL29rocblas_internal_gemmt_kernelIlLi16ELi32ELi8ELc78ELc84ELc85ELb0ELb0EffPKPKfPKPfEviT_T9_T10_S7_lS9_S7_lS8_T11_S7_li,comdat
.Lfunc_end451:
	.size	_ZL29rocblas_internal_gemmt_kernelIlLi16ELi32ELi8ELc78ELc84ELc85ELb0ELb0EffPKPKfPKPfEviT_T9_T10_S7_lS9_S7_lS8_T11_S7_li, .Lfunc_end451-_ZL29rocblas_internal_gemmt_kernelIlLi16ELi32ELi8ELc78ELc84ELc85ELb0ELb0EffPKPKfPKPfEviT_T9_T10_S7_lS9_S7_lS8_T11_S7_li
                                        ; -- End function
	.set _ZL29rocblas_internal_gemmt_kernelIlLi16ELi32ELi8ELc78ELc84ELc85ELb0ELb0EffPKPKfPKPfEviT_T9_T10_S7_lS9_S7_lS8_T11_S7_li.num_vgpr, 57
	.set _ZL29rocblas_internal_gemmt_kernelIlLi16ELi32ELi8ELc78ELc84ELc85ELb0ELb0EffPKPKfPKPfEviT_T9_T10_S7_lS9_S7_lS8_T11_S7_li.num_agpr, 0
	.set _ZL29rocblas_internal_gemmt_kernelIlLi16ELi32ELi8ELc78ELc84ELc85ELb0ELb0EffPKPKfPKPfEviT_T9_T10_S7_lS9_S7_lS8_T11_S7_li.numbered_sgpr, 37
	.set _ZL29rocblas_internal_gemmt_kernelIlLi16ELi32ELi8ELc78ELc84ELc85ELb0ELb0EffPKPKfPKPfEviT_T9_T10_S7_lS9_S7_lS8_T11_S7_li.num_named_barrier, 0
	.set _ZL29rocblas_internal_gemmt_kernelIlLi16ELi32ELi8ELc78ELc84ELc85ELb0ELb0EffPKPKfPKPfEviT_T9_T10_S7_lS9_S7_lS8_T11_S7_li.private_seg_size, 0
	.set _ZL29rocblas_internal_gemmt_kernelIlLi16ELi32ELi8ELc78ELc84ELc85ELb0ELb0EffPKPKfPKPfEviT_T9_T10_S7_lS9_S7_lS8_T11_S7_li.uses_vcc, 1
	.set _ZL29rocblas_internal_gemmt_kernelIlLi16ELi32ELi8ELc78ELc84ELc85ELb0ELb0EffPKPKfPKPfEviT_T9_T10_S7_lS9_S7_lS8_T11_S7_li.uses_flat_scratch, 0
	.set _ZL29rocblas_internal_gemmt_kernelIlLi16ELi32ELi8ELc78ELc84ELc85ELb0ELb0EffPKPKfPKPfEviT_T9_T10_S7_lS9_S7_lS8_T11_S7_li.has_dyn_sized_stack, 0
	.set _ZL29rocblas_internal_gemmt_kernelIlLi16ELi32ELi8ELc78ELc84ELc85ELb0ELb0EffPKPKfPKPfEviT_T9_T10_S7_lS9_S7_lS8_T11_S7_li.has_recursion, 0
	.set _ZL29rocblas_internal_gemmt_kernelIlLi16ELi32ELi8ELc78ELc84ELc85ELb0ELb0EffPKPKfPKPfEviT_T9_T10_S7_lS9_S7_lS8_T11_S7_li.has_indirect_call, 0
	.section	.AMDGPU.csdata,"",@progbits
; Kernel info:
; codeLenInByte = 1908
; TotalNumSgprs: 39
; NumVgprs: 57
; ScratchSize: 0
; MemoryBound: 0
; FloatMode: 240
; IeeeMode: 1
; LDSByteSize: 2048 bytes/workgroup (compile time only)
; SGPRBlocks: 0
; VGPRBlocks: 7
; NumSGPRsForWavesPerEU: 39
; NumVGPRsForWavesPerEU: 57
; Occupancy: 16
; WaveLimiterHint : 1
; COMPUTE_PGM_RSRC2:SCRATCH_EN: 0
; COMPUTE_PGM_RSRC2:USER_SGPR: 2
; COMPUTE_PGM_RSRC2:TRAP_HANDLER: 0
; COMPUTE_PGM_RSRC2:TGID_X_EN: 1
; COMPUTE_PGM_RSRC2:TGID_Y_EN: 1
; COMPUTE_PGM_RSRC2:TGID_Z_EN: 1
; COMPUTE_PGM_RSRC2:TIDIG_COMP_CNT: 1
	.section	.text._ZL29rocblas_internal_gemmt_kernelIlLi16ELi32ELi8ELc78ELc67ELc85ELb0ELb0EffPKPKfPKPfEviT_T9_T10_S7_lS9_S7_lS8_T11_S7_li,"axG",@progbits,_ZL29rocblas_internal_gemmt_kernelIlLi16ELi32ELi8ELc78ELc67ELc85ELb0ELb0EffPKPKfPKPfEviT_T9_T10_S7_lS9_S7_lS8_T11_S7_li,comdat
	.globl	_ZL29rocblas_internal_gemmt_kernelIlLi16ELi32ELi8ELc78ELc67ELc85ELb0ELb0EffPKPKfPKPfEviT_T9_T10_S7_lS9_S7_lS8_T11_S7_li ; -- Begin function _ZL29rocblas_internal_gemmt_kernelIlLi16ELi32ELi8ELc78ELc67ELc85ELb0ELb0EffPKPKfPKPfEviT_T9_T10_S7_lS9_S7_lS8_T11_S7_li
	.p2align	8
	.type	_ZL29rocblas_internal_gemmt_kernelIlLi16ELi32ELi8ELc78ELc67ELc85ELb0ELb0EffPKPKfPKPfEviT_T9_T10_S7_lS9_S7_lS8_T11_S7_li,@function
_ZL29rocblas_internal_gemmt_kernelIlLi16ELi32ELi8ELc78ELc67ELc85ELb0ELb0EffPKPKfPKPfEviT_T9_T10_S7_lS9_S7_lS8_T11_S7_li: ; @_ZL29rocblas_internal_gemmt_kernelIlLi16ELi32ELi8ELc78ELc67ELc85ELb0ELb0EffPKPKfPKPfEviT_T9_T10_S7_lS9_S7_lS8_T11_S7_li
; %bb.0:
	s_clause 0x1
	s_load_b32 s27, s[0:1], 0x48
	s_load_b96 s[24:26], s[0:1], 0x8
	s_wait_kmcnt 0x0
	s_cmp_neq_f32 s27, 1.0
	s_cselect_b32 s2, -1, 0
	s_delay_alu instid0(SALU_CYCLE_1)
	s_and_b32 vcc_lo, exec_lo, s2
	s_cbranch_vccnz .LBB452_2
; %bb.1:
	s_cmp_lg_u64 s[24:25], 0
	s_cselect_b32 s2, -1, 0
	s_cmp_neq_f32 s26, 0
	s_cselect_b32 s3, -1, 0
	s_delay_alu instid0(SALU_CYCLE_1)
	s_and_b32 s2, s2, s3
.LBB452_2:
	s_delay_alu instid0(SALU_CYCLE_1)
	s_and_not1_b32 vcc_lo, exec_lo, s2
	s_cbranch_vccnz .LBB452_35
; %bb.3:
	s_load_b32 s30, s[0:1], 0x68
	s_lshr_b32 s6, ttmp7, 16
	s_wait_kmcnt 0x0
	s_cmp_ge_u32 s6, s30
	s_cbranch_scc1 .LBB452_35
; %bb.4:
	s_clause 0x3
	s_load_b256 s[8:15], s[0:1], 0x18
	s_load_b128 s[16:19], s[0:1], 0x38
	s_load_b128 s[20:23], s[0:1], 0x50
	s_load_b64 s[28:29], s[0:1], 0x60
	v_bfe_u32 v5, v0, 10, 10
	s_load_b32 s3, s[0:1], 0x0
	s_lshl_b32 s0, ttmp7, 5
	v_and_b32_e32 v2, 0x3ff, v0
	s_and_b32 s0, s0, 0x1fffe0
	v_and_b32_e32 v14, 7, v0
	v_add_nc_u32_e32 v20, s0, v5
	s_lshl_b32 s2, ttmp9, 5
	v_lshl_add_u32 v0, v5, 4, v2
	s_cmp_neq_f32 s26, 0
	v_cmp_gt_i64_e64 s36, s[24:25], 0
	v_add_nc_u32_e32 v21, 16, v20
	v_lshl_add_u32 v19, v5, 5, 0x400
	v_lshrrev_b32_e32 v15, 5, v0
	v_lshrrev_b32_e32 v1, 3, v0
	v_and_b32_e32 v0, 31, v0
	s_cselect_b32 s35, -1, 0
	s_cmp_neq_f32 s27, 0
	s_wait_kmcnt 0x0
	v_mad_co_u64_u32 v[10:11], null, s22, v21, 0
	v_lshlrev_b32_e32 v3, 2, v14
	v_mad_co_u64_u32 v[8:9], null, s22, v20, 0
	v_or_b32_e32 v6, s2, v0
	v_add_nc_u32_e32 v13, s0, v1
	v_lshlrev_b32_e32 v0, 2, v0
	v_lshl_or_b32 v1, v1, 5, v3
	v_cmp_gt_i32_e32 vcc_lo, s3, v20
	v_ashrrev_i32_e32 v7, 31, v6
	v_cmp_gt_i32_e64 s0, s3, v6
	v_lshl_or_b32 v16, v15, 7, v0
	v_add_nc_u32_e32 v17, 0x400, v1
	v_dual_mov_b32 v1, 0 :: v_dual_mov_b32 v0, v9
	v_lshlrev_b32_e32 v18, 2, v2
	v_add_nc_u32_e32 v2, s2, v2
	v_cmp_gt_i32_e64 s1, s3, v13
	s_cselect_b32 s22, -1, 0
	v_mad_co_u64_u32 v[3:4], null, s23, v20, v[0:1]
	v_mov_b32_e32 v0, v11
	v_cmp_le_i32_e64 s2, v2, v20
	v_add_nc_u32_e32 v4, 16, v2
	v_cmp_gt_i32_e64 s3, s3, v21
	v_cmp_le_i32_e64 s4, v2, v21
	v_mad_co_u64_u32 v[11:12], null, s23, v21, v[0:1]
	v_mov_b32_e32 v9, v3
	s_and_b32 s31, vcc_lo, s2
	v_cmp_le_i32_e64 s2, v4, v20
	v_cmp_le_i32_e64 s5, v4, v21
	v_lshlrev_b64_e32 v[6:7], 2, v[6:7]
	v_lshlrev_b64_e32 v[8:9], 2, v[8:9]
	;; [unrolled: 1-line block ×3, first 2 shown]
	v_ashrrev_i32_e32 v3, 31, v2
	v_ashrrev_i32_e32 v5, 31, v4
	v_lshlrev_b32_e32 v20, 2, v13
	s_mov_b32 s7, 0
	s_and_b32 s23, vcc_lo, s2
	s_and_b32 s33, s3, s4
	s_and_b32 s34, s3, s5
	;; [unrolled: 1-line block ×3, first 2 shown]
	s_lshl_b64 s[2:3], s[18:19], 2
	s_lshl_b64 s[4:5], s[12:13], 2
	;; [unrolled: 1-line block ×3, first 2 shown]
	s_branch .LBB452_6
.LBB452_5:                              ;   in Loop: Header=BB452_6 Depth=1
	s_wait_alu 0xfffe
	s_or_b32 exec_lo, exec_lo, s18
	s_add_co_i32 s6, s6, 0x10000
	s_delay_alu instid0(SALU_CYCLE_1)
	s_cmp_lt_u32 s6, s30
	s_cbranch_scc0 .LBB452_35
.LBB452_6:                              ; =>This Loop Header: Depth=1
                                        ;     Child Loop BB452_9 Depth 2
	s_lshl_b64 s[18:19], s[6:7], 3
	v_dual_mov_b32 v24, v1 :: v_dual_mov_b32 v23, v1
	s_wait_alu 0xfffe
	s_add_nc_u64 s[28:29], s[20:21], s[18:19]
	v_dual_mov_b32 v22, v1 :: v_dual_mov_b32 v21, v1
	global_load_b64 v[12:13], v1, s[28:29]
	s_and_not1_b32 vcc_lo, exec_lo, s35
	s_wait_alu 0xfffe
	s_cbranch_vccnz .LBB452_15
; %bb.7:                                ;   in Loop: Header=BB452_6 Depth=1
	s_add_nc_u64 s[28:29], s[8:9], s[18:19]
	s_add_nc_u64 s[18:19], s[14:15], s[18:19]
	s_clause 0x1
	global_load_b64 v[24:25], v1, s[28:29]
	global_load_b64 v[26:27], v1, s[18:19]
	v_dual_mov_b32 v21, 0 :: v_dual_mov_b32 v22, 0
	v_mov_b32_e32 v23, 0
	s_mov_b64 s[18:19], 0
	s_wait_loadcnt 0x1
	v_add_co_u32 v0, vcc_lo, v24, s4
	s_wait_alu 0xfffd
	v_add_co_ci_u32_e64 v24, null, s5, v25, vcc_lo
	s_wait_loadcnt 0x0
	v_add_co_u32 v28, vcc_lo, v26, s2
	s_wait_alu 0xfffd
	v_add_co_ci_u32_e64 v29, null, s3, v27, vcc_lo
	v_add_co_u32 v25, vcc_lo, v0, v6
	s_wait_alu 0xfffd
	v_add_co_ci_u32_e64 v26, null, v24, v7, vcc_lo
	;; [unrolled: 3-line block ×3, first 2 shown]
	v_mov_b32_e32 v24, 0
	s_branch .LBB452_9
.LBB452_8:                              ;   in Loop: Header=BB452_9 Depth=2
	s_or_b32 exec_lo, exec_lo, s28
	s_wait_loadcnt_dscnt 0x0
	ds_store_b32 v17, v30
	s_wait_dscnt 0x0
	s_barrier_signal -1
	s_barrier_wait -1
	global_inv scope:SCOPE_SE
	ds_load_b128 v[29:32], v19
	ds_load_2addr_b32 v[45:46], v18 offset1:16
	ds_load_b128 v[33:36], v19 offset:512
	ds_load_2addr_b32 v[47:48], v18 offset0:32 offset1:48
	ds_load_2addr_b32 v[49:50], v18 offset0:64 offset1:80
	;; [unrolled: 1-line block ×3, first 2 shown]
	ds_load_b128 v[37:40], v19 offset:16
	ds_load_2addr_b32 v[53:54], v18 offset0:128 offset1:144
	ds_load_b128 v[41:44], v19 offset:528
	ds_load_2addr_b32 v[55:56], v18 offset0:160 offset1:176
	s_add_nc_u64 s[18:19], s[18:19], 8
	s_wait_alu 0xfffe
	v_cmp_gt_i64_e64 s28, s[24:25], s[18:19]
	s_and_b32 vcc_lo, exec_lo, s28
	s_wait_dscnt 0x8
	v_fmac_f32_e32 v23, v46, v29
	v_fmac_f32_e32 v24, v45, v29
	s_wait_dscnt 0x7
	v_fmac_f32_e32 v21, v46, v33
	v_fmac_f32_e32 v22, v45, v33
	ds_load_2addr_b32 v[45:46], v18 offset0:192 offset1:208
	s_wait_dscnt 0x7
	v_fmac_f32_e32 v23, v48, v30
	v_fmac_f32_e32 v24, v47, v30
	;; [unrolled: 1-line block ×4, first 2 shown]
	ds_load_2addr_b32 v[29:30], v18 offset0:224 offset1:240
	s_wait_dscnt 0x7
	v_fmac_f32_e32 v23, v50, v31
	v_fmac_f32_e32 v24, v49, v31
	;; [unrolled: 1-line block ×4, first 2 shown]
	s_wait_loadcnt_dscnt 0x0
	v_fmac_f32_e32 v23, v52, v32
	v_fmac_f32_e32 v24, v51, v32
	;; [unrolled: 1-line block ×4, first 2 shown]
	s_barrier_signal -1
	v_fmac_f32_e32 v23, v54, v37
	v_fmac_f32_e32 v24, v53, v37
	;; [unrolled: 1-line block ×4, first 2 shown]
	s_barrier_wait -1
	v_fmac_f32_e32 v23, v56, v38
	v_fmac_f32_e32 v24, v55, v38
	;; [unrolled: 1-line block ×4, first 2 shown]
	global_inv scope:SCOPE_SE
	v_fmac_f32_e32 v23, v46, v39
	v_fmac_f32_e32 v24, v45, v39
	;; [unrolled: 1-line block ×3, first 2 shown]
	s_delay_alu instid0(VALU_DEP_3) | instskip(NEXT) | instid1(VALU_DEP_3)
	v_dual_fmac_f32 v22, v45, v43 :: v_dual_fmac_f32 v23, v30, v40
	v_fmac_f32_e32 v24, v29, v40
	s_delay_alu instid0(VALU_DEP_3) | instskip(NEXT) | instid1(VALU_DEP_3)
	v_fmac_f32_e32 v21, v30, v44
	v_fmac_f32_e32 v22, v29, v44
	s_wait_alu 0xfffe
	s_cbranch_vccz .LBB452_15
.LBB452_9:                              ;   Parent Loop BB452_6 Depth=1
                                        ; =>  This Inner Loop Header: Depth=2
	v_mov_b32_e32 v29, 0
	s_and_saveexec_b32 s28, s0
	s_cbranch_execz .LBB452_13
; %bb.10:                               ;   in Loop: Header=BB452_9 Depth=2
	s_wait_alu 0xfffe
	v_dual_mov_b32 v29, 0 :: v_dual_add_nc_u32 v0, s18, v15
	s_mov_b32 s29, exec_lo
	s_delay_alu instid0(VALU_DEP_1)
	v_cmpx_gt_u64_e64 s[24:25], v[0:1]
	s_cbranch_execz .LBB452_12
; %bb.11:                               ;   in Loop: Header=BB452_9 Depth=2
	v_mad_co_u64_u32 v[29:30], null, s10, v0, 0
	s_delay_alu instid0(VALU_DEP_1) | instskip(NEXT) | instid1(VALU_DEP_1)
	v_mad_co_u64_u32 v[30:31], null, s11, v0, v[30:31]
	v_lshlrev_b64_e32 v[29:30], 2, v[29:30]
	s_delay_alu instid0(VALU_DEP_1) | instskip(SKIP_1) | instid1(VALU_DEP_2)
	v_add_co_u32 v29, vcc_lo, v25, v29
	s_wait_alu 0xfffd
	v_add_co_ci_u32_e64 v30, null, v26, v30, vcc_lo
	flat_load_b32 v29, v[29:30]
.LBB452_12:                             ;   in Loop: Header=BB452_9 Depth=2
	s_or_b32 exec_lo, exec_lo, s29
.LBB452_13:                             ;   in Loop: Header=BB452_9 Depth=2
	s_delay_alu instid0(SALU_CYCLE_1)
	s_or_b32 exec_lo, exec_lo, s28
	s_wait_alu 0xfffe
	v_add_nc_u32_e32 v0, s18, v14
	v_mov_b32_e32 v30, 0
	s_wait_loadcnt_dscnt 0x0
	ds_store_b32 v16, v29
	v_cmp_gt_u64_e32 vcc_lo, s[24:25], v[0:1]
	s_and_b32 s29, vcc_lo, s1
	s_delay_alu instid0(SALU_CYCLE_1)
	s_and_saveexec_b32 s28, s29
	s_cbranch_execz .LBB452_8
; %bb.14:                               ;   in Loop: Header=BB452_9 Depth=2
	v_mad_co_u64_u32 v[29:30], null, s16, v0, 0
	s_delay_alu instid0(VALU_DEP_1) | instskip(NEXT) | instid1(VALU_DEP_1)
	v_mad_co_u64_u32 v[30:31], null, s17, v0, v[30:31]
	v_lshlrev_b64_e32 v[29:30], 2, v[29:30]
	s_delay_alu instid0(VALU_DEP_1) | instskip(SKIP_1) | instid1(VALU_DEP_2)
	v_add_co_u32 v29, vcc_lo, v27, v29
	s_wait_alu 0xfffd
	v_add_co_ci_u32_e64 v30, null, v28, v30, vcc_lo
	flat_load_b32 v30, v[29:30]
	s_branch .LBB452_8
.LBB452_15:                             ;   in Loop: Header=BB452_6 Depth=1
	s_wait_loadcnt 0x0
	v_add_co_u32 v0, vcc_lo, v12, s12
	s_wait_alu 0xfffd
	v_add_co_ci_u32_e64 v12, null, s13, v13, vcc_lo
	s_delay_alu instid0(VALU_DEP_2) | instskip(SKIP_1) | instid1(VALU_DEP_2)
	v_add_co_u32 v13, vcc_lo, v0, v8
	s_wait_alu 0xfffd
	v_add_co_ci_u32_e64 v25, null, v12, v9, vcc_lo
	s_and_saveexec_b32 s18, s31
	s_cbranch_execz .LBB452_19
; %bb.16:                               ;   in Loop: Header=BB452_6 Depth=1
	v_mul_f32_e32 v24, s26, v24
	s_wait_alu 0xfffe
	s_and_b32 vcc_lo, exec_lo, s22
	s_wait_alu 0xfffe
	s_cbranch_vccz .LBB452_30
; %bb.17:                               ;   in Loop: Header=BB452_6 Depth=1
	v_lshlrev_b64_e32 v[26:27], 2, v[2:3]
	s_delay_alu instid0(VALU_DEP_1) | instskip(SKIP_1) | instid1(VALU_DEP_2)
	v_add_co_u32 v26, vcc_lo, v13, v26
	s_wait_alu 0xfffd
	v_add_co_ci_u32_e64 v27, null, v25, v27, vcc_lo
	flat_load_b32 v28, v[26:27]
	s_wait_loadcnt_dscnt 0x0
	v_fma_f32 v28, s27, v28, v24
	flat_store_b32 v[26:27], v28
	s_cbranch_execnz .LBB452_19
.LBB452_18:                             ;   in Loop: Header=BB452_6 Depth=1
	v_lshlrev_b64_e32 v[26:27], 2, v[2:3]
	s_delay_alu instid0(VALU_DEP_1) | instskip(SKIP_1) | instid1(VALU_DEP_2)
	v_add_co_u32 v26, vcc_lo, v13, v26
	s_wait_alu 0xfffd
	v_add_co_ci_u32_e64 v27, null, v25, v27, vcc_lo
	flat_store_b32 v[26:27], v24
.LBB452_19:                             ;   in Loop: Header=BB452_6 Depth=1
	s_wait_alu 0xfffe
	s_or_b32 exec_lo, exec_lo, s18
	s_and_saveexec_b32 s18, s23
	s_cbranch_execz .LBB452_23
; %bb.20:                               ;   in Loop: Header=BB452_6 Depth=1
	v_mul_f32_e32 v23, s26, v23
	s_and_not1_b32 vcc_lo, exec_lo, s22
	s_wait_alu 0xfffe
	s_cbranch_vccnz .LBB452_31
; %bb.21:                               ;   in Loop: Header=BB452_6 Depth=1
	v_lshlrev_b64_e32 v[26:27], 2, v[4:5]
	s_delay_alu instid0(VALU_DEP_1) | instskip(SKIP_1) | instid1(VALU_DEP_2)
	v_add_co_u32 v26, vcc_lo, v13, v26
	s_wait_alu 0xfffd
	v_add_co_ci_u32_e64 v27, null, v25, v27, vcc_lo
	flat_load_b32 v24, v[26:27]
	s_wait_loadcnt_dscnt 0x0
	v_fma_f32 v24, s27, v24, v23
	flat_store_b32 v[26:27], v24
	s_cbranch_execnz .LBB452_23
.LBB452_22:                             ;   in Loop: Header=BB452_6 Depth=1
	v_lshlrev_b64_e32 v[26:27], 2, v[4:5]
	s_delay_alu instid0(VALU_DEP_1) | instskip(SKIP_1) | instid1(VALU_DEP_2)
	v_add_co_u32 v24, vcc_lo, v13, v26
	s_wait_alu 0xfffd
	v_add_co_ci_u32_e64 v25, null, v25, v27, vcc_lo
	flat_store_b32 v[24:25], v23
.LBB452_23:                             ;   in Loop: Header=BB452_6 Depth=1
	s_wait_alu 0xfffe
	s_or_b32 exec_lo, exec_lo, s18
	v_add_co_u32 v0, vcc_lo, v0, v10
	s_wait_alu 0xfffd
	v_add_co_ci_u32_e64 v23, null, v12, v11, vcc_lo
	s_and_saveexec_b32 s18, s33
	s_cbranch_execz .LBB452_27
; %bb.24:                               ;   in Loop: Header=BB452_6 Depth=1
	v_lshlrev_b64_e32 v[12:13], 2, v[2:3]
	v_mul_f32_e32 v22, s26, v22
	s_and_not1_b32 vcc_lo, exec_lo, s22
	s_wait_alu 0xfffe
	s_cbranch_vccnz .LBB452_32
; %bb.25:                               ;   in Loop: Header=BB452_6 Depth=1
	s_delay_alu instid0(VALU_DEP_2)
	v_add_co_u32 v24, vcc_lo, v0, v12
	s_wait_alu 0xfffd
	v_add_co_ci_u32_e64 v25, null, v23, v13, vcc_lo
	flat_load_b32 v26, v[24:25]
	s_wait_loadcnt_dscnt 0x0
	v_fma_f32 v26, s27, v26, v22
	flat_store_b32 v[24:25], v26
	s_cbranch_execnz .LBB452_27
.LBB452_26:                             ;   in Loop: Header=BB452_6 Depth=1
	v_add_co_u32 v12, vcc_lo, v0, v12
	s_wait_alu 0xfffd
	v_add_co_ci_u32_e64 v13, null, v23, v13, vcc_lo
	flat_store_b32 v[12:13], v22
.LBB452_27:                             ;   in Loop: Header=BB452_6 Depth=1
	s_wait_alu 0xfffe
	s_or_b32 exec_lo, exec_lo, s18
	s_and_saveexec_b32 s18, s34
	s_cbranch_execz .LBB452_5
; %bb.28:                               ;   in Loop: Header=BB452_6 Depth=1
	v_lshlrev_b64_e32 v[12:13], 2, v[4:5]
	v_mul_f32_e32 v21, s26, v21
	s_and_not1_b32 vcc_lo, exec_lo, s22
	s_wait_alu 0xfffe
	s_cbranch_vccnz .LBB452_33
; %bb.29:                               ;   in Loop: Header=BB452_6 Depth=1
	s_delay_alu instid0(VALU_DEP_2)
	v_add_co_u32 v24, vcc_lo, v0, v12
	s_wait_alu 0xfffd
	v_add_co_ci_u32_e64 v25, null, v23, v13, vcc_lo
	flat_load_b32 v22, v[24:25]
	s_wait_loadcnt_dscnt 0x0
	v_fma_f32 v22, s27, v22, v21
	flat_store_b32 v[24:25], v22
	s_cbranch_execnz .LBB452_5
	s_branch .LBB452_34
.LBB452_30:                             ;   in Loop: Header=BB452_6 Depth=1
	s_branch .LBB452_18
.LBB452_31:                             ;   in Loop: Header=BB452_6 Depth=1
	s_branch .LBB452_22
.LBB452_32:                             ;   in Loop: Header=BB452_6 Depth=1
	s_branch .LBB452_26
.LBB452_33:                             ;   in Loop: Header=BB452_6 Depth=1
.LBB452_34:                             ;   in Loop: Header=BB452_6 Depth=1
	s_delay_alu instid0(VALU_DEP_2)
	v_add_co_u32 v12, vcc_lo, v0, v12
	s_wait_alu 0xfffd
	v_add_co_ci_u32_e64 v13, null, v23, v13, vcc_lo
	flat_store_b32 v[12:13], v21
	s_branch .LBB452_5
.LBB452_35:
	s_endpgm
	.section	.rodata,"a",@progbits
	.p2align	6, 0x0
	.amdhsa_kernel _ZL29rocblas_internal_gemmt_kernelIlLi16ELi32ELi8ELc78ELc67ELc85ELb0ELb0EffPKPKfPKPfEviT_T9_T10_S7_lS9_S7_lS8_T11_S7_li
		.amdhsa_group_segment_fixed_size 2048
		.amdhsa_private_segment_fixed_size 0
		.amdhsa_kernarg_size 108
		.amdhsa_user_sgpr_count 2
		.amdhsa_user_sgpr_dispatch_ptr 0
		.amdhsa_user_sgpr_queue_ptr 0
		.amdhsa_user_sgpr_kernarg_segment_ptr 1
		.amdhsa_user_sgpr_dispatch_id 0
		.amdhsa_user_sgpr_private_segment_size 0
		.amdhsa_wavefront_size32 1
		.amdhsa_uses_dynamic_stack 0
		.amdhsa_enable_private_segment 0
		.amdhsa_system_sgpr_workgroup_id_x 1
		.amdhsa_system_sgpr_workgroup_id_y 1
		.amdhsa_system_sgpr_workgroup_id_z 1
		.amdhsa_system_sgpr_workgroup_info 0
		.amdhsa_system_vgpr_workitem_id 1
		.amdhsa_next_free_vgpr 57
		.amdhsa_next_free_sgpr 37
		.amdhsa_reserve_vcc 1
		.amdhsa_float_round_mode_32 0
		.amdhsa_float_round_mode_16_64 0
		.amdhsa_float_denorm_mode_32 3
		.amdhsa_float_denorm_mode_16_64 3
		.amdhsa_fp16_overflow 0
		.amdhsa_workgroup_processor_mode 1
		.amdhsa_memory_ordered 1
		.amdhsa_forward_progress 1
		.amdhsa_inst_pref_size 15
		.amdhsa_round_robin_scheduling 0
		.amdhsa_exception_fp_ieee_invalid_op 0
		.amdhsa_exception_fp_denorm_src 0
		.amdhsa_exception_fp_ieee_div_zero 0
		.amdhsa_exception_fp_ieee_overflow 0
		.amdhsa_exception_fp_ieee_underflow 0
		.amdhsa_exception_fp_ieee_inexact 0
		.amdhsa_exception_int_div_zero 0
	.end_amdhsa_kernel
	.section	.text._ZL29rocblas_internal_gemmt_kernelIlLi16ELi32ELi8ELc78ELc67ELc85ELb0ELb0EffPKPKfPKPfEviT_T9_T10_S7_lS9_S7_lS8_T11_S7_li,"axG",@progbits,_ZL29rocblas_internal_gemmt_kernelIlLi16ELi32ELi8ELc78ELc67ELc85ELb0ELb0EffPKPKfPKPfEviT_T9_T10_S7_lS9_S7_lS8_T11_S7_li,comdat
.Lfunc_end452:
	.size	_ZL29rocblas_internal_gemmt_kernelIlLi16ELi32ELi8ELc78ELc67ELc85ELb0ELb0EffPKPKfPKPfEviT_T9_T10_S7_lS9_S7_lS8_T11_S7_li, .Lfunc_end452-_ZL29rocblas_internal_gemmt_kernelIlLi16ELi32ELi8ELc78ELc67ELc85ELb0ELb0EffPKPKfPKPfEviT_T9_T10_S7_lS9_S7_lS8_T11_S7_li
                                        ; -- End function
	.set _ZL29rocblas_internal_gemmt_kernelIlLi16ELi32ELi8ELc78ELc67ELc85ELb0ELb0EffPKPKfPKPfEviT_T9_T10_S7_lS9_S7_lS8_T11_S7_li.num_vgpr, 57
	.set _ZL29rocblas_internal_gemmt_kernelIlLi16ELi32ELi8ELc78ELc67ELc85ELb0ELb0EffPKPKfPKPfEviT_T9_T10_S7_lS9_S7_lS8_T11_S7_li.num_agpr, 0
	.set _ZL29rocblas_internal_gemmt_kernelIlLi16ELi32ELi8ELc78ELc67ELc85ELb0ELb0EffPKPKfPKPfEviT_T9_T10_S7_lS9_S7_lS8_T11_S7_li.numbered_sgpr, 37
	.set _ZL29rocblas_internal_gemmt_kernelIlLi16ELi32ELi8ELc78ELc67ELc85ELb0ELb0EffPKPKfPKPfEviT_T9_T10_S7_lS9_S7_lS8_T11_S7_li.num_named_barrier, 0
	.set _ZL29rocblas_internal_gemmt_kernelIlLi16ELi32ELi8ELc78ELc67ELc85ELb0ELb0EffPKPKfPKPfEviT_T9_T10_S7_lS9_S7_lS8_T11_S7_li.private_seg_size, 0
	.set _ZL29rocblas_internal_gemmt_kernelIlLi16ELi32ELi8ELc78ELc67ELc85ELb0ELb0EffPKPKfPKPfEviT_T9_T10_S7_lS9_S7_lS8_T11_S7_li.uses_vcc, 1
	.set _ZL29rocblas_internal_gemmt_kernelIlLi16ELi32ELi8ELc78ELc67ELc85ELb0ELb0EffPKPKfPKPfEviT_T9_T10_S7_lS9_S7_lS8_T11_S7_li.uses_flat_scratch, 0
	.set _ZL29rocblas_internal_gemmt_kernelIlLi16ELi32ELi8ELc78ELc67ELc85ELb0ELb0EffPKPKfPKPfEviT_T9_T10_S7_lS9_S7_lS8_T11_S7_li.has_dyn_sized_stack, 0
	.set _ZL29rocblas_internal_gemmt_kernelIlLi16ELi32ELi8ELc78ELc67ELc85ELb0ELb0EffPKPKfPKPfEviT_T9_T10_S7_lS9_S7_lS8_T11_S7_li.has_recursion, 0
	.set _ZL29rocblas_internal_gemmt_kernelIlLi16ELi32ELi8ELc78ELc67ELc85ELb0ELb0EffPKPKfPKPfEviT_T9_T10_S7_lS9_S7_lS8_T11_S7_li.has_indirect_call, 0
	.section	.AMDGPU.csdata,"",@progbits
; Kernel info:
; codeLenInByte = 1908
; TotalNumSgprs: 39
; NumVgprs: 57
; ScratchSize: 0
; MemoryBound: 0
; FloatMode: 240
; IeeeMode: 1
; LDSByteSize: 2048 bytes/workgroup (compile time only)
; SGPRBlocks: 0
; VGPRBlocks: 7
; NumSGPRsForWavesPerEU: 39
; NumVGPRsForWavesPerEU: 57
; Occupancy: 16
; WaveLimiterHint : 1
; COMPUTE_PGM_RSRC2:SCRATCH_EN: 0
; COMPUTE_PGM_RSRC2:USER_SGPR: 2
; COMPUTE_PGM_RSRC2:TRAP_HANDLER: 0
; COMPUTE_PGM_RSRC2:TGID_X_EN: 1
; COMPUTE_PGM_RSRC2:TGID_Y_EN: 1
; COMPUTE_PGM_RSRC2:TGID_Z_EN: 1
; COMPUTE_PGM_RSRC2:TIDIG_COMP_CNT: 1
	.section	.text._ZL29rocblas_internal_gemmt_kernelIlLi16ELi32ELi8ELc84ELc78ELc85ELb0ELb0EffPKPKfPKPfEviT_T9_T10_S7_lS9_S7_lS8_T11_S7_li,"axG",@progbits,_ZL29rocblas_internal_gemmt_kernelIlLi16ELi32ELi8ELc84ELc78ELc85ELb0ELb0EffPKPKfPKPfEviT_T9_T10_S7_lS9_S7_lS8_T11_S7_li,comdat
	.globl	_ZL29rocblas_internal_gemmt_kernelIlLi16ELi32ELi8ELc84ELc78ELc85ELb0ELb0EffPKPKfPKPfEviT_T9_T10_S7_lS9_S7_lS8_T11_S7_li ; -- Begin function _ZL29rocblas_internal_gemmt_kernelIlLi16ELi32ELi8ELc84ELc78ELc85ELb0ELb0EffPKPKfPKPfEviT_T9_T10_S7_lS9_S7_lS8_T11_S7_li
	.p2align	8
	.type	_ZL29rocblas_internal_gemmt_kernelIlLi16ELi32ELi8ELc84ELc78ELc85ELb0ELb0EffPKPKfPKPfEviT_T9_T10_S7_lS9_S7_lS8_T11_S7_li,@function
_ZL29rocblas_internal_gemmt_kernelIlLi16ELi32ELi8ELc84ELc78ELc85ELb0ELb0EffPKPKfPKPfEviT_T9_T10_S7_lS9_S7_lS8_T11_S7_li: ; @_ZL29rocblas_internal_gemmt_kernelIlLi16ELi32ELi8ELc84ELc78ELc85ELb0ELb0EffPKPKfPKPfEviT_T9_T10_S7_lS9_S7_lS8_T11_S7_li
; %bb.0:
	s_clause 0x1
	s_load_b32 s23, s[0:1], 0x48
	s_load_b96 s[20:22], s[0:1], 0x8
	s_wait_kmcnt 0x0
	s_cmp_neq_f32 s23, 1.0
	s_cselect_b32 s2, -1, 0
	s_delay_alu instid0(SALU_CYCLE_1)
	s_and_b32 vcc_lo, exec_lo, s2
	s_cbranch_vccnz .LBB453_2
; %bb.1:
	s_cmp_lg_u64 s[20:21], 0
	s_cselect_b32 s2, -1, 0
	s_cmp_neq_f32 s22, 0
	s_cselect_b32 s3, -1, 0
	s_delay_alu instid0(SALU_CYCLE_1)
	s_and_b32 s2, s2, s3
.LBB453_2:
	s_delay_alu instid0(SALU_CYCLE_1)
	s_and_not1_b32 vcc_lo, exec_lo, s2
	s_cbranch_vccnz .LBB453_35
; %bb.3:
	s_load_b32 s28, s[0:1], 0x68
	s_lshr_b32 s24, ttmp7, 16
	s_wait_kmcnt 0x0
	s_cmp_ge_u32 s24, s28
	s_cbranch_scc1 .LBB453_35
; %bb.4:
	v_and_b32_e32 v2, 0x3ff, v0
	v_bfe_u32 v3, v0, 10, 10
	s_clause 0x4
	s_load_b128 s[4:7], s[0:1], 0x38
	s_load_b32 s3, s[0:1], 0x0
	s_load_b256 s[8:15], s[0:1], 0x18
	s_load_b128 s[16:19], s[0:1], 0x50
	s_load_b64 s[26:27], s[0:1], 0x60
	s_lshl_b32 s0, ttmp7, 5
	v_and_b32_e32 v16, 7, v0
	v_lshl_add_u32 v1, v3, 4, v2
	s_and_b32 s1, s0, 0x1fffe0
	s_lshl_b32 s2, ttmp9, 5
	v_add_nc_u32_e32 v14, s1, v3
	v_lshlrev_b32_e32 v10, 2, v16
	v_lshrrev_b32_e32 v4, 3, v1
	v_and_b32_e32 v0, 31, v1
	v_lshrrev_b32_e32 v17, 5, v1
	s_cmp_neq_f32 s22, 0
	v_add_nc_u32_e32 v15, 16, v14
	v_add_nc_u32_e32 v5, s1, v4
	v_or_b32_e32 v1, s2, v0
	v_lshlrev_b32_e32 v12, 2, v0
	s_cselect_b32 s33, -1, 0
	v_lshl_add_u32 v21, v3, 5, 0x400
	s_wait_kmcnt 0x0
	v_mad_co_u64_u32 v[8:9], null, s4, v5, 0
	v_cmp_gt_i32_e64 s0, s3, v1
	v_mul_lo_u32 v13, s11, v1
	v_mad_co_u64_u32 v[6:7], null, s10, v1, 0
	s_ashr_i32 s4, s2, 31
	s_cmp_neq_f32 s23, 0
	v_mov_b32_e32 v0, v9
	s_wait_alu 0xfffe
	s_mul_i32 s4, s10, s4
	v_cmp_gt_i32_e64 s1, s3, v5
	v_cmp_gt_i64_e64 s34, s[20:21], 0
	s_wait_alu 0xfffe
	v_add3_u32 v7, v7, s4, v13
	v_mad_co_u64_u32 v[0:1], null, s5, v5, v[0:1]
	v_lshl_or_b32 v1, v4, 5, v10
	v_mad_co_u64_u32 v[10:11], null, s18, v14, 0
	s_delay_alu instid0(VALU_DEP_4) | instskip(SKIP_1) | instid1(VALU_DEP_3)
	v_lshlrev_b64_e32 v[6:7], 2, v[6:7]
	s_mov_b32 s25, 0
	v_add_nc_u32_e32 v19, 0x400, v1
	v_dual_mov_b32 v9, v0 :: v_dual_lshlrev_b32 v20, 2, v2
	s_delay_alu instid0(VALU_DEP_4) | instskip(NEXT) | instid1(VALU_DEP_2)
	v_dual_mov_b32 v1, v11 :: v_dual_add_nc_u32 v0, s2, v2
	v_lshlrev_b64_e32 v[8:9], 2, v[8:9]
	s_delay_alu instid0(VALU_DEP_2) | instskip(NEXT) | instid1(VALU_DEP_3)
	v_cmp_le_i32_e64 s4, v0, v15
	v_mad_co_u64_u32 v[1:2], null, s19, v14, v[1:2]
	v_add_nc_u32_e32 v2, 16, v0
	s_delay_alu instid0(VALU_DEP_1) | instskip(NEXT) | instid1(VALU_DEP_3)
	v_cmp_le_i32_e64 s5, v2, v15
	v_mov_b32_e32 v11, v1
	v_lshl_or_b32 v18, v17, 7, v12
	v_mad_co_u64_u32 v[12:13], null, s18, v15, 0
	s_cselect_b32 s18, -1, 0
	v_lshlrev_b64_e32 v[10:11], 2, v[10:11]
	v_ashrrev_i32_e32 v1, 31, v0
	s_and_b32 s33, s33, s34
	v_mov_b32_e32 v3, v13
	s_delay_alu instid0(VALU_DEP_1)
	v_mad_co_u64_u32 v[4:5], null, s19, v15, v[3:4]
	v_mov_b32_e32 v5, 0
	v_cmp_gt_i32_e32 vcc_lo, s3, v14
	v_cmp_le_i32_e64 s2, v0, v14
	v_cmp_gt_i32_e64 s3, s3, v15
	v_ashrrev_i32_e32 v3, 31, v2
	v_mov_b32_e32 v13, v4
	s_and_b32 s29, vcc_lo, s2
	v_cmp_le_i32_e64 s2, v2, v14
	s_and_b32 s30, s3, s4
	s_and_b32 s31, s3, s5
	v_lshlrev_b64_e32 v[12:13], 2, v[12:13]
	s_lshl_b64 s[4:5], s[12:13], 2
	s_and_b32 s19, vcc_lo, s2
	s_lshl_b64 s[2:3], s[6:7], 2
	s_lshl_b64 s[6:7], s[26:27], 2
	s_branch .LBB453_6
.LBB453_5:                              ;   in Loop: Header=BB453_6 Depth=1
	s_wait_alu 0xfffe
	s_or_b32 exec_lo, exec_lo, s10
	s_add_co_i32 s24, s24, 0x10000
	s_delay_alu instid0(SALU_CYCLE_1)
	s_cmp_lt_u32 s24, s28
	s_cbranch_scc0 .LBB453_35
.LBB453_6:                              ; =>This Loop Header: Depth=1
                                        ;     Child Loop BB453_9 Depth 2
	s_lshl_b64 s[10:11], s[24:25], 3
	v_dual_mov_b32 v25, v5 :: v_dual_mov_b32 v24, v5
	s_wait_alu 0xfffe
	s_add_nc_u64 s[12:13], s[16:17], s[10:11]
	v_dual_mov_b32 v23, v5 :: v_dual_mov_b32 v22, v5
	global_load_b64 v[14:15], v5, s[12:13]
	s_and_not1_b32 vcc_lo, exec_lo, s33
	s_wait_alu 0xfffe
	s_cbranch_vccnz .LBB453_15
; %bb.7:                                ;   in Loop: Header=BB453_6 Depth=1
	s_add_nc_u64 s[12:13], s[8:9], s[10:11]
	s_add_nc_u64 s[10:11], s[14:15], s[10:11]
	s_clause 0x1
	global_load_b64 v[25:26], v5, s[12:13]
	global_load_b64 v[27:28], v5, s[10:11]
	v_dual_mov_b32 v22, 0 :: v_dual_mov_b32 v23, 0
	v_mov_b32_e32 v24, 0
	s_mov_b64 s[10:11], 0
	s_wait_loadcnt 0x1
	v_add_co_u32 v4, vcc_lo, v25, s4
	s_wait_alu 0xfffd
	v_add_co_ci_u32_e64 v25, null, s5, v26, vcc_lo
	s_wait_loadcnt 0x0
	v_add_co_u32 v29, vcc_lo, v27, s2
	s_wait_alu 0xfffd
	v_add_co_ci_u32_e64 v30, null, s3, v28, vcc_lo
	v_add_co_u32 v26, vcc_lo, v4, v6
	s_wait_alu 0xfffd
	v_add_co_ci_u32_e64 v27, null, v25, v7, vcc_lo
	;; [unrolled: 3-line block ×3, first 2 shown]
	v_mov_b32_e32 v25, 0
	s_branch .LBB453_9
.LBB453_8:                              ;   in Loop: Header=BB453_9 Depth=2
	s_or_b32 exec_lo, exec_lo, s12
	s_wait_loadcnt_dscnt 0x0
	ds_store_b32 v19, v31
	s_wait_dscnt 0x0
	s_barrier_signal -1
	s_barrier_wait -1
	global_inv scope:SCOPE_SE
	ds_load_b128 v[30:33], v21
	ds_load_2addr_b32 v[46:47], v20 offset1:16
	ds_load_b128 v[34:37], v21 offset:512
	ds_load_2addr_b32 v[48:49], v20 offset0:32 offset1:48
	ds_load_2addr_b32 v[50:51], v20 offset0:64 offset1:80
	;; [unrolled: 1-line block ×3, first 2 shown]
	ds_load_b128 v[38:41], v21 offset:16
	ds_load_2addr_b32 v[54:55], v20 offset0:128 offset1:144
	ds_load_b128 v[42:45], v21 offset:528
	ds_load_2addr_b32 v[56:57], v20 offset0:160 offset1:176
	s_add_nc_u64 s[10:11], s[10:11], 8
	s_wait_alu 0xfffe
	v_cmp_gt_i64_e64 s12, s[20:21], s[10:11]
	s_and_b32 vcc_lo, exec_lo, s12
	s_wait_dscnt 0x8
	v_fmac_f32_e32 v24, v47, v30
	v_fmac_f32_e32 v25, v46, v30
	s_wait_dscnt 0x7
	v_fmac_f32_e32 v22, v47, v34
	v_fmac_f32_e32 v23, v46, v34
	ds_load_2addr_b32 v[46:47], v20 offset0:192 offset1:208
	s_wait_dscnt 0x7
	v_fmac_f32_e32 v24, v49, v31
	v_fmac_f32_e32 v25, v48, v31
	;; [unrolled: 1-line block ×4, first 2 shown]
	ds_load_2addr_b32 v[30:31], v20 offset0:224 offset1:240
	s_wait_dscnt 0x7
	v_fmac_f32_e32 v24, v51, v32
	v_fmac_f32_e32 v25, v50, v32
	;; [unrolled: 1-line block ×4, first 2 shown]
	s_wait_loadcnt_dscnt 0x0
	v_fmac_f32_e32 v24, v53, v33
	v_fmac_f32_e32 v25, v52, v33
	;; [unrolled: 1-line block ×4, first 2 shown]
	s_barrier_signal -1
	v_fmac_f32_e32 v24, v55, v38
	v_fmac_f32_e32 v25, v54, v38
	;; [unrolled: 1-line block ×4, first 2 shown]
	s_barrier_wait -1
	v_fmac_f32_e32 v24, v57, v39
	v_fmac_f32_e32 v25, v56, v39
	;; [unrolled: 1-line block ×4, first 2 shown]
	global_inv scope:SCOPE_SE
	v_fmac_f32_e32 v24, v47, v40
	v_fmac_f32_e32 v25, v46, v40
	;; [unrolled: 1-line block ×3, first 2 shown]
	s_delay_alu instid0(VALU_DEP_3) | instskip(NEXT) | instid1(VALU_DEP_3)
	v_dual_fmac_f32 v23, v46, v44 :: v_dual_fmac_f32 v24, v31, v41
	v_fmac_f32_e32 v25, v30, v41
	s_delay_alu instid0(VALU_DEP_3) | instskip(NEXT) | instid1(VALU_DEP_3)
	v_fmac_f32_e32 v22, v31, v45
	v_fmac_f32_e32 v23, v30, v45
	s_wait_alu 0xfffe
	s_cbranch_vccz .LBB453_15
.LBB453_9:                              ;   Parent Loop BB453_6 Depth=1
                                        ; =>  This Inner Loop Header: Depth=2
	v_mov_b32_e32 v30, 0
	s_and_saveexec_b32 s12, s0
	s_cbranch_execz .LBB453_13
; %bb.10:                               ;   in Loop: Header=BB453_9 Depth=2
	s_wait_alu 0xfffe
	v_add_nc_u32_e32 v4, s10, v17
	v_mov_b32_e32 v30, 0
	s_mov_b32 s13, exec_lo
	s_delay_alu instid0(VALU_DEP_2)
	v_cmpx_gt_u64_e64 s[20:21], v[4:5]
	s_cbranch_execz .LBB453_12
; %bb.11:                               ;   in Loop: Header=BB453_9 Depth=2
	v_lshlrev_b64_e32 v[30:31], 2, v[4:5]
	s_delay_alu instid0(VALU_DEP_1) | instskip(SKIP_1) | instid1(VALU_DEP_2)
	v_add_co_u32 v30, vcc_lo, v26, v30
	s_wait_alu 0xfffd
	v_add_co_ci_u32_e64 v31, null, v27, v31, vcc_lo
	flat_load_b32 v30, v[30:31]
.LBB453_12:                             ;   in Loop: Header=BB453_9 Depth=2
	s_or_b32 exec_lo, exec_lo, s13
.LBB453_13:                             ;   in Loop: Header=BB453_9 Depth=2
	s_delay_alu instid0(SALU_CYCLE_1)
	s_or_b32 exec_lo, exec_lo, s12
	s_wait_alu 0xfffe
	v_dual_mov_b32 v31, 0 :: v_dual_add_nc_u32 v4, s10, v16
	s_wait_loadcnt_dscnt 0x0
	ds_store_b32 v18, v30
	v_cmp_gt_u64_e32 vcc_lo, s[20:21], v[4:5]
	s_and_b32 s13, vcc_lo, s1
	s_delay_alu instid0(SALU_CYCLE_1)
	s_and_saveexec_b32 s12, s13
	s_cbranch_execz .LBB453_8
; %bb.14:                               ;   in Loop: Header=BB453_9 Depth=2
	v_lshlrev_b64_e32 v[30:31], 2, v[4:5]
	s_delay_alu instid0(VALU_DEP_1) | instskip(SKIP_1) | instid1(VALU_DEP_2)
	v_add_co_u32 v30, vcc_lo, v28, v30
	s_wait_alu 0xfffd
	v_add_co_ci_u32_e64 v31, null, v29, v31, vcc_lo
	flat_load_b32 v31, v[30:31]
	s_branch .LBB453_8
.LBB453_15:                             ;   in Loop: Header=BB453_6 Depth=1
	s_wait_loadcnt 0x0
	v_add_co_u32 v4, vcc_lo, v14, s6
	s_wait_alu 0xfffd
	v_add_co_ci_u32_e64 v14, null, s7, v15, vcc_lo
	s_delay_alu instid0(VALU_DEP_2) | instskip(SKIP_1) | instid1(VALU_DEP_2)
	v_add_co_u32 v15, vcc_lo, v4, v10
	s_wait_alu 0xfffd
	v_add_co_ci_u32_e64 v26, null, v14, v11, vcc_lo
	s_and_saveexec_b32 s10, s29
	s_cbranch_execz .LBB453_19
; %bb.16:                               ;   in Loop: Header=BB453_6 Depth=1
	v_mul_f32_e32 v25, s22, v25
	s_and_b32 vcc_lo, exec_lo, s18
	s_wait_alu 0xfffe
	s_cbranch_vccz .LBB453_30
; %bb.17:                               ;   in Loop: Header=BB453_6 Depth=1
	v_lshlrev_b64_e32 v[27:28], 2, v[0:1]
	s_delay_alu instid0(VALU_DEP_1) | instskip(SKIP_1) | instid1(VALU_DEP_2)
	v_add_co_u32 v27, vcc_lo, v15, v27
	s_wait_alu 0xfffd
	v_add_co_ci_u32_e64 v28, null, v26, v28, vcc_lo
	flat_load_b32 v29, v[27:28]
	s_wait_loadcnt_dscnt 0x0
	v_fma_f32 v29, s23, v29, v25
	flat_store_b32 v[27:28], v29
	s_cbranch_execnz .LBB453_19
.LBB453_18:                             ;   in Loop: Header=BB453_6 Depth=1
	v_lshlrev_b64_e32 v[27:28], 2, v[0:1]
	s_delay_alu instid0(VALU_DEP_1) | instskip(SKIP_1) | instid1(VALU_DEP_2)
	v_add_co_u32 v27, vcc_lo, v15, v27
	s_wait_alu 0xfffd
	v_add_co_ci_u32_e64 v28, null, v26, v28, vcc_lo
	flat_store_b32 v[27:28], v25
.LBB453_19:                             ;   in Loop: Header=BB453_6 Depth=1
	s_wait_alu 0xfffe
	s_or_b32 exec_lo, exec_lo, s10
	s_and_saveexec_b32 s10, s19
	s_cbranch_execz .LBB453_23
; %bb.20:                               ;   in Loop: Header=BB453_6 Depth=1
	v_mul_f32_e32 v24, s22, v24
	s_and_not1_b32 vcc_lo, exec_lo, s18
	s_wait_alu 0xfffe
	s_cbranch_vccnz .LBB453_31
; %bb.21:                               ;   in Loop: Header=BB453_6 Depth=1
	v_lshlrev_b64_e32 v[27:28], 2, v[2:3]
	s_delay_alu instid0(VALU_DEP_1) | instskip(SKIP_1) | instid1(VALU_DEP_2)
	v_add_co_u32 v27, vcc_lo, v15, v27
	s_wait_alu 0xfffd
	v_add_co_ci_u32_e64 v28, null, v26, v28, vcc_lo
	flat_load_b32 v25, v[27:28]
	s_wait_loadcnt_dscnt 0x0
	v_fma_f32 v25, s23, v25, v24
	flat_store_b32 v[27:28], v25
	s_cbranch_execnz .LBB453_23
.LBB453_22:                             ;   in Loop: Header=BB453_6 Depth=1
	v_lshlrev_b64_e32 v[27:28], 2, v[2:3]
	s_delay_alu instid0(VALU_DEP_1) | instskip(SKIP_1) | instid1(VALU_DEP_2)
	v_add_co_u32 v25, vcc_lo, v15, v27
	s_wait_alu 0xfffd
	v_add_co_ci_u32_e64 v26, null, v26, v28, vcc_lo
	flat_store_b32 v[25:26], v24
.LBB453_23:                             ;   in Loop: Header=BB453_6 Depth=1
	s_wait_alu 0xfffe
	s_or_b32 exec_lo, exec_lo, s10
	v_add_co_u32 v4, vcc_lo, v4, v12
	s_wait_alu 0xfffd
	v_add_co_ci_u32_e64 v24, null, v14, v13, vcc_lo
	s_and_saveexec_b32 s10, s30
	s_cbranch_execz .LBB453_27
; %bb.24:                               ;   in Loop: Header=BB453_6 Depth=1
	v_lshlrev_b64_e32 v[14:15], 2, v[0:1]
	v_mul_f32_e32 v23, s22, v23
	s_and_not1_b32 vcc_lo, exec_lo, s18
	s_wait_alu 0xfffe
	s_cbranch_vccnz .LBB453_32
; %bb.25:                               ;   in Loop: Header=BB453_6 Depth=1
	s_delay_alu instid0(VALU_DEP_2)
	v_add_co_u32 v25, vcc_lo, v4, v14
	s_wait_alu 0xfffd
	v_add_co_ci_u32_e64 v26, null, v24, v15, vcc_lo
	flat_load_b32 v27, v[25:26]
	s_wait_loadcnt_dscnt 0x0
	v_fma_f32 v27, s23, v27, v23
	flat_store_b32 v[25:26], v27
	s_cbranch_execnz .LBB453_27
.LBB453_26:                             ;   in Loop: Header=BB453_6 Depth=1
	v_add_co_u32 v14, vcc_lo, v4, v14
	s_wait_alu 0xfffd
	v_add_co_ci_u32_e64 v15, null, v24, v15, vcc_lo
	flat_store_b32 v[14:15], v23
.LBB453_27:                             ;   in Loop: Header=BB453_6 Depth=1
	s_wait_alu 0xfffe
	s_or_b32 exec_lo, exec_lo, s10
	s_and_saveexec_b32 s10, s31
	s_cbranch_execz .LBB453_5
; %bb.28:                               ;   in Loop: Header=BB453_6 Depth=1
	v_lshlrev_b64_e32 v[14:15], 2, v[2:3]
	v_mul_f32_e32 v22, s22, v22
	s_and_not1_b32 vcc_lo, exec_lo, s18
	s_wait_alu 0xfffe
	s_cbranch_vccnz .LBB453_33
; %bb.29:                               ;   in Loop: Header=BB453_6 Depth=1
	s_delay_alu instid0(VALU_DEP_2)
	v_add_co_u32 v25, vcc_lo, v4, v14
	s_wait_alu 0xfffd
	v_add_co_ci_u32_e64 v26, null, v24, v15, vcc_lo
	flat_load_b32 v23, v[25:26]
	s_wait_loadcnt_dscnt 0x0
	v_fma_f32 v23, s23, v23, v22
	flat_store_b32 v[25:26], v23
	s_cbranch_execnz .LBB453_5
	s_branch .LBB453_34
.LBB453_30:                             ;   in Loop: Header=BB453_6 Depth=1
	s_branch .LBB453_18
.LBB453_31:                             ;   in Loop: Header=BB453_6 Depth=1
	s_branch .LBB453_22
.LBB453_32:                             ;   in Loop: Header=BB453_6 Depth=1
	s_branch .LBB453_26
.LBB453_33:                             ;   in Loop: Header=BB453_6 Depth=1
.LBB453_34:                             ;   in Loop: Header=BB453_6 Depth=1
	s_delay_alu instid0(VALU_DEP_2)
	v_add_co_u32 v14, vcc_lo, v4, v14
	s_wait_alu 0xfffd
	v_add_co_ci_u32_e64 v15, null, v24, v15, vcc_lo
	flat_store_b32 v[14:15], v22
	s_branch .LBB453_5
.LBB453_35:
	s_endpgm
	.section	.rodata,"a",@progbits
	.p2align	6, 0x0
	.amdhsa_kernel _ZL29rocblas_internal_gemmt_kernelIlLi16ELi32ELi8ELc84ELc78ELc85ELb0ELb0EffPKPKfPKPfEviT_T9_T10_S7_lS9_S7_lS8_T11_S7_li
		.amdhsa_group_segment_fixed_size 2048
		.amdhsa_private_segment_fixed_size 0
		.amdhsa_kernarg_size 108
		.amdhsa_user_sgpr_count 2
		.amdhsa_user_sgpr_dispatch_ptr 0
		.amdhsa_user_sgpr_queue_ptr 0
		.amdhsa_user_sgpr_kernarg_segment_ptr 1
		.amdhsa_user_sgpr_dispatch_id 0
		.amdhsa_user_sgpr_private_segment_size 0
		.amdhsa_wavefront_size32 1
		.amdhsa_uses_dynamic_stack 0
		.amdhsa_enable_private_segment 0
		.amdhsa_system_sgpr_workgroup_id_x 1
		.amdhsa_system_sgpr_workgroup_id_y 1
		.amdhsa_system_sgpr_workgroup_id_z 1
		.amdhsa_system_sgpr_workgroup_info 0
		.amdhsa_system_vgpr_workitem_id 1
		.amdhsa_next_free_vgpr 58
		.amdhsa_next_free_sgpr 35
		.amdhsa_reserve_vcc 1
		.amdhsa_float_round_mode_32 0
		.amdhsa_float_round_mode_16_64 0
		.amdhsa_float_denorm_mode_32 3
		.amdhsa_float_denorm_mode_16_64 3
		.amdhsa_fp16_overflow 0
		.amdhsa_workgroup_processor_mode 1
		.amdhsa_memory_ordered 1
		.amdhsa_forward_progress 1
		.amdhsa_inst_pref_size 16
		.amdhsa_round_robin_scheduling 0
		.amdhsa_exception_fp_ieee_invalid_op 0
		.amdhsa_exception_fp_denorm_src 0
		.amdhsa_exception_fp_ieee_div_zero 0
		.amdhsa_exception_fp_ieee_overflow 0
		.amdhsa_exception_fp_ieee_underflow 0
		.amdhsa_exception_fp_ieee_inexact 0
		.amdhsa_exception_int_div_zero 0
	.end_amdhsa_kernel
	.section	.text._ZL29rocblas_internal_gemmt_kernelIlLi16ELi32ELi8ELc84ELc78ELc85ELb0ELb0EffPKPKfPKPfEviT_T9_T10_S7_lS9_S7_lS8_T11_S7_li,"axG",@progbits,_ZL29rocblas_internal_gemmt_kernelIlLi16ELi32ELi8ELc84ELc78ELc85ELb0ELb0EffPKPKfPKPfEviT_T9_T10_S7_lS9_S7_lS8_T11_S7_li,comdat
.Lfunc_end453:
	.size	_ZL29rocblas_internal_gemmt_kernelIlLi16ELi32ELi8ELc84ELc78ELc85ELb0ELb0EffPKPKfPKPfEviT_T9_T10_S7_lS9_S7_lS8_T11_S7_li, .Lfunc_end453-_ZL29rocblas_internal_gemmt_kernelIlLi16ELi32ELi8ELc84ELc78ELc85ELb0ELb0EffPKPKfPKPfEviT_T9_T10_S7_lS9_S7_lS8_T11_S7_li
                                        ; -- End function
	.set _ZL29rocblas_internal_gemmt_kernelIlLi16ELi32ELi8ELc84ELc78ELc85ELb0ELb0EffPKPKfPKPfEviT_T9_T10_S7_lS9_S7_lS8_T11_S7_li.num_vgpr, 58
	.set _ZL29rocblas_internal_gemmt_kernelIlLi16ELi32ELi8ELc84ELc78ELc85ELb0ELb0EffPKPKfPKPfEviT_T9_T10_S7_lS9_S7_lS8_T11_S7_li.num_agpr, 0
	.set _ZL29rocblas_internal_gemmt_kernelIlLi16ELi32ELi8ELc84ELc78ELc85ELb0ELb0EffPKPKfPKPfEviT_T9_T10_S7_lS9_S7_lS8_T11_S7_li.numbered_sgpr, 35
	.set _ZL29rocblas_internal_gemmt_kernelIlLi16ELi32ELi8ELc84ELc78ELc85ELb0ELb0EffPKPKfPKPfEviT_T9_T10_S7_lS9_S7_lS8_T11_S7_li.num_named_barrier, 0
	.set _ZL29rocblas_internal_gemmt_kernelIlLi16ELi32ELi8ELc84ELc78ELc85ELb0ELb0EffPKPKfPKPfEviT_T9_T10_S7_lS9_S7_lS8_T11_S7_li.private_seg_size, 0
	.set _ZL29rocblas_internal_gemmt_kernelIlLi16ELi32ELi8ELc84ELc78ELc85ELb0ELb0EffPKPKfPKPfEviT_T9_T10_S7_lS9_S7_lS8_T11_S7_li.uses_vcc, 1
	.set _ZL29rocblas_internal_gemmt_kernelIlLi16ELi32ELi8ELc84ELc78ELc85ELb0ELb0EffPKPKfPKPfEviT_T9_T10_S7_lS9_S7_lS8_T11_S7_li.uses_flat_scratch, 0
	.set _ZL29rocblas_internal_gemmt_kernelIlLi16ELi32ELi8ELc84ELc78ELc85ELb0ELb0EffPKPKfPKPfEviT_T9_T10_S7_lS9_S7_lS8_T11_S7_li.has_dyn_sized_stack, 0
	.set _ZL29rocblas_internal_gemmt_kernelIlLi16ELi32ELi8ELc84ELc78ELc85ELb0ELb0EffPKPKfPKPfEviT_T9_T10_S7_lS9_S7_lS8_T11_S7_li.has_recursion, 0
	.set _ZL29rocblas_internal_gemmt_kernelIlLi16ELi32ELi8ELc84ELc78ELc85ELb0ELb0EffPKPKfPKPfEviT_T9_T10_S7_lS9_S7_lS8_T11_S7_li.has_indirect_call, 0
	.section	.AMDGPU.csdata,"",@progbits
; Kernel info:
; codeLenInByte = 1948
; TotalNumSgprs: 37
; NumVgprs: 58
; ScratchSize: 0
; MemoryBound: 0
; FloatMode: 240
; IeeeMode: 1
; LDSByteSize: 2048 bytes/workgroup (compile time only)
; SGPRBlocks: 0
; VGPRBlocks: 7
; NumSGPRsForWavesPerEU: 37
; NumVGPRsForWavesPerEU: 58
; Occupancy: 16
; WaveLimiterHint : 1
; COMPUTE_PGM_RSRC2:SCRATCH_EN: 0
; COMPUTE_PGM_RSRC2:USER_SGPR: 2
; COMPUTE_PGM_RSRC2:TRAP_HANDLER: 0
; COMPUTE_PGM_RSRC2:TGID_X_EN: 1
; COMPUTE_PGM_RSRC2:TGID_Y_EN: 1
; COMPUTE_PGM_RSRC2:TGID_Z_EN: 1
; COMPUTE_PGM_RSRC2:TIDIG_COMP_CNT: 1
	.section	.text._ZL29rocblas_internal_gemmt_kernelIlLi16ELi32ELi8ELc84ELc84ELc85ELb0ELb0EffPKPKfPKPfEviT_T9_T10_S7_lS9_S7_lS8_T11_S7_li,"axG",@progbits,_ZL29rocblas_internal_gemmt_kernelIlLi16ELi32ELi8ELc84ELc84ELc85ELb0ELb0EffPKPKfPKPfEviT_T9_T10_S7_lS9_S7_lS8_T11_S7_li,comdat
	.globl	_ZL29rocblas_internal_gemmt_kernelIlLi16ELi32ELi8ELc84ELc84ELc85ELb0ELb0EffPKPKfPKPfEviT_T9_T10_S7_lS9_S7_lS8_T11_S7_li ; -- Begin function _ZL29rocblas_internal_gemmt_kernelIlLi16ELi32ELi8ELc84ELc84ELc85ELb0ELb0EffPKPKfPKPfEviT_T9_T10_S7_lS9_S7_lS8_T11_S7_li
	.p2align	8
	.type	_ZL29rocblas_internal_gemmt_kernelIlLi16ELi32ELi8ELc84ELc84ELc85ELb0ELb0EffPKPKfPKPfEviT_T9_T10_S7_lS9_S7_lS8_T11_S7_li,@function
_ZL29rocblas_internal_gemmt_kernelIlLi16ELi32ELi8ELc84ELc84ELc85ELb0ELb0EffPKPKfPKPfEviT_T9_T10_S7_lS9_S7_lS8_T11_S7_li: ; @_ZL29rocblas_internal_gemmt_kernelIlLi16ELi32ELi8ELc84ELc84ELc85ELb0ELb0EffPKPKfPKPfEviT_T9_T10_S7_lS9_S7_lS8_T11_S7_li
; %bb.0:
	s_clause 0x1
	s_load_b32 s27, s[0:1], 0x48
	s_load_b96 s[24:26], s[0:1], 0x8
	s_wait_kmcnt 0x0
	s_cmp_neq_f32 s27, 1.0
	s_cselect_b32 s2, -1, 0
	s_delay_alu instid0(SALU_CYCLE_1)
	s_and_b32 vcc_lo, exec_lo, s2
	s_cbranch_vccnz .LBB454_2
; %bb.1:
	s_cmp_lg_u64 s[24:25], 0
	s_cselect_b32 s2, -1, 0
	s_cmp_neq_f32 s26, 0
	s_cselect_b32 s3, -1, 0
	s_delay_alu instid0(SALU_CYCLE_1)
	s_and_b32 s2, s2, s3
.LBB454_2:
	s_delay_alu instid0(SALU_CYCLE_1)
	s_and_not1_b32 vcc_lo, exec_lo, s2
	s_cbranch_vccnz .LBB454_35
; %bb.3:
	s_load_b32 s30, s[0:1], 0x68
	s_lshr_b32 s6, ttmp7, 16
	s_wait_kmcnt 0x0
	s_cmp_ge_u32 s6, s30
	s_cbranch_scc1 .LBB454_35
; %bb.4:
	s_clause 0x4
	s_load_b32 s3, s[0:1], 0x0
	s_load_b256 s[8:15], s[0:1], 0x18
	s_load_b128 s[16:19], s[0:1], 0x38
	s_load_b128 s[20:23], s[0:1], 0x50
	s_load_b64 s[28:29], s[0:1], 0x60
	v_and_b32_e32 v2, 0x3ff, v0
	v_bfe_u32 v5, v0, 10, 10
	s_lshl_b32 s0, ttmp7, 5
	v_and_b32_e32 v14, 7, v0
	s_and_b32 s1, s0, 0x1fffe0
	s_lshl_b32 s2, ttmp9, 5
	v_lshl_add_u32 v1, v5, 4, v2
	v_add_nc_u32_e32 v20, s1, v5
	v_lshlrev_b32_e32 v8, 2, v14
	s_cmp_neq_f32 s26, 0
	v_cmp_gt_i64_e64 s36, s[24:25], 0
	v_lshrrev_b32_e32 v0, 3, v1
	v_add_nc_u32_e32 v21, 16, v20
	v_lshrrev_b32_e32 v15, 5, v1
	s_cselect_b32 s35, -1, 0
	s_ashr_i32 s4, s2, 31
	s_cmp_neq_f32 s27, 0
	s_wait_kmcnt 0x0
	v_cmp_gt_i32_e32 vcc_lo, s3, v20
	v_mad_co_u64_u32 v[10:11], null, s22, v21, 0
	v_add_nc_u32_e32 v13, s1, v0
	v_lshl_or_b32 v0, v0, 5, v8
	v_mad_co_u64_u32 v[8:9], null, s22, v20, 0
	v_and_b32_e32 v1, 31, v1
	s_mul_i32 s1, s10, s4
	s_delay_alu instid0(VALU_DEP_3) | instskip(SKIP_3) | instid1(VALU_DEP_4)
	v_add_nc_u32_e32 v17, 0x400, v0
	s_cselect_b32 s22, -1, 0
	v_lshl_add_u32 v19, v5, 5, 0x400
	s_mov_b32 s7, 0
	v_mov_b32_e32 v0, v9
	v_or_b32_e32 v3, s2, v1
	v_lshlrev_b32_e32 v1, 2, v1
	s_and_b32 s35, s35, s36
	s_delay_alu instid0(VALU_DEP_2) | instskip(SKIP_1) | instid1(VALU_DEP_3)
	v_mul_lo_u32 v4, s11, v3
	v_mad_co_u64_u32 v[6:7], null, s10, v3, 0
	v_lshl_or_b32 v16, v15, 7, v1
	v_mov_b32_e32 v1, 0
	v_cmp_gt_i32_e64 s0, s3, v3
	v_lshlrev_b32_e32 v18, 2, v2
	v_add_nc_u32_e32 v2, s2, v2
	s_lshl_b64 s[10:11], s[28:29], 2
	s_wait_alu 0xfffe
	v_add3_u32 v7, v7, s1, v4
	v_mad_co_u64_u32 v[3:4], null, s23, v20, v[0:1]
	v_mov_b32_e32 v0, v11
	v_cmp_le_i32_e64 s2, v2, v20
	v_add_nc_u32_e32 v4, 16, v2
	v_cmp_gt_i32_e64 s1, s3, v13
	v_cmp_gt_i32_e64 s3, s3, v21
	v_mad_co_u64_u32 v[11:12], null, s23, v21, v[0:1]
	v_mov_b32_e32 v9, v3
	s_and_b32 s31, vcc_lo, s2
	v_cmp_le_i32_e64 s2, v4, v20
	v_cmp_le_i32_e64 s4, v2, v21
	;; [unrolled: 1-line block ×3, first 2 shown]
	v_lshlrev_b64_e32 v[6:7], 2, v[6:7]
	v_lshlrev_b64_e32 v[8:9], 2, v[8:9]
	;; [unrolled: 1-line block ×3, first 2 shown]
	v_ashrrev_i32_e32 v3, 31, v2
	v_ashrrev_i32_e32 v5, 31, v4
	v_lshlrev_b32_e32 v20, 2, v13
	s_and_b32 s23, vcc_lo, s2
	s_and_b32 s33, s3, s4
	s_and_b32 s34, s3, s5
	s_lshl_b64 s[2:3], s[18:19], 2
	s_lshl_b64 s[4:5], s[12:13], 2
	s_branch .LBB454_6
.LBB454_5:                              ;   in Loop: Header=BB454_6 Depth=1
	s_wait_alu 0xfffe
	s_or_b32 exec_lo, exec_lo, s12
	s_add_co_i32 s6, s6, 0x10000
	s_delay_alu instid0(SALU_CYCLE_1)
	s_cmp_lt_u32 s6, s30
	s_cbranch_scc0 .LBB454_35
.LBB454_6:                              ; =>This Loop Header: Depth=1
                                        ;     Child Loop BB454_9 Depth 2
	s_lshl_b64 s[12:13], s[6:7], 3
	v_dual_mov_b32 v24, v1 :: v_dual_mov_b32 v23, v1
	s_wait_alu 0xfffe
	s_add_nc_u64 s[18:19], s[20:21], s[12:13]
	v_dual_mov_b32 v22, v1 :: v_dual_mov_b32 v21, v1
	global_load_b64 v[12:13], v1, s[18:19]
	s_and_not1_b32 vcc_lo, exec_lo, s35
	s_wait_alu 0xfffe
	s_cbranch_vccnz .LBB454_15
; %bb.7:                                ;   in Loop: Header=BB454_6 Depth=1
	s_add_nc_u64 s[18:19], s[8:9], s[12:13]
	s_add_nc_u64 s[12:13], s[14:15], s[12:13]
	s_clause 0x1
	global_load_b64 v[24:25], v1, s[18:19]
	global_load_b64 v[26:27], v1, s[12:13]
	v_dual_mov_b32 v21, 0 :: v_dual_mov_b32 v22, 0
	v_mov_b32_e32 v23, 0
	s_mov_b64 s[12:13], 0
	s_wait_loadcnt 0x1
	v_add_co_u32 v0, vcc_lo, v24, s4
	s_wait_alu 0xfffd
	v_add_co_ci_u32_e64 v24, null, s5, v25, vcc_lo
	s_wait_loadcnt 0x0
	v_add_co_u32 v28, vcc_lo, v26, s2
	s_wait_alu 0xfffd
	v_add_co_ci_u32_e64 v29, null, s3, v27, vcc_lo
	v_add_co_u32 v25, vcc_lo, v0, v6
	s_wait_alu 0xfffd
	v_add_co_ci_u32_e64 v26, null, v24, v7, vcc_lo
	v_add_co_u32 v27, vcc_lo, v28, v20
	s_wait_alu 0xfffd
	v_add_co_ci_u32_e64 v28, null, 0, v29, vcc_lo
	v_mov_b32_e32 v24, 0
	s_branch .LBB454_9
.LBB454_8:                              ;   in Loop: Header=BB454_9 Depth=2
	s_or_b32 exec_lo, exec_lo, s18
	s_wait_loadcnt_dscnt 0x0
	ds_store_b32 v17, v30
	s_wait_dscnt 0x0
	s_barrier_signal -1
	s_barrier_wait -1
	global_inv scope:SCOPE_SE
	ds_load_b128 v[29:32], v19
	ds_load_2addr_b32 v[45:46], v18 offset1:16
	ds_load_b128 v[33:36], v19 offset:512
	ds_load_2addr_b32 v[47:48], v18 offset0:32 offset1:48
	ds_load_2addr_b32 v[49:50], v18 offset0:64 offset1:80
	;; [unrolled: 1-line block ×3, first 2 shown]
	ds_load_b128 v[37:40], v19 offset:16
	ds_load_2addr_b32 v[53:54], v18 offset0:128 offset1:144
	ds_load_b128 v[41:44], v19 offset:528
	ds_load_2addr_b32 v[55:56], v18 offset0:160 offset1:176
	s_add_nc_u64 s[12:13], s[12:13], 8
	s_wait_alu 0xfffe
	v_cmp_gt_i64_e64 s18, s[24:25], s[12:13]
	s_and_b32 vcc_lo, exec_lo, s18
	s_wait_dscnt 0x8
	v_fmac_f32_e32 v23, v46, v29
	v_fmac_f32_e32 v24, v45, v29
	s_wait_dscnt 0x7
	v_fmac_f32_e32 v21, v46, v33
	v_fmac_f32_e32 v22, v45, v33
	ds_load_2addr_b32 v[45:46], v18 offset0:192 offset1:208
	s_wait_dscnt 0x7
	v_fmac_f32_e32 v23, v48, v30
	v_fmac_f32_e32 v24, v47, v30
	;; [unrolled: 1-line block ×4, first 2 shown]
	ds_load_2addr_b32 v[29:30], v18 offset0:224 offset1:240
	s_wait_dscnt 0x7
	v_fmac_f32_e32 v23, v50, v31
	v_fmac_f32_e32 v24, v49, v31
	;; [unrolled: 1-line block ×4, first 2 shown]
	s_wait_loadcnt_dscnt 0x0
	v_fmac_f32_e32 v23, v52, v32
	v_fmac_f32_e32 v24, v51, v32
	;; [unrolled: 1-line block ×4, first 2 shown]
	s_barrier_signal -1
	v_fmac_f32_e32 v23, v54, v37
	v_fmac_f32_e32 v24, v53, v37
	;; [unrolled: 1-line block ×4, first 2 shown]
	s_barrier_wait -1
	v_fmac_f32_e32 v23, v56, v38
	v_fmac_f32_e32 v24, v55, v38
	;; [unrolled: 1-line block ×4, first 2 shown]
	global_inv scope:SCOPE_SE
	v_fmac_f32_e32 v23, v46, v39
	v_fmac_f32_e32 v24, v45, v39
	;; [unrolled: 1-line block ×3, first 2 shown]
	s_delay_alu instid0(VALU_DEP_3) | instskip(NEXT) | instid1(VALU_DEP_3)
	v_dual_fmac_f32 v22, v45, v43 :: v_dual_fmac_f32 v23, v30, v40
	v_fmac_f32_e32 v24, v29, v40
	s_delay_alu instid0(VALU_DEP_3) | instskip(NEXT) | instid1(VALU_DEP_3)
	v_fmac_f32_e32 v21, v30, v44
	v_fmac_f32_e32 v22, v29, v44
	s_wait_alu 0xfffe
	s_cbranch_vccz .LBB454_15
.LBB454_9:                              ;   Parent Loop BB454_6 Depth=1
                                        ; =>  This Inner Loop Header: Depth=2
	v_mov_b32_e32 v29, 0
	s_and_saveexec_b32 s18, s0
	s_cbranch_execz .LBB454_13
; %bb.10:                               ;   in Loop: Header=BB454_9 Depth=2
	s_wait_alu 0xfffe
	v_dual_mov_b32 v29, 0 :: v_dual_add_nc_u32 v0, s12, v15
	s_mov_b32 s19, exec_lo
	s_delay_alu instid0(VALU_DEP_1)
	v_cmpx_gt_u64_e64 s[24:25], v[0:1]
	s_cbranch_execz .LBB454_12
; %bb.11:                               ;   in Loop: Header=BB454_9 Depth=2
	v_lshlrev_b64_e32 v[29:30], 2, v[0:1]
	s_delay_alu instid0(VALU_DEP_1) | instskip(SKIP_1) | instid1(VALU_DEP_2)
	v_add_co_u32 v29, vcc_lo, v25, v29
	s_wait_alu 0xfffd
	v_add_co_ci_u32_e64 v30, null, v26, v30, vcc_lo
	flat_load_b32 v29, v[29:30]
.LBB454_12:                             ;   in Loop: Header=BB454_9 Depth=2
	s_or_b32 exec_lo, exec_lo, s19
.LBB454_13:                             ;   in Loop: Header=BB454_9 Depth=2
	s_delay_alu instid0(SALU_CYCLE_1)
	s_or_b32 exec_lo, exec_lo, s18
	s_wait_alu 0xfffe
	v_add_nc_u32_e32 v0, s12, v14
	v_mov_b32_e32 v30, 0
	s_wait_loadcnt_dscnt 0x0
	ds_store_b32 v16, v29
	v_cmp_gt_u64_e32 vcc_lo, s[24:25], v[0:1]
	s_and_b32 s19, vcc_lo, s1
	s_delay_alu instid0(SALU_CYCLE_1)
	s_and_saveexec_b32 s18, s19
	s_cbranch_execz .LBB454_8
; %bb.14:                               ;   in Loop: Header=BB454_9 Depth=2
	v_mad_co_u64_u32 v[29:30], null, s16, v0, 0
	s_delay_alu instid0(VALU_DEP_1) | instskip(NEXT) | instid1(VALU_DEP_1)
	v_mad_co_u64_u32 v[30:31], null, s17, v0, v[30:31]
	v_lshlrev_b64_e32 v[29:30], 2, v[29:30]
	s_delay_alu instid0(VALU_DEP_1) | instskip(SKIP_1) | instid1(VALU_DEP_2)
	v_add_co_u32 v29, vcc_lo, v27, v29
	s_wait_alu 0xfffd
	v_add_co_ci_u32_e64 v30, null, v28, v30, vcc_lo
	flat_load_b32 v30, v[29:30]
	s_branch .LBB454_8
.LBB454_15:                             ;   in Loop: Header=BB454_6 Depth=1
	s_wait_loadcnt 0x0
	v_add_co_u32 v0, vcc_lo, v12, s10
	s_wait_alu 0xfffd
	v_add_co_ci_u32_e64 v12, null, s11, v13, vcc_lo
	s_delay_alu instid0(VALU_DEP_2) | instskip(SKIP_1) | instid1(VALU_DEP_2)
	v_add_co_u32 v13, vcc_lo, v0, v8
	s_wait_alu 0xfffd
	v_add_co_ci_u32_e64 v25, null, v12, v9, vcc_lo
	s_and_saveexec_b32 s12, s31
	s_cbranch_execz .LBB454_19
; %bb.16:                               ;   in Loop: Header=BB454_6 Depth=1
	v_mul_f32_e32 v24, s26, v24
	s_and_b32 vcc_lo, exec_lo, s22
	s_wait_alu 0xfffe
	s_cbranch_vccz .LBB454_30
; %bb.17:                               ;   in Loop: Header=BB454_6 Depth=1
	v_lshlrev_b64_e32 v[26:27], 2, v[2:3]
	s_delay_alu instid0(VALU_DEP_1) | instskip(SKIP_1) | instid1(VALU_DEP_2)
	v_add_co_u32 v26, vcc_lo, v13, v26
	s_wait_alu 0xfffd
	v_add_co_ci_u32_e64 v27, null, v25, v27, vcc_lo
	flat_load_b32 v28, v[26:27]
	s_wait_loadcnt_dscnt 0x0
	v_fma_f32 v28, s27, v28, v24
	flat_store_b32 v[26:27], v28
	s_cbranch_execnz .LBB454_19
.LBB454_18:                             ;   in Loop: Header=BB454_6 Depth=1
	v_lshlrev_b64_e32 v[26:27], 2, v[2:3]
	s_delay_alu instid0(VALU_DEP_1) | instskip(SKIP_1) | instid1(VALU_DEP_2)
	v_add_co_u32 v26, vcc_lo, v13, v26
	s_wait_alu 0xfffd
	v_add_co_ci_u32_e64 v27, null, v25, v27, vcc_lo
	flat_store_b32 v[26:27], v24
.LBB454_19:                             ;   in Loop: Header=BB454_6 Depth=1
	s_wait_alu 0xfffe
	s_or_b32 exec_lo, exec_lo, s12
	s_and_saveexec_b32 s12, s23
	s_cbranch_execz .LBB454_23
; %bb.20:                               ;   in Loop: Header=BB454_6 Depth=1
	v_mul_f32_e32 v23, s26, v23
	s_and_not1_b32 vcc_lo, exec_lo, s22
	s_wait_alu 0xfffe
	s_cbranch_vccnz .LBB454_31
; %bb.21:                               ;   in Loop: Header=BB454_6 Depth=1
	v_lshlrev_b64_e32 v[26:27], 2, v[4:5]
	s_delay_alu instid0(VALU_DEP_1) | instskip(SKIP_1) | instid1(VALU_DEP_2)
	v_add_co_u32 v26, vcc_lo, v13, v26
	s_wait_alu 0xfffd
	v_add_co_ci_u32_e64 v27, null, v25, v27, vcc_lo
	flat_load_b32 v24, v[26:27]
	s_wait_loadcnt_dscnt 0x0
	v_fma_f32 v24, s27, v24, v23
	flat_store_b32 v[26:27], v24
	s_cbranch_execnz .LBB454_23
.LBB454_22:                             ;   in Loop: Header=BB454_6 Depth=1
	v_lshlrev_b64_e32 v[26:27], 2, v[4:5]
	s_delay_alu instid0(VALU_DEP_1) | instskip(SKIP_1) | instid1(VALU_DEP_2)
	v_add_co_u32 v24, vcc_lo, v13, v26
	s_wait_alu 0xfffd
	v_add_co_ci_u32_e64 v25, null, v25, v27, vcc_lo
	flat_store_b32 v[24:25], v23
.LBB454_23:                             ;   in Loop: Header=BB454_6 Depth=1
	s_wait_alu 0xfffe
	s_or_b32 exec_lo, exec_lo, s12
	v_add_co_u32 v0, vcc_lo, v0, v10
	s_wait_alu 0xfffd
	v_add_co_ci_u32_e64 v23, null, v12, v11, vcc_lo
	s_and_saveexec_b32 s12, s33
	s_cbranch_execz .LBB454_27
; %bb.24:                               ;   in Loop: Header=BB454_6 Depth=1
	v_lshlrev_b64_e32 v[12:13], 2, v[2:3]
	v_mul_f32_e32 v22, s26, v22
	s_and_not1_b32 vcc_lo, exec_lo, s22
	s_wait_alu 0xfffe
	s_cbranch_vccnz .LBB454_32
; %bb.25:                               ;   in Loop: Header=BB454_6 Depth=1
	s_delay_alu instid0(VALU_DEP_2)
	v_add_co_u32 v24, vcc_lo, v0, v12
	s_wait_alu 0xfffd
	v_add_co_ci_u32_e64 v25, null, v23, v13, vcc_lo
	flat_load_b32 v26, v[24:25]
	s_wait_loadcnt_dscnt 0x0
	v_fma_f32 v26, s27, v26, v22
	flat_store_b32 v[24:25], v26
	s_cbranch_execnz .LBB454_27
.LBB454_26:                             ;   in Loop: Header=BB454_6 Depth=1
	v_add_co_u32 v12, vcc_lo, v0, v12
	s_wait_alu 0xfffd
	v_add_co_ci_u32_e64 v13, null, v23, v13, vcc_lo
	flat_store_b32 v[12:13], v22
.LBB454_27:                             ;   in Loop: Header=BB454_6 Depth=1
	s_wait_alu 0xfffe
	s_or_b32 exec_lo, exec_lo, s12
	s_and_saveexec_b32 s12, s34
	s_cbranch_execz .LBB454_5
; %bb.28:                               ;   in Loop: Header=BB454_6 Depth=1
	v_lshlrev_b64_e32 v[12:13], 2, v[4:5]
	v_mul_f32_e32 v21, s26, v21
	s_and_not1_b32 vcc_lo, exec_lo, s22
	s_wait_alu 0xfffe
	s_cbranch_vccnz .LBB454_33
; %bb.29:                               ;   in Loop: Header=BB454_6 Depth=1
	s_delay_alu instid0(VALU_DEP_2)
	v_add_co_u32 v24, vcc_lo, v0, v12
	s_wait_alu 0xfffd
	v_add_co_ci_u32_e64 v25, null, v23, v13, vcc_lo
	flat_load_b32 v22, v[24:25]
	s_wait_loadcnt_dscnt 0x0
	v_fma_f32 v22, s27, v22, v21
	flat_store_b32 v[24:25], v22
	s_cbranch_execnz .LBB454_5
	s_branch .LBB454_34
.LBB454_30:                             ;   in Loop: Header=BB454_6 Depth=1
	s_branch .LBB454_18
.LBB454_31:                             ;   in Loop: Header=BB454_6 Depth=1
	s_branch .LBB454_22
.LBB454_32:                             ;   in Loop: Header=BB454_6 Depth=1
	s_branch .LBB454_26
.LBB454_33:                             ;   in Loop: Header=BB454_6 Depth=1
.LBB454_34:                             ;   in Loop: Header=BB454_6 Depth=1
	s_delay_alu instid0(VALU_DEP_2)
	v_add_co_u32 v12, vcc_lo, v0, v12
	s_wait_alu 0xfffd
	v_add_co_ci_u32_e64 v13, null, v23, v13, vcc_lo
	flat_store_b32 v[12:13], v21
	s_branch .LBB454_5
.LBB454_35:
	s_endpgm
	.section	.rodata,"a",@progbits
	.p2align	6, 0x0
	.amdhsa_kernel _ZL29rocblas_internal_gemmt_kernelIlLi16ELi32ELi8ELc84ELc84ELc85ELb0ELb0EffPKPKfPKPfEviT_T9_T10_S7_lS9_S7_lS8_T11_S7_li
		.amdhsa_group_segment_fixed_size 2048
		.amdhsa_private_segment_fixed_size 0
		.amdhsa_kernarg_size 108
		.amdhsa_user_sgpr_count 2
		.amdhsa_user_sgpr_dispatch_ptr 0
		.amdhsa_user_sgpr_queue_ptr 0
		.amdhsa_user_sgpr_kernarg_segment_ptr 1
		.amdhsa_user_sgpr_dispatch_id 0
		.amdhsa_user_sgpr_private_segment_size 0
		.amdhsa_wavefront_size32 1
		.amdhsa_uses_dynamic_stack 0
		.amdhsa_enable_private_segment 0
		.amdhsa_system_sgpr_workgroup_id_x 1
		.amdhsa_system_sgpr_workgroup_id_y 1
		.amdhsa_system_sgpr_workgroup_id_z 1
		.amdhsa_system_sgpr_workgroup_info 0
		.amdhsa_system_vgpr_workitem_id 1
		.amdhsa_next_free_vgpr 57
		.amdhsa_next_free_sgpr 37
		.amdhsa_reserve_vcc 1
		.amdhsa_float_round_mode_32 0
		.amdhsa_float_round_mode_16_64 0
		.amdhsa_float_denorm_mode_32 3
		.amdhsa_float_denorm_mode_16_64 3
		.amdhsa_fp16_overflow 0
		.amdhsa_workgroup_processor_mode 1
		.amdhsa_memory_ordered 1
		.amdhsa_forward_progress 1
		.amdhsa_inst_pref_size 16
		.amdhsa_round_robin_scheduling 0
		.amdhsa_exception_fp_ieee_invalid_op 0
		.amdhsa_exception_fp_denorm_src 0
		.amdhsa_exception_fp_ieee_div_zero 0
		.amdhsa_exception_fp_ieee_overflow 0
		.amdhsa_exception_fp_ieee_underflow 0
		.amdhsa_exception_fp_ieee_inexact 0
		.amdhsa_exception_int_div_zero 0
	.end_amdhsa_kernel
	.section	.text._ZL29rocblas_internal_gemmt_kernelIlLi16ELi32ELi8ELc84ELc84ELc85ELb0ELb0EffPKPKfPKPfEviT_T9_T10_S7_lS9_S7_lS8_T11_S7_li,"axG",@progbits,_ZL29rocblas_internal_gemmt_kernelIlLi16ELi32ELi8ELc84ELc84ELc85ELb0ELb0EffPKPKfPKPfEviT_T9_T10_S7_lS9_S7_lS8_T11_S7_li,comdat
.Lfunc_end454:
	.size	_ZL29rocblas_internal_gemmt_kernelIlLi16ELi32ELi8ELc84ELc84ELc85ELb0ELb0EffPKPKfPKPfEviT_T9_T10_S7_lS9_S7_lS8_T11_S7_li, .Lfunc_end454-_ZL29rocblas_internal_gemmt_kernelIlLi16ELi32ELi8ELc84ELc84ELc85ELb0ELb0EffPKPKfPKPfEviT_T9_T10_S7_lS9_S7_lS8_T11_S7_li
                                        ; -- End function
	.set _ZL29rocblas_internal_gemmt_kernelIlLi16ELi32ELi8ELc84ELc84ELc85ELb0ELb0EffPKPKfPKPfEviT_T9_T10_S7_lS9_S7_lS8_T11_S7_li.num_vgpr, 57
	.set _ZL29rocblas_internal_gemmt_kernelIlLi16ELi32ELi8ELc84ELc84ELc85ELb0ELb0EffPKPKfPKPfEviT_T9_T10_S7_lS9_S7_lS8_T11_S7_li.num_agpr, 0
	.set _ZL29rocblas_internal_gemmt_kernelIlLi16ELi32ELi8ELc84ELc84ELc85ELb0ELb0EffPKPKfPKPfEviT_T9_T10_S7_lS9_S7_lS8_T11_S7_li.numbered_sgpr, 37
	.set _ZL29rocblas_internal_gemmt_kernelIlLi16ELi32ELi8ELc84ELc84ELc85ELb0ELb0EffPKPKfPKPfEviT_T9_T10_S7_lS9_S7_lS8_T11_S7_li.num_named_barrier, 0
	.set _ZL29rocblas_internal_gemmt_kernelIlLi16ELi32ELi8ELc84ELc84ELc85ELb0ELb0EffPKPKfPKPfEviT_T9_T10_S7_lS9_S7_lS8_T11_S7_li.private_seg_size, 0
	.set _ZL29rocblas_internal_gemmt_kernelIlLi16ELi32ELi8ELc84ELc84ELc85ELb0ELb0EffPKPKfPKPfEviT_T9_T10_S7_lS9_S7_lS8_T11_S7_li.uses_vcc, 1
	.set _ZL29rocblas_internal_gemmt_kernelIlLi16ELi32ELi8ELc84ELc84ELc85ELb0ELb0EffPKPKfPKPfEviT_T9_T10_S7_lS9_S7_lS8_T11_S7_li.uses_flat_scratch, 0
	.set _ZL29rocblas_internal_gemmt_kernelIlLi16ELi32ELi8ELc84ELc84ELc85ELb0ELb0EffPKPKfPKPfEviT_T9_T10_S7_lS9_S7_lS8_T11_S7_li.has_dyn_sized_stack, 0
	.set _ZL29rocblas_internal_gemmt_kernelIlLi16ELi32ELi8ELc84ELc84ELc85ELb0ELb0EffPKPKfPKPfEviT_T9_T10_S7_lS9_S7_lS8_T11_S7_li.has_recursion, 0
	.set _ZL29rocblas_internal_gemmt_kernelIlLi16ELi32ELi8ELc84ELc84ELc85ELb0ELb0EffPKPKfPKPfEviT_T9_T10_S7_lS9_S7_lS8_T11_S7_li.has_indirect_call, 0
	.section	.AMDGPU.csdata,"",@progbits
; Kernel info:
; codeLenInByte = 1924
; TotalNumSgprs: 39
; NumVgprs: 57
; ScratchSize: 0
; MemoryBound: 0
; FloatMode: 240
; IeeeMode: 1
; LDSByteSize: 2048 bytes/workgroup (compile time only)
; SGPRBlocks: 0
; VGPRBlocks: 7
; NumSGPRsForWavesPerEU: 39
; NumVGPRsForWavesPerEU: 57
; Occupancy: 16
; WaveLimiterHint : 1
; COMPUTE_PGM_RSRC2:SCRATCH_EN: 0
; COMPUTE_PGM_RSRC2:USER_SGPR: 2
; COMPUTE_PGM_RSRC2:TRAP_HANDLER: 0
; COMPUTE_PGM_RSRC2:TGID_X_EN: 1
; COMPUTE_PGM_RSRC2:TGID_Y_EN: 1
; COMPUTE_PGM_RSRC2:TGID_Z_EN: 1
; COMPUTE_PGM_RSRC2:TIDIG_COMP_CNT: 1
	.section	.text._ZL29rocblas_internal_gemmt_kernelIlLi16ELi32ELi8ELc84ELc67ELc85ELb0ELb0EffPKPKfPKPfEviT_T9_T10_S7_lS9_S7_lS8_T11_S7_li,"axG",@progbits,_ZL29rocblas_internal_gemmt_kernelIlLi16ELi32ELi8ELc84ELc67ELc85ELb0ELb0EffPKPKfPKPfEviT_T9_T10_S7_lS9_S7_lS8_T11_S7_li,comdat
	.globl	_ZL29rocblas_internal_gemmt_kernelIlLi16ELi32ELi8ELc84ELc67ELc85ELb0ELb0EffPKPKfPKPfEviT_T9_T10_S7_lS9_S7_lS8_T11_S7_li ; -- Begin function _ZL29rocblas_internal_gemmt_kernelIlLi16ELi32ELi8ELc84ELc67ELc85ELb0ELb0EffPKPKfPKPfEviT_T9_T10_S7_lS9_S7_lS8_T11_S7_li
	.p2align	8
	.type	_ZL29rocblas_internal_gemmt_kernelIlLi16ELi32ELi8ELc84ELc67ELc85ELb0ELb0EffPKPKfPKPfEviT_T9_T10_S7_lS9_S7_lS8_T11_S7_li,@function
_ZL29rocblas_internal_gemmt_kernelIlLi16ELi32ELi8ELc84ELc67ELc85ELb0ELb0EffPKPKfPKPfEviT_T9_T10_S7_lS9_S7_lS8_T11_S7_li: ; @_ZL29rocblas_internal_gemmt_kernelIlLi16ELi32ELi8ELc84ELc67ELc85ELb0ELb0EffPKPKfPKPfEviT_T9_T10_S7_lS9_S7_lS8_T11_S7_li
; %bb.0:
	s_clause 0x1
	s_load_b32 s27, s[0:1], 0x48
	s_load_b96 s[24:26], s[0:1], 0x8
	s_wait_kmcnt 0x0
	s_cmp_neq_f32 s27, 1.0
	s_cselect_b32 s2, -1, 0
	s_delay_alu instid0(SALU_CYCLE_1)
	s_and_b32 vcc_lo, exec_lo, s2
	s_cbranch_vccnz .LBB455_2
; %bb.1:
	s_cmp_lg_u64 s[24:25], 0
	s_cselect_b32 s2, -1, 0
	s_cmp_neq_f32 s26, 0
	s_cselect_b32 s3, -1, 0
	s_delay_alu instid0(SALU_CYCLE_1)
	s_and_b32 s2, s2, s3
.LBB455_2:
	s_delay_alu instid0(SALU_CYCLE_1)
	s_and_not1_b32 vcc_lo, exec_lo, s2
	s_cbranch_vccnz .LBB455_35
; %bb.3:
	s_load_b32 s30, s[0:1], 0x68
	s_lshr_b32 s6, ttmp7, 16
	s_wait_kmcnt 0x0
	s_cmp_ge_u32 s6, s30
	s_cbranch_scc1 .LBB455_35
; %bb.4:
	s_clause 0x4
	s_load_b32 s3, s[0:1], 0x0
	s_load_b256 s[8:15], s[0:1], 0x18
	s_load_b128 s[16:19], s[0:1], 0x38
	s_load_b128 s[20:23], s[0:1], 0x50
	s_load_b64 s[28:29], s[0:1], 0x60
	v_and_b32_e32 v2, 0x3ff, v0
	v_bfe_u32 v5, v0, 10, 10
	s_lshl_b32 s0, ttmp7, 5
	v_and_b32_e32 v14, 7, v0
	s_and_b32 s1, s0, 0x1fffe0
	s_lshl_b32 s2, ttmp9, 5
	v_lshl_add_u32 v1, v5, 4, v2
	v_add_nc_u32_e32 v20, s1, v5
	v_lshlrev_b32_e32 v8, 2, v14
	s_cmp_neq_f32 s26, 0
	v_cmp_gt_i64_e64 s36, s[24:25], 0
	v_lshrrev_b32_e32 v0, 3, v1
	v_add_nc_u32_e32 v21, 16, v20
	v_lshrrev_b32_e32 v15, 5, v1
	s_cselect_b32 s35, -1, 0
	s_ashr_i32 s4, s2, 31
	s_cmp_neq_f32 s27, 0
	s_wait_kmcnt 0x0
	v_cmp_gt_i32_e32 vcc_lo, s3, v20
	v_mad_co_u64_u32 v[10:11], null, s22, v21, 0
	v_add_nc_u32_e32 v13, s1, v0
	v_lshl_or_b32 v0, v0, 5, v8
	v_mad_co_u64_u32 v[8:9], null, s22, v20, 0
	v_and_b32_e32 v1, 31, v1
	s_mul_i32 s1, s10, s4
	s_delay_alu instid0(VALU_DEP_3) | instskip(SKIP_3) | instid1(VALU_DEP_4)
	v_add_nc_u32_e32 v17, 0x400, v0
	s_cselect_b32 s22, -1, 0
	v_lshl_add_u32 v19, v5, 5, 0x400
	s_mov_b32 s7, 0
	v_mov_b32_e32 v0, v9
	v_or_b32_e32 v3, s2, v1
	v_lshlrev_b32_e32 v1, 2, v1
	s_and_b32 s35, s35, s36
	s_delay_alu instid0(VALU_DEP_2) | instskip(SKIP_1) | instid1(VALU_DEP_3)
	v_mul_lo_u32 v4, s11, v3
	v_mad_co_u64_u32 v[6:7], null, s10, v3, 0
	v_lshl_or_b32 v16, v15, 7, v1
	v_mov_b32_e32 v1, 0
	v_cmp_gt_i32_e64 s0, s3, v3
	v_lshlrev_b32_e32 v18, 2, v2
	v_add_nc_u32_e32 v2, s2, v2
	s_lshl_b64 s[10:11], s[28:29], 2
	s_wait_alu 0xfffe
	v_add3_u32 v7, v7, s1, v4
	v_mad_co_u64_u32 v[3:4], null, s23, v20, v[0:1]
	v_mov_b32_e32 v0, v11
	v_cmp_le_i32_e64 s2, v2, v20
	v_add_nc_u32_e32 v4, 16, v2
	v_cmp_gt_i32_e64 s1, s3, v13
	v_cmp_gt_i32_e64 s3, s3, v21
	v_mad_co_u64_u32 v[11:12], null, s23, v21, v[0:1]
	v_mov_b32_e32 v9, v3
	s_and_b32 s31, vcc_lo, s2
	v_cmp_le_i32_e64 s2, v4, v20
	v_cmp_le_i32_e64 s4, v2, v21
	;; [unrolled: 1-line block ×3, first 2 shown]
	v_lshlrev_b64_e32 v[6:7], 2, v[6:7]
	v_lshlrev_b64_e32 v[8:9], 2, v[8:9]
	;; [unrolled: 1-line block ×3, first 2 shown]
	v_ashrrev_i32_e32 v3, 31, v2
	v_ashrrev_i32_e32 v5, 31, v4
	v_lshlrev_b32_e32 v20, 2, v13
	s_and_b32 s23, vcc_lo, s2
	s_and_b32 s33, s3, s4
	s_and_b32 s34, s3, s5
	s_lshl_b64 s[2:3], s[18:19], 2
	s_lshl_b64 s[4:5], s[12:13], 2
	s_branch .LBB455_6
.LBB455_5:                              ;   in Loop: Header=BB455_6 Depth=1
	s_wait_alu 0xfffe
	s_or_b32 exec_lo, exec_lo, s12
	s_add_co_i32 s6, s6, 0x10000
	s_delay_alu instid0(SALU_CYCLE_1)
	s_cmp_lt_u32 s6, s30
	s_cbranch_scc0 .LBB455_35
.LBB455_6:                              ; =>This Loop Header: Depth=1
                                        ;     Child Loop BB455_9 Depth 2
	s_lshl_b64 s[12:13], s[6:7], 3
	v_dual_mov_b32 v24, v1 :: v_dual_mov_b32 v23, v1
	s_wait_alu 0xfffe
	s_add_nc_u64 s[18:19], s[20:21], s[12:13]
	v_dual_mov_b32 v22, v1 :: v_dual_mov_b32 v21, v1
	global_load_b64 v[12:13], v1, s[18:19]
	s_and_not1_b32 vcc_lo, exec_lo, s35
	s_wait_alu 0xfffe
	s_cbranch_vccnz .LBB455_15
; %bb.7:                                ;   in Loop: Header=BB455_6 Depth=1
	s_add_nc_u64 s[18:19], s[8:9], s[12:13]
	s_add_nc_u64 s[12:13], s[14:15], s[12:13]
	s_clause 0x1
	global_load_b64 v[24:25], v1, s[18:19]
	global_load_b64 v[26:27], v1, s[12:13]
	v_dual_mov_b32 v21, 0 :: v_dual_mov_b32 v22, 0
	v_mov_b32_e32 v23, 0
	s_mov_b64 s[12:13], 0
	s_wait_loadcnt 0x1
	v_add_co_u32 v0, vcc_lo, v24, s4
	s_wait_alu 0xfffd
	v_add_co_ci_u32_e64 v24, null, s5, v25, vcc_lo
	s_wait_loadcnt 0x0
	v_add_co_u32 v28, vcc_lo, v26, s2
	s_wait_alu 0xfffd
	v_add_co_ci_u32_e64 v29, null, s3, v27, vcc_lo
	v_add_co_u32 v25, vcc_lo, v0, v6
	s_wait_alu 0xfffd
	v_add_co_ci_u32_e64 v26, null, v24, v7, vcc_lo
	;; [unrolled: 3-line block ×3, first 2 shown]
	v_mov_b32_e32 v24, 0
	s_branch .LBB455_9
.LBB455_8:                              ;   in Loop: Header=BB455_9 Depth=2
	s_or_b32 exec_lo, exec_lo, s18
	s_wait_loadcnt_dscnt 0x0
	ds_store_b32 v17, v30
	s_wait_dscnt 0x0
	s_barrier_signal -1
	s_barrier_wait -1
	global_inv scope:SCOPE_SE
	ds_load_b128 v[29:32], v19
	ds_load_2addr_b32 v[45:46], v18 offset1:16
	ds_load_b128 v[33:36], v19 offset:512
	ds_load_2addr_b32 v[47:48], v18 offset0:32 offset1:48
	ds_load_2addr_b32 v[49:50], v18 offset0:64 offset1:80
	;; [unrolled: 1-line block ×3, first 2 shown]
	ds_load_b128 v[37:40], v19 offset:16
	ds_load_2addr_b32 v[53:54], v18 offset0:128 offset1:144
	ds_load_b128 v[41:44], v19 offset:528
	ds_load_2addr_b32 v[55:56], v18 offset0:160 offset1:176
	s_add_nc_u64 s[12:13], s[12:13], 8
	s_wait_alu 0xfffe
	v_cmp_gt_i64_e64 s18, s[24:25], s[12:13]
	s_and_b32 vcc_lo, exec_lo, s18
	s_wait_dscnt 0x8
	v_fmac_f32_e32 v23, v46, v29
	v_fmac_f32_e32 v24, v45, v29
	s_wait_dscnt 0x7
	v_fmac_f32_e32 v21, v46, v33
	v_fmac_f32_e32 v22, v45, v33
	ds_load_2addr_b32 v[45:46], v18 offset0:192 offset1:208
	s_wait_dscnt 0x7
	v_fmac_f32_e32 v23, v48, v30
	v_fmac_f32_e32 v24, v47, v30
	;; [unrolled: 1-line block ×4, first 2 shown]
	ds_load_2addr_b32 v[29:30], v18 offset0:224 offset1:240
	s_wait_dscnt 0x7
	v_fmac_f32_e32 v23, v50, v31
	v_fmac_f32_e32 v24, v49, v31
	;; [unrolled: 1-line block ×4, first 2 shown]
	s_wait_loadcnt_dscnt 0x0
	v_fmac_f32_e32 v23, v52, v32
	v_fmac_f32_e32 v24, v51, v32
	;; [unrolled: 1-line block ×4, first 2 shown]
	s_barrier_signal -1
	v_fmac_f32_e32 v23, v54, v37
	v_fmac_f32_e32 v24, v53, v37
	v_fmac_f32_e32 v21, v54, v41
	v_fmac_f32_e32 v22, v53, v41
	s_barrier_wait -1
	v_fmac_f32_e32 v23, v56, v38
	v_fmac_f32_e32 v24, v55, v38
	;; [unrolled: 1-line block ×4, first 2 shown]
	global_inv scope:SCOPE_SE
	v_fmac_f32_e32 v23, v46, v39
	v_fmac_f32_e32 v24, v45, v39
	;; [unrolled: 1-line block ×3, first 2 shown]
	s_delay_alu instid0(VALU_DEP_3) | instskip(NEXT) | instid1(VALU_DEP_3)
	v_dual_fmac_f32 v22, v45, v43 :: v_dual_fmac_f32 v23, v30, v40
	v_fmac_f32_e32 v24, v29, v40
	s_delay_alu instid0(VALU_DEP_3) | instskip(NEXT) | instid1(VALU_DEP_3)
	v_fmac_f32_e32 v21, v30, v44
	v_fmac_f32_e32 v22, v29, v44
	s_wait_alu 0xfffe
	s_cbranch_vccz .LBB455_15
.LBB455_9:                              ;   Parent Loop BB455_6 Depth=1
                                        ; =>  This Inner Loop Header: Depth=2
	v_mov_b32_e32 v29, 0
	s_and_saveexec_b32 s18, s0
	s_cbranch_execz .LBB455_13
; %bb.10:                               ;   in Loop: Header=BB455_9 Depth=2
	s_wait_alu 0xfffe
	v_dual_mov_b32 v29, 0 :: v_dual_add_nc_u32 v0, s12, v15
	s_mov_b32 s19, exec_lo
	s_delay_alu instid0(VALU_DEP_1)
	v_cmpx_gt_u64_e64 s[24:25], v[0:1]
	s_cbranch_execz .LBB455_12
; %bb.11:                               ;   in Loop: Header=BB455_9 Depth=2
	v_lshlrev_b64_e32 v[29:30], 2, v[0:1]
	s_delay_alu instid0(VALU_DEP_1) | instskip(SKIP_1) | instid1(VALU_DEP_2)
	v_add_co_u32 v29, vcc_lo, v25, v29
	s_wait_alu 0xfffd
	v_add_co_ci_u32_e64 v30, null, v26, v30, vcc_lo
	flat_load_b32 v29, v[29:30]
.LBB455_12:                             ;   in Loop: Header=BB455_9 Depth=2
	s_or_b32 exec_lo, exec_lo, s19
.LBB455_13:                             ;   in Loop: Header=BB455_9 Depth=2
	s_delay_alu instid0(SALU_CYCLE_1)
	s_or_b32 exec_lo, exec_lo, s18
	s_wait_alu 0xfffe
	v_add_nc_u32_e32 v0, s12, v14
	v_mov_b32_e32 v30, 0
	s_wait_loadcnt_dscnt 0x0
	ds_store_b32 v16, v29
	v_cmp_gt_u64_e32 vcc_lo, s[24:25], v[0:1]
	s_and_b32 s19, vcc_lo, s1
	s_delay_alu instid0(SALU_CYCLE_1)
	s_and_saveexec_b32 s18, s19
	s_cbranch_execz .LBB455_8
; %bb.14:                               ;   in Loop: Header=BB455_9 Depth=2
	v_mad_co_u64_u32 v[29:30], null, s16, v0, 0
	s_delay_alu instid0(VALU_DEP_1) | instskip(NEXT) | instid1(VALU_DEP_1)
	v_mad_co_u64_u32 v[30:31], null, s17, v0, v[30:31]
	v_lshlrev_b64_e32 v[29:30], 2, v[29:30]
	s_delay_alu instid0(VALU_DEP_1) | instskip(SKIP_1) | instid1(VALU_DEP_2)
	v_add_co_u32 v29, vcc_lo, v27, v29
	s_wait_alu 0xfffd
	v_add_co_ci_u32_e64 v30, null, v28, v30, vcc_lo
	flat_load_b32 v30, v[29:30]
	s_branch .LBB455_8
.LBB455_15:                             ;   in Loop: Header=BB455_6 Depth=1
	s_wait_loadcnt 0x0
	v_add_co_u32 v0, vcc_lo, v12, s10
	s_wait_alu 0xfffd
	v_add_co_ci_u32_e64 v12, null, s11, v13, vcc_lo
	s_delay_alu instid0(VALU_DEP_2) | instskip(SKIP_1) | instid1(VALU_DEP_2)
	v_add_co_u32 v13, vcc_lo, v0, v8
	s_wait_alu 0xfffd
	v_add_co_ci_u32_e64 v25, null, v12, v9, vcc_lo
	s_and_saveexec_b32 s12, s31
	s_cbranch_execz .LBB455_19
; %bb.16:                               ;   in Loop: Header=BB455_6 Depth=1
	v_mul_f32_e32 v24, s26, v24
	s_and_b32 vcc_lo, exec_lo, s22
	s_wait_alu 0xfffe
	s_cbranch_vccz .LBB455_30
; %bb.17:                               ;   in Loop: Header=BB455_6 Depth=1
	v_lshlrev_b64_e32 v[26:27], 2, v[2:3]
	s_delay_alu instid0(VALU_DEP_1) | instskip(SKIP_1) | instid1(VALU_DEP_2)
	v_add_co_u32 v26, vcc_lo, v13, v26
	s_wait_alu 0xfffd
	v_add_co_ci_u32_e64 v27, null, v25, v27, vcc_lo
	flat_load_b32 v28, v[26:27]
	s_wait_loadcnt_dscnt 0x0
	v_fma_f32 v28, s27, v28, v24
	flat_store_b32 v[26:27], v28
	s_cbranch_execnz .LBB455_19
.LBB455_18:                             ;   in Loop: Header=BB455_6 Depth=1
	v_lshlrev_b64_e32 v[26:27], 2, v[2:3]
	s_delay_alu instid0(VALU_DEP_1) | instskip(SKIP_1) | instid1(VALU_DEP_2)
	v_add_co_u32 v26, vcc_lo, v13, v26
	s_wait_alu 0xfffd
	v_add_co_ci_u32_e64 v27, null, v25, v27, vcc_lo
	flat_store_b32 v[26:27], v24
.LBB455_19:                             ;   in Loop: Header=BB455_6 Depth=1
	s_wait_alu 0xfffe
	s_or_b32 exec_lo, exec_lo, s12
	s_and_saveexec_b32 s12, s23
	s_cbranch_execz .LBB455_23
; %bb.20:                               ;   in Loop: Header=BB455_6 Depth=1
	v_mul_f32_e32 v23, s26, v23
	s_and_not1_b32 vcc_lo, exec_lo, s22
	s_wait_alu 0xfffe
	s_cbranch_vccnz .LBB455_31
; %bb.21:                               ;   in Loop: Header=BB455_6 Depth=1
	v_lshlrev_b64_e32 v[26:27], 2, v[4:5]
	s_delay_alu instid0(VALU_DEP_1) | instskip(SKIP_1) | instid1(VALU_DEP_2)
	v_add_co_u32 v26, vcc_lo, v13, v26
	s_wait_alu 0xfffd
	v_add_co_ci_u32_e64 v27, null, v25, v27, vcc_lo
	flat_load_b32 v24, v[26:27]
	s_wait_loadcnt_dscnt 0x0
	v_fma_f32 v24, s27, v24, v23
	flat_store_b32 v[26:27], v24
	s_cbranch_execnz .LBB455_23
.LBB455_22:                             ;   in Loop: Header=BB455_6 Depth=1
	v_lshlrev_b64_e32 v[26:27], 2, v[4:5]
	s_delay_alu instid0(VALU_DEP_1) | instskip(SKIP_1) | instid1(VALU_DEP_2)
	v_add_co_u32 v24, vcc_lo, v13, v26
	s_wait_alu 0xfffd
	v_add_co_ci_u32_e64 v25, null, v25, v27, vcc_lo
	flat_store_b32 v[24:25], v23
.LBB455_23:                             ;   in Loop: Header=BB455_6 Depth=1
	s_wait_alu 0xfffe
	s_or_b32 exec_lo, exec_lo, s12
	v_add_co_u32 v0, vcc_lo, v0, v10
	s_wait_alu 0xfffd
	v_add_co_ci_u32_e64 v23, null, v12, v11, vcc_lo
	s_and_saveexec_b32 s12, s33
	s_cbranch_execz .LBB455_27
; %bb.24:                               ;   in Loop: Header=BB455_6 Depth=1
	v_lshlrev_b64_e32 v[12:13], 2, v[2:3]
	v_mul_f32_e32 v22, s26, v22
	s_and_not1_b32 vcc_lo, exec_lo, s22
	s_wait_alu 0xfffe
	s_cbranch_vccnz .LBB455_32
; %bb.25:                               ;   in Loop: Header=BB455_6 Depth=1
	s_delay_alu instid0(VALU_DEP_2)
	v_add_co_u32 v24, vcc_lo, v0, v12
	s_wait_alu 0xfffd
	v_add_co_ci_u32_e64 v25, null, v23, v13, vcc_lo
	flat_load_b32 v26, v[24:25]
	s_wait_loadcnt_dscnt 0x0
	v_fma_f32 v26, s27, v26, v22
	flat_store_b32 v[24:25], v26
	s_cbranch_execnz .LBB455_27
.LBB455_26:                             ;   in Loop: Header=BB455_6 Depth=1
	v_add_co_u32 v12, vcc_lo, v0, v12
	s_wait_alu 0xfffd
	v_add_co_ci_u32_e64 v13, null, v23, v13, vcc_lo
	flat_store_b32 v[12:13], v22
.LBB455_27:                             ;   in Loop: Header=BB455_6 Depth=1
	s_wait_alu 0xfffe
	s_or_b32 exec_lo, exec_lo, s12
	s_and_saveexec_b32 s12, s34
	s_cbranch_execz .LBB455_5
; %bb.28:                               ;   in Loop: Header=BB455_6 Depth=1
	v_lshlrev_b64_e32 v[12:13], 2, v[4:5]
	v_mul_f32_e32 v21, s26, v21
	s_and_not1_b32 vcc_lo, exec_lo, s22
	s_wait_alu 0xfffe
	s_cbranch_vccnz .LBB455_33
; %bb.29:                               ;   in Loop: Header=BB455_6 Depth=1
	s_delay_alu instid0(VALU_DEP_2)
	v_add_co_u32 v24, vcc_lo, v0, v12
	s_wait_alu 0xfffd
	v_add_co_ci_u32_e64 v25, null, v23, v13, vcc_lo
	flat_load_b32 v22, v[24:25]
	s_wait_loadcnt_dscnt 0x0
	v_fma_f32 v22, s27, v22, v21
	flat_store_b32 v[24:25], v22
	s_cbranch_execnz .LBB455_5
	s_branch .LBB455_34
.LBB455_30:                             ;   in Loop: Header=BB455_6 Depth=1
	s_branch .LBB455_18
.LBB455_31:                             ;   in Loop: Header=BB455_6 Depth=1
	s_branch .LBB455_22
.LBB455_32:                             ;   in Loop: Header=BB455_6 Depth=1
	s_branch .LBB455_26
.LBB455_33:                             ;   in Loop: Header=BB455_6 Depth=1
.LBB455_34:                             ;   in Loop: Header=BB455_6 Depth=1
	s_delay_alu instid0(VALU_DEP_2)
	v_add_co_u32 v12, vcc_lo, v0, v12
	s_wait_alu 0xfffd
	v_add_co_ci_u32_e64 v13, null, v23, v13, vcc_lo
	flat_store_b32 v[12:13], v21
	s_branch .LBB455_5
.LBB455_35:
	s_endpgm
	.section	.rodata,"a",@progbits
	.p2align	6, 0x0
	.amdhsa_kernel _ZL29rocblas_internal_gemmt_kernelIlLi16ELi32ELi8ELc84ELc67ELc85ELb0ELb0EffPKPKfPKPfEviT_T9_T10_S7_lS9_S7_lS8_T11_S7_li
		.amdhsa_group_segment_fixed_size 2048
		.amdhsa_private_segment_fixed_size 0
		.amdhsa_kernarg_size 108
		.amdhsa_user_sgpr_count 2
		.amdhsa_user_sgpr_dispatch_ptr 0
		.amdhsa_user_sgpr_queue_ptr 0
		.amdhsa_user_sgpr_kernarg_segment_ptr 1
		.amdhsa_user_sgpr_dispatch_id 0
		.amdhsa_user_sgpr_private_segment_size 0
		.amdhsa_wavefront_size32 1
		.amdhsa_uses_dynamic_stack 0
		.amdhsa_enable_private_segment 0
		.amdhsa_system_sgpr_workgroup_id_x 1
		.amdhsa_system_sgpr_workgroup_id_y 1
		.amdhsa_system_sgpr_workgroup_id_z 1
		.amdhsa_system_sgpr_workgroup_info 0
		.amdhsa_system_vgpr_workitem_id 1
		.amdhsa_next_free_vgpr 57
		.amdhsa_next_free_sgpr 37
		.amdhsa_reserve_vcc 1
		.amdhsa_float_round_mode_32 0
		.amdhsa_float_round_mode_16_64 0
		.amdhsa_float_denorm_mode_32 3
		.amdhsa_float_denorm_mode_16_64 3
		.amdhsa_fp16_overflow 0
		.amdhsa_workgroup_processor_mode 1
		.amdhsa_memory_ordered 1
		.amdhsa_forward_progress 1
		.amdhsa_inst_pref_size 16
		.amdhsa_round_robin_scheduling 0
		.amdhsa_exception_fp_ieee_invalid_op 0
		.amdhsa_exception_fp_denorm_src 0
		.amdhsa_exception_fp_ieee_div_zero 0
		.amdhsa_exception_fp_ieee_overflow 0
		.amdhsa_exception_fp_ieee_underflow 0
		.amdhsa_exception_fp_ieee_inexact 0
		.amdhsa_exception_int_div_zero 0
	.end_amdhsa_kernel
	.section	.text._ZL29rocblas_internal_gemmt_kernelIlLi16ELi32ELi8ELc84ELc67ELc85ELb0ELb0EffPKPKfPKPfEviT_T9_T10_S7_lS9_S7_lS8_T11_S7_li,"axG",@progbits,_ZL29rocblas_internal_gemmt_kernelIlLi16ELi32ELi8ELc84ELc67ELc85ELb0ELb0EffPKPKfPKPfEviT_T9_T10_S7_lS9_S7_lS8_T11_S7_li,comdat
.Lfunc_end455:
	.size	_ZL29rocblas_internal_gemmt_kernelIlLi16ELi32ELi8ELc84ELc67ELc85ELb0ELb0EffPKPKfPKPfEviT_T9_T10_S7_lS9_S7_lS8_T11_S7_li, .Lfunc_end455-_ZL29rocblas_internal_gemmt_kernelIlLi16ELi32ELi8ELc84ELc67ELc85ELb0ELb0EffPKPKfPKPfEviT_T9_T10_S7_lS9_S7_lS8_T11_S7_li
                                        ; -- End function
	.set _ZL29rocblas_internal_gemmt_kernelIlLi16ELi32ELi8ELc84ELc67ELc85ELb0ELb0EffPKPKfPKPfEviT_T9_T10_S7_lS9_S7_lS8_T11_S7_li.num_vgpr, 57
	.set _ZL29rocblas_internal_gemmt_kernelIlLi16ELi32ELi8ELc84ELc67ELc85ELb0ELb0EffPKPKfPKPfEviT_T9_T10_S7_lS9_S7_lS8_T11_S7_li.num_agpr, 0
	.set _ZL29rocblas_internal_gemmt_kernelIlLi16ELi32ELi8ELc84ELc67ELc85ELb0ELb0EffPKPKfPKPfEviT_T9_T10_S7_lS9_S7_lS8_T11_S7_li.numbered_sgpr, 37
	.set _ZL29rocblas_internal_gemmt_kernelIlLi16ELi32ELi8ELc84ELc67ELc85ELb0ELb0EffPKPKfPKPfEviT_T9_T10_S7_lS9_S7_lS8_T11_S7_li.num_named_barrier, 0
	.set _ZL29rocblas_internal_gemmt_kernelIlLi16ELi32ELi8ELc84ELc67ELc85ELb0ELb0EffPKPKfPKPfEviT_T9_T10_S7_lS9_S7_lS8_T11_S7_li.private_seg_size, 0
	.set _ZL29rocblas_internal_gemmt_kernelIlLi16ELi32ELi8ELc84ELc67ELc85ELb0ELb0EffPKPKfPKPfEviT_T9_T10_S7_lS9_S7_lS8_T11_S7_li.uses_vcc, 1
	.set _ZL29rocblas_internal_gemmt_kernelIlLi16ELi32ELi8ELc84ELc67ELc85ELb0ELb0EffPKPKfPKPfEviT_T9_T10_S7_lS9_S7_lS8_T11_S7_li.uses_flat_scratch, 0
	.set _ZL29rocblas_internal_gemmt_kernelIlLi16ELi32ELi8ELc84ELc67ELc85ELb0ELb0EffPKPKfPKPfEviT_T9_T10_S7_lS9_S7_lS8_T11_S7_li.has_dyn_sized_stack, 0
	.set _ZL29rocblas_internal_gemmt_kernelIlLi16ELi32ELi8ELc84ELc67ELc85ELb0ELb0EffPKPKfPKPfEviT_T9_T10_S7_lS9_S7_lS8_T11_S7_li.has_recursion, 0
	.set _ZL29rocblas_internal_gemmt_kernelIlLi16ELi32ELi8ELc84ELc67ELc85ELb0ELb0EffPKPKfPKPfEviT_T9_T10_S7_lS9_S7_lS8_T11_S7_li.has_indirect_call, 0
	.section	.AMDGPU.csdata,"",@progbits
; Kernel info:
; codeLenInByte = 1924
; TotalNumSgprs: 39
; NumVgprs: 57
; ScratchSize: 0
; MemoryBound: 0
; FloatMode: 240
; IeeeMode: 1
; LDSByteSize: 2048 bytes/workgroup (compile time only)
; SGPRBlocks: 0
; VGPRBlocks: 7
; NumSGPRsForWavesPerEU: 39
; NumVGPRsForWavesPerEU: 57
; Occupancy: 16
; WaveLimiterHint : 1
; COMPUTE_PGM_RSRC2:SCRATCH_EN: 0
; COMPUTE_PGM_RSRC2:USER_SGPR: 2
; COMPUTE_PGM_RSRC2:TRAP_HANDLER: 0
; COMPUTE_PGM_RSRC2:TGID_X_EN: 1
; COMPUTE_PGM_RSRC2:TGID_Y_EN: 1
; COMPUTE_PGM_RSRC2:TGID_Z_EN: 1
; COMPUTE_PGM_RSRC2:TIDIG_COMP_CNT: 1
	.section	.text._ZL29rocblas_internal_gemmt_kernelIlLi16ELi32ELi8ELc67ELc78ELc85ELb0ELb0EffPKPKfPKPfEviT_T9_T10_S7_lS9_S7_lS8_T11_S7_li,"axG",@progbits,_ZL29rocblas_internal_gemmt_kernelIlLi16ELi32ELi8ELc67ELc78ELc85ELb0ELb0EffPKPKfPKPfEviT_T9_T10_S7_lS9_S7_lS8_T11_S7_li,comdat
	.globl	_ZL29rocblas_internal_gemmt_kernelIlLi16ELi32ELi8ELc67ELc78ELc85ELb0ELb0EffPKPKfPKPfEviT_T9_T10_S7_lS9_S7_lS8_T11_S7_li ; -- Begin function _ZL29rocblas_internal_gemmt_kernelIlLi16ELi32ELi8ELc67ELc78ELc85ELb0ELb0EffPKPKfPKPfEviT_T9_T10_S7_lS9_S7_lS8_T11_S7_li
	.p2align	8
	.type	_ZL29rocblas_internal_gemmt_kernelIlLi16ELi32ELi8ELc67ELc78ELc85ELb0ELb0EffPKPKfPKPfEviT_T9_T10_S7_lS9_S7_lS8_T11_S7_li,@function
_ZL29rocblas_internal_gemmt_kernelIlLi16ELi32ELi8ELc67ELc78ELc85ELb0ELb0EffPKPKfPKPfEviT_T9_T10_S7_lS9_S7_lS8_T11_S7_li: ; @_ZL29rocblas_internal_gemmt_kernelIlLi16ELi32ELi8ELc67ELc78ELc85ELb0ELb0EffPKPKfPKPfEviT_T9_T10_S7_lS9_S7_lS8_T11_S7_li
; %bb.0:
	s_clause 0x1
	s_load_b32 s23, s[0:1], 0x48
	s_load_b96 s[20:22], s[0:1], 0x8
	s_wait_kmcnt 0x0
	s_cmp_neq_f32 s23, 1.0
	s_cselect_b32 s2, -1, 0
	s_delay_alu instid0(SALU_CYCLE_1)
	s_and_b32 vcc_lo, exec_lo, s2
	s_cbranch_vccnz .LBB456_2
; %bb.1:
	s_cmp_lg_u64 s[20:21], 0
	s_cselect_b32 s2, -1, 0
	s_cmp_neq_f32 s22, 0
	s_cselect_b32 s3, -1, 0
	s_delay_alu instid0(SALU_CYCLE_1)
	s_and_b32 s2, s2, s3
.LBB456_2:
	s_delay_alu instid0(SALU_CYCLE_1)
	s_and_not1_b32 vcc_lo, exec_lo, s2
	s_cbranch_vccnz .LBB456_35
; %bb.3:
	s_load_b32 s28, s[0:1], 0x68
	s_lshr_b32 s24, ttmp7, 16
	s_wait_kmcnt 0x0
	s_cmp_ge_u32 s24, s28
	s_cbranch_scc1 .LBB456_35
; %bb.4:
	v_and_b32_e32 v2, 0x3ff, v0
	v_bfe_u32 v3, v0, 10, 10
	s_clause 0x4
	s_load_b128 s[4:7], s[0:1], 0x38
	s_load_b32 s3, s[0:1], 0x0
	s_load_b256 s[8:15], s[0:1], 0x18
	s_load_b128 s[16:19], s[0:1], 0x50
	s_load_b64 s[26:27], s[0:1], 0x60
	s_lshl_b32 s0, ttmp7, 5
	v_and_b32_e32 v16, 7, v0
	v_lshl_add_u32 v1, v3, 4, v2
	s_and_b32 s1, s0, 0x1fffe0
	s_lshl_b32 s2, ttmp9, 5
	v_add_nc_u32_e32 v14, s1, v3
	v_lshlrev_b32_e32 v10, 2, v16
	v_lshrrev_b32_e32 v4, 3, v1
	v_and_b32_e32 v0, 31, v1
	v_lshrrev_b32_e32 v17, 5, v1
	s_cmp_neq_f32 s22, 0
	v_add_nc_u32_e32 v15, 16, v14
	v_add_nc_u32_e32 v5, s1, v4
	v_or_b32_e32 v1, s2, v0
	v_lshlrev_b32_e32 v12, 2, v0
	s_cselect_b32 s33, -1, 0
	v_lshl_add_u32 v21, v3, 5, 0x400
	s_wait_kmcnt 0x0
	v_mad_co_u64_u32 v[8:9], null, s4, v5, 0
	v_cmp_gt_i32_e64 s0, s3, v1
	v_mul_lo_u32 v13, s11, v1
	v_mad_co_u64_u32 v[6:7], null, s10, v1, 0
	s_ashr_i32 s4, s2, 31
	s_cmp_neq_f32 s23, 0
	v_mov_b32_e32 v0, v9
	s_wait_alu 0xfffe
	s_mul_i32 s4, s10, s4
	v_cmp_gt_i32_e64 s1, s3, v5
	v_cmp_gt_i64_e64 s34, s[20:21], 0
	s_wait_alu 0xfffe
	v_add3_u32 v7, v7, s4, v13
	v_mad_co_u64_u32 v[0:1], null, s5, v5, v[0:1]
	v_lshl_or_b32 v1, v4, 5, v10
	v_mad_co_u64_u32 v[10:11], null, s18, v14, 0
	s_delay_alu instid0(VALU_DEP_4) | instskip(SKIP_1) | instid1(VALU_DEP_3)
	v_lshlrev_b64_e32 v[6:7], 2, v[6:7]
	s_mov_b32 s25, 0
	v_add_nc_u32_e32 v19, 0x400, v1
	v_dual_mov_b32 v9, v0 :: v_dual_lshlrev_b32 v20, 2, v2
	s_delay_alu instid0(VALU_DEP_4) | instskip(NEXT) | instid1(VALU_DEP_2)
	v_dual_mov_b32 v1, v11 :: v_dual_add_nc_u32 v0, s2, v2
	v_lshlrev_b64_e32 v[8:9], 2, v[8:9]
	s_delay_alu instid0(VALU_DEP_2) | instskip(NEXT) | instid1(VALU_DEP_3)
	v_cmp_le_i32_e64 s4, v0, v15
	v_mad_co_u64_u32 v[1:2], null, s19, v14, v[1:2]
	v_add_nc_u32_e32 v2, 16, v0
	s_delay_alu instid0(VALU_DEP_1) | instskip(NEXT) | instid1(VALU_DEP_3)
	v_cmp_le_i32_e64 s5, v2, v15
	v_mov_b32_e32 v11, v1
	v_lshl_or_b32 v18, v17, 7, v12
	v_mad_co_u64_u32 v[12:13], null, s18, v15, 0
	s_cselect_b32 s18, -1, 0
	v_lshlrev_b64_e32 v[10:11], 2, v[10:11]
	v_ashrrev_i32_e32 v1, 31, v0
	s_and_b32 s33, s33, s34
	v_mov_b32_e32 v3, v13
	s_delay_alu instid0(VALU_DEP_1)
	v_mad_co_u64_u32 v[4:5], null, s19, v15, v[3:4]
	v_mov_b32_e32 v5, 0
	v_cmp_gt_i32_e32 vcc_lo, s3, v14
	v_cmp_le_i32_e64 s2, v0, v14
	v_cmp_gt_i32_e64 s3, s3, v15
	v_ashrrev_i32_e32 v3, 31, v2
	v_mov_b32_e32 v13, v4
	s_and_b32 s29, vcc_lo, s2
	v_cmp_le_i32_e64 s2, v2, v14
	s_and_b32 s30, s3, s4
	s_and_b32 s31, s3, s5
	v_lshlrev_b64_e32 v[12:13], 2, v[12:13]
	s_lshl_b64 s[4:5], s[12:13], 2
	s_and_b32 s19, vcc_lo, s2
	s_lshl_b64 s[2:3], s[6:7], 2
	s_lshl_b64 s[6:7], s[26:27], 2
	s_branch .LBB456_6
.LBB456_5:                              ;   in Loop: Header=BB456_6 Depth=1
	s_wait_alu 0xfffe
	s_or_b32 exec_lo, exec_lo, s10
	s_add_co_i32 s24, s24, 0x10000
	s_delay_alu instid0(SALU_CYCLE_1)
	s_cmp_lt_u32 s24, s28
	s_cbranch_scc0 .LBB456_35
.LBB456_6:                              ; =>This Loop Header: Depth=1
                                        ;     Child Loop BB456_9 Depth 2
	s_lshl_b64 s[10:11], s[24:25], 3
	v_dual_mov_b32 v25, v5 :: v_dual_mov_b32 v24, v5
	s_wait_alu 0xfffe
	s_add_nc_u64 s[12:13], s[16:17], s[10:11]
	v_dual_mov_b32 v23, v5 :: v_dual_mov_b32 v22, v5
	global_load_b64 v[14:15], v5, s[12:13]
	s_and_not1_b32 vcc_lo, exec_lo, s33
	s_wait_alu 0xfffe
	s_cbranch_vccnz .LBB456_15
; %bb.7:                                ;   in Loop: Header=BB456_6 Depth=1
	s_add_nc_u64 s[12:13], s[8:9], s[10:11]
	s_add_nc_u64 s[10:11], s[14:15], s[10:11]
	s_clause 0x1
	global_load_b64 v[25:26], v5, s[12:13]
	global_load_b64 v[27:28], v5, s[10:11]
	v_dual_mov_b32 v22, 0 :: v_dual_mov_b32 v23, 0
	v_mov_b32_e32 v24, 0
	s_mov_b64 s[10:11], 0
	s_wait_loadcnt 0x1
	v_add_co_u32 v4, vcc_lo, v25, s4
	s_wait_alu 0xfffd
	v_add_co_ci_u32_e64 v25, null, s5, v26, vcc_lo
	s_wait_loadcnt 0x0
	v_add_co_u32 v29, vcc_lo, v27, s2
	s_wait_alu 0xfffd
	v_add_co_ci_u32_e64 v30, null, s3, v28, vcc_lo
	v_add_co_u32 v26, vcc_lo, v4, v6
	s_wait_alu 0xfffd
	v_add_co_ci_u32_e64 v27, null, v25, v7, vcc_lo
	;; [unrolled: 3-line block ×3, first 2 shown]
	v_mov_b32_e32 v25, 0
	s_branch .LBB456_9
.LBB456_8:                              ;   in Loop: Header=BB456_9 Depth=2
	s_or_b32 exec_lo, exec_lo, s12
	s_wait_loadcnt_dscnt 0x0
	ds_store_b32 v19, v31
	s_wait_dscnt 0x0
	s_barrier_signal -1
	s_barrier_wait -1
	global_inv scope:SCOPE_SE
	ds_load_b128 v[30:33], v21
	ds_load_2addr_b32 v[46:47], v20 offset1:16
	ds_load_b128 v[34:37], v21 offset:512
	ds_load_2addr_b32 v[48:49], v20 offset0:32 offset1:48
	ds_load_2addr_b32 v[50:51], v20 offset0:64 offset1:80
	;; [unrolled: 1-line block ×3, first 2 shown]
	ds_load_b128 v[38:41], v21 offset:16
	ds_load_2addr_b32 v[54:55], v20 offset0:128 offset1:144
	ds_load_b128 v[42:45], v21 offset:528
	ds_load_2addr_b32 v[56:57], v20 offset0:160 offset1:176
	s_add_nc_u64 s[10:11], s[10:11], 8
	s_wait_alu 0xfffe
	v_cmp_gt_i64_e64 s12, s[20:21], s[10:11]
	s_and_b32 vcc_lo, exec_lo, s12
	s_wait_dscnt 0x8
	v_fmac_f32_e32 v24, v47, v30
	v_fmac_f32_e32 v25, v46, v30
	s_wait_dscnt 0x7
	v_fmac_f32_e32 v22, v47, v34
	v_fmac_f32_e32 v23, v46, v34
	ds_load_2addr_b32 v[46:47], v20 offset0:192 offset1:208
	s_wait_dscnt 0x7
	v_fmac_f32_e32 v24, v49, v31
	v_fmac_f32_e32 v25, v48, v31
	;; [unrolled: 1-line block ×4, first 2 shown]
	ds_load_2addr_b32 v[30:31], v20 offset0:224 offset1:240
	s_wait_dscnt 0x7
	v_fmac_f32_e32 v24, v51, v32
	v_fmac_f32_e32 v25, v50, v32
	;; [unrolled: 1-line block ×4, first 2 shown]
	s_wait_loadcnt_dscnt 0x0
	v_fmac_f32_e32 v24, v53, v33
	v_fmac_f32_e32 v25, v52, v33
	;; [unrolled: 1-line block ×4, first 2 shown]
	s_barrier_signal -1
	v_fmac_f32_e32 v24, v55, v38
	v_fmac_f32_e32 v25, v54, v38
	;; [unrolled: 1-line block ×4, first 2 shown]
	s_barrier_wait -1
	v_fmac_f32_e32 v24, v57, v39
	v_fmac_f32_e32 v25, v56, v39
	;; [unrolled: 1-line block ×4, first 2 shown]
	global_inv scope:SCOPE_SE
	v_fmac_f32_e32 v24, v47, v40
	v_fmac_f32_e32 v25, v46, v40
	;; [unrolled: 1-line block ×3, first 2 shown]
	s_delay_alu instid0(VALU_DEP_3) | instskip(NEXT) | instid1(VALU_DEP_3)
	v_dual_fmac_f32 v23, v46, v44 :: v_dual_fmac_f32 v24, v31, v41
	v_fmac_f32_e32 v25, v30, v41
	s_delay_alu instid0(VALU_DEP_3) | instskip(NEXT) | instid1(VALU_DEP_3)
	v_fmac_f32_e32 v22, v31, v45
	v_fmac_f32_e32 v23, v30, v45
	s_wait_alu 0xfffe
	s_cbranch_vccz .LBB456_15
.LBB456_9:                              ;   Parent Loop BB456_6 Depth=1
                                        ; =>  This Inner Loop Header: Depth=2
	v_mov_b32_e32 v30, 0
	s_and_saveexec_b32 s12, s0
	s_cbranch_execz .LBB456_13
; %bb.10:                               ;   in Loop: Header=BB456_9 Depth=2
	s_wait_alu 0xfffe
	v_add_nc_u32_e32 v4, s10, v17
	v_mov_b32_e32 v30, 0
	s_mov_b32 s13, exec_lo
	s_delay_alu instid0(VALU_DEP_2)
	v_cmpx_gt_u64_e64 s[20:21], v[4:5]
	s_cbranch_execz .LBB456_12
; %bb.11:                               ;   in Loop: Header=BB456_9 Depth=2
	v_lshlrev_b64_e32 v[30:31], 2, v[4:5]
	s_delay_alu instid0(VALU_DEP_1) | instskip(SKIP_1) | instid1(VALU_DEP_2)
	v_add_co_u32 v30, vcc_lo, v26, v30
	s_wait_alu 0xfffd
	v_add_co_ci_u32_e64 v31, null, v27, v31, vcc_lo
	flat_load_b32 v30, v[30:31]
.LBB456_12:                             ;   in Loop: Header=BB456_9 Depth=2
	s_or_b32 exec_lo, exec_lo, s13
.LBB456_13:                             ;   in Loop: Header=BB456_9 Depth=2
	s_delay_alu instid0(SALU_CYCLE_1)
	s_or_b32 exec_lo, exec_lo, s12
	s_wait_alu 0xfffe
	v_dual_mov_b32 v31, 0 :: v_dual_add_nc_u32 v4, s10, v16
	s_wait_loadcnt_dscnt 0x0
	ds_store_b32 v18, v30
	v_cmp_gt_u64_e32 vcc_lo, s[20:21], v[4:5]
	s_and_b32 s13, vcc_lo, s1
	s_delay_alu instid0(SALU_CYCLE_1)
	s_and_saveexec_b32 s12, s13
	s_cbranch_execz .LBB456_8
; %bb.14:                               ;   in Loop: Header=BB456_9 Depth=2
	v_lshlrev_b64_e32 v[30:31], 2, v[4:5]
	s_delay_alu instid0(VALU_DEP_1) | instskip(SKIP_1) | instid1(VALU_DEP_2)
	v_add_co_u32 v30, vcc_lo, v28, v30
	s_wait_alu 0xfffd
	v_add_co_ci_u32_e64 v31, null, v29, v31, vcc_lo
	flat_load_b32 v31, v[30:31]
	s_branch .LBB456_8
.LBB456_15:                             ;   in Loop: Header=BB456_6 Depth=1
	s_wait_loadcnt 0x0
	v_add_co_u32 v4, vcc_lo, v14, s6
	s_wait_alu 0xfffd
	v_add_co_ci_u32_e64 v14, null, s7, v15, vcc_lo
	s_delay_alu instid0(VALU_DEP_2) | instskip(SKIP_1) | instid1(VALU_DEP_2)
	v_add_co_u32 v15, vcc_lo, v4, v10
	s_wait_alu 0xfffd
	v_add_co_ci_u32_e64 v26, null, v14, v11, vcc_lo
	s_and_saveexec_b32 s10, s29
	s_cbranch_execz .LBB456_19
; %bb.16:                               ;   in Loop: Header=BB456_6 Depth=1
	v_mul_f32_e32 v25, s22, v25
	s_and_b32 vcc_lo, exec_lo, s18
	s_wait_alu 0xfffe
	s_cbranch_vccz .LBB456_30
; %bb.17:                               ;   in Loop: Header=BB456_6 Depth=1
	v_lshlrev_b64_e32 v[27:28], 2, v[0:1]
	s_delay_alu instid0(VALU_DEP_1) | instskip(SKIP_1) | instid1(VALU_DEP_2)
	v_add_co_u32 v27, vcc_lo, v15, v27
	s_wait_alu 0xfffd
	v_add_co_ci_u32_e64 v28, null, v26, v28, vcc_lo
	flat_load_b32 v29, v[27:28]
	s_wait_loadcnt_dscnt 0x0
	v_fma_f32 v29, s23, v29, v25
	flat_store_b32 v[27:28], v29
	s_cbranch_execnz .LBB456_19
.LBB456_18:                             ;   in Loop: Header=BB456_6 Depth=1
	v_lshlrev_b64_e32 v[27:28], 2, v[0:1]
	s_delay_alu instid0(VALU_DEP_1) | instskip(SKIP_1) | instid1(VALU_DEP_2)
	v_add_co_u32 v27, vcc_lo, v15, v27
	s_wait_alu 0xfffd
	v_add_co_ci_u32_e64 v28, null, v26, v28, vcc_lo
	flat_store_b32 v[27:28], v25
.LBB456_19:                             ;   in Loop: Header=BB456_6 Depth=1
	s_wait_alu 0xfffe
	s_or_b32 exec_lo, exec_lo, s10
	s_and_saveexec_b32 s10, s19
	s_cbranch_execz .LBB456_23
; %bb.20:                               ;   in Loop: Header=BB456_6 Depth=1
	v_mul_f32_e32 v24, s22, v24
	s_and_not1_b32 vcc_lo, exec_lo, s18
	s_wait_alu 0xfffe
	s_cbranch_vccnz .LBB456_31
; %bb.21:                               ;   in Loop: Header=BB456_6 Depth=1
	v_lshlrev_b64_e32 v[27:28], 2, v[2:3]
	s_delay_alu instid0(VALU_DEP_1) | instskip(SKIP_1) | instid1(VALU_DEP_2)
	v_add_co_u32 v27, vcc_lo, v15, v27
	s_wait_alu 0xfffd
	v_add_co_ci_u32_e64 v28, null, v26, v28, vcc_lo
	flat_load_b32 v25, v[27:28]
	s_wait_loadcnt_dscnt 0x0
	v_fma_f32 v25, s23, v25, v24
	flat_store_b32 v[27:28], v25
	s_cbranch_execnz .LBB456_23
.LBB456_22:                             ;   in Loop: Header=BB456_6 Depth=1
	v_lshlrev_b64_e32 v[27:28], 2, v[2:3]
	s_delay_alu instid0(VALU_DEP_1) | instskip(SKIP_1) | instid1(VALU_DEP_2)
	v_add_co_u32 v25, vcc_lo, v15, v27
	s_wait_alu 0xfffd
	v_add_co_ci_u32_e64 v26, null, v26, v28, vcc_lo
	flat_store_b32 v[25:26], v24
.LBB456_23:                             ;   in Loop: Header=BB456_6 Depth=1
	s_wait_alu 0xfffe
	s_or_b32 exec_lo, exec_lo, s10
	v_add_co_u32 v4, vcc_lo, v4, v12
	s_wait_alu 0xfffd
	v_add_co_ci_u32_e64 v24, null, v14, v13, vcc_lo
	s_and_saveexec_b32 s10, s30
	s_cbranch_execz .LBB456_27
; %bb.24:                               ;   in Loop: Header=BB456_6 Depth=1
	v_lshlrev_b64_e32 v[14:15], 2, v[0:1]
	v_mul_f32_e32 v23, s22, v23
	s_and_not1_b32 vcc_lo, exec_lo, s18
	s_wait_alu 0xfffe
	s_cbranch_vccnz .LBB456_32
; %bb.25:                               ;   in Loop: Header=BB456_6 Depth=1
	s_delay_alu instid0(VALU_DEP_2)
	v_add_co_u32 v25, vcc_lo, v4, v14
	s_wait_alu 0xfffd
	v_add_co_ci_u32_e64 v26, null, v24, v15, vcc_lo
	flat_load_b32 v27, v[25:26]
	s_wait_loadcnt_dscnt 0x0
	v_fma_f32 v27, s23, v27, v23
	flat_store_b32 v[25:26], v27
	s_cbranch_execnz .LBB456_27
.LBB456_26:                             ;   in Loop: Header=BB456_6 Depth=1
	v_add_co_u32 v14, vcc_lo, v4, v14
	s_wait_alu 0xfffd
	v_add_co_ci_u32_e64 v15, null, v24, v15, vcc_lo
	flat_store_b32 v[14:15], v23
.LBB456_27:                             ;   in Loop: Header=BB456_6 Depth=1
	s_wait_alu 0xfffe
	s_or_b32 exec_lo, exec_lo, s10
	s_and_saveexec_b32 s10, s31
	s_cbranch_execz .LBB456_5
; %bb.28:                               ;   in Loop: Header=BB456_6 Depth=1
	v_lshlrev_b64_e32 v[14:15], 2, v[2:3]
	v_mul_f32_e32 v22, s22, v22
	s_and_not1_b32 vcc_lo, exec_lo, s18
	s_wait_alu 0xfffe
	s_cbranch_vccnz .LBB456_33
; %bb.29:                               ;   in Loop: Header=BB456_6 Depth=1
	s_delay_alu instid0(VALU_DEP_2)
	v_add_co_u32 v25, vcc_lo, v4, v14
	s_wait_alu 0xfffd
	v_add_co_ci_u32_e64 v26, null, v24, v15, vcc_lo
	flat_load_b32 v23, v[25:26]
	s_wait_loadcnt_dscnt 0x0
	v_fma_f32 v23, s23, v23, v22
	flat_store_b32 v[25:26], v23
	s_cbranch_execnz .LBB456_5
	s_branch .LBB456_34
.LBB456_30:                             ;   in Loop: Header=BB456_6 Depth=1
	s_branch .LBB456_18
.LBB456_31:                             ;   in Loop: Header=BB456_6 Depth=1
	s_branch .LBB456_22
.LBB456_32:                             ;   in Loop: Header=BB456_6 Depth=1
	s_branch .LBB456_26
.LBB456_33:                             ;   in Loop: Header=BB456_6 Depth=1
.LBB456_34:                             ;   in Loop: Header=BB456_6 Depth=1
	s_delay_alu instid0(VALU_DEP_2)
	v_add_co_u32 v14, vcc_lo, v4, v14
	s_wait_alu 0xfffd
	v_add_co_ci_u32_e64 v15, null, v24, v15, vcc_lo
	flat_store_b32 v[14:15], v22
	s_branch .LBB456_5
.LBB456_35:
	s_endpgm
	.section	.rodata,"a",@progbits
	.p2align	6, 0x0
	.amdhsa_kernel _ZL29rocblas_internal_gemmt_kernelIlLi16ELi32ELi8ELc67ELc78ELc85ELb0ELb0EffPKPKfPKPfEviT_T9_T10_S7_lS9_S7_lS8_T11_S7_li
		.amdhsa_group_segment_fixed_size 2048
		.amdhsa_private_segment_fixed_size 0
		.amdhsa_kernarg_size 108
		.amdhsa_user_sgpr_count 2
		.amdhsa_user_sgpr_dispatch_ptr 0
		.amdhsa_user_sgpr_queue_ptr 0
		.amdhsa_user_sgpr_kernarg_segment_ptr 1
		.amdhsa_user_sgpr_dispatch_id 0
		.amdhsa_user_sgpr_private_segment_size 0
		.amdhsa_wavefront_size32 1
		.amdhsa_uses_dynamic_stack 0
		.amdhsa_enable_private_segment 0
		.amdhsa_system_sgpr_workgroup_id_x 1
		.amdhsa_system_sgpr_workgroup_id_y 1
		.amdhsa_system_sgpr_workgroup_id_z 1
		.amdhsa_system_sgpr_workgroup_info 0
		.amdhsa_system_vgpr_workitem_id 1
		.amdhsa_next_free_vgpr 58
		.amdhsa_next_free_sgpr 35
		.amdhsa_reserve_vcc 1
		.amdhsa_float_round_mode_32 0
		.amdhsa_float_round_mode_16_64 0
		.amdhsa_float_denorm_mode_32 3
		.amdhsa_float_denorm_mode_16_64 3
		.amdhsa_fp16_overflow 0
		.amdhsa_workgroup_processor_mode 1
		.amdhsa_memory_ordered 1
		.amdhsa_forward_progress 1
		.amdhsa_inst_pref_size 16
		.amdhsa_round_robin_scheduling 0
		.amdhsa_exception_fp_ieee_invalid_op 0
		.amdhsa_exception_fp_denorm_src 0
		.amdhsa_exception_fp_ieee_div_zero 0
		.amdhsa_exception_fp_ieee_overflow 0
		.amdhsa_exception_fp_ieee_underflow 0
		.amdhsa_exception_fp_ieee_inexact 0
		.amdhsa_exception_int_div_zero 0
	.end_amdhsa_kernel
	.section	.text._ZL29rocblas_internal_gemmt_kernelIlLi16ELi32ELi8ELc67ELc78ELc85ELb0ELb0EffPKPKfPKPfEviT_T9_T10_S7_lS9_S7_lS8_T11_S7_li,"axG",@progbits,_ZL29rocblas_internal_gemmt_kernelIlLi16ELi32ELi8ELc67ELc78ELc85ELb0ELb0EffPKPKfPKPfEviT_T9_T10_S7_lS9_S7_lS8_T11_S7_li,comdat
.Lfunc_end456:
	.size	_ZL29rocblas_internal_gemmt_kernelIlLi16ELi32ELi8ELc67ELc78ELc85ELb0ELb0EffPKPKfPKPfEviT_T9_T10_S7_lS9_S7_lS8_T11_S7_li, .Lfunc_end456-_ZL29rocblas_internal_gemmt_kernelIlLi16ELi32ELi8ELc67ELc78ELc85ELb0ELb0EffPKPKfPKPfEviT_T9_T10_S7_lS9_S7_lS8_T11_S7_li
                                        ; -- End function
	.set _ZL29rocblas_internal_gemmt_kernelIlLi16ELi32ELi8ELc67ELc78ELc85ELb0ELb0EffPKPKfPKPfEviT_T9_T10_S7_lS9_S7_lS8_T11_S7_li.num_vgpr, 58
	.set _ZL29rocblas_internal_gemmt_kernelIlLi16ELi32ELi8ELc67ELc78ELc85ELb0ELb0EffPKPKfPKPfEviT_T9_T10_S7_lS9_S7_lS8_T11_S7_li.num_agpr, 0
	.set _ZL29rocblas_internal_gemmt_kernelIlLi16ELi32ELi8ELc67ELc78ELc85ELb0ELb0EffPKPKfPKPfEviT_T9_T10_S7_lS9_S7_lS8_T11_S7_li.numbered_sgpr, 35
	.set _ZL29rocblas_internal_gemmt_kernelIlLi16ELi32ELi8ELc67ELc78ELc85ELb0ELb0EffPKPKfPKPfEviT_T9_T10_S7_lS9_S7_lS8_T11_S7_li.num_named_barrier, 0
	.set _ZL29rocblas_internal_gemmt_kernelIlLi16ELi32ELi8ELc67ELc78ELc85ELb0ELb0EffPKPKfPKPfEviT_T9_T10_S7_lS9_S7_lS8_T11_S7_li.private_seg_size, 0
	.set _ZL29rocblas_internal_gemmt_kernelIlLi16ELi32ELi8ELc67ELc78ELc85ELb0ELb0EffPKPKfPKPfEviT_T9_T10_S7_lS9_S7_lS8_T11_S7_li.uses_vcc, 1
	.set _ZL29rocblas_internal_gemmt_kernelIlLi16ELi32ELi8ELc67ELc78ELc85ELb0ELb0EffPKPKfPKPfEviT_T9_T10_S7_lS9_S7_lS8_T11_S7_li.uses_flat_scratch, 0
	.set _ZL29rocblas_internal_gemmt_kernelIlLi16ELi32ELi8ELc67ELc78ELc85ELb0ELb0EffPKPKfPKPfEviT_T9_T10_S7_lS9_S7_lS8_T11_S7_li.has_dyn_sized_stack, 0
	.set _ZL29rocblas_internal_gemmt_kernelIlLi16ELi32ELi8ELc67ELc78ELc85ELb0ELb0EffPKPKfPKPfEviT_T9_T10_S7_lS9_S7_lS8_T11_S7_li.has_recursion, 0
	.set _ZL29rocblas_internal_gemmt_kernelIlLi16ELi32ELi8ELc67ELc78ELc85ELb0ELb0EffPKPKfPKPfEviT_T9_T10_S7_lS9_S7_lS8_T11_S7_li.has_indirect_call, 0
	.section	.AMDGPU.csdata,"",@progbits
; Kernel info:
; codeLenInByte = 1948
; TotalNumSgprs: 37
; NumVgprs: 58
; ScratchSize: 0
; MemoryBound: 0
; FloatMode: 240
; IeeeMode: 1
; LDSByteSize: 2048 bytes/workgroup (compile time only)
; SGPRBlocks: 0
; VGPRBlocks: 7
; NumSGPRsForWavesPerEU: 37
; NumVGPRsForWavesPerEU: 58
; Occupancy: 16
; WaveLimiterHint : 1
; COMPUTE_PGM_RSRC2:SCRATCH_EN: 0
; COMPUTE_PGM_RSRC2:USER_SGPR: 2
; COMPUTE_PGM_RSRC2:TRAP_HANDLER: 0
; COMPUTE_PGM_RSRC2:TGID_X_EN: 1
; COMPUTE_PGM_RSRC2:TGID_Y_EN: 1
; COMPUTE_PGM_RSRC2:TGID_Z_EN: 1
; COMPUTE_PGM_RSRC2:TIDIG_COMP_CNT: 1
	.section	.text._ZL29rocblas_internal_gemmt_kernelIlLi16ELi32ELi8ELc67ELc84ELc85ELb0ELb0EffPKPKfPKPfEviT_T9_T10_S7_lS9_S7_lS8_T11_S7_li,"axG",@progbits,_ZL29rocblas_internal_gemmt_kernelIlLi16ELi32ELi8ELc67ELc84ELc85ELb0ELb0EffPKPKfPKPfEviT_T9_T10_S7_lS9_S7_lS8_T11_S7_li,comdat
	.globl	_ZL29rocblas_internal_gemmt_kernelIlLi16ELi32ELi8ELc67ELc84ELc85ELb0ELb0EffPKPKfPKPfEviT_T9_T10_S7_lS9_S7_lS8_T11_S7_li ; -- Begin function _ZL29rocblas_internal_gemmt_kernelIlLi16ELi32ELi8ELc67ELc84ELc85ELb0ELb0EffPKPKfPKPfEviT_T9_T10_S7_lS9_S7_lS8_T11_S7_li
	.p2align	8
	.type	_ZL29rocblas_internal_gemmt_kernelIlLi16ELi32ELi8ELc67ELc84ELc85ELb0ELb0EffPKPKfPKPfEviT_T9_T10_S7_lS9_S7_lS8_T11_S7_li,@function
_ZL29rocblas_internal_gemmt_kernelIlLi16ELi32ELi8ELc67ELc84ELc85ELb0ELb0EffPKPKfPKPfEviT_T9_T10_S7_lS9_S7_lS8_T11_S7_li: ; @_ZL29rocblas_internal_gemmt_kernelIlLi16ELi32ELi8ELc67ELc84ELc85ELb0ELb0EffPKPKfPKPfEviT_T9_T10_S7_lS9_S7_lS8_T11_S7_li
; %bb.0:
	s_clause 0x1
	s_load_b32 s27, s[0:1], 0x48
	s_load_b96 s[24:26], s[0:1], 0x8
	s_wait_kmcnt 0x0
	s_cmp_neq_f32 s27, 1.0
	s_cselect_b32 s2, -1, 0
	s_delay_alu instid0(SALU_CYCLE_1)
	s_and_b32 vcc_lo, exec_lo, s2
	s_cbranch_vccnz .LBB457_2
; %bb.1:
	s_cmp_lg_u64 s[24:25], 0
	s_cselect_b32 s2, -1, 0
	s_cmp_neq_f32 s26, 0
	s_cselect_b32 s3, -1, 0
	s_delay_alu instid0(SALU_CYCLE_1)
	s_and_b32 s2, s2, s3
.LBB457_2:
	s_delay_alu instid0(SALU_CYCLE_1)
	s_and_not1_b32 vcc_lo, exec_lo, s2
	s_cbranch_vccnz .LBB457_35
; %bb.3:
	s_load_b32 s30, s[0:1], 0x68
	s_lshr_b32 s6, ttmp7, 16
	s_wait_kmcnt 0x0
	s_cmp_ge_u32 s6, s30
	s_cbranch_scc1 .LBB457_35
; %bb.4:
	s_clause 0x4
	s_load_b32 s3, s[0:1], 0x0
	s_load_b256 s[8:15], s[0:1], 0x18
	s_load_b128 s[16:19], s[0:1], 0x38
	s_load_b128 s[20:23], s[0:1], 0x50
	s_load_b64 s[28:29], s[0:1], 0x60
	v_and_b32_e32 v2, 0x3ff, v0
	v_bfe_u32 v5, v0, 10, 10
	s_lshl_b32 s0, ttmp7, 5
	v_and_b32_e32 v14, 7, v0
	s_and_b32 s1, s0, 0x1fffe0
	s_lshl_b32 s2, ttmp9, 5
	v_lshl_add_u32 v1, v5, 4, v2
	v_add_nc_u32_e32 v20, s1, v5
	v_lshlrev_b32_e32 v8, 2, v14
	s_cmp_neq_f32 s26, 0
	v_cmp_gt_i64_e64 s36, s[24:25], 0
	v_lshrrev_b32_e32 v0, 3, v1
	v_add_nc_u32_e32 v21, 16, v20
	v_lshrrev_b32_e32 v15, 5, v1
	s_cselect_b32 s35, -1, 0
	s_ashr_i32 s4, s2, 31
	s_cmp_neq_f32 s27, 0
	s_wait_kmcnt 0x0
	v_cmp_gt_i32_e32 vcc_lo, s3, v20
	v_mad_co_u64_u32 v[10:11], null, s22, v21, 0
	v_add_nc_u32_e32 v13, s1, v0
	v_lshl_or_b32 v0, v0, 5, v8
	v_mad_co_u64_u32 v[8:9], null, s22, v20, 0
	v_and_b32_e32 v1, 31, v1
	s_mul_i32 s1, s10, s4
	s_delay_alu instid0(VALU_DEP_3) | instskip(SKIP_3) | instid1(VALU_DEP_4)
	v_add_nc_u32_e32 v17, 0x400, v0
	s_cselect_b32 s22, -1, 0
	v_lshl_add_u32 v19, v5, 5, 0x400
	s_mov_b32 s7, 0
	v_mov_b32_e32 v0, v9
	v_or_b32_e32 v3, s2, v1
	v_lshlrev_b32_e32 v1, 2, v1
	s_and_b32 s35, s35, s36
	s_delay_alu instid0(VALU_DEP_2) | instskip(SKIP_1) | instid1(VALU_DEP_3)
	v_mul_lo_u32 v4, s11, v3
	v_mad_co_u64_u32 v[6:7], null, s10, v3, 0
	v_lshl_or_b32 v16, v15, 7, v1
	v_mov_b32_e32 v1, 0
	v_cmp_gt_i32_e64 s0, s3, v3
	v_lshlrev_b32_e32 v18, 2, v2
	v_add_nc_u32_e32 v2, s2, v2
	s_lshl_b64 s[10:11], s[28:29], 2
	s_wait_alu 0xfffe
	v_add3_u32 v7, v7, s1, v4
	v_mad_co_u64_u32 v[3:4], null, s23, v20, v[0:1]
	v_mov_b32_e32 v0, v11
	v_cmp_le_i32_e64 s2, v2, v20
	v_add_nc_u32_e32 v4, 16, v2
	v_cmp_gt_i32_e64 s1, s3, v13
	v_cmp_gt_i32_e64 s3, s3, v21
	v_mad_co_u64_u32 v[11:12], null, s23, v21, v[0:1]
	v_mov_b32_e32 v9, v3
	s_and_b32 s31, vcc_lo, s2
	v_cmp_le_i32_e64 s2, v4, v20
	v_cmp_le_i32_e64 s4, v2, v21
	;; [unrolled: 1-line block ×3, first 2 shown]
	v_lshlrev_b64_e32 v[6:7], 2, v[6:7]
	v_lshlrev_b64_e32 v[8:9], 2, v[8:9]
	;; [unrolled: 1-line block ×3, first 2 shown]
	v_ashrrev_i32_e32 v3, 31, v2
	v_ashrrev_i32_e32 v5, 31, v4
	v_lshlrev_b32_e32 v20, 2, v13
	s_and_b32 s23, vcc_lo, s2
	s_and_b32 s33, s3, s4
	s_and_b32 s34, s3, s5
	s_lshl_b64 s[2:3], s[18:19], 2
	s_lshl_b64 s[4:5], s[12:13], 2
	s_branch .LBB457_6
.LBB457_5:                              ;   in Loop: Header=BB457_6 Depth=1
	s_wait_alu 0xfffe
	s_or_b32 exec_lo, exec_lo, s12
	s_add_co_i32 s6, s6, 0x10000
	s_delay_alu instid0(SALU_CYCLE_1)
	s_cmp_lt_u32 s6, s30
	s_cbranch_scc0 .LBB457_35
.LBB457_6:                              ; =>This Loop Header: Depth=1
                                        ;     Child Loop BB457_9 Depth 2
	s_lshl_b64 s[12:13], s[6:7], 3
	v_dual_mov_b32 v24, v1 :: v_dual_mov_b32 v23, v1
	s_wait_alu 0xfffe
	s_add_nc_u64 s[18:19], s[20:21], s[12:13]
	v_dual_mov_b32 v22, v1 :: v_dual_mov_b32 v21, v1
	global_load_b64 v[12:13], v1, s[18:19]
	s_and_not1_b32 vcc_lo, exec_lo, s35
	s_wait_alu 0xfffe
	s_cbranch_vccnz .LBB457_15
; %bb.7:                                ;   in Loop: Header=BB457_6 Depth=1
	s_add_nc_u64 s[18:19], s[8:9], s[12:13]
	s_add_nc_u64 s[12:13], s[14:15], s[12:13]
	s_clause 0x1
	global_load_b64 v[24:25], v1, s[18:19]
	global_load_b64 v[26:27], v1, s[12:13]
	v_dual_mov_b32 v21, 0 :: v_dual_mov_b32 v22, 0
	v_mov_b32_e32 v23, 0
	s_mov_b64 s[12:13], 0
	s_wait_loadcnt 0x1
	v_add_co_u32 v0, vcc_lo, v24, s4
	s_wait_alu 0xfffd
	v_add_co_ci_u32_e64 v24, null, s5, v25, vcc_lo
	s_wait_loadcnt 0x0
	v_add_co_u32 v28, vcc_lo, v26, s2
	s_wait_alu 0xfffd
	v_add_co_ci_u32_e64 v29, null, s3, v27, vcc_lo
	v_add_co_u32 v25, vcc_lo, v0, v6
	s_wait_alu 0xfffd
	v_add_co_ci_u32_e64 v26, null, v24, v7, vcc_lo
	;; [unrolled: 3-line block ×3, first 2 shown]
	v_mov_b32_e32 v24, 0
	s_branch .LBB457_9
.LBB457_8:                              ;   in Loop: Header=BB457_9 Depth=2
	s_or_b32 exec_lo, exec_lo, s18
	s_wait_loadcnt_dscnt 0x0
	ds_store_b32 v17, v30
	s_wait_dscnt 0x0
	s_barrier_signal -1
	s_barrier_wait -1
	global_inv scope:SCOPE_SE
	ds_load_b128 v[29:32], v19
	ds_load_2addr_b32 v[45:46], v18 offset1:16
	ds_load_b128 v[33:36], v19 offset:512
	ds_load_2addr_b32 v[47:48], v18 offset0:32 offset1:48
	ds_load_2addr_b32 v[49:50], v18 offset0:64 offset1:80
	;; [unrolled: 1-line block ×3, first 2 shown]
	ds_load_b128 v[37:40], v19 offset:16
	ds_load_2addr_b32 v[53:54], v18 offset0:128 offset1:144
	ds_load_b128 v[41:44], v19 offset:528
	ds_load_2addr_b32 v[55:56], v18 offset0:160 offset1:176
	s_add_nc_u64 s[12:13], s[12:13], 8
	s_wait_alu 0xfffe
	v_cmp_gt_i64_e64 s18, s[24:25], s[12:13]
	s_and_b32 vcc_lo, exec_lo, s18
	s_wait_dscnt 0x8
	v_fmac_f32_e32 v23, v46, v29
	v_fmac_f32_e32 v24, v45, v29
	s_wait_dscnt 0x7
	v_fmac_f32_e32 v21, v46, v33
	v_fmac_f32_e32 v22, v45, v33
	ds_load_2addr_b32 v[45:46], v18 offset0:192 offset1:208
	s_wait_dscnt 0x7
	v_fmac_f32_e32 v23, v48, v30
	v_fmac_f32_e32 v24, v47, v30
	v_fmac_f32_e32 v21, v48, v34
	v_fmac_f32_e32 v22, v47, v34
	ds_load_2addr_b32 v[29:30], v18 offset0:224 offset1:240
	s_wait_dscnt 0x7
	v_fmac_f32_e32 v23, v50, v31
	v_fmac_f32_e32 v24, v49, v31
	;; [unrolled: 1-line block ×4, first 2 shown]
	s_wait_loadcnt_dscnt 0x0
	v_fmac_f32_e32 v23, v52, v32
	v_fmac_f32_e32 v24, v51, v32
	;; [unrolled: 1-line block ×4, first 2 shown]
	s_barrier_signal -1
	v_fmac_f32_e32 v23, v54, v37
	v_fmac_f32_e32 v24, v53, v37
	;; [unrolled: 1-line block ×4, first 2 shown]
	s_barrier_wait -1
	v_fmac_f32_e32 v23, v56, v38
	v_fmac_f32_e32 v24, v55, v38
	;; [unrolled: 1-line block ×4, first 2 shown]
	global_inv scope:SCOPE_SE
	v_fmac_f32_e32 v23, v46, v39
	v_fmac_f32_e32 v24, v45, v39
	;; [unrolled: 1-line block ×3, first 2 shown]
	s_delay_alu instid0(VALU_DEP_3) | instskip(NEXT) | instid1(VALU_DEP_3)
	v_dual_fmac_f32 v22, v45, v43 :: v_dual_fmac_f32 v23, v30, v40
	v_fmac_f32_e32 v24, v29, v40
	s_delay_alu instid0(VALU_DEP_3) | instskip(NEXT) | instid1(VALU_DEP_3)
	v_fmac_f32_e32 v21, v30, v44
	v_fmac_f32_e32 v22, v29, v44
	s_wait_alu 0xfffe
	s_cbranch_vccz .LBB457_15
.LBB457_9:                              ;   Parent Loop BB457_6 Depth=1
                                        ; =>  This Inner Loop Header: Depth=2
	v_mov_b32_e32 v29, 0
	s_and_saveexec_b32 s18, s0
	s_cbranch_execz .LBB457_13
; %bb.10:                               ;   in Loop: Header=BB457_9 Depth=2
	s_wait_alu 0xfffe
	v_dual_mov_b32 v29, 0 :: v_dual_add_nc_u32 v0, s12, v15
	s_mov_b32 s19, exec_lo
	s_delay_alu instid0(VALU_DEP_1)
	v_cmpx_gt_u64_e64 s[24:25], v[0:1]
	s_cbranch_execz .LBB457_12
; %bb.11:                               ;   in Loop: Header=BB457_9 Depth=2
	v_lshlrev_b64_e32 v[29:30], 2, v[0:1]
	s_delay_alu instid0(VALU_DEP_1) | instskip(SKIP_1) | instid1(VALU_DEP_2)
	v_add_co_u32 v29, vcc_lo, v25, v29
	s_wait_alu 0xfffd
	v_add_co_ci_u32_e64 v30, null, v26, v30, vcc_lo
	flat_load_b32 v29, v[29:30]
.LBB457_12:                             ;   in Loop: Header=BB457_9 Depth=2
	s_or_b32 exec_lo, exec_lo, s19
.LBB457_13:                             ;   in Loop: Header=BB457_9 Depth=2
	s_delay_alu instid0(SALU_CYCLE_1)
	s_or_b32 exec_lo, exec_lo, s18
	s_wait_alu 0xfffe
	v_add_nc_u32_e32 v0, s12, v14
	v_mov_b32_e32 v30, 0
	s_wait_loadcnt_dscnt 0x0
	ds_store_b32 v16, v29
	v_cmp_gt_u64_e32 vcc_lo, s[24:25], v[0:1]
	s_and_b32 s19, vcc_lo, s1
	s_delay_alu instid0(SALU_CYCLE_1)
	s_and_saveexec_b32 s18, s19
	s_cbranch_execz .LBB457_8
; %bb.14:                               ;   in Loop: Header=BB457_9 Depth=2
	v_mad_co_u64_u32 v[29:30], null, s16, v0, 0
	s_delay_alu instid0(VALU_DEP_1) | instskip(NEXT) | instid1(VALU_DEP_1)
	v_mad_co_u64_u32 v[30:31], null, s17, v0, v[30:31]
	v_lshlrev_b64_e32 v[29:30], 2, v[29:30]
	s_delay_alu instid0(VALU_DEP_1) | instskip(SKIP_1) | instid1(VALU_DEP_2)
	v_add_co_u32 v29, vcc_lo, v27, v29
	s_wait_alu 0xfffd
	v_add_co_ci_u32_e64 v30, null, v28, v30, vcc_lo
	flat_load_b32 v30, v[29:30]
	s_branch .LBB457_8
.LBB457_15:                             ;   in Loop: Header=BB457_6 Depth=1
	s_wait_loadcnt 0x0
	v_add_co_u32 v0, vcc_lo, v12, s10
	s_wait_alu 0xfffd
	v_add_co_ci_u32_e64 v12, null, s11, v13, vcc_lo
	s_delay_alu instid0(VALU_DEP_2) | instskip(SKIP_1) | instid1(VALU_DEP_2)
	v_add_co_u32 v13, vcc_lo, v0, v8
	s_wait_alu 0xfffd
	v_add_co_ci_u32_e64 v25, null, v12, v9, vcc_lo
	s_and_saveexec_b32 s12, s31
	s_cbranch_execz .LBB457_19
; %bb.16:                               ;   in Loop: Header=BB457_6 Depth=1
	v_mul_f32_e32 v24, s26, v24
	s_and_b32 vcc_lo, exec_lo, s22
	s_wait_alu 0xfffe
	s_cbranch_vccz .LBB457_30
; %bb.17:                               ;   in Loop: Header=BB457_6 Depth=1
	v_lshlrev_b64_e32 v[26:27], 2, v[2:3]
	s_delay_alu instid0(VALU_DEP_1) | instskip(SKIP_1) | instid1(VALU_DEP_2)
	v_add_co_u32 v26, vcc_lo, v13, v26
	s_wait_alu 0xfffd
	v_add_co_ci_u32_e64 v27, null, v25, v27, vcc_lo
	flat_load_b32 v28, v[26:27]
	s_wait_loadcnt_dscnt 0x0
	v_fma_f32 v28, s27, v28, v24
	flat_store_b32 v[26:27], v28
	s_cbranch_execnz .LBB457_19
.LBB457_18:                             ;   in Loop: Header=BB457_6 Depth=1
	v_lshlrev_b64_e32 v[26:27], 2, v[2:3]
	s_delay_alu instid0(VALU_DEP_1) | instskip(SKIP_1) | instid1(VALU_DEP_2)
	v_add_co_u32 v26, vcc_lo, v13, v26
	s_wait_alu 0xfffd
	v_add_co_ci_u32_e64 v27, null, v25, v27, vcc_lo
	flat_store_b32 v[26:27], v24
.LBB457_19:                             ;   in Loop: Header=BB457_6 Depth=1
	s_wait_alu 0xfffe
	s_or_b32 exec_lo, exec_lo, s12
	s_and_saveexec_b32 s12, s23
	s_cbranch_execz .LBB457_23
; %bb.20:                               ;   in Loop: Header=BB457_6 Depth=1
	v_mul_f32_e32 v23, s26, v23
	s_and_not1_b32 vcc_lo, exec_lo, s22
	s_wait_alu 0xfffe
	s_cbranch_vccnz .LBB457_31
; %bb.21:                               ;   in Loop: Header=BB457_6 Depth=1
	v_lshlrev_b64_e32 v[26:27], 2, v[4:5]
	s_delay_alu instid0(VALU_DEP_1) | instskip(SKIP_1) | instid1(VALU_DEP_2)
	v_add_co_u32 v26, vcc_lo, v13, v26
	s_wait_alu 0xfffd
	v_add_co_ci_u32_e64 v27, null, v25, v27, vcc_lo
	flat_load_b32 v24, v[26:27]
	s_wait_loadcnt_dscnt 0x0
	v_fma_f32 v24, s27, v24, v23
	flat_store_b32 v[26:27], v24
	s_cbranch_execnz .LBB457_23
.LBB457_22:                             ;   in Loop: Header=BB457_6 Depth=1
	v_lshlrev_b64_e32 v[26:27], 2, v[4:5]
	s_delay_alu instid0(VALU_DEP_1) | instskip(SKIP_1) | instid1(VALU_DEP_2)
	v_add_co_u32 v24, vcc_lo, v13, v26
	s_wait_alu 0xfffd
	v_add_co_ci_u32_e64 v25, null, v25, v27, vcc_lo
	flat_store_b32 v[24:25], v23
.LBB457_23:                             ;   in Loop: Header=BB457_6 Depth=1
	s_wait_alu 0xfffe
	s_or_b32 exec_lo, exec_lo, s12
	v_add_co_u32 v0, vcc_lo, v0, v10
	s_wait_alu 0xfffd
	v_add_co_ci_u32_e64 v23, null, v12, v11, vcc_lo
	s_and_saveexec_b32 s12, s33
	s_cbranch_execz .LBB457_27
; %bb.24:                               ;   in Loop: Header=BB457_6 Depth=1
	v_lshlrev_b64_e32 v[12:13], 2, v[2:3]
	v_mul_f32_e32 v22, s26, v22
	s_and_not1_b32 vcc_lo, exec_lo, s22
	s_wait_alu 0xfffe
	s_cbranch_vccnz .LBB457_32
; %bb.25:                               ;   in Loop: Header=BB457_6 Depth=1
	s_delay_alu instid0(VALU_DEP_2)
	v_add_co_u32 v24, vcc_lo, v0, v12
	s_wait_alu 0xfffd
	v_add_co_ci_u32_e64 v25, null, v23, v13, vcc_lo
	flat_load_b32 v26, v[24:25]
	s_wait_loadcnt_dscnt 0x0
	v_fma_f32 v26, s27, v26, v22
	flat_store_b32 v[24:25], v26
	s_cbranch_execnz .LBB457_27
.LBB457_26:                             ;   in Loop: Header=BB457_6 Depth=1
	v_add_co_u32 v12, vcc_lo, v0, v12
	s_wait_alu 0xfffd
	v_add_co_ci_u32_e64 v13, null, v23, v13, vcc_lo
	flat_store_b32 v[12:13], v22
.LBB457_27:                             ;   in Loop: Header=BB457_6 Depth=1
	s_wait_alu 0xfffe
	s_or_b32 exec_lo, exec_lo, s12
	s_and_saveexec_b32 s12, s34
	s_cbranch_execz .LBB457_5
; %bb.28:                               ;   in Loop: Header=BB457_6 Depth=1
	v_lshlrev_b64_e32 v[12:13], 2, v[4:5]
	v_mul_f32_e32 v21, s26, v21
	s_and_not1_b32 vcc_lo, exec_lo, s22
	s_wait_alu 0xfffe
	s_cbranch_vccnz .LBB457_33
; %bb.29:                               ;   in Loop: Header=BB457_6 Depth=1
	s_delay_alu instid0(VALU_DEP_2)
	v_add_co_u32 v24, vcc_lo, v0, v12
	s_wait_alu 0xfffd
	v_add_co_ci_u32_e64 v25, null, v23, v13, vcc_lo
	flat_load_b32 v22, v[24:25]
	s_wait_loadcnt_dscnt 0x0
	v_fma_f32 v22, s27, v22, v21
	flat_store_b32 v[24:25], v22
	s_cbranch_execnz .LBB457_5
	s_branch .LBB457_34
.LBB457_30:                             ;   in Loop: Header=BB457_6 Depth=1
	s_branch .LBB457_18
.LBB457_31:                             ;   in Loop: Header=BB457_6 Depth=1
	s_branch .LBB457_22
.LBB457_32:                             ;   in Loop: Header=BB457_6 Depth=1
	s_branch .LBB457_26
.LBB457_33:                             ;   in Loop: Header=BB457_6 Depth=1
.LBB457_34:                             ;   in Loop: Header=BB457_6 Depth=1
	s_delay_alu instid0(VALU_DEP_2)
	v_add_co_u32 v12, vcc_lo, v0, v12
	s_wait_alu 0xfffd
	v_add_co_ci_u32_e64 v13, null, v23, v13, vcc_lo
	flat_store_b32 v[12:13], v21
	s_branch .LBB457_5
.LBB457_35:
	s_endpgm
	.section	.rodata,"a",@progbits
	.p2align	6, 0x0
	.amdhsa_kernel _ZL29rocblas_internal_gemmt_kernelIlLi16ELi32ELi8ELc67ELc84ELc85ELb0ELb0EffPKPKfPKPfEviT_T9_T10_S7_lS9_S7_lS8_T11_S7_li
		.amdhsa_group_segment_fixed_size 2048
		.amdhsa_private_segment_fixed_size 0
		.amdhsa_kernarg_size 108
		.amdhsa_user_sgpr_count 2
		.amdhsa_user_sgpr_dispatch_ptr 0
		.amdhsa_user_sgpr_queue_ptr 0
		.amdhsa_user_sgpr_kernarg_segment_ptr 1
		.amdhsa_user_sgpr_dispatch_id 0
		.amdhsa_user_sgpr_private_segment_size 0
		.amdhsa_wavefront_size32 1
		.amdhsa_uses_dynamic_stack 0
		.amdhsa_enable_private_segment 0
		.amdhsa_system_sgpr_workgroup_id_x 1
		.amdhsa_system_sgpr_workgroup_id_y 1
		.amdhsa_system_sgpr_workgroup_id_z 1
		.amdhsa_system_sgpr_workgroup_info 0
		.amdhsa_system_vgpr_workitem_id 1
		.amdhsa_next_free_vgpr 57
		.amdhsa_next_free_sgpr 37
		.amdhsa_reserve_vcc 1
		.amdhsa_float_round_mode_32 0
		.amdhsa_float_round_mode_16_64 0
		.amdhsa_float_denorm_mode_32 3
		.amdhsa_float_denorm_mode_16_64 3
		.amdhsa_fp16_overflow 0
		.amdhsa_workgroup_processor_mode 1
		.amdhsa_memory_ordered 1
		.amdhsa_forward_progress 1
		.amdhsa_inst_pref_size 16
		.amdhsa_round_robin_scheduling 0
		.amdhsa_exception_fp_ieee_invalid_op 0
		.amdhsa_exception_fp_denorm_src 0
		.amdhsa_exception_fp_ieee_div_zero 0
		.amdhsa_exception_fp_ieee_overflow 0
		.amdhsa_exception_fp_ieee_underflow 0
		.amdhsa_exception_fp_ieee_inexact 0
		.amdhsa_exception_int_div_zero 0
	.end_amdhsa_kernel
	.section	.text._ZL29rocblas_internal_gemmt_kernelIlLi16ELi32ELi8ELc67ELc84ELc85ELb0ELb0EffPKPKfPKPfEviT_T9_T10_S7_lS9_S7_lS8_T11_S7_li,"axG",@progbits,_ZL29rocblas_internal_gemmt_kernelIlLi16ELi32ELi8ELc67ELc84ELc85ELb0ELb0EffPKPKfPKPfEviT_T9_T10_S7_lS9_S7_lS8_T11_S7_li,comdat
.Lfunc_end457:
	.size	_ZL29rocblas_internal_gemmt_kernelIlLi16ELi32ELi8ELc67ELc84ELc85ELb0ELb0EffPKPKfPKPfEviT_T9_T10_S7_lS9_S7_lS8_T11_S7_li, .Lfunc_end457-_ZL29rocblas_internal_gemmt_kernelIlLi16ELi32ELi8ELc67ELc84ELc85ELb0ELb0EffPKPKfPKPfEviT_T9_T10_S7_lS9_S7_lS8_T11_S7_li
                                        ; -- End function
	.set _ZL29rocblas_internal_gemmt_kernelIlLi16ELi32ELi8ELc67ELc84ELc85ELb0ELb0EffPKPKfPKPfEviT_T9_T10_S7_lS9_S7_lS8_T11_S7_li.num_vgpr, 57
	.set _ZL29rocblas_internal_gemmt_kernelIlLi16ELi32ELi8ELc67ELc84ELc85ELb0ELb0EffPKPKfPKPfEviT_T9_T10_S7_lS9_S7_lS8_T11_S7_li.num_agpr, 0
	.set _ZL29rocblas_internal_gemmt_kernelIlLi16ELi32ELi8ELc67ELc84ELc85ELb0ELb0EffPKPKfPKPfEviT_T9_T10_S7_lS9_S7_lS8_T11_S7_li.numbered_sgpr, 37
	.set _ZL29rocblas_internal_gemmt_kernelIlLi16ELi32ELi8ELc67ELc84ELc85ELb0ELb0EffPKPKfPKPfEviT_T9_T10_S7_lS9_S7_lS8_T11_S7_li.num_named_barrier, 0
	.set _ZL29rocblas_internal_gemmt_kernelIlLi16ELi32ELi8ELc67ELc84ELc85ELb0ELb0EffPKPKfPKPfEviT_T9_T10_S7_lS9_S7_lS8_T11_S7_li.private_seg_size, 0
	.set _ZL29rocblas_internal_gemmt_kernelIlLi16ELi32ELi8ELc67ELc84ELc85ELb0ELb0EffPKPKfPKPfEviT_T9_T10_S7_lS9_S7_lS8_T11_S7_li.uses_vcc, 1
	.set _ZL29rocblas_internal_gemmt_kernelIlLi16ELi32ELi8ELc67ELc84ELc85ELb0ELb0EffPKPKfPKPfEviT_T9_T10_S7_lS9_S7_lS8_T11_S7_li.uses_flat_scratch, 0
	.set _ZL29rocblas_internal_gemmt_kernelIlLi16ELi32ELi8ELc67ELc84ELc85ELb0ELb0EffPKPKfPKPfEviT_T9_T10_S7_lS9_S7_lS8_T11_S7_li.has_dyn_sized_stack, 0
	.set _ZL29rocblas_internal_gemmt_kernelIlLi16ELi32ELi8ELc67ELc84ELc85ELb0ELb0EffPKPKfPKPfEviT_T9_T10_S7_lS9_S7_lS8_T11_S7_li.has_recursion, 0
	.set _ZL29rocblas_internal_gemmt_kernelIlLi16ELi32ELi8ELc67ELc84ELc85ELb0ELb0EffPKPKfPKPfEviT_T9_T10_S7_lS9_S7_lS8_T11_S7_li.has_indirect_call, 0
	.section	.AMDGPU.csdata,"",@progbits
; Kernel info:
; codeLenInByte = 1924
; TotalNumSgprs: 39
; NumVgprs: 57
; ScratchSize: 0
; MemoryBound: 0
; FloatMode: 240
; IeeeMode: 1
; LDSByteSize: 2048 bytes/workgroup (compile time only)
; SGPRBlocks: 0
; VGPRBlocks: 7
; NumSGPRsForWavesPerEU: 39
; NumVGPRsForWavesPerEU: 57
; Occupancy: 16
; WaveLimiterHint : 1
; COMPUTE_PGM_RSRC2:SCRATCH_EN: 0
; COMPUTE_PGM_RSRC2:USER_SGPR: 2
; COMPUTE_PGM_RSRC2:TRAP_HANDLER: 0
; COMPUTE_PGM_RSRC2:TGID_X_EN: 1
; COMPUTE_PGM_RSRC2:TGID_Y_EN: 1
; COMPUTE_PGM_RSRC2:TGID_Z_EN: 1
; COMPUTE_PGM_RSRC2:TIDIG_COMP_CNT: 1
	.section	.text._ZL29rocblas_internal_gemmt_kernelIlLi16ELi32ELi8ELc67ELc67ELc85ELb0ELb0EffPKPKfPKPfEviT_T9_T10_S7_lS9_S7_lS8_T11_S7_li,"axG",@progbits,_ZL29rocblas_internal_gemmt_kernelIlLi16ELi32ELi8ELc67ELc67ELc85ELb0ELb0EffPKPKfPKPfEviT_T9_T10_S7_lS9_S7_lS8_T11_S7_li,comdat
	.globl	_ZL29rocblas_internal_gemmt_kernelIlLi16ELi32ELi8ELc67ELc67ELc85ELb0ELb0EffPKPKfPKPfEviT_T9_T10_S7_lS9_S7_lS8_T11_S7_li ; -- Begin function _ZL29rocblas_internal_gemmt_kernelIlLi16ELi32ELi8ELc67ELc67ELc85ELb0ELb0EffPKPKfPKPfEviT_T9_T10_S7_lS9_S7_lS8_T11_S7_li
	.p2align	8
	.type	_ZL29rocblas_internal_gemmt_kernelIlLi16ELi32ELi8ELc67ELc67ELc85ELb0ELb0EffPKPKfPKPfEviT_T9_T10_S7_lS9_S7_lS8_T11_S7_li,@function
_ZL29rocblas_internal_gemmt_kernelIlLi16ELi32ELi8ELc67ELc67ELc85ELb0ELb0EffPKPKfPKPfEviT_T9_T10_S7_lS9_S7_lS8_T11_S7_li: ; @_ZL29rocblas_internal_gemmt_kernelIlLi16ELi32ELi8ELc67ELc67ELc85ELb0ELb0EffPKPKfPKPfEviT_T9_T10_S7_lS9_S7_lS8_T11_S7_li
; %bb.0:
	s_clause 0x1
	s_load_b32 s27, s[0:1], 0x48
	s_load_b96 s[24:26], s[0:1], 0x8
	s_wait_kmcnt 0x0
	s_cmp_neq_f32 s27, 1.0
	s_cselect_b32 s2, -1, 0
	s_delay_alu instid0(SALU_CYCLE_1)
	s_and_b32 vcc_lo, exec_lo, s2
	s_cbranch_vccnz .LBB458_2
; %bb.1:
	s_cmp_lg_u64 s[24:25], 0
	s_cselect_b32 s2, -1, 0
	s_cmp_neq_f32 s26, 0
	s_cselect_b32 s3, -1, 0
	s_delay_alu instid0(SALU_CYCLE_1)
	s_and_b32 s2, s2, s3
.LBB458_2:
	s_delay_alu instid0(SALU_CYCLE_1)
	s_and_not1_b32 vcc_lo, exec_lo, s2
	s_cbranch_vccnz .LBB458_35
; %bb.3:
	s_load_b32 s30, s[0:1], 0x68
	s_lshr_b32 s6, ttmp7, 16
	s_wait_kmcnt 0x0
	s_cmp_ge_u32 s6, s30
	s_cbranch_scc1 .LBB458_35
; %bb.4:
	s_clause 0x4
	s_load_b32 s3, s[0:1], 0x0
	s_load_b256 s[8:15], s[0:1], 0x18
	s_load_b128 s[16:19], s[0:1], 0x38
	s_load_b128 s[20:23], s[0:1], 0x50
	s_load_b64 s[28:29], s[0:1], 0x60
	v_and_b32_e32 v2, 0x3ff, v0
	v_bfe_u32 v5, v0, 10, 10
	s_lshl_b32 s0, ttmp7, 5
	v_and_b32_e32 v14, 7, v0
	s_and_b32 s1, s0, 0x1fffe0
	s_lshl_b32 s2, ttmp9, 5
	v_lshl_add_u32 v1, v5, 4, v2
	v_add_nc_u32_e32 v20, s1, v5
	v_lshlrev_b32_e32 v8, 2, v14
	s_cmp_neq_f32 s26, 0
	v_cmp_gt_i64_e64 s36, s[24:25], 0
	v_lshrrev_b32_e32 v0, 3, v1
	v_add_nc_u32_e32 v21, 16, v20
	v_lshrrev_b32_e32 v15, 5, v1
	s_cselect_b32 s35, -1, 0
	s_ashr_i32 s4, s2, 31
	s_cmp_neq_f32 s27, 0
	s_wait_kmcnt 0x0
	v_cmp_gt_i32_e32 vcc_lo, s3, v20
	v_mad_co_u64_u32 v[10:11], null, s22, v21, 0
	v_add_nc_u32_e32 v13, s1, v0
	v_lshl_or_b32 v0, v0, 5, v8
	v_mad_co_u64_u32 v[8:9], null, s22, v20, 0
	v_and_b32_e32 v1, 31, v1
	s_mul_i32 s1, s10, s4
	s_delay_alu instid0(VALU_DEP_3) | instskip(SKIP_3) | instid1(VALU_DEP_4)
	v_add_nc_u32_e32 v17, 0x400, v0
	s_cselect_b32 s22, -1, 0
	v_lshl_add_u32 v19, v5, 5, 0x400
	s_mov_b32 s7, 0
	v_mov_b32_e32 v0, v9
	v_or_b32_e32 v3, s2, v1
	v_lshlrev_b32_e32 v1, 2, v1
	s_and_b32 s35, s35, s36
	s_delay_alu instid0(VALU_DEP_2) | instskip(SKIP_1) | instid1(VALU_DEP_3)
	v_mul_lo_u32 v4, s11, v3
	v_mad_co_u64_u32 v[6:7], null, s10, v3, 0
	v_lshl_or_b32 v16, v15, 7, v1
	v_mov_b32_e32 v1, 0
	v_cmp_gt_i32_e64 s0, s3, v3
	v_lshlrev_b32_e32 v18, 2, v2
	v_add_nc_u32_e32 v2, s2, v2
	s_lshl_b64 s[10:11], s[28:29], 2
	s_wait_alu 0xfffe
	v_add3_u32 v7, v7, s1, v4
	v_mad_co_u64_u32 v[3:4], null, s23, v20, v[0:1]
	v_mov_b32_e32 v0, v11
	v_cmp_le_i32_e64 s2, v2, v20
	v_add_nc_u32_e32 v4, 16, v2
	v_cmp_gt_i32_e64 s1, s3, v13
	v_cmp_gt_i32_e64 s3, s3, v21
	v_mad_co_u64_u32 v[11:12], null, s23, v21, v[0:1]
	v_mov_b32_e32 v9, v3
	s_and_b32 s31, vcc_lo, s2
	v_cmp_le_i32_e64 s2, v4, v20
	v_cmp_le_i32_e64 s4, v2, v21
	;; [unrolled: 1-line block ×3, first 2 shown]
	v_lshlrev_b64_e32 v[6:7], 2, v[6:7]
	v_lshlrev_b64_e32 v[8:9], 2, v[8:9]
	v_lshlrev_b64_e32 v[10:11], 2, v[10:11]
	v_ashrrev_i32_e32 v3, 31, v2
	v_ashrrev_i32_e32 v5, 31, v4
	v_lshlrev_b32_e32 v20, 2, v13
	s_and_b32 s23, vcc_lo, s2
	s_and_b32 s33, s3, s4
	s_and_b32 s34, s3, s5
	s_lshl_b64 s[2:3], s[18:19], 2
	s_lshl_b64 s[4:5], s[12:13], 2
	s_branch .LBB458_6
.LBB458_5:                              ;   in Loop: Header=BB458_6 Depth=1
	s_wait_alu 0xfffe
	s_or_b32 exec_lo, exec_lo, s12
	s_add_co_i32 s6, s6, 0x10000
	s_delay_alu instid0(SALU_CYCLE_1)
	s_cmp_lt_u32 s6, s30
	s_cbranch_scc0 .LBB458_35
.LBB458_6:                              ; =>This Loop Header: Depth=1
                                        ;     Child Loop BB458_9 Depth 2
	s_lshl_b64 s[12:13], s[6:7], 3
	v_dual_mov_b32 v24, v1 :: v_dual_mov_b32 v23, v1
	s_wait_alu 0xfffe
	s_add_nc_u64 s[18:19], s[20:21], s[12:13]
	v_dual_mov_b32 v22, v1 :: v_dual_mov_b32 v21, v1
	global_load_b64 v[12:13], v1, s[18:19]
	s_and_not1_b32 vcc_lo, exec_lo, s35
	s_wait_alu 0xfffe
	s_cbranch_vccnz .LBB458_15
; %bb.7:                                ;   in Loop: Header=BB458_6 Depth=1
	s_add_nc_u64 s[18:19], s[8:9], s[12:13]
	s_add_nc_u64 s[12:13], s[14:15], s[12:13]
	s_clause 0x1
	global_load_b64 v[24:25], v1, s[18:19]
	global_load_b64 v[26:27], v1, s[12:13]
	v_dual_mov_b32 v21, 0 :: v_dual_mov_b32 v22, 0
	v_mov_b32_e32 v23, 0
	s_mov_b64 s[12:13], 0
	s_wait_loadcnt 0x1
	v_add_co_u32 v0, vcc_lo, v24, s4
	s_wait_alu 0xfffd
	v_add_co_ci_u32_e64 v24, null, s5, v25, vcc_lo
	s_wait_loadcnt 0x0
	v_add_co_u32 v28, vcc_lo, v26, s2
	s_wait_alu 0xfffd
	v_add_co_ci_u32_e64 v29, null, s3, v27, vcc_lo
	v_add_co_u32 v25, vcc_lo, v0, v6
	s_wait_alu 0xfffd
	v_add_co_ci_u32_e64 v26, null, v24, v7, vcc_lo
	;; [unrolled: 3-line block ×3, first 2 shown]
	v_mov_b32_e32 v24, 0
	s_branch .LBB458_9
.LBB458_8:                              ;   in Loop: Header=BB458_9 Depth=2
	s_or_b32 exec_lo, exec_lo, s18
	s_wait_loadcnt_dscnt 0x0
	ds_store_b32 v17, v30
	s_wait_dscnt 0x0
	s_barrier_signal -1
	s_barrier_wait -1
	global_inv scope:SCOPE_SE
	ds_load_b128 v[29:32], v19
	ds_load_2addr_b32 v[45:46], v18 offset1:16
	ds_load_b128 v[33:36], v19 offset:512
	ds_load_2addr_b32 v[47:48], v18 offset0:32 offset1:48
	ds_load_2addr_b32 v[49:50], v18 offset0:64 offset1:80
	;; [unrolled: 1-line block ×3, first 2 shown]
	ds_load_b128 v[37:40], v19 offset:16
	ds_load_2addr_b32 v[53:54], v18 offset0:128 offset1:144
	ds_load_b128 v[41:44], v19 offset:528
	ds_load_2addr_b32 v[55:56], v18 offset0:160 offset1:176
	s_add_nc_u64 s[12:13], s[12:13], 8
	s_wait_alu 0xfffe
	v_cmp_gt_i64_e64 s18, s[24:25], s[12:13]
	s_and_b32 vcc_lo, exec_lo, s18
	s_wait_dscnt 0x8
	v_fmac_f32_e32 v23, v46, v29
	v_fmac_f32_e32 v24, v45, v29
	s_wait_dscnt 0x7
	v_fmac_f32_e32 v21, v46, v33
	v_fmac_f32_e32 v22, v45, v33
	ds_load_2addr_b32 v[45:46], v18 offset0:192 offset1:208
	s_wait_dscnt 0x7
	v_fmac_f32_e32 v23, v48, v30
	v_fmac_f32_e32 v24, v47, v30
	;; [unrolled: 1-line block ×4, first 2 shown]
	ds_load_2addr_b32 v[29:30], v18 offset0:224 offset1:240
	s_wait_dscnt 0x7
	v_fmac_f32_e32 v23, v50, v31
	v_fmac_f32_e32 v24, v49, v31
	v_fmac_f32_e32 v21, v50, v35
	v_fmac_f32_e32 v22, v49, v35
	s_wait_loadcnt_dscnt 0x0
	v_fmac_f32_e32 v23, v52, v32
	v_fmac_f32_e32 v24, v51, v32
	;; [unrolled: 1-line block ×4, first 2 shown]
	s_barrier_signal -1
	v_fmac_f32_e32 v23, v54, v37
	v_fmac_f32_e32 v24, v53, v37
	;; [unrolled: 1-line block ×4, first 2 shown]
	s_barrier_wait -1
	v_fmac_f32_e32 v23, v56, v38
	v_fmac_f32_e32 v24, v55, v38
	;; [unrolled: 1-line block ×4, first 2 shown]
	global_inv scope:SCOPE_SE
	v_fmac_f32_e32 v23, v46, v39
	v_fmac_f32_e32 v24, v45, v39
	;; [unrolled: 1-line block ×3, first 2 shown]
	s_delay_alu instid0(VALU_DEP_3) | instskip(NEXT) | instid1(VALU_DEP_3)
	v_dual_fmac_f32 v22, v45, v43 :: v_dual_fmac_f32 v23, v30, v40
	v_fmac_f32_e32 v24, v29, v40
	s_delay_alu instid0(VALU_DEP_3) | instskip(NEXT) | instid1(VALU_DEP_3)
	v_fmac_f32_e32 v21, v30, v44
	v_fmac_f32_e32 v22, v29, v44
	s_wait_alu 0xfffe
	s_cbranch_vccz .LBB458_15
.LBB458_9:                              ;   Parent Loop BB458_6 Depth=1
                                        ; =>  This Inner Loop Header: Depth=2
	v_mov_b32_e32 v29, 0
	s_and_saveexec_b32 s18, s0
	s_cbranch_execz .LBB458_13
; %bb.10:                               ;   in Loop: Header=BB458_9 Depth=2
	s_wait_alu 0xfffe
	v_dual_mov_b32 v29, 0 :: v_dual_add_nc_u32 v0, s12, v15
	s_mov_b32 s19, exec_lo
	s_delay_alu instid0(VALU_DEP_1)
	v_cmpx_gt_u64_e64 s[24:25], v[0:1]
	s_cbranch_execz .LBB458_12
; %bb.11:                               ;   in Loop: Header=BB458_9 Depth=2
	v_lshlrev_b64_e32 v[29:30], 2, v[0:1]
	s_delay_alu instid0(VALU_DEP_1) | instskip(SKIP_1) | instid1(VALU_DEP_2)
	v_add_co_u32 v29, vcc_lo, v25, v29
	s_wait_alu 0xfffd
	v_add_co_ci_u32_e64 v30, null, v26, v30, vcc_lo
	flat_load_b32 v29, v[29:30]
.LBB458_12:                             ;   in Loop: Header=BB458_9 Depth=2
	s_or_b32 exec_lo, exec_lo, s19
.LBB458_13:                             ;   in Loop: Header=BB458_9 Depth=2
	s_delay_alu instid0(SALU_CYCLE_1)
	s_or_b32 exec_lo, exec_lo, s18
	s_wait_alu 0xfffe
	v_add_nc_u32_e32 v0, s12, v14
	v_mov_b32_e32 v30, 0
	s_wait_loadcnt_dscnt 0x0
	ds_store_b32 v16, v29
	v_cmp_gt_u64_e32 vcc_lo, s[24:25], v[0:1]
	s_and_b32 s19, vcc_lo, s1
	s_delay_alu instid0(SALU_CYCLE_1)
	s_and_saveexec_b32 s18, s19
	s_cbranch_execz .LBB458_8
; %bb.14:                               ;   in Loop: Header=BB458_9 Depth=2
	v_mad_co_u64_u32 v[29:30], null, s16, v0, 0
	s_delay_alu instid0(VALU_DEP_1) | instskip(NEXT) | instid1(VALU_DEP_1)
	v_mad_co_u64_u32 v[30:31], null, s17, v0, v[30:31]
	v_lshlrev_b64_e32 v[29:30], 2, v[29:30]
	s_delay_alu instid0(VALU_DEP_1) | instskip(SKIP_1) | instid1(VALU_DEP_2)
	v_add_co_u32 v29, vcc_lo, v27, v29
	s_wait_alu 0xfffd
	v_add_co_ci_u32_e64 v30, null, v28, v30, vcc_lo
	flat_load_b32 v30, v[29:30]
	s_branch .LBB458_8
.LBB458_15:                             ;   in Loop: Header=BB458_6 Depth=1
	s_wait_loadcnt 0x0
	v_add_co_u32 v0, vcc_lo, v12, s10
	s_wait_alu 0xfffd
	v_add_co_ci_u32_e64 v12, null, s11, v13, vcc_lo
	s_delay_alu instid0(VALU_DEP_2) | instskip(SKIP_1) | instid1(VALU_DEP_2)
	v_add_co_u32 v13, vcc_lo, v0, v8
	s_wait_alu 0xfffd
	v_add_co_ci_u32_e64 v25, null, v12, v9, vcc_lo
	s_and_saveexec_b32 s12, s31
	s_cbranch_execz .LBB458_19
; %bb.16:                               ;   in Loop: Header=BB458_6 Depth=1
	v_mul_f32_e32 v24, s26, v24
	s_and_b32 vcc_lo, exec_lo, s22
	s_wait_alu 0xfffe
	s_cbranch_vccz .LBB458_30
; %bb.17:                               ;   in Loop: Header=BB458_6 Depth=1
	v_lshlrev_b64_e32 v[26:27], 2, v[2:3]
	s_delay_alu instid0(VALU_DEP_1) | instskip(SKIP_1) | instid1(VALU_DEP_2)
	v_add_co_u32 v26, vcc_lo, v13, v26
	s_wait_alu 0xfffd
	v_add_co_ci_u32_e64 v27, null, v25, v27, vcc_lo
	flat_load_b32 v28, v[26:27]
	s_wait_loadcnt_dscnt 0x0
	v_fma_f32 v28, s27, v28, v24
	flat_store_b32 v[26:27], v28
	s_cbranch_execnz .LBB458_19
.LBB458_18:                             ;   in Loop: Header=BB458_6 Depth=1
	v_lshlrev_b64_e32 v[26:27], 2, v[2:3]
	s_delay_alu instid0(VALU_DEP_1) | instskip(SKIP_1) | instid1(VALU_DEP_2)
	v_add_co_u32 v26, vcc_lo, v13, v26
	s_wait_alu 0xfffd
	v_add_co_ci_u32_e64 v27, null, v25, v27, vcc_lo
	flat_store_b32 v[26:27], v24
.LBB458_19:                             ;   in Loop: Header=BB458_6 Depth=1
	s_wait_alu 0xfffe
	s_or_b32 exec_lo, exec_lo, s12
	s_and_saveexec_b32 s12, s23
	s_cbranch_execz .LBB458_23
; %bb.20:                               ;   in Loop: Header=BB458_6 Depth=1
	v_mul_f32_e32 v23, s26, v23
	s_and_not1_b32 vcc_lo, exec_lo, s22
	s_wait_alu 0xfffe
	s_cbranch_vccnz .LBB458_31
; %bb.21:                               ;   in Loop: Header=BB458_6 Depth=1
	v_lshlrev_b64_e32 v[26:27], 2, v[4:5]
	s_delay_alu instid0(VALU_DEP_1) | instskip(SKIP_1) | instid1(VALU_DEP_2)
	v_add_co_u32 v26, vcc_lo, v13, v26
	s_wait_alu 0xfffd
	v_add_co_ci_u32_e64 v27, null, v25, v27, vcc_lo
	flat_load_b32 v24, v[26:27]
	s_wait_loadcnt_dscnt 0x0
	v_fma_f32 v24, s27, v24, v23
	flat_store_b32 v[26:27], v24
	s_cbranch_execnz .LBB458_23
.LBB458_22:                             ;   in Loop: Header=BB458_6 Depth=1
	v_lshlrev_b64_e32 v[26:27], 2, v[4:5]
	s_delay_alu instid0(VALU_DEP_1) | instskip(SKIP_1) | instid1(VALU_DEP_2)
	v_add_co_u32 v24, vcc_lo, v13, v26
	s_wait_alu 0xfffd
	v_add_co_ci_u32_e64 v25, null, v25, v27, vcc_lo
	flat_store_b32 v[24:25], v23
.LBB458_23:                             ;   in Loop: Header=BB458_6 Depth=1
	s_wait_alu 0xfffe
	s_or_b32 exec_lo, exec_lo, s12
	v_add_co_u32 v0, vcc_lo, v0, v10
	s_wait_alu 0xfffd
	v_add_co_ci_u32_e64 v23, null, v12, v11, vcc_lo
	s_and_saveexec_b32 s12, s33
	s_cbranch_execz .LBB458_27
; %bb.24:                               ;   in Loop: Header=BB458_6 Depth=1
	v_lshlrev_b64_e32 v[12:13], 2, v[2:3]
	v_mul_f32_e32 v22, s26, v22
	s_and_not1_b32 vcc_lo, exec_lo, s22
	s_wait_alu 0xfffe
	s_cbranch_vccnz .LBB458_32
; %bb.25:                               ;   in Loop: Header=BB458_6 Depth=1
	s_delay_alu instid0(VALU_DEP_2)
	v_add_co_u32 v24, vcc_lo, v0, v12
	s_wait_alu 0xfffd
	v_add_co_ci_u32_e64 v25, null, v23, v13, vcc_lo
	flat_load_b32 v26, v[24:25]
	s_wait_loadcnt_dscnt 0x0
	v_fma_f32 v26, s27, v26, v22
	flat_store_b32 v[24:25], v26
	s_cbranch_execnz .LBB458_27
.LBB458_26:                             ;   in Loop: Header=BB458_6 Depth=1
	v_add_co_u32 v12, vcc_lo, v0, v12
	s_wait_alu 0xfffd
	v_add_co_ci_u32_e64 v13, null, v23, v13, vcc_lo
	flat_store_b32 v[12:13], v22
.LBB458_27:                             ;   in Loop: Header=BB458_6 Depth=1
	s_wait_alu 0xfffe
	s_or_b32 exec_lo, exec_lo, s12
	s_and_saveexec_b32 s12, s34
	s_cbranch_execz .LBB458_5
; %bb.28:                               ;   in Loop: Header=BB458_6 Depth=1
	v_lshlrev_b64_e32 v[12:13], 2, v[4:5]
	v_mul_f32_e32 v21, s26, v21
	s_and_not1_b32 vcc_lo, exec_lo, s22
	s_wait_alu 0xfffe
	s_cbranch_vccnz .LBB458_33
; %bb.29:                               ;   in Loop: Header=BB458_6 Depth=1
	s_delay_alu instid0(VALU_DEP_2)
	v_add_co_u32 v24, vcc_lo, v0, v12
	s_wait_alu 0xfffd
	v_add_co_ci_u32_e64 v25, null, v23, v13, vcc_lo
	flat_load_b32 v22, v[24:25]
	s_wait_loadcnt_dscnt 0x0
	v_fma_f32 v22, s27, v22, v21
	flat_store_b32 v[24:25], v22
	s_cbranch_execnz .LBB458_5
	s_branch .LBB458_34
.LBB458_30:                             ;   in Loop: Header=BB458_6 Depth=1
	s_branch .LBB458_18
.LBB458_31:                             ;   in Loop: Header=BB458_6 Depth=1
	s_branch .LBB458_22
.LBB458_32:                             ;   in Loop: Header=BB458_6 Depth=1
	s_branch .LBB458_26
.LBB458_33:                             ;   in Loop: Header=BB458_6 Depth=1
.LBB458_34:                             ;   in Loop: Header=BB458_6 Depth=1
	s_delay_alu instid0(VALU_DEP_2)
	v_add_co_u32 v12, vcc_lo, v0, v12
	s_wait_alu 0xfffd
	v_add_co_ci_u32_e64 v13, null, v23, v13, vcc_lo
	flat_store_b32 v[12:13], v21
	s_branch .LBB458_5
.LBB458_35:
	s_endpgm
	.section	.rodata,"a",@progbits
	.p2align	6, 0x0
	.amdhsa_kernel _ZL29rocblas_internal_gemmt_kernelIlLi16ELi32ELi8ELc67ELc67ELc85ELb0ELb0EffPKPKfPKPfEviT_T9_T10_S7_lS9_S7_lS8_T11_S7_li
		.amdhsa_group_segment_fixed_size 2048
		.amdhsa_private_segment_fixed_size 0
		.amdhsa_kernarg_size 108
		.amdhsa_user_sgpr_count 2
		.amdhsa_user_sgpr_dispatch_ptr 0
		.amdhsa_user_sgpr_queue_ptr 0
		.amdhsa_user_sgpr_kernarg_segment_ptr 1
		.amdhsa_user_sgpr_dispatch_id 0
		.amdhsa_user_sgpr_private_segment_size 0
		.amdhsa_wavefront_size32 1
		.amdhsa_uses_dynamic_stack 0
		.amdhsa_enable_private_segment 0
		.amdhsa_system_sgpr_workgroup_id_x 1
		.amdhsa_system_sgpr_workgroup_id_y 1
		.amdhsa_system_sgpr_workgroup_id_z 1
		.amdhsa_system_sgpr_workgroup_info 0
		.amdhsa_system_vgpr_workitem_id 1
		.amdhsa_next_free_vgpr 57
		.amdhsa_next_free_sgpr 37
		.amdhsa_reserve_vcc 1
		.amdhsa_float_round_mode_32 0
		.amdhsa_float_round_mode_16_64 0
		.amdhsa_float_denorm_mode_32 3
		.amdhsa_float_denorm_mode_16_64 3
		.amdhsa_fp16_overflow 0
		.amdhsa_workgroup_processor_mode 1
		.amdhsa_memory_ordered 1
		.amdhsa_forward_progress 1
		.amdhsa_inst_pref_size 16
		.amdhsa_round_robin_scheduling 0
		.amdhsa_exception_fp_ieee_invalid_op 0
		.amdhsa_exception_fp_denorm_src 0
		.amdhsa_exception_fp_ieee_div_zero 0
		.amdhsa_exception_fp_ieee_overflow 0
		.amdhsa_exception_fp_ieee_underflow 0
		.amdhsa_exception_fp_ieee_inexact 0
		.amdhsa_exception_int_div_zero 0
	.end_amdhsa_kernel
	.section	.text._ZL29rocblas_internal_gemmt_kernelIlLi16ELi32ELi8ELc67ELc67ELc85ELb0ELb0EffPKPKfPKPfEviT_T9_T10_S7_lS9_S7_lS8_T11_S7_li,"axG",@progbits,_ZL29rocblas_internal_gemmt_kernelIlLi16ELi32ELi8ELc67ELc67ELc85ELb0ELb0EffPKPKfPKPfEviT_T9_T10_S7_lS9_S7_lS8_T11_S7_li,comdat
.Lfunc_end458:
	.size	_ZL29rocblas_internal_gemmt_kernelIlLi16ELi32ELi8ELc67ELc67ELc85ELb0ELb0EffPKPKfPKPfEviT_T9_T10_S7_lS9_S7_lS8_T11_S7_li, .Lfunc_end458-_ZL29rocblas_internal_gemmt_kernelIlLi16ELi32ELi8ELc67ELc67ELc85ELb0ELb0EffPKPKfPKPfEviT_T9_T10_S7_lS9_S7_lS8_T11_S7_li
                                        ; -- End function
	.set _ZL29rocblas_internal_gemmt_kernelIlLi16ELi32ELi8ELc67ELc67ELc85ELb0ELb0EffPKPKfPKPfEviT_T9_T10_S7_lS9_S7_lS8_T11_S7_li.num_vgpr, 57
	.set _ZL29rocblas_internal_gemmt_kernelIlLi16ELi32ELi8ELc67ELc67ELc85ELb0ELb0EffPKPKfPKPfEviT_T9_T10_S7_lS9_S7_lS8_T11_S7_li.num_agpr, 0
	.set _ZL29rocblas_internal_gemmt_kernelIlLi16ELi32ELi8ELc67ELc67ELc85ELb0ELb0EffPKPKfPKPfEviT_T9_T10_S7_lS9_S7_lS8_T11_S7_li.numbered_sgpr, 37
	.set _ZL29rocblas_internal_gemmt_kernelIlLi16ELi32ELi8ELc67ELc67ELc85ELb0ELb0EffPKPKfPKPfEviT_T9_T10_S7_lS9_S7_lS8_T11_S7_li.num_named_barrier, 0
	.set _ZL29rocblas_internal_gemmt_kernelIlLi16ELi32ELi8ELc67ELc67ELc85ELb0ELb0EffPKPKfPKPfEviT_T9_T10_S7_lS9_S7_lS8_T11_S7_li.private_seg_size, 0
	.set _ZL29rocblas_internal_gemmt_kernelIlLi16ELi32ELi8ELc67ELc67ELc85ELb0ELb0EffPKPKfPKPfEviT_T9_T10_S7_lS9_S7_lS8_T11_S7_li.uses_vcc, 1
	.set _ZL29rocblas_internal_gemmt_kernelIlLi16ELi32ELi8ELc67ELc67ELc85ELb0ELb0EffPKPKfPKPfEviT_T9_T10_S7_lS9_S7_lS8_T11_S7_li.uses_flat_scratch, 0
	.set _ZL29rocblas_internal_gemmt_kernelIlLi16ELi32ELi8ELc67ELc67ELc85ELb0ELb0EffPKPKfPKPfEviT_T9_T10_S7_lS9_S7_lS8_T11_S7_li.has_dyn_sized_stack, 0
	.set _ZL29rocblas_internal_gemmt_kernelIlLi16ELi32ELi8ELc67ELc67ELc85ELb0ELb0EffPKPKfPKPfEviT_T9_T10_S7_lS9_S7_lS8_T11_S7_li.has_recursion, 0
	.set _ZL29rocblas_internal_gemmt_kernelIlLi16ELi32ELi8ELc67ELc67ELc85ELb0ELb0EffPKPKfPKPfEviT_T9_T10_S7_lS9_S7_lS8_T11_S7_li.has_indirect_call, 0
	.section	.AMDGPU.csdata,"",@progbits
; Kernel info:
; codeLenInByte = 1924
; TotalNumSgprs: 39
; NumVgprs: 57
; ScratchSize: 0
; MemoryBound: 0
; FloatMode: 240
; IeeeMode: 1
; LDSByteSize: 2048 bytes/workgroup (compile time only)
; SGPRBlocks: 0
; VGPRBlocks: 7
; NumSGPRsForWavesPerEU: 39
; NumVGPRsForWavesPerEU: 57
; Occupancy: 16
; WaveLimiterHint : 1
; COMPUTE_PGM_RSRC2:SCRATCH_EN: 0
; COMPUTE_PGM_RSRC2:USER_SGPR: 2
; COMPUTE_PGM_RSRC2:TRAP_HANDLER: 0
; COMPUTE_PGM_RSRC2:TGID_X_EN: 1
; COMPUTE_PGM_RSRC2:TGID_Y_EN: 1
; COMPUTE_PGM_RSRC2:TGID_Z_EN: 1
; COMPUTE_PGM_RSRC2:TIDIG_COMP_CNT: 1
	.section	.text._ZL29rocblas_internal_gemmt_kernelIlLi16ELi32ELi8ELc78ELc78ELc76ELb0ELb0EffPKPKfPKPfEviT_T9_T10_S7_lS9_S7_lS8_T11_S7_li,"axG",@progbits,_ZL29rocblas_internal_gemmt_kernelIlLi16ELi32ELi8ELc78ELc78ELc76ELb0ELb0EffPKPKfPKPfEviT_T9_T10_S7_lS9_S7_lS8_T11_S7_li,comdat
	.globl	_ZL29rocblas_internal_gemmt_kernelIlLi16ELi32ELi8ELc78ELc78ELc76ELb0ELb0EffPKPKfPKPfEviT_T9_T10_S7_lS9_S7_lS8_T11_S7_li ; -- Begin function _ZL29rocblas_internal_gemmt_kernelIlLi16ELi32ELi8ELc78ELc78ELc76ELb0ELb0EffPKPKfPKPfEviT_T9_T10_S7_lS9_S7_lS8_T11_S7_li
	.p2align	8
	.type	_ZL29rocblas_internal_gemmt_kernelIlLi16ELi32ELi8ELc78ELc78ELc76ELb0ELb0EffPKPKfPKPfEviT_T9_T10_S7_lS9_S7_lS8_T11_S7_li,@function
_ZL29rocblas_internal_gemmt_kernelIlLi16ELi32ELi8ELc78ELc78ELc76ELb0ELb0EffPKPKfPKPfEviT_T9_T10_S7_lS9_S7_lS8_T11_S7_li: ; @_ZL29rocblas_internal_gemmt_kernelIlLi16ELi32ELi8ELc78ELc78ELc76ELb0ELb0EffPKPKfPKPfEviT_T9_T10_S7_lS9_S7_lS8_T11_S7_li
; %bb.0:
	s_clause 0x1
	s_load_b32 s23, s[0:1], 0x48
	s_load_b96 s[20:22], s[0:1], 0x8
	s_wait_kmcnt 0x0
	s_cmp_neq_f32 s23, 1.0
	s_cselect_b32 s2, -1, 0
	s_delay_alu instid0(SALU_CYCLE_1)
	s_and_b32 vcc_lo, exec_lo, s2
	s_cbranch_vccnz .LBB459_2
; %bb.1:
	s_cmp_lg_u64 s[20:21], 0
	s_cselect_b32 s2, -1, 0
	s_cmp_neq_f32 s22, 0
	s_cselect_b32 s3, -1, 0
	s_delay_alu instid0(SALU_CYCLE_1)
	s_and_b32 s2, s2, s3
.LBB459_2:
	s_delay_alu instid0(SALU_CYCLE_1)
	s_and_not1_b32 vcc_lo, exec_lo, s2
	s_cbranch_vccnz .LBB459_35
; %bb.3:
	s_load_b32 s28, s[0:1], 0x68
	s_lshr_b32 s24, ttmp7, 16
	s_wait_kmcnt 0x0
	s_cmp_ge_u32 s24, s28
	s_cbranch_scc1 .LBB459_35
; %bb.4:
	s_clause 0x3
	s_load_b32 s29, s[0:1], 0x0
	s_load_b256 s[8:15], s[0:1], 0x18
	s_load_b128 s[16:19], s[0:1], 0x50
	s_load_b64 s[26:27], s[0:1], 0x60
	v_bfe_u32 v14, v0, 10, 10
	s_load_b128 s[4:7], s[0:1], 0x38
	s_lshl_b32 s0, ttmp7, 5
	v_and_b32_e32 v5, 0x3ff, v0
	s_and_b32 s0, s0, 0x1fffe0
	s_lshl_b32 s2, ttmp9, 5
	v_add_nc_u32_e32 v15, s0, v14
	s_cmp_neq_f32 s22, 0
	v_cmp_gt_i64_e64 s34, s[20:21], 0
	v_lshl_add_u32 v21, v14, 5, 0x400
	s_mov_b32 s25, 0
	v_add_nc_u32_e32 v22, 16, v15
	s_cselect_b32 s33, -1, 0
	s_cmp_neq_f32 s23, 0
	s_wait_kmcnt 0x0
	v_mad_co_u64_u32 v[10:11], null, s18, v15, 0
	v_and_b32_e32 v16, 7, v0
	v_lshl_add_u32 v0, v14, 4, v5
	v_mad_co_u64_u32 v[12:13], null, s18, v22, 0
	s_cselect_b32 s18, -1, 0
	v_lshlrev_b32_e32 v3, 2, v16
	v_lshrrev_b32_e32 v1, 3, v0
	v_lshrrev_b32_e32 v17, 5, v0
	v_and_b32_e32 v0, 31, v0
	s_and_b32 s33, s33, s34
	s_delay_alu instid0(VALU_DEP_3) | instskip(SKIP_1) | instid1(VALU_DEP_3)
	v_add_nc_u32_e32 v2, s0, v1
	v_lshl_or_b32 v1, v1, 5, v3
	v_or_b32_e32 v6, s2, v0
	v_lshlrev_b32_e32 v0, 2, v0
	s_delay_alu instid0(VALU_DEP_4) | instskip(NEXT) | instid1(VALU_DEP_4)
	v_mad_co_u64_u32 v[8:9], null, s4, v2, 0
	v_add_nc_u32_e32 v19, 0x400, v1
	s_delay_alu instid0(VALU_DEP_3)
	v_lshl_or_b32 v18, v17, 7, v0
	v_mov_b32_e32 v1, v11
	v_cmp_gt_i32_e64 s1, s29, v2
	v_ashrrev_i32_e32 v7, 31, v6
	v_cmp_gt_i32_e64 s0, s29, v6
	v_mov_b32_e32 v0, v9
	v_lshlrev_b32_e32 v20, 2, v5
	s_delay_alu instid0(VALU_DEP_4) | instskip(NEXT) | instid1(VALU_DEP_3)
	v_lshlrev_b64_e32 v[6:7], 2, v[6:7]
	v_mad_co_u64_u32 v[2:3], null, s5, v2, v[0:1]
	v_add_nc_u32_e32 v0, s2, v5
	s_delay_alu instid0(VALU_DEP_2) | instskip(NEXT) | instid1(VALU_DEP_2)
	v_mad_co_u64_u32 v[3:4], null, s19, v15, v[1:2]
	v_dual_mov_b32 v9, v2 :: v_dual_add_nc_u32 v2, 16, v0
	v_mov_b32_e32 v1, v13
	s_delay_alu instid0(VALU_DEP_2) | instskip(NEXT) | instid1(VALU_DEP_4)
	v_lshlrev_b64_e32 v[8:9], 2, v[8:9]
	v_mov_b32_e32 v11, v3
	s_delay_alu instid0(VALU_DEP_3)
	v_mad_co_u64_u32 v[4:5], null, s19, v22, v[1:2]
	v_mov_b32_e32 v5, 0
	v_cmp_le_i32_e32 vcc_lo, v15, v0
	v_cmp_gt_i32_e64 s2, s29, v0
	v_cmp_le_i32_e64 s3, v15, v2
	v_cmp_gt_i32_e64 s4, s29, v2
	v_lshlrev_b64_e32 v[10:11], 2, v[10:11]
	v_mov_b32_e32 v13, v4
	s_and_b32 s19, vcc_lo, s2
	v_cmp_le_i32_e32 vcc_lo, v22, v0
	v_cmp_le_i32_e64 s5, v22, v2
	v_ashrrev_i32_e32 v1, 31, v0
	v_lshlrev_b64_e32 v[12:13], 2, v[12:13]
	v_ashrrev_i32_e32 v3, 31, v2
	s_and_b32 s29, s3, s4
	s_and_b32 s30, vcc_lo, s2
	s_and_b32 s31, s5, s4
	s_lshl_b64 s[2:3], s[6:7], 2
	s_lshl_b64 s[4:5], s[12:13], 2
	;; [unrolled: 1-line block ×3, first 2 shown]
	s_branch .LBB459_6
.LBB459_5:                              ;   in Loop: Header=BB459_6 Depth=1
	s_wait_alu 0xfffe
	s_or_b32 exec_lo, exec_lo, s12
	s_add_co_i32 s24, s24, 0x10000
	s_delay_alu instid0(SALU_CYCLE_1)
	s_cmp_lt_u32 s24, s28
	s_cbranch_scc0 .LBB459_35
.LBB459_6:                              ; =>This Loop Header: Depth=1
                                        ;     Child Loop BB459_9 Depth 2
	s_lshl_b64 s[12:13], s[24:25], 3
	v_dual_mov_b32 v25, v5 :: v_dual_mov_b32 v24, v5
	s_wait_alu 0xfffe
	s_add_nc_u64 s[26:27], s[16:17], s[12:13]
	v_dual_mov_b32 v23, v5 :: v_dual_mov_b32 v22, v5
	global_load_b64 v[14:15], v5, s[26:27]
	s_and_not1_b32 vcc_lo, exec_lo, s33
	s_wait_alu 0xfffe
	s_cbranch_vccnz .LBB459_15
; %bb.7:                                ;   in Loop: Header=BB459_6 Depth=1
	s_add_nc_u64 s[26:27], s[8:9], s[12:13]
	s_add_nc_u64 s[12:13], s[14:15], s[12:13]
	s_clause 0x1
	global_load_b64 v[25:26], v5, s[26:27]
	global_load_b64 v[27:28], v5, s[12:13]
	v_dual_mov_b32 v22, 0 :: v_dual_mov_b32 v23, 0
	v_mov_b32_e32 v24, 0
	s_mov_b64 s[12:13], 0
	s_wait_loadcnt 0x1
	v_add_co_u32 v4, vcc_lo, v25, s4
	s_wait_alu 0xfffd
	v_add_co_ci_u32_e64 v25, null, s5, v26, vcc_lo
	s_wait_loadcnt 0x0
	v_add_co_u32 v29, vcc_lo, v27, s2
	s_wait_alu 0xfffd
	v_add_co_ci_u32_e64 v30, null, s3, v28, vcc_lo
	v_add_co_u32 v26, vcc_lo, v4, v6
	s_wait_alu 0xfffd
	v_add_co_ci_u32_e64 v27, null, v25, v7, vcc_lo
	;; [unrolled: 3-line block ×3, first 2 shown]
	v_mov_b32_e32 v25, 0
	s_branch .LBB459_9
.LBB459_8:                              ;   in Loop: Header=BB459_9 Depth=2
	s_or_b32 exec_lo, exec_lo, s26
	s_wait_loadcnt_dscnt 0x0
	ds_store_b32 v19, v31
	s_wait_dscnt 0x0
	s_barrier_signal -1
	s_barrier_wait -1
	global_inv scope:SCOPE_SE
	ds_load_b128 v[30:33], v21
	ds_load_2addr_b32 v[46:47], v20 offset1:16
	ds_load_b128 v[34:37], v21 offset:512
	ds_load_2addr_b32 v[48:49], v20 offset0:32 offset1:48
	ds_load_2addr_b32 v[50:51], v20 offset0:64 offset1:80
	;; [unrolled: 1-line block ×3, first 2 shown]
	ds_load_b128 v[38:41], v21 offset:16
	ds_load_2addr_b32 v[54:55], v20 offset0:128 offset1:144
	ds_load_b128 v[42:45], v21 offset:528
	ds_load_2addr_b32 v[56:57], v20 offset0:160 offset1:176
	s_add_nc_u64 s[12:13], s[12:13], 8
	s_wait_alu 0xfffe
	v_cmp_gt_i64_e64 s26, s[20:21], s[12:13]
	s_and_b32 vcc_lo, exec_lo, s26
	s_wait_dscnt 0x8
	v_fmac_f32_e32 v24, v47, v30
	v_fmac_f32_e32 v25, v46, v30
	s_wait_dscnt 0x7
	v_fmac_f32_e32 v22, v47, v34
	v_fmac_f32_e32 v23, v46, v34
	ds_load_2addr_b32 v[46:47], v20 offset0:192 offset1:208
	s_wait_dscnt 0x7
	v_fmac_f32_e32 v24, v49, v31
	v_fmac_f32_e32 v25, v48, v31
	;; [unrolled: 1-line block ×4, first 2 shown]
	ds_load_2addr_b32 v[30:31], v20 offset0:224 offset1:240
	s_wait_dscnt 0x7
	v_fmac_f32_e32 v24, v51, v32
	v_fmac_f32_e32 v25, v50, v32
	;; [unrolled: 1-line block ×4, first 2 shown]
	s_wait_loadcnt_dscnt 0x0
	v_fmac_f32_e32 v24, v53, v33
	v_fmac_f32_e32 v25, v52, v33
	;; [unrolled: 1-line block ×4, first 2 shown]
	s_barrier_signal -1
	v_fmac_f32_e32 v24, v55, v38
	v_fmac_f32_e32 v25, v54, v38
	;; [unrolled: 1-line block ×4, first 2 shown]
	s_barrier_wait -1
	v_fmac_f32_e32 v24, v57, v39
	v_fmac_f32_e32 v25, v56, v39
	;; [unrolled: 1-line block ×4, first 2 shown]
	global_inv scope:SCOPE_SE
	v_fmac_f32_e32 v24, v47, v40
	v_fmac_f32_e32 v25, v46, v40
	;; [unrolled: 1-line block ×3, first 2 shown]
	s_delay_alu instid0(VALU_DEP_3) | instskip(NEXT) | instid1(VALU_DEP_3)
	v_dual_fmac_f32 v23, v46, v44 :: v_dual_fmac_f32 v24, v31, v41
	v_fmac_f32_e32 v25, v30, v41
	s_delay_alu instid0(VALU_DEP_3) | instskip(NEXT) | instid1(VALU_DEP_3)
	v_fmac_f32_e32 v22, v31, v45
	v_fmac_f32_e32 v23, v30, v45
	s_wait_alu 0xfffe
	s_cbranch_vccz .LBB459_15
.LBB459_9:                              ;   Parent Loop BB459_6 Depth=1
                                        ; =>  This Inner Loop Header: Depth=2
	v_mov_b32_e32 v30, 0
	s_and_saveexec_b32 s26, s0
	s_cbranch_execz .LBB459_13
; %bb.10:                               ;   in Loop: Header=BB459_9 Depth=2
	s_wait_alu 0xfffe
	v_add_nc_u32_e32 v4, s12, v17
	v_mov_b32_e32 v30, 0
	s_mov_b32 s27, exec_lo
	s_delay_alu instid0(VALU_DEP_2)
	v_cmpx_gt_u64_e64 s[20:21], v[4:5]
	s_cbranch_execz .LBB459_12
; %bb.11:                               ;   in Loop: Header=BB459_9 Depth=2
	v_mad_co_u64_u32 v[30:31], null, s10, v4, 0
	s_delay_alu instid0(VALU_DEP_1) | instskip(NEXT) | instid1(VALU_DEP_1)
	v_mad_co_u64_u32 v[31:32], null, s11, v4, v[31:32]
	v_lshlrev_b64_e32 v[30:31], 2, v[30:31]
	s_delay_alu instid0(VALU_DEP_1) | instskip(SKIP_1) | instid1(VALU_DEP_2)
	v_add_co_u32 v30, vcc_lo, v26, v30
	s_wait_alu 0xfffd
	v_add_co_ci_u32_e64 v31, null, v27, v31, vcc_lo
	flat_load_b32 v30, v[30:31]
.LBB459_12:                             ;   in Loop: Header=BB459_9 Depth=2
	s_or_b32 exec_lo, exec_lo, s27
.LBB459_13:                             ;   in Loop: Header=BB459_9 Depth=2
	s_delay_alu instid0(SALU_CYCLE_1)
	s_or_b32 exec_lo, exec_lo, s26
	s_wait_alu 0xfffe
	v_dual_mov_b32 v31, 0 :: v_dual_add_nc_u32 v4, s12, v16
	s_wait_loadcnt_dscnt 0x0
	ds_store_b32 v18, v30
	v_cmp_gt_u64_e32 vcc_lo, s[20:21], v[4:5]
	s_and_b32 s27, vcc_lo, s1
	s_delay_alu instid0(SALU_CYCLE_1)
	s_and_saveexec_b32 s26, s27
	s_cbranch_execz .LBB459_8
; %bb.14:                               ;   in Loop: Header=BB459_9 Depth=2
	v_lshlrev_b64_e32 v[30:31], 2, v[4:5]
	s_delay_alu instid0(VALU_DEP_1) | instskip(SKIP_1) | instid1(VALU_DEP_2)
	v_add_co_u32 v30, vcc_lo, v28, v30
	s_wait_alu 0xfffd
	v_add_co_ci_u32_e64 v31, null, v29, v31, vcc_lo
	flat_load_b32 v31, v[30:31]
	s_branch .LBB459_8
.LBB459_15:                             ;   in Loop: Header=BB459_6 Depth=1
	s_wait_loadcnt 0x0
	v_add_co_u32 v4, vcc_lo, v14, s6
	s_wait_alu 0xfffd
	v_add_co_ci_u32_e64 v14, null, s7, v15, vcc_lo
	s_delay_alu instid0(VALU_DEP_2) | instskip(SKIP_1) | instid1(VALU_DEP_2)
	v_add_co_u32 v15, vcc_lo, v4, v10
	s_wait_alu 0xfffd
	v_add_co_ci_u32_e64 v26, null, v14, v11, vcc_lo
	s_wait_alu 0xfffe
	s_and_saveexec_b32 s12, s19
	s_cbranch_execz .LBB459_19
; %bb.16:                               ;   in Loop: Header=BB459_6 Depth=1
	v_mul_f32_e32 v25, s22, v25
	s_and_b32 vcc_lo, exec_lo, s18
	s_wait_alu 0xfffe
	s_cbranch_vccz .LBB459_30
; %bb.17:                               ;   in Loop: Header=BB459_6 Depth=1
	v_lshlrev_b64_e32 v[27:28], 2, v[0:1]
	s_delay_alu instid0(VALU_DEP_1) | instskip(SKIP_1) | instid1(VALU_DEP_2)
	v_add_co_u32 v27, vcc_lo, v15, v27
	s_wait_alu 0xfffd
	v_add_co_ci_u32_e64 v28, null, v26, v28, vcc_lo
	flat_load_b32 v29, v[27:28]
	s_wait_loadcnt_dscnt 0x0
	v_fma_f32 v29, s23, v29, v25
	flat_store_b32 v[27:28], v29
	s_cbranch_execnz .LBB459_19
.LBB459_18:                             ;   in Loop: Header=BB459_6 Depth=1
	v_lshlrev_b64_e32 v[27:28], 2, v[0:1]
	s_delay_alu instid0(VALU_DEP_1) | instskip(SKIP_1) | instid1(VALU_DEP_2)
	v_add_co_u32 v27, vcc_lo, v15, v27
	s_wait_alu 0xfffd
	v_add_co_ci_u32_e64 v28, null, v26, v28, vcc_lo
	flat_store_b32 v[27:28], v25
.LBB459_19:                             ;   in Loop: Header=BB459_6 Depth=1
	s_wait_alu 0xfffe
	s_or_b32 exec_lo, exec_lo, s12
	s_and_saveexec_b32 s12, s29
	s_cbranch_execz .LBB459_23
; %bb.20:                               ;   in Loop: Header=BB459_6 Depth=1
	v_mul_f32_e32 v24, s22, v24
	s_and_not1_b32 vcc_lo, exec_lo, s18
	s_wait_alu 0xfffe
	s_cbranch_vccnz .LBB459_31
; %bb.21:                               ;   in Loop: Header=BB459_6 Depth=1
	v_lshlrev_b64_e32 v[27:28], 2, v[2:3]
	s_delay_alu instid0(VALU_DEP_1) | instskip(SKIP_1) | instid1(VALU_DEP_2)
	v_add_co_u32 v27, vcc_lo, v15, v27
	s_wait_alu 0xfffd
	v_add_co_ci_u32_e64 v28, null, v26, v28, vcc_lo
	flat_load_b32 v25, v[27:28]
	s_wait_loadcnt_dscnt 0x0
	v_fma_f32 v25, s23, v25, v24
	flat_store_b32 v[27:28], v25
	s_cbranch_execnz .LBB459_23
.LBB459_22:                             ;   in Loop: Header=BB459_6 Depth=1
	v_lshlrev_b64_e32 v[27:28], 2, v[2:3]
	s_delay_alu instid0(VALU_DEP_1) | instskip(SKIP_1) | instid1(VALU_DEP_2)
	v_add_co_u32 v25, vcc_lo, v15, v27
	s_wait_alu 0xfffd
	v_add_co_ci_u32_e64 v26, null, v26, v28, vcc_lo
	flat_store_b32 v[25:26], v24
.LBB459_23:                             ;   in Loop: Header=BB459_6 Depth=1
	s_wait_alu 0xfffe
	s_or_b32 exec_lo, exec_lo, s12
	v_add_co_u32 v4, vcc_lo, v4, v12
	s_wait_alu 0xfffd
	v_add_co_ci_u32_e64 v24, null, v14, v13, vcc_lo
	s_and_saveexec_b32 s12, s30
	s_cbranch_execz .LBB459_27
; %bb.24:                               ;   in Loop: Header=BB459_6 Depth=1
	v_lshlrev_b64_e32 v[14:15], 2, v[0:1]
	v_mul_f32_e32 v23, s22, v23
	s_and_not1_b32 vcc_lo, exec_lo, s18
	s_wait_alu 0xfffe
	s_cbranch_vccnz .LBB459_32
; %bb.25:                               ;   in Loop: Header=BB459_6 Depth=1
	s_delay_alu instid0(VALU_DEP_2)
	v_add_co_u32 v25, vcc_lo, v4, v14
	s_wait_alu 0xfffd
	v_add_co_ci_u32_e64 v26, null, v24, v15, vcc_lo
	flat_load_b32 v27, v[25:26]
	s_wait_loadcnt_dscnt 0x0
	v_fma_f32 v27, s23, v27, v23
	flat_store_b32 v[25:26], v27
	s_cbranch_execnz .LBB459_27
.LBB459_26:                             ;   in Loop: Header=BB459_6 Depth=1
	v_add_co_u32 v14, vcc_lo, v4, v14
	s_wait_alu 0xfffd
	v_add_co_ci_u32_e64 v15, null, v24, v15, vcc_lo
	flat_store_b32 v[14:15], v23
.LBB459_27:                             ;   in Loop: Header=BB459_6 Depth=1
	s_wait_alu 0xfffe
	s_or_b32 exec_lo, exec_lo, s12
	s_and_saveexec_b32 s12, s31
	s_cbranch_execz .LBB459_5
; %bb.28:                               ;   in Loop: Header=BB459_6 Depth=1
	v_lshlrev_b64_e32 v[14:15], 2, v[2:3]
	v_mul_f32_e32 v22, s22, v22
	s_and_not1_b32 vcc_lo, exec_lo, s18
	s_wait_alu 0xfffe
	s_cbranch_vccnz .LBB459_33
; %bb.29:                               ;   in Loop: Header=BB459_6 Depth=1
	s_delay_alu instid0(VALU_DEP_2)
	v_add_co_u32 v25, vcc_lo, v4, v14
	s_wait_alu 0xfffd
	v_add_co_ci_u32_e64 v26, null, v24, v15, vcc_lo
	flat_load_b32 v23, v[25:26]
	s_wait_loadcnt_dscnt 0x0
	v_fma_f32 v23, s23, v23, v22
	flat_store_b32 v[25:26], v23
	s_cbranch_execnz .LBB459_5
	s_branch .LBB459_34
.LBB459_30:                             ;   in Loop: Header=BB459_6 Depth=1
	s_branch .LBB459_18
.LBB459_31:                             ;   in Loop: Header=BB459_6 Depth=1
	s_branch .LBB459_22
.LBB459_32:                             ;   in Loop: Header=BB459_6 Depth=1
	s_branch .LBB459_26
.LBB459_33:                             ;   in Loop: Header=BB459_6 Depth=1
.LBB459_34:                             ;   in Loop: Header=BB459_6 Depth=1
	s_delay_alu instid0(VALU_DEP_2)
	v_add_co_u32 v14, vcc_lo, v4, v14
	s_wait_alu 0xfffd
	v_add_co_ci_u32_e64 v15, null, v24, v15, vcc_lo
	flat_store_b32 v[14:15], v22
	s_branch .LBB459_5
.LBB459_35:
	s_endpgm
	.section	.rodata,"a",@progbits
	.p2align	6, 0x0
	.amdhsa_kernel _ZL29rocblas_internal_gemmt_kernelIlLi16ELi32ELi8ELc78ELc78ELc76ELb0ELb0EffPKPKfPKPfEviT_T9_T10_S7_lS9_S7_lS8_T11_S7_li
		.amdhsa_group_segment_fixed_size 2048
		.amdhsa_private_segment_fixed_size 0
		.amdhsa_kernarg_size 108
		.amdhsa_user_sgpr_count 2
		.amdhsa_user_sgpr_dispatch_ptr 0
		.amdhsa_user_sgpr_queue_ptr 0
		.amdhsa_user_sgpr_kernarg_segment_ptr 1
		.amdhsa_user_sgpr_dispatch_id 0
		.amdhsa_user_sgpr_private_segment_size 0
		.amdhsa_wavefront_size32 1
		.amdhsa_uses_dynamic_stack 0
		.amdhsa_enable_private_segment 0
		.amdhsa_system_sgpr_workgroup_id_x 1
		.amdhsa_system_sgpr_workgroup_id_y 1
		.amdhsa_system_sgpr_workgroup_id_z 1
		.amdhsa_system_sgpr_workgroup_info 0
		.amdhsa_system_vgpr_workitem_id 1
		.amdhsa_next_free_vgpr 58
		.amdhsa_next_free_sgpr 35
		.amdhsa_reserve_vcc 1
		.amdhsa_float_round_mode_32 0
		.amdhsa_float_round_mode_16_64 0
		.amdhsa_float_denorm_mode_32 3
		.amdhsa_float_denorm_mode_16_64 3
		.amdhsa_fp16_overflow 0
		.amdhsa_workgroup_processor_mode 1
		.amdhsa_memory_ordered 1
		.amdhsa_forward_progress 1
		.amdhsa_inst_pref_size 16
		.amdhsa_round_robin_scheduling 0
		.amdhsa_exception_fp_ieee_invalid_op 0
		.amdhsa_exception_fp_denorm_src 0
		.amdhsa_exception_fp_ieee_div_zero 0
		.amdhsa_exception_fp_ieee_overflow 0
		.amdhsa_exception_fp_ieee_underflow 0
		.amdhsa_exception_fp_ieee_inexact 0
		.amdhsa_exception_int_div_zero 0
	.end_amdhsa_kernel
	.section	.text._ZL29rocblas_internal_gemmt_kernelIlLi16ELi32ELi8ELc78ELc78ELc76ELb0ELb0EffPKPKfPKPfEviT_T9_T10_S7_lS9_S7_lS8_T11_S7_li,"axG",@progbits,_ZL29rocblas_internal_gemmt_kernelIlLi16ELi32ELi8ELc78ELc78ELc76ELb0ELb0EffPKPKfPKPfEviT_T9_T10_S7_lS9_S7_lS8_T11_S7_li,comdat
.Lfunc_end459:
	.size	_ZL29rocblas_internal_gemmt_kernelIlLi16ELi32ELi8ELc78ELc78ELc76ELb0ELb0EffPKPKfPKPfEviT_T9_T10_S7_lS9_S7_lS8_T11_S7_li, .Lfunc_end459-_ZL29rocblas_internal_gemmt_kernelIlLi16ELi32ELi8ELc78ELc78ELc76ELb0ELb0EffPKPKfPKPfEviT_T9_T10_S7_lS9_S7_lS8_T11_S7_li
                                        ; -- End function
	.set _ZL29rocblas_internal_gemmt_kernelIlLi16ELi32ELi8ELc78ELc78ELc76ELb0ELb0EffPKPKfPKPfEviT_T9_T10_S7_lS9_S7_lS8_T11_S7_li.num_vgpr, 58
	.set _ZL29rocblas_internal_gemmt_kernelIlLi16ELi32ELi8ELc78ELc78ELc76ELb0ELb0EffPKPKfPKPfEviT_T9_T10_S7_lS9_S7_lS8_T11_S7_li.num_agpr, 0
	.set _ZL29rocblas_internal_gemmt_kernelIlLi16ELi32ELi8ELc78ELc78ELc76ELb0ELb0EffPKPKfPKPfEviT_T9_T10_S7_lS9_S7_lS8_T11_S7_li.numbered_sgpr, 35
	.set _ZL29rocblas_internal_gemmt_kernelIlLi16ELi32ELi8ELc78ELc78ELc76ELb0ELb0EffPKPKfPKPfEviT_T9_T10_S7_lS9_S7_lS8_T11_S7_li.num_named_barrier, 0
	.set _ZL29rocblas_internal_gemmt_kernelIlLi16ELi32ELi8ELc78ELc78ELc76ELb0ELb0EffPKPKfPKPfEviT_T9_T10_S7_lS9_S7_lS8_T11_S7_li.private_seg_size, 0
	.set _ZL29rocblas_internal_gemmt_kernelIlLi16ELi32ELi8ELc78ELc78ELc76ELb0ELb0EffPKPKfPKPfEviT_T9_T10_S7_lS9_S7_lS8_T11_S7_li.uses_vcc, 1
	.set _ZL29rocblas_internal_gemmt_kernelIlLi16ELi32ELi8ELc78ELc78ELc76ELb0ELb0EffPKPKfPKPfEviT_T9_T10_S7_lS9_S7_lS8_T11_S7_li.uses_flat_scratch, 0
	.set _ZL29rocblas_internal_gemmt_kernelIlLi16ELi32ELi8ELc78ELc78ELc76ELb0ELb0EffPKPKfPKPfEviT_T9_T10_S7_lS9_S7_lS8_T11_S7_li.has_dyn_sized_stack, 0
	.set _ZL29rocblas_internal_gemmt_kernelIlLi16ELi32ELi8ELc78ELc78ELc76ELb0ELb0EffPKPKfPKPfEviT_T9_T10_S7_lS9_S7_lS8_T11_S7_li.has_recursion, 0
	.set _ZL29rocblas_internal_gemmt_kernelIlLi16ELi32ELi8ELc78ELc78ELc76ELb0ELb0EffPKPKfPKPfEviT_T9_T10_S7_lS9_S7_lS8_T11_S7_li.has_indirect_call, 0
	.section	.AMDGPU.csdata,"",@progbits
; Kernel info:
; codeLenInByte = 1940
; TotalNumSgprs: 37
; NumVgprs: 58
; ScratchSize: 0
; MemoryBound: 0
; FloatMode: 240
; IeeeMode: 1
; LDSByteSize: 2048 bytes/workgroup (compile time only)
; SGPRBlocks: 0
; VGPRBlocks: 7
; NumSGPRsForWavesPerEU: 37
; NumVGPRsForWavesPerEU: 58
; Occupancy: 16
; WaveLimiterHint : 1
; COMPUTE_PGM_RSRC2:SCRATCH_EN: 0
; COMPUTE_PGM_RSRC2:USER_SGPR: 2
; COMPUTE_PGM_RSRC2:TRAP_HANDLER: 0
; COMPUTE_PGM_RSRC2:TGID_X_EN: 1
; COMPUTE_PGM_RSRC2:TGID_Y_EN: 1
; COMPUTE_PGM_RSRC2:TGID_Z_EN: 1
; COMPUTE_PGM_RSRC2:TIDIG_COMP_CNT: 1
	.section	.text._ZL29rocblas_internal_gemmt_kernelIlLi16ELi32ELi8ELc78ELc84ELc76ELb0ELb0EffPKPKfPKPfEviT_T9_T10_S7_lS9_S7_lS8_T11_S7_li,"axG",@progbits,_ZL29rocblas_internal_gemmt_kernelIlLi16ELi32ELi8ELc78ELc84ELc76ELb0ELb0EffPKPKfPKPfEviT_T9_T10_S7_lS9_S7_lS8_T11_S7_li,comdat
	.globl	_ZL29rocblas_internal_gemmt_kernelIlLi16ELi32ELi8ELc78ELc84ELc76ELb0ELb0EffPKPKfPKPfEviT_T9_T10_S7_lS9_S7_lS8_T11_S7_li ; -- Begin function _ZL29rocblas_internal_gemmt_kernelIlLi16ELi32ELi8ELc78ELc84ELc76ELb0ELb0EffPKPKfPKPfEviT_T9_T10_S7_lS9_S7_lS8_T11_S7_li
	.p2align	8
	.type	_ZL29rocblas_internal_gemmt_kernelIlLi16ELi32ELi8ELc78ELc84ELc76ELb0ELb0EffPKPKfPKPfEviT_T9_T10_S7_lS9_S7_lS8_T11_S7_li,@function
_ZL29rocblas_internal_gemmt_kernelIlLi16ELi32ELi8ELc78ELc84ELc76ELb0ELb0EffPKPKfPKPfEviT_T9_T10_S7_lS9_S7_lS8_T11_S7_li: ; @_ZL29rocblas_internal_gemmt_kernelIlLi16ELi32ELi8ELc78ELc84ELc76ELb0ELb0EffPKPKfPKPfEviT_T9_T10_S7_lS9_S7_lS8_T11_S7_li
; %bb.0:
	s_clause 0x1
	s_load_b32 s27, s[0:1], 0x48
	s_load_b96 s[24:26], s[0:1], 0x8
	s_wait_kmcnt 0x0
	s_cmp_neq_f32 s27, 1.0
	s_cselect_b32 s2, -1, 0
	s_delay_alu instid0(SALU_CYCLE_1)
	s_and_b32 vcc_lo, exec_lo, s2
	s_cbranch_vccnz .LBB460_2
; %bb.1:
	s_cmp_lg_u64 s[24:25], 0
	s_cselect_b32 s2, -1, 0
	s_cmp_neq_f32 s26, 0
	s_cselect_b32 s3, -1, 0
	s_delay_alu instid0(SALU_CYCLE_1)
	s_and_b32 s2, s2, s3
.LBB460_2:
	s_delay_alu instid0(SALU_CYCLE_1)
	s_and_not1_b32 vcc_lo, exec_lo, s2
	s_cbranch_vccnz .LBB460_35
; %bb.3:
	s_load_b32 s30, s[0:1], 0x68
	s_lshr_b32 s6, ttmp7, 16
	s_wait_kmcnt 0x0
	s_cmp_ge_u32 s6, s30
	s_cbranch_scc1 .LBB460_35
; %bb.4:
	s_clause 0x1
	s_load_b128 s[16:19], s[0:1], 0x38
	s_load_b128 s[20:23], s[0:1], 0x50
	v_bfe_u32 v5, v0, 10, 10
	s_clause 0x2
	s_load_b32 s4, s[0:1], 0x0
	s_load_b256 s[8:15], s[0:1], 0x18
	s_load_b64 s[28:29], s[0:1], 0x60
	s_lshl_b32 s0, ttmp7, 5
	v_dual_mov_b32 v3, 0 :: v_dual_and_b32 v14, 7, v0
	s_and_b32 s0, s0, 0x1fffe0
	s_lshl_b32 s2, ttmp9, 5
	v_add_nc_u32_e32 v12, s0, v5
	s_cmp_neq_f32 s26, 0
	v_cmp_gt_i64_e64 s36, s[24:25], 0
	v_lshl_add_u32 v19, v5, 5, 0x400
	s_mov_b32 s7, 0
	s_cselect_b32 s35, -1, 0
	s_cmp_neq_f32 s27, 0
	s_wait_kmcnt 0x0
	v_mad_co_u64_u32 v[8:9], null, s22, v12, 0
	v_and_b32_e32 v4, 0x3ff, v0
	s_delay_alu instid0(VALU_DEP_1) | instskip(NEXT) | instid1(VALU_DEP_1)
	v_lshl_add_u32 v0, v5, 4, v4
	v_and_b32_e32 v1, 31, v0
	v_lshrrev_b32_e32 v2, 3, v0
	v_lshrrev_b32_e32 v15, 5, v0
	s_delay_alu instid0(VALU_DEP_3) | instskip(SKIP_3) | instid1(VALU_DEP_4)
	v_or_b32_e32 v6, s2, v1
	v_lshlrev_b32_e32 v0, 2, v1
	v_lshlrev_b32_e32 v1, 2, v14
	v_add_nc_u32_e32 v13, s0, v2
	v_ashrrev_i32_e32 v7, 31, v6
	v_cmp_gt_i32_e64 s0, s4, v6
	s_delay_alu instid0(VALU_DEP_4) | instskip(SKIP_3) | instid1(VALU_DEP_4)
	v_lshl_or_b32 v2, v2, 5, v1
	v_dual_mov_b32 v1, v9 :: v_dual_lshlrev_b32 v18, 2, v4
	v_cmp_gt_i32_e64 s1, s4, v13
	v_lshlrev_b64_e32 v[6:7], 2, v[6:7]
	v_add_nc_u32_e32 v17, 0x400, v2
	s_delay_alu instid0(VALU_DEP_4) | instskip(NEXT) | instid1(VALU_DEP_1)
	v_mad_co_u64_u32 v[1:2], null, s23, v12, v[1:2]
	v_dual_mov_b32 v9, v1 :: v_dual_add_nc_u32 v20, 16, v12
	s_delay_alu instid0(VALU_DEP_1) | instskip(NEXT) | instid1(VALU_DEP_2)
	v_lshlrev_b64_e32 v[8:9], 2, v[8:9]
	v_mad_co_u64_u32 v[10:11], null, s22, v20, 0
	s_cselect_b32 s22, -1, 0
	s_and_b32 s35, s35, s36
	v_mov_b32_e32 v1, v11
	v_lshl_or_b32 v16, v15, 7, v0
	v_add_nc_u32_e32 v0, s2, v4
	s_delay_alu instid0(VALU_DEP_1) | instskip(SKIP_2) | instid1(VALU_DEP_3)
	v_add_nc_u32_e32 v4, 16, v0
	v_cmp_le_i32_e32 vcc_lo, v12, v0
	v_cmp_gt_i32_e64 s2, s4, v0
	v_cmp_le_i32_e64 s3, v12, v4
	v_mad_co_u64_u32 v[11:12], null, s23, v20, v[1:2]
	v_cmp_gt_i32_e64 s4, s4, v4
	s_and_b32 s23, vcc_lo, s2
	v_cmp_le_i32_e32 vcc_lo, v20, v0
	v_cmp_le_i32_e64 s5, v20, v4
	v_ashrrev_i32_e32 v1, 31, v0
	v_ashrrev_i32_e32 v5, 31, v4
	v_lshlrev_b64_e32 v[10:11], 2, v[10:11]
	v_lshlrev_b32_e32 v20, 2, v13
	s_and_b32 s31, s3, s4
	s_and_b32 s33, vcc_lo, s2
	s_and_b32 s34, s5, s4
	s_lshl_b64 s[2:3], s[18:19], 2
	s_lshl_b64 s[4:5], s[12:13], 2
	;; [unrolled: 1-line block ×3, first 2 shown]
	s_branch .LBB460_6
.LBB460_5:                              ;   in Loop: Header=BB460_6 Depth=1
	s_wait_alu 0xfffe
	s_or_b32 exec_lo, exec_lo, s18
	s_add_co_i32 s6, s6, 0x10000
	s_delay_alu instid0(SALU_CYCLE_1)
	s_cmp_lt_u32 s6, s30
	s_cbranch_scc0 .LBB460_35
.LBB460_6:                              ; =>This Loop Header: Depth=1
                                        ;     Child Loop BB460_9 Depth 2
	s_lshl_b64 s[18:19], s[6:7], 3
	v_dual_mov_b32 v24, v3 :: v_dual_mov_b32 v23, v3
	s_wait_alu 0xfffe
	s_add_nc_u64 s[28:29], s[20:21], s[18:19]
	v_dual_mov_b32 v22, v3 :: v_dual_mov_b32 v21, v3
	global_load_b64 v[12:13], v3, s[28:29]
	s_and_not1_b32 vcc_lo, exec_lo, s35
	s_wait_alu 0xfffe
	s_cbranch_vccnz .LBB460_15
; %bb.7:                                ;   in Loop: Header=BB460_6 Depth=1
	s_add_nc_u64 s[28:29], s[8:9], s[18:19]
	s_add_nc_u64 s[18:19], s[14:15], s[18:19]
	s_clause 0x1
	global_load_b64 v[24:25], v3, s[28:29]
	global_load_b64 v[26:27], v3, s[18:19]
	v_dual_mov_b32 v21, 0 :: v_dual_mov_b32 v22, 0
	v_mov_b32_e32 v23, 0
	s_mov_b64 s[18:19], 0
	s_wait_loadcnt 0x1
	v_add_co_u32 v2, vcc_lo, v24, s4
	s_wait_alu 0xfffd
	v_add_co_ci_u32_e64 v24, null, s5, v25, vcc_lo
	s_wait_loadcnt 0x0
	v_add_co_u32 v28, vcc_lo, v26, s2
	s_wait_alu 0xfffd
	v_add_co_ci_u32_e64 v29, null, s3, v27, vcc_lo
	v_add_co_u32 v25, vcc_lo, v2, v6
	s_wait_alu 0xfffd
	v_add_co_ci_u32_e64 v26, null, v24, v7, vcc_lo
	;; [unrolled: 3-line block ×3, first 2 shown]
	v_mov_b32_e32 v24, 0
	s_branch .LBB460_9
.LBB460_8:                              ;   in Loop: Header=BB460_9 Depth=2
	s_or_b32 exec_lo, exec_lo, s28
	s_wait_loadcnt_dscnt 0x0
	ds_store_b32 v17, v30
	s_wait_dscnt 0x0
	s_barrier_signal -1
	s_barrier_wait -1
	global_inv scope:SCOPE_SE
	ds_load_b128 v[29:32], v19
	ds_load_2addr_b32 v[45:46], v18 offset1:16
	ds_load_b128 v[33:36], v19 offset:512
	ds_load_2addr_b32 v[47:48], v18 offset0:32 offset1:48
	ds_load_2addr_b32 v[49:50], v18 offset0:64 offset1:80
	;; [unrolled: 1-line block ×3, first 2 shown]
	ds_load_b128 v[37:40], v19 offset:16
	ds_load_2addr_b32 v[53:54], v18 offset0:128 offset1:144
	ds_load_b128 v[41:44], v19 offset:528
	ds_load_2addr_b32 v[55:56], v18 offset0:160 offset1:176
	s_add_nc_u64 s[18:19], s[18:19], 8
	s_wait_alu 0xfffe
	v_cmp_gt_i64_e64 s28, s[24:25], s[18:19]
	s_and_b32 vcc_lo, exec_lo, s28
	s_wait_dscnt 0x8
	v_fmac_f32_e32 v23, v46, v29
	v_fmac_f32_e32 v24, v45, v29
	s_wait_dscnt 0x7
	v_fmac_f32_e32 v21, v46, v33
	v_fmac_f32_e32 v22, v45, v33
	ds_load_2addr_b32 v[45:46], v18 offset0:192 offset1:208
	s_wait_dscnt 0x7
	v_fmac_f32_e32 v23, v48, v30
	v_fmac_f32_e32 v24, v47, v30
	;; [unrolled: 1-line block ×4, first 2 shown]
	ds_load_2addr_b32 v[29:30], v18 offset0:224 offset1:240
	s_wait_dscnt 0x7
	v_fmac_f32_e32 v23, v50, v31
	v_fmac_f32_e32 v24, v49, v31
	;; [unrolled: 1-line block ×4, first 2 shown]
	s_wait_loadcnt_dscnt 0x0
	v_fmac_f32_e32 v23, v52, v32
	v_fmac_f32_e32 v24, v51, v32
	;; [unrolled: 1-line block ×4, first 2 shown]
	s_barrier_signal -1
	v_fmac_f32_e32 v23, v54, v37
	v_fmac_f32_e32 v24, v53, v37
	v_fmac_f32_e32 v21, v54, v41
	v_fmac_f32_e32 v22, v53, v41
	s_barrier_wait -1
	v_fmac_f32_e32 v23, v56, v38
	v_fmac_f32_e32 v24, v55, v38
	;; [unrolled: 1-line block ×4, first 2 shown]
	global_inv scope:SCOPE_SE
	v_fmac_f32_e32 v23, v46, v39
	v_fmac_f32_e32 v24, v45, v39
	;; [unrolled: 1-line block ×3, first 2 shown]
	s_delay_alu instid0(VALU_DEP_3) | instskip(NEXT) | instid1(VALU_DEP_3)
	v_dual_fmac_f32 v22, v45, v43 :: v_dual_fmac_f32 v23, v30, v40
	v_fmac_f32_e32 v24, v29, v40
	s_delay_alu instid0(VALU_DEP_3) | instskip(NEXT) | instid1(VALU_DEP_3)
	v_fmac_f32_e32 v21, v30, v44
	v_fmac_f32_e32 v22, v29, v44
	s_wait_alu 0xfffe
	s_cbranch_vccz .LBB460_15
.LBB460_9:                              ;   Parent Loop BB460_6 Depth=1
                                        ; =>  This Inner Loop Header: Depth=2
	v_mov_b32_e32 v29, 0
	s_and_saveexec_b32 s28, s0
	s_cbranch_execz .LBB460_13
; %bb.10:                               ;   in Loop: Header=BB460_9 Depth=2
	s_wait_alu 0xfffe
	v_dual_mov_b32 v29, 0 :: v_dual_add_nc_u32 v2, s18, v15
	s_mov_b32 s29, exec_lo
	s_delay_alu instid0(VALU_DEP_1)
	v_cmpx_gt_u64_e64 s[24:25], v[2:3]
	s_cbranch_execz .LBB460_12
; %bb.11:                               ;   in Loop: Header=BB460_9 Depth=2
	v_mad_co_u64_u32 v[29:30], null, s10, v2, 0
	s_delay_alu instid0(VALU_DEP_1) | instskip(NEXT) | instid1(VALU_DEP_1)
	v_mad_co_u64_u32 v[30:31], null, s11, v2, v[30:31]
	v_lshlrev_b64_e32 v[29:30], 2, v[29:30]
	s_delay_alu instid0(VALU_DEP_1) | instskip(SKIP_1) | instid1(VALU_DEP_2)
	v_add_co_u32 v29, vcc_lo, v25, v29
	s_wait_alu 0xfffd
	v_add_co_ci_u32_e64 v30, null, v26, v30, vcc_lo
	flat_load_b32 v29, v[29:30]
.LBB460_12:                             ;   in Loop: Header=BB460_9 Depth=2
	s_or_b32 exec_lo, exec_lo, s29
.LBB460_13:                             ;   in Loop: Header=BB460_9 Depth=2
	s_delay_alu instid0(SALU_CYCLE_1)
	s_or_b32 exec_lo, exec_lo, s28
	s_wait_alu 0xfffe
	v_add_nc_u32_e32 v2, s18, v14
	v_mov_b32_e32 v30, 0
	s_wait_loadcnt_dscnt 0x0
	ds_store_b32 v16, v29
	v_cmp_gt_u64_e32 vcc_lo, s[24:25], v[2:3]
	s_and_b32 s29, vcc_lo, s1
	s_delay_alu instid0(SALU_CYCLE_1)
	s_and_saveexec_b32 s28, s29
	s_cbranch_execz .LBB460_8
; %bb.14:                               ;   in Loop: Header=BB460_9 Depth=2
	v_mad_co_u64_u32 v[29:30], null, s16, v2, 0
	s_delay_alu instid0(VALU_DEP_1) | instskip(NEXT) | instid1(VALU_DEP_1)
	v_mad_co_u64_u32 v[30:31], null, s17, v2, v[30:31]
	v_lshlrev_b64_e32 v[29:30], 2, v[29:30]
	s_delay_alu instid0(VALU_DEP_1) | instskip(SKIP_1) | instid1(VALU_DEP_2)
	v_add_co_u32 v29, vcc_lo, v27, v29
	s_wait_alu 0xfffd
	v_add_co_ci_u32_e64 v30, null, v28, v30, vcc_lo
	flat_load_b32 v30, v[29:30]
	s_branch .LBB460_8
.LBB460_15:                             ;   in Loop: Header=BB460_6 Depth=1
	s_wait_loadcnt 0x0
	v_add_co_u32 v2, vcc_lo, v12, s12
	s_wait_alu 0xfffd
	v_add_co_ci_u32_e64 v12, null, s13, v13, vcc_lo
	s_delay_alu instid0(VALU_DEP_2) | instskip(SKIP_1) | instid1(VALU_DEP_2)
	v_add_co_u32 v13, vcc_lo, v2, v8
	s_wait_alu 0xfffd
	v_add_co_ci_u32_e64 v25, null, v12, v9, vcc_lo
	s_wait_alu 0xfffe
	s_and_saveexec_b32 s18, s23
	s_cbranch_execz .LBB460_19
; %bb.16:                               ;   in Loop: Header=BB460_6 Depth=1
	v_mul_f32_e32 v24, s26, v24
	s_and_b32 vcc_lo, exec_lo, s22
	s_wait_alu 0xfffe
	s_cbranch_vccz .LBB460_30
; %bb.17:                               ;   in Loop: Header=BB460_6 Depth=1
	v_lshlrev_b64_e32 v[26:27], 2, v[0:1]
	s_delay_alu instid0(VALU_DEP_1) | instskip(SKIP_1) | instid1(VALU_DEP_2)
	v_add_co_u32 v26, vcc_lo, v13, v26
	s_wait_alu 0xfffd
	v_add_co_ci_u32_e64 v27, null, v25, v27, vcc_lo
	flat_load_b32 v28, v[26:27]
	s_wait_loadcnt_dscnt 0x0
	v_fma_f32 v28, s27, v28, v24
	flat_store_b32 v[26:27], v28
	s_cbranch_execnz .LBB460_19
.LBB460_18:                             ;   in Loop: Header=BB460_6 Depth=1
	v_lshlrev_b64_e32 v[26:27], 2, v[0:1]
	s_delay_alu instid0(VALU_DEP_1) | instskip(SKIP_1) | instid1(VALU_DEP_2)
	v_add_co_u32 v26, vcc_lo, v13, v26
	s_wait_alu 0xfffd
	v_add_co_ci_u32_e64 v27, null, v25, v27, vcc_lo
	flat_store_b32 v[26:27], v24
.LBB460_19:                             ;   in Loop: Header=BB460_6 Depth=1
	s_wait_alu 0xfffe
	s_or_b32 exec_lo, exec_lo, s18
	s_and_saveexec_b32 s18, s31
	s_cbranch_execz .LBB460_23
; %bb.20:                               ;   in Loop: Header=BB460_6 Depth=1
	v_mul_f32_e32 v23, s26, v23
	s_and_not1_b32 vcc_lo, exec_lo, s22
	s_wait_alu 0xfffe
	s_cbranch_vccnz .LBB460_31
; %bb.21:                               ;   in Loop: Header=BB460_6 Depth=1
	v_lshlrev_b64_e32 v[26:27], 2, v[4:5]
	s_delay_alu instid0(VALU_DEP_1) | instskip(SKIP_1) | instid1(VALU_DEP_2)
	v_add_co_u32 v26, vcc_lo, v13, v26
	s_wait_alu 0xfffd
	v_add_co_ci_u32_e64 v27, null, v25, v27, vcc_lo
	flat_load_b32 v24, v[26:27]
	s_wait_loadcnt_dscnt 0x0
	v_fma_f32 v24, s27, v24, v23
	flat_store_b32 v[26:27], v24
	s_cbranch_execnz .LBB460_23
.LBB460_22:                             ;   in Loop: Header=BB460_6 Depth=1
	v_lshlrev_b64_e32 v[26:27], 2, v[4:5]
	s_delay_alu instid0(VALU_DEP_1) | instskip(SKIP_1) | instid1(VALU_DEP_2)
	v_add_co_u32 v24, vcc_lo, v13, v26
	s_wait_alu 0xfffd
	v_add_co_ci_u32_e64 v25, null, v25, v27, vcc_lo
	flat_store_b32 v[24:25], v23
.LBB460_23:                             ;   in Loop: Header=BB460_6 Depth=1
	s_wait_alu 0xfffe
	s_or_b32 exec_lo, exec_lo, s18
	v_add_co_u32 v2, vcc_lo, v2, v10
	s_wait_alu 0xfffd
	v_add_co_ci_u32_e64 v23, null, v12, v11, vcc_lo
	s_and_saveexec_b32 s18, s33
	s_cbranch_execz .LBB460_27
; %bb.24:                               ;   in Loop: Header=BB460_6 Depth=1
	v_lshlrev_b64_e32 v[12:13], 2, v[0:1]
	v_mul_f32_e32 v22, s26, v22
	s_and_not1_b32 vcc_lo, exec_lo, s22
	s_wait_alu 0xfffe
	s_cbranch_vccnz .LBB460_32
; %bb.25:                               ;   in Loop: Header=BB460_6 Depth=1
	s_delay_alu instid0(VALU_DEP_2)
	v_add_co_u32 v24, vcc_lo, v2, v12
	s_wait_alu 0xfffd
	v_add_co_ci_u32_e64 v25, null, v23, v13, vcc_lo
	flat_load_b32 v26, v[24:25]
	s_wait_loadcnt_dscnt 0x0
	v_fma_f32 v26, s27, v26, v22
	flat_store_b32 v[24:25], v26
	s_cbranch_execnz .LBB460_27
.LBB460_26:                             ;   in Loop: Header=BB460_6 Depth=1
	v_add_co_u32 v12, vcc_lo, v2, v12
	s_wait_alu 0xfffd
	v_add_co_ci_u32_e64 v13, null, v23, v13, vcc_lo
	flat_store_b32 v[12:13], v22
.LBB460_27:                             ;   in Loop: Header=BB460_6 Depth=1
	s_wait_alu 0xfffe
	s_or_b32 exec_lo, exec_lo, s18
	s_and_saveexec_b32 s18, s34
	s_cbranch_execz .LBB460_5
; %bb.28:                               ;   in Loop: Header=BB460_6 Depth=1
	v_lshlrev_b64_e32 v[12:13], 2, v[4:5]
	v_mul_f32_e32 v21, s26, v21
	s_and_not1_b32 vcc_lo, exec_lo, s22
	s_wait_alu 0xfffe
	s_cbranch_vccnz .LBB460_33
; %bb.29:                               ;   in Loop: Header=BB460_6 Depth=1
	s_delay_alu instid0(VALU_DEP_2)
	v_add_co_u32 v24, vcc_lo, v2, v12
	s_wait_alu 0xfffd
	v_add_co_ci_u32_e64 v25, null, v23, v13, vcc_lo
	flat_load_b32 v22, v[24:25]
	s_wait_loadcnt_dscnt 0x0
	v_fma_f32 v22, s27, v22, v21
	flat_store_b32 v[24:25], v22
	s_cbranch_execnz .LBB460_5
	s_branch .LBB460_34
.LBB460_30:                             ;   in Loop: Header=BB460_6 Depth=1
	s_branch .LBB460_18
.LBB460_31:                             ;   in Loop: Header=BB460_6 Depth=1
	s_branch .LBB460_22
.LBB460_32:                             ;   in Loop: Header=BB460_6 Depth=1
	s_branch .LBB460_26
.LBB460_33:                             ;   in Loop: Header=BB460_6 Depth=1
.LBB460_34:                             ;   in Loop: Header=BB460_6 Depth=1
	s_delay_alu instid0(VALU_DEP_2)
	v_add_co_u32 v12, vcc_lo, v2, v12
	s_wait_alu 0xfffd
	v_add_co_ci_u32_e64 v13, null, v23, v13, vcc_lo
	flat_store_b32 v[12:13], v21
	s_branch .LBB460_5
.LBB460_35:
	s_endpgm
	.section	.rodata,"a",@progbits
	.p2align	6, 0x0
	.amdhsa_kernel _ZL29rocblas_internal_gemmt_kernelIlLi16ELi32ELi8ELc78ELc84ELc76ELb0ELb0EffPKPKfPKPfEviT_T9_T10_S7_lS9_S7_lS8_T11_S7_li
		.amdhsa_group_segment_fixed_size 2048
		.amdhsa_private_segment_fixed_size 0
		.amdhsa_kernarg_size 108
		.amdhsa_user_sgpr_count 2
		.amdhsa_user_sgpr_dispatch_ptr 0
		.amdhsa_user_sgpr_queue_ptr 0
		.amdhsa_user_sgpr_kernarg_segment_ptr 1
		.amdhsa_user_sgpr_dispatch_id 0
		.amdhsa_user_sgpr_private_segment_size 0
		.amdhsa_wavefront_size32 1
		.amdhsa_uses_dynamic_stack 0
		.amdhsa_enable_private_segment 0
		.amdhsa_system_sgpr_workgroup_id_x 1
		.amdhsa_system_sgpr_workgroup_id_y 1
		.amdhsa_system_sgpr_workgroup_id_z 1
		.amdhsa_system_sgpr_workgroup_info 0
		.amdhsa_system_vgpr_workitem_id 1
		.amdhsa_next_free_vgpr 57
		.amdhsa_next_free_sgpr 37
		.amdhsa_reserve_vcc 1
		.amdhsa_float_round_mode_32 0
		.amdhsa_float_round_mode_16_64 0
		.amdhsa_float_denorm_mode_32 3
		.amdhsa_float_denorm_mode_16_64 3
		.amdhsa_fp16_overflow 0
		.amdhsa_workgroup_processor_mode 1
		.amdhsa_memory_ordered 1
		.amdhsa_forward_progress 1
		.amdhsa_inst_pref_size 16
		.amdhsa_round_robin_scheduling 0
		.amdhsa_exception_fp_ieee_invalid_op 0
		.amdhsa_exception_fp_denorm_src 0
		.amdhsa_exception_fp_ieee_div_zero 0
		.amdhsa_exception_fp_ieee_overflow 0
		.amdhsa_exception_fp_ieee_underflow 0
		.amdhsa_exception_fp_ieee_inexact 0
		.amdhsa_exception_int_div_zero 0
	.end_amdhsa_kernel
	.section	.text._ZL29rocblas_internal_gemmt_kernelIlLi16ELi32ELi8ELc78ELc84ELc76ELb0ELb0EffPKPKfPKPfEviT_T9_T10_S7_lS9_S7_lS8_T11_S7_li,"axG",@progbits,_ZL29rocblas_internal_gemmt_kernelIlLi16ELi32ELi8ELc78ELc84ELc76ELb0ELb0EffPKPKfPKPfEviT_T9_T10_S7_lS9_S7_lS8_T11_S7_li,comdat
.Lfunc_end460:
	.size	_ZL29rocblas_internal_gemmt_kernelIlLi16ELi32ELi8ELc78ELc84ELc76ELb0ELb0EffPKPKfPKPfEviT_T9_T10_S7_lS9_S7_lS8_T11_S7_li, .Lfunc_end460-_ZL29rocblas_internal_gemmt_kernelIlLi16ELi32ELi8ELc78ELc84ELc76ELb0ELb0EffPKPKfPKPfEviT_T9_T10_S7_lS9_S7_lS8_T11_S7_li
                                        ; -- End function
	.set _ZL29rocblas_internal_gemmt_kernelIlLi16ELi32ELi8ELc78ELc84ELc76ELb0ELb0EffPKPKfPKPfEviT_T9_T10_S7_lS9_S7_lS8_T11_S7_li.num_vgpr, 57
	.set _ZL29rocblas_internal_gemmt_kernelIlLi16ELi32ELi8ELc78ELc84ELc76ELb0ELb0EffPKPKfPKPfEviT_T9_T10_S7_lS9_S7_lS8_T11_S7_li.num_agpr, 0
	.set _ZL29rocblas_internal_gemmt_kernelIlLi16ELi32ELi8ELc78ELc84ELc76ELb0ELb0EffPKPKfPKPfEviT_T9_T10_S7_lS9_S7_lS8_T11_S7_li.numbered_sgpr, 37
	.set _ZL29rocblas_internal_gemmt_kernelIlLi16ELi32ELi8ELc78ELc84ELc76ELb0ELb0EffPKPKfPKPfEviT_T9_T10_S7_lS9_S7_lS8_T11_S7_li.num_named_barrier, 0
	.set _ZL29rocblas_internal_gemmt_kernelIlLi16ELi32ELi8ELc78ELc84ELc76ELb0ELb0EffPKPKfPKPfEviT_T9_T10_S7_lS9_S7_lS8_T11_S7_li.private_seg_size, 0
	.set _ZL29rocblas_internal_gemmt_kernelIlLi16ELi32ELi8ELc78ELc84ELc76ELb0ELb0EffPKPKfPKPfEviT_T9_T10_S7_lS9_S7_lS8_T11_S7_li.uses_vcc, 1
	.set _ZL29rocblas_internal_gemmt_kernelIlLi16ELi32ELi8ELc78ELc84ELc76ELb0ELb0EffPKPKfPKPfEviT_T9_T10_S7_lS9_S7_lS8_T11_S7_li.uses_flat_scratch, 0
	.set _ZL29rocblas_internal_gemmt_kernelIlLi16ELi32ELi8ELc78ELc84ELc76ELb0ELb0EffPKPKfPKPfEviT_T9_T10_S7_lS9_S7_lS8_T11_S7_li.has_dyn_sized_stack, 0
	.set _ZL29rocblas_internal_gemmt_kernelIlLi16ELi32ELi8ELc78ELc84ELc76ELb0ELb0EffPKPKfPKPfEviT_T9_T10_S7_lS9_S7_lS8_T11_S7_li.has_recursion, 0
	.set _ZL29rocblas_internal_gemmt_kernelIlLi16ELi32ELi8ELc78ELc84ELc76ELb0ELb0EffPKPKfPKPfEviT_T9_T10_S7_lS9_S7_lS8_T11_S7_li.has_indirect_call, 0
	.section	.AMDGPU.csdata,"",@progbits
; Kernel info:
; codeLenInByte = 1932
; TotalNumSgprs: 39
; NumVgprs: 57
; ScratchSize: 0
; MemoryBound: 0
; FloatMode: 240
; IeeeMode: 1
; LDSByteSize: 2048 bytes/workgroup (compile time only)
; SGPRBlocks: 0
; VGPRBlocks: 7
; NumSGPRsForWavesPerEU: 39
; NumVGPRsForWavesPerEU: 57
; Occupancy: 16
; WaveLimiterHint : 1
; COMPUTE_PGM_RSRC2:SCRATCH_EN: 0
; COMPUTE_PGM_RSRC2:USER_SGPR: 2
; COMPUTE_PGM_RSRC2:TRAP_HANDLER: 0
; COMPUTE_PGM_RSRC2:TGID_X_EN: 1
; COMPUTE_PGM_RSRC2:TGID_Y_EN: 1
; COMPUTE_PGM_RSRC2:TGID_Z_EN: 1
; COMPUTE_PGM_RSRC2:TIDIG_COMP_CNT: 1
	.section	.text._ZL29rocblas_internal_gemmt_kernelIlLi16ELi32ELi8ELc78ELc67ELc76ELb0ELb0EffPKPKfPKPfEviT_T9_T10_S7_lS9_S7_lS8_T11_S7_li,"axG",@progbits,_ZL29rocblas_internal_gemmt_kernelIlLi16ELi32ELi8ELc78ELc67ELc76ELb0ELb0EffPKPKfPKPfEviT_T9_T10_S7_lS9_S7_lS8_T11_S7_li,comdat
	.globl	_ZL29rocblas_internal_gemmt_kernelIlLi16ELi32ELi8ELc78ELc67ELc76ELb0ELb0EffPKPKfPKPfEviT_T9_T10_S7_lS9_S7_lS8_T11_S7_li ; -- Begin function _ZL29rocblas_internal_gemmt_kernelIlLi16ELi32ELi8ELc78ELc67ELc76ELb0ELb0EffPKPKfPKPfEviT_T9_T10_S7_lS9_S7_lS8_T11_S7_li
	.p2align	8
	.type	_ZL29rocblas_internal_gemmt_kernelIlLi16ELi32ELi8ELc78ELc67ELc76ELb0ELb0EffPKPKfPKPfEviT_T9_T10_S7_lS9_S7_lS8_T11_S7_li,@function
_ZL29rocblas_internal_gemmt_kernelIlLi16ELi32ELi8ELc78ELc67ELc76ELb0ELb0EffPKPKfPKPfEviT_T9_T10_S7_lS9_S7_lS8_T11_S7_li: ; @_ZL29rocblas_internal_gemmt_kernelIlLi16ELi32ELi8ELc78ELc67ELc76ELb0ELb0EffPKPKfPKPfEviT_T9_T10_S7_lS9_S7_lS8_T11_S7_li
; %bb.0:
	s_clause 0x1
	s_load_b32 s27, s[0:1], 0x48
	s_load_b96 s[24:26], s[0:1], 0x8
	s_wait_kmcnt 0x0
	s_cmp_neq_f32 s27, 1.0
	s_cselect_b32 s2, -1, 0
	s_delay_alu instid0(SALU_CYCLE_1)
	s_and_b32 vcc_lo, exec_lo, s2
	s_cbranch_vccnz .LBB461_2
; %bb.1:
	s_cmp_lg_u64 s[24:25], 0
	s_cselect_b32 s2, -1, 0
	s_cmp_neq_f32 s26, 0
	s_cselect_b32 s3, -1, 0
	s_delay_alu instid0(SALU_CYCLE_1)
	s_and_b32 s2, s2, s3
.LBB461_2:
	s_delay_alu instid0(SALU_CYCLE_1)
	s_and_not1_b32 vcc_lo, exec_lo, s2
	s_cbranch_vccnz .LBB461_35
; %bb.3:
	s_load_b32 s30, s[0:1], 0x68
	s_lshr_b32 s6, ttmp7, 16
	s_wait_kmcnt 0x0
	s_cmp_ge_u32 s6, s30
	s_cbranch_scc1 .LBB461_35
; %bb.4:
	s_clause 0x1
	s_load_b128 s[16:19], s[0:1], 0x38
	s_load_b128 s[20:23], s[0:1], 0x50
	v_bfe_u32 v5, v0, 10, 10
	s_clause 0x2
	s_load_b32 s4, s[0:1], 0x0
	s_load_b256 s[8:15], s[0:1], 0x18
	s_load_b64 s[28:29], s[0:1], 0x60
	s_lshl_b32 s0, ttmp7, 5
	v_dual_mov_b32 v3, 0 :: v_dual_and_b32 v14, 7, v0
	s_and_b32 s0, s0, 0x1fffe0
	s_lshl_b32 s2, ttmp9, 5
	v_add_nc_u32_e32 v12, s0, v5
	s_cmp_neq_f32 s26, 0
	v_cmp_gt_i64_e64 s36, s[24:25], 0
	v_lshl_add_u32 v19, v5, 5, 0x400
	s_mov_b32 s7, 0
	s_cselect_b32 s35, -1, 0
	s_cmp_neq_f32 s27, 0
	s_wait_kmcnt 0x0
	v_mad_co_u64_u32 v[8:9], null, s22, v12, 0
	v_and_b32_e32 v4, 0x3ff, v0
	s_delay_alu instid0(VALU_DEP_1) | instskip(NEXT) | instid1(VALU_DEP_1)
	v_lshl_add_u32 v0, v5, 4, v4
	v_and_b32_e32 v1, 31, v0
	v_lshrrev_b32_e32 v2, 3, v0
	v_lshrrev_b32_e32 v15, 5, v0
	s_delay_alu instid0(VALU_DEP_3) | instskip(SKIP_3) | instid1(VALU_DEP_4)
	v_or_b32_e32 v6, s2, v1
	v_lshlrev_b32_e32 v0, 2, v1
	v_lshlrev_b32_e32 v1, 2, v14
	v_add_nc_u32_e32 v13, s0, v2
	v_ashrrev_i32_e32 v7, 31, v6
	v_cmp_gt_i32_e64 s0, s4, v6
	s_delay_alu instid0(VALU_DEP_4) | instskip(SKIP_3) | instid1(VALU_DEP_4)
	v_lshl_or_b32 v2, v2, 5, v1
	v_dual_mov_b32 v1, v9 :: v_dual_lshlrev_b32 v18, 2, v4
	v_cmp_gt_i32_e64 s1, s4, v13
	v_lshlrev_b64_e32 v[6:7], 2, v[6:7]
	v_add_nc_u32_e32 v17, 0x400, v2
	s_delay_alu instid0(VALU_DEP_4) | instskip(NEXT) | instid1(VALU_DEP_1)
	v_mad_co_u64_u32 v[1:2], null, s23, v12, v[1:2]
	v_dual_mov_b32 v9, v1 :: v_dual_add_nc_u32 v20, 16, v12
	s_delay_alu instid0(VALU_DEP_1) | instskip(NEXT) | instid1(VALU_DEP_2)
	v_lshlrev_b64_e32 v[8:9], 2, v[8:9]
	v_mad_co_u64_u32 v[10:11], null, s22, v20, 0
	s_cselect_b32 s22, -1, 0
	s_and_b32 s35, s35, s36
	v_mov_b32_e32 v1, v11
	v_lshl_or_b32 v16, v15, 7, v0
	v_add_nc_u32_e32 v0, s2, v4
	s_delay_alu instid0(VALU_DEP_1) | instskip(SKIP_2) | instid1(VALU_DEP_3)
	v_add_nc_u32_e32 v4, 16, v0
	v_cmp_le_i32_e32 vcc_lo, v12, v0
	v_cmp_gt_i32_e64 s2, s4, v0
	v_cmp_le_i32_e64 s3, v12, v4
	v_mad_co_u64_u32 v[11:12], null, s23, v20, v[1:2]
	v_cmp_gt_i32_e64 s4, s4, v4
	s_and_b32 s23, vcc_lo, s2
	v_cmp_le_i32_e32 vcc_lo, v20, v0
	v_cmp_le_i32_e64 s5, v20, v4
	v_ashrrev_i32_e32 v1, 31, v0
	v_ashrrev_i32_e32 v5, 31, v4
	v_lshlrev_b64_e32 v[10:11], 2, v[10:11]
	v_lshlrev_b32_e32 v20, 2, v13
	s_and_b32 s31, s3, s4
	s_and_b32 s33, vcc_lo, s2
	s_and_b32 s34, s5, s4
	s_lshl_b64 s[2:3], s[18:19], 2
	s_lshl_b64 s[4:5], s[12:13], 2
	;; [unrolled: 1-line block ×3, first 2 shown]
	s_branch .LBB461_6
.LBB461_5:                              ;   in Loop: Header=BB461_6 Depth=1
	s_wait_alu 0xfffe
	s_or_b32 exec_lo, exec_lo, s18
	s_add_co_i32 s6, s6, 0x10000
	s_delay_alu instid0(SALU_CYCLE_1)
	s_cmp_lt_u32 s6, s30
	s_cbranch_scc0 .LBB461_35
.LBB461_6:                              ; =>This Loop Header: Depth=1
                                        ;     Child Loop BB461_9 Depth 2
	s_lshl_b64 s[18:19], s[6:7], 3
	v_dual_mov_b32 v24, v3 :: v_dual_mov_b32 v23, v3
	s_wait_alu 0xfffe
	s_add_nc_u64 s[28:29], s[20:21], s[18:19]
	v_dual_mov_b32 v22, v3 :: v_dual_mov_b32 v21, v3
	global_load_b64 v[12:13], v3, s[28:29]
	s_and_not1_b32 vcc_lo, exec_lo, s35
	s_wait_alu 0xfffe
	s_cbranch_vccnz .LBB461_15
; %bb.7:                                ;   in Loop: Header=BB461_6 Depth=1
	s_add_nc_u64 s[28:29], s[8:9], s[18:19]
	s_add_nc_u64 s[18:19], s[14:15], s[18:19]
	s_clause 0x1
	global_load_b64 v[24:25], v3, s[28:29]
	global_load_b64 v[26:27], v3, s[18:19]
	v_dual_mov_b32 v21, 0 :: v_dual_mov_b32 v22, 0
	v_mov_b32_e32 v23, 0
	s_mov_b64 s[18:19], 0
	s_wait_loadcnt 0x1
	v_add_co_u32 v2, vcc_lo, v24, s4
	s_wait_alu 0xfffd
	v_add_co_ci_u32_e64 v24, null, s5, v25, vcc_lo
	s_wait_loadcnt 0x0
	v_add_co_u32 v28, vcc_lo, v26, s2
	s_wait_alu 0xfffd
	v_add_co_ci_u32_e64 v29, null, s3, v27, vcc_lo
	v_add_co_u32 v25, vcc_lo, v2, v6
	s_wait_alu 0xfffd
	v_add_co_ci_u32_e64 v26, null, v24, v7, vcc_lo
	v_add_co_u32 v27, vcc_lo, v28, v20
	s_wait_alu 0xfffd
	v_add_co_ci_u32_e64 v28, null, 0, v29, vcc_lo
	v_mov_b32_e32 v24, 0
	s_branch .LBB461_9
.LBB461_8:                              ;   in Loop: Header=BB461_9 Depth=2
	s_or_b32 exec_lo, exec_lo, s28
	s_wait_loadcnt_dscnt 0x0
	ds_store_b32 v17, v30
	s_wait_dscnt 0x0
	s_barrier_signal -1
	s_barrier_wait -1
	global_inv scope:SCOPE_SE
	ds_load_b128 v[29:32], v19
	ds_load_2addr_b32 v[45:46], v18 offset1:16
	ds_load_b128 v[33:36], v19 offset:512
	ds_load_2addr_b32 v[47:48], v18 offset0:32 offset1:48
	ds_load_2addr_b32 v[49:50], v18 offset0:64 offset1:80
	;; [unrolled: 1-line block ×3, first 2 shown]
	ds_load_b128 v[37:40], v19 offset:16
	ds_load_2addr_b32 v[53:54], v18 offset0:128 offset1:144
	ds_load_b128 v[41:44], v19 offset:528
	ds_load_2addr_b32 v[55:56], v18 offset0:160 offset1:176
	s_add_nc_u64 s[18:19], s[18:19], 8
	s_wait_alu 0xfffe
	v_cmp_gt_i64_e64 s28, s[24:25], s[18:19]
	s_and_b32 vcc_lo, exec_lo, s28
	s_wait_dscnt 0x8
	v_fmac_f32_e32 v23, v46, v29
	v_fmac_f32_e32 v24, v45, v29
	s_wait_dscnt 0x7
	v_fmac_f32_e32 v21, v46, v33
	v_fmac_f32_e32 v22, v45, v33
	ds_load_2addr_b32 v[45:46], v18 offset0:192 offset1:208
	s_wait_dscnt 0x7
	v_fmac_f32_e32 v23, v48, v30
	v_fmac_f32_e32 v24, v47, v30
	;; [unrolled: 1-line block ×4, first 2 shown]
	ds_load_2addr_b32 v[29:30], v18 offset0:224 offset1:240
	s_wait_dscnt 0x7
	v_fmac_f32_e32 v23, v50, v31
	v_fmac_f32_e32 v24, v49, v31
	;; [unrolled: 1-line block ×4, first 2 shown]
	s_wait_loadcnt_dscnt 0x0
	v_fmac_f32_e32 v23, v52, v32
	v_fmac_f32_e32 v24, v51, v32
	;; [unrolled: 1-line block ×4, first 2 shown]
	s_barrier_signal -1
	v_fmac_f32_e32 v23, v54, v37
	v_fmac_f32_e32 v24, v53, v37
	;; [unrolled: 1-line block ×4, first 2 shown]
	s_barrier_wait -1
	v_fmac_f32_e32 v23, v56, v38
	v_fmac_f32_e32 v24, v55, v38
	;; [unrolled: 1-line block ×4, first 2 shown]
	global_inv scope:SCOPE_SE
	v_fmac_f32_e32 v23, v46, v39
	v_fmac_f32_e32 v24, v45, v39
	;; [unrolled: 1-line block ×3, first 2 shown]
	s_delay_alu instid0(VALU_DEP_3) | instskip(NEXT) | instid1(VALU_DEP_3)
	v_dual_fmac_f32 v22, v45, v43 :: v_dual_fmac_f32 v23, v30, v40
	v_fmac_f32_e32 v24, v29, v40
	s_delay_alu instid0(VALU_DEP_3) | instskip(NEXT) | instid1(VALU_DEP_3)
	v_fmac_f32_e32 v21, v30, v44
	v_fmac_f32_e32 v22, v29, v44
	s_wait_alu 0xfffe
	s_cbranch_vccz .LBB461_15
.LBB461_9:                              ;   Parent Loop BB461_6 Depth=1
                                        ; =>  This Inner Loop Header: Depth=2
	v_mov_b32_e32 v29, 0
	s_and_saveexec_b32 s28, s0
	s_cbranch_execz .LBB461_13
; %bb.10:                               ;   in Loop: Header=BB461_9 Depth=2
	s_wait_alu 0xfffe
	v_dual_mov_b32 v29, 0 :: v_dual_add_nc_u32 v2, s18, v15
	s_mov_b32 s29, exec_lo
	s_delay_alu instid0(VALU_DEP_1)
	v_cmpx_gt_u64_e64 s[24:25], v[2:3]
	s_cbranch_execz .LBB461_12
; %bb.11:                               ;   in Loop: Header=BB461_9 Depth=2
	v_mad_co_u64_u32 v[29:30], null, s10, v2, 0
	s_delay_alu instid0(VALU_DEP_1) | instskip(NEXT) | instid1(VALU_DEP_1)
	v_mad_co_u64_u32 v[30:31], null, s11, v2, v[30:31]
	v_lshlrev_b64_e32 v[29:30], 2, v[29:30]
	s_delay_alu instid0(VALU_DEP_1) | instskip(SKIP_1) | instid1(VALU_DEP_2)
	v_add_co_u32 v29, vcc_lo, v25, v29
	s_wait_alu 0xfffd
	v_add_co_ci_u32_e64 v30, null, v26, v30, vcc_lo
	flat_load_b32 v29, v[29:30]
.LBB461_12:                             ;   in Loop: Header=BB461_9 Depth=2
	s_or_b32 exec_lo, exec_lo, s29
.LBB461_13:                             ;   in Loop: Header=BB461_9 Depth=2
	s_delay_alu instid0(SALU_CYCLE_1)
	s_or_b32 exec_lo, exec_lo, s28
	s_wait_alu 0xfffe
	v_add_nc_u32_e32 v2, s18, v14
	v_mov_b32_e32 v30, 0
	s_wait_loadcnt_dscnt 0x0
	ds_store_b32 v16, v29
	v_cmp_gt_u64_e32 vcc_lo, s[24:25], v[2:3]
	s_and_b32 s29, vcc_lo, s1
	s_delay_alu instid0(SALU_CYCLE_1)
	s_and_saveexec_b32 s28, s29
	s_cbranch_execz .LBB461_8
; %bb.14:                               ;   in Loop: Header=BB461_9 Depth=2
	v_mad_co_u64_u32 v[29:30], null, s16, v2, 0
	s_delay_alu instid0(VALU_DEP_1) | instskip(NEXT) | instid1(VALU_DEP_1)
	v_mad_co_u64_u32 v[30:31], null, s17, v2, v[30:31]
	v_lshlrev_b64_e32 v[29:30], 2, v[29:30]
	s_delay_alu instid0(VALU_DEP_1) | instskip(SKIP_1) | instid1(VALU_DEP_2)
	v_add_co_u32 v29, vcc_lo, v27, v29
	s_wait_alu 0xfffd
	v_add_co_ci_u32_e64 v30, null, v28, v30, vcc_lo
	flat_load_b32 v30, v[29:30]
	s_branch .LBB461_8
.LBB461_15:                             ;   in Loop: Header=BB461_6 Depth=1
	s_wait_loadcnt 0x0
	v_add_co_u32 v2, vcc_lo, v12, s12
	s_wait_alu 0xfffd
	v_add_co_ci_u32_e64 v12, null, s13, v13, vcc_lo
	s_delay_alu instid0(VALU_DEP_2) | instskip(SKIP_1) | instid1(VALU_DEP_2)
	v_add_co_u32 v13, vcc_lo, v2, v8
	s_wait_alu 0xfffd
	v_add_co_ci_u32_e64 v25, null, v12, v9, vcc_lo
	s_wait_alu 0xfffe
	s_and_saveexec_b32 s18, s23
	s_cbranch_execz .LBB461_19
; %bb.16:                               ;   in Loop: Header=BB461_6 Depth=1
	v_mul_f32_e32 v24, s26, v24
	s_and_b32 vcc_lo, exec_lo, s22
	s_wait_alu 0xfffe
	s_cbranch_vccz .LBB461_30
; %bb.17:                               ;   in Loop: Header=BB461_6 Depth=1
	v_lshlrev_b64_e32 v[26:27], 2, v[0:1]
	s_delay_alu instid0(VALU_DEP_1) | instskip(SKIP_1) | instid1(VALU_DEP_2)
	v_add_co_u32 v26, vcc_lo, v13, v26
	s_wait_alu 0xfffd
	v_add_co_ci_u32_e64 v27, null, v25, v27, vcc_lo
	flat_load_b32 v28, v[26:27]
	s_wait_loadcnt_dscnt 0x0
	v_fma_f32 v28, s27, v28, v24
	flat_store_b32 v[26:27], v28
	s_cbranch_execnz .LBB461_19
.LBB461_18:                             ;   in Loop: Header=BB461_6 Depth=1
	v_lshlrev_b64_e32 v[26:27], 2, v[0:1]
	s_delay_alu instid0(VALU_DEP_1) | instskip(SKIP_1) | instid1(VALU_DEP_2)
	v_add_co_u32 v26, vcc_lo, v13, v26
	s_wait_alu 0xfffd
	v_add_co_ci_u32_e64 v27, null, v25, v27, vcc_lo
	flat_store_b32 v[26:27], v24
.LBB461_19:                             ;   in Loop: Header=BB461_6 Depth=1
	s_wait_alu 0xfffe
	s_or_b32 exec_lo, exec_lo, s18
	s_and_saveexec_b32 s18, s31
	s_cbranch_execz .LBB461_23
; %bb.20:                               ;   in Loop: Header=BB461_6 Depth=1
	v_mul_f32_e32 v23, s26, v23
	s_and_not1_b32 vcc_lo, exec_lo, s22
	s_wait_alu 0xfffe
	s_cbranch_vccnz .LBB461_31
; %bb.21:                               ;   in Loop: Header=BB461_6 Depth=1
	v_lshlrev_b64_e32 v[26:27], 2, v[4:5]
	s_delay_alu instid0(VALU_DEP_1) | instskip(SKIP_1) | instid1(VALU_DEP_2)
	v_add_co_u32 v26, vcc_lo, v13, v26
	s_wait_alu 0xfffd
	v_add_co_ci_u32_e64 v27, null, v25, v27, vcc_lo
	flat_load_b32 v24, v[26:27]
	s_wait_loadcnt_dscnt 0x0
	v_fma_f32 v24, s27, v24, v23
	flat_store_b32 v[26:27], v24
	s_cbranch_execnz .LBB461_23
.LBB461_22:                             ;   in Loop: Header=BB461_6 Depth=1
	v_lshlrev_b64_e32 v[26:27], 2, v[4:5]
	s_delay_alu instid0(VALU_DEP_1) | instskip(SKIP_1) | instid1(VALU_DEP_2)
	v_add_co_u32 v24, vcc_lo, v13, v26
	s_wait_alu 0xfffd
	v_add_co_ci_u32_e64 v25, null, v25, v27, vcc_lo
	flat_store_b32 v[24:25], v23
.LBB461_23:                             ;   in Loop: Header=BB461_6 Depth=1
	s_wait_alu 0xfffe
	s_or_b32 exec_lo, exec_lo, s18
	v_add_co_u32 v2, vcc_lo, v2, v10
	s_wait_alu 0xfffd
	v_add_co_ci_u32_e64 v23, null, v12, v11, vcc_lo
	s_and_saveexec_b32 s18, s33
	s_cbranch_execz .LBB461_27
; %bb.24:                               ;   in Loop: Header=BB461_6 Depth=1
	v_lshlrev_b64_e32 v[12:13], 2, v[0:1]
	v_mul_f32_e32 v22, s26, v22
	s_and_not1_b32 vcc_lo, exec_lo, s22
	s_wait_alu 0xfffe
	s_cbranch_vccnz .LBB461_32
; %bb.25:                               ;   in Loop: Header=BB461_6 Depth=1
	s_delay_alu instid0(VALU_DEP_2)
	v_add_co_u32 v24, vcc_lo, v2, v12
	s_wait_alu 0xfffd
	v_add_co_ci_u32_e64 v25, null, v23, v13, vcc_lo
	flat_load_b32 v26, v[24:25]
	s_wait_loadcnt_dscnt 0x0
	v_fma_f32 v26, s27, v26, v22
	flat_store_b32 v[24:25], v26
	s_cbranch_execnz .LBB461_27
.LBB461_26:                             ;   in Loop: Header=BB461_6 Depth=1
	v_add_co_u32 v12, vcc_lo, v2, v12
	s_wait_alu 0xfffd
	v_add_co_ci_u32_e64 v13, null, v23, v13, vcc_lo
	flat_store_b32 v[12:13], v22
.LBB461_27:                             ;   in Loop: Header=BB461_6 Depth=1
	s_wait_alu 0xfffe
	s_or_b32 exec_lo, exec_lo, s18
	s_and_saveexec_b32 s18, s34
	s_cbranch_execz .LBB461_5
; %bb.28:                               ;   in Loop: Header=BB461_6 Depth=1
	v_lshlrev_b64_e32 v[12:13], 2, v[4:5]
	v_mul_f32_e32 v21, s26, v21
	s_and_not1_b32 vcc_lo, exec_lo, s22
	s_wait_alu 0xfffe
	s_cbranch_vccnz .LBB461_33
; %bb.29:                               ;   in Loop: Header=BB461_6 Depth=1
	s_delay_alu instid0(VALU_DEP_2)
	v_add_co_u32 v24, vcc_lo, v2, v12
	s_wait_alu 0xfffd
	v_add_co_ci_u32_e64 v25, null, v23, v13, vcc_lo
	flat_load_b32 v22, v[24:25]
	s_wait_loadcnt_dscnt 0x0
	v_fma_f32 v22, s27, v22, v21
	flat_store_b32 v[24:25], v22
	s_cbranch_execnz .LBB461_5
	s_branch .LBB461_34
.LBB461_30:                             ;   in Loop: Header=BB461_6 Depth=1
	s_branch .LBB461_18
.LBB461_31:                             ;   in Loop: Header=BB461_6 Depth=1
	s_branch .LBB461_22
.LBB461_32:                             ;   in Loop: Header=BB461_6 Depth=1
	s_branch .LBB461_26
.LBB461_33:                             ;   in Loop: Header=BB461_6 Depth=1
.LBB461_34:                             ;   in Loop: Header=BB461_6 Depth=1
	s_delay_alu instid0(VALU_DEP_2)
	v_add_co_u32 v12, vcc_lo, v2, v12
	s_wait_alu 0xfffd
	v_add_co_ci_u32_e64 v13, null, v23, v13, vcc_lo
	flat_store_b32 v[12:13], v21
	s_branch .LBB461_5
.LBB461_35:
	s_endpgm
	.section	.rodata,"a",@progbits
	.p2align	6, 0x0
	.amdhsa_kernel _ZL29rocblas_internal_gemmt_kernelIlLi16ELi32ELi8ELc78ELc67ELc76ELb0ELb0EffPKPKfPKPfEviT_T9_T10_S7_lS9_S7_lS8_T11_S7_li
		.amdhsa_group_segment_fixed_size 2048
		.amdhsa_private_segment_fixed_size 0
		.amdhsa_kernarg_size 108
		.amdhsa_user_sgpr_count 2
		.amdhsa_user_sgpr_dispatch_ptr 0
		.amdhsa_user_sgpr_queue_ptr 0
		.amdhsa_user_sgpr_kernarg_segment_ptr 1
		.amdhsa_user_sgpr_dispatch_id 0
		.amdhsa_user_sgpr_private_segment_size 0
		.amdhsa_wavefront_size32 1
		.amdhsa_uses_dynamic_stack 0
		.amdhsa_enable_private_segment 0
		.amdhsa_system_sgpr_workgroup_id_x 1
		.amdhsa_system_sgpr_workgroup_id_y 1
		.amdhsa_system_sgpr_workgroup_id_z 1
		.amdhsa_system_sgpr_workgroup_info 0
		.amdhsa_system_vgpr_workitem_id 1
		.amdhsa_next_free_vgpr 57
		.amdhsa_next_free_sgpr 37
		.amdhsa_reserve_vcc 1
		.amdhsa_float_round_mode_32 0
		.amdhsa_float_round_mode_16_64 0
		.amdhsa_float_denorm_mode_32 3
		.amdhsa_float_denorm_mode_16_64 3
		.amdhsa_fp16_overflow 0
		.amdhsa_workgroup_processor_mode 1
		.amdhsa_memory_ordered 1
		.amdhsa_forward_progress 1
		.amdhsa_inst_pref_size 16
		.amdhsa_round_robin_scheduling 0
		.amdhsa_exception_fp_ieee_invalid_op 0
		.amdhsa_exception_fp_denorm_src 0
		.amdhsa_exception_fp_ieee_div_zero 0
		.amdhsa_exception_fp_ieee_overflow 0
		.amdhsa_exception_fp_ieee_underflow 0
		.amdhsa_exception_fp_ieee_inexact 0
		.amdhsa_exception_int_div_zero 0
	.end_amdhsa_kernel
	.section	.text._ZL29rocblas_internal_gemmt_kernelIlLi16ELi32ELi8ELc78ELc67ELc76ELb0ELb0EffPKPKfPKPfEviT_T9_T10_S7_lS9_S7_lS8_T11_S7_li,"axG",@progbits,_ZL29rocblas_internal_gemmt_kernelIlLi16ELi32ELi8ELc78ELc67ELc76ELb0ELb0EffPKPKfPKPfEviT_T9_T10_S7_lS9_S7_lS8_T11_S7_li,comdat
.Lfunc_end461:
	.size	_ZL29rocblas_internal_gemmt_kernelIlLi16ELi32ELi8ELc78ELc67ELc76ELb0ELb0EffPKPKfPKPfEviT_T9_T10_S7_lS9_S7_lS8_T11_S7_li, .Lfunc_end461-_ZL29rocblas_internal_gemmt_kernelIlLi16ELi32ELi8ELc78ELc67ELc76ELb0ELb0EffPKPKfPKPfEviT_T9_T10_S7_lS9_S7_lS8_T11_S7_li
                                        ; -- End function
	.set _ZL29rocblas_internal_gemmt_kernelIlLi16ELi32ELi8ELc78ELc67ELc76ELb0ELb0EffPKPKfPKPfEviT_T9_T10_S7_lS9_S7_lS8_T11_S7_li.num_vgpr, 57
	.set _ZL29rocblas_internal_gemmt_kernelIlLi16ELi32ELi8ELc78ELc67ELc76ELb0ELb0EffPKPKfPKPfEviT_T9_T10_S7_lS9_S7_lS8_T11_S7_li.num_agpr, 0
	.set _ZL29rocblas_internal_gemmt_kernelIlLi16ELi32ELi8ELc78ELc67ELc76ELb0ELb0EffPKPKfPKPfEviT_T9_T10_S7_lS9_S7_lS8_T11_S7_li.numbered_sgpr, 37
	.set _ZL29rocblas_internal_gemmt_kernelIlLi16ELi32ELi8ELc78ELc67ELc76ELb0ELb0EffPKPKfPKPfEviT_T9_T10_S7_lS9_S7_lS8_T11_S7_li.num_named_barrier, 0
	.set _ZL29rocblas_internal_gemmt_kernelIlLi16ELi32ELi8ELc78ELc67ELc76ELb0ELb0EffPKPKfPKPfEviT_T9_T10_S7_lS9_S7_lS8_T11_S7_li.private_seg_size, 0
	.set _ZL29rocblas_internal_gemmt_kernelIlLi16ELi32ELi8ELc78ELc67ELc76ELb0ELb0EffPKPKfPKPfEviT_T9_T10_S7_lS9_S7_lS8_T11_S7_li.uses_vcc, 1
	.set _ZL29rocblas_internal_gemmt_kernelIlLi16ELi32ELi8ELc78ELc67ELc76ELb0ELb0EffPKPKfPKPfEviT_T9_T10_S7_lS9_S7_lS8_T11_S7_li.uses_flat_scratch, 0
	.set _ZL29rocblas_internal_gemmt_kernelIlLi16ELi32ELi8ELc78ELc67ELc76ELb0ELb0EffPKPKfPKPfEviT_T9_T10_S7_lS9_S7_lS8_T11_S7_li.has_dyn_sized_stack, 0
	.set _ZL29rocblas_internal_gemmt_kernelIlLi16ELi32ELi8ELc78ELc67ELc76ELb0ELb0EffPKPKfPKPfEviT_T9_T10_S7_lS9_S7_lS8_T11_S7_li.has_recursion, 0
	.set _ZL29rocblas_internal_gemmt_kernelIlLi16ELi32ELi8ELc78ELc67ELc76ELb0ELb0EffPKPKfPKPfEviT_T9_T10_S7_lS9_S7_lS8_T11_S7_li.has_indirect_call, 0
	.section	.AMDGPU.csdata,"",@progbits
; Kernel info:
; codeLenInByte = 1932
; TotalNumSgprs: 39
; NumVgprs: 57
; ScratchSize: 0
; MemoryBound: 0
; FloatMode: 240
; IeeeMode: 1
; LDSByteSize: 2048 bytes/workgroup (compile time only)
; SGPRBlocks: 0
; VGPRBlocks: 7
; NumSGPRsForWavesPerEU: 39
; NumVGPRsForWavesPerEU: 57
; Occupancy: 16
; WaveLimiterHint : 1
; COMPUTE_PGM_RSRC2:SCRATCH_EN: 0
; COMPUTE_PGM_RSRC2:USER_SGPR: 2
; COMPUTE_PGM_RSRC2:TRAP_HANDLER: 0
; COMPUTE_PGM_RSRC2:TGID_X_EN: 1
; COMPUTE_PGM_RSRC2:TGID_Y_EN: 1
; COMPUTE_PGM_RSRC2:TGID_Z_EN: 1
; COMPUTE_PGM_RSRC2:TIDIG_COMP_CNT: 1
	.section	.text._ZL29rocblas_internal_gemmt_kernelIlLi16ELi32ELi8ELc84ELc78ELc76ELb0ELb0EffPKPKfPKPfEviT_T9_T10_S7_lS9_S7_lS8_T11_S7_li,"axG",@progbits,_ZL29rocblas_internal_gemmt_kernelIlLi16ELi32ELi8ELc84ELc78ELc76ELb0ELb0EffPKPKfPKPfEviT_T9_T10_S7_lS9_S7_lS8_T11_S7_li,comdat
	.globl	_ZL29rocblas_internal_gemmt_kernelIlLi16ELi32ELi8ELc84ELc78ELc76ELb0ELb0EffPKPKfPKPfEviT_T9_T10_S7_lS9_S7_lS8_T11_S7_li ; -- Begin function _ZL29rocblas_internal_gemmt_kernelIlLi16ELi32ELi8ELc84ELc78ELc76ELb0ELb0EffPKPKfPKPfEviT_T9_T10_S7_lS9_S7_lS8_T11_S7_li
	.p2align	8
	.type	_ZL29rocblas_internal_gemmt_kernelIlLi16ELi32ELi8ELc84ELc78ELc76ELb0ELb0EffPKPKfPKPfEviT_T9_T10_S7_lS9_S7_lS8_T11_S7_li,@function
_ZL29rocblas_internal_gemmt_kernelIlLi16ELi32ELi8ELc84ELc78ELc76ELb0ELb0EffPKPKfPKPfEviT_T9_T10_S7_lS9_S7_lS8_T11_S7_li: ; @_ZL29rocblas_internal_gemmt_kernelIlLi16ELi32ELi8ELc84ELc78ELc76ELb0ELb0EffPKPKfPKPfEviT_T9_T10_S7_lS9_S7_lS8_T11_S7_li
; %bb.0:
	s_clause 0x1
	s_load_b32 s23, s[0:1], 0x48
	s_load_b96 s[20:22], s[0:1], 0x8
	s_wait_kmcnt 0x0
	s_cmp_neq_f32 s23, 1.0
	s_cselect_b32 s2, -1, 0
	s_delay_alu instid0(SALU_CYCLE_1)
	s_and_b32 vcc_lo, exec_lo, s2
	s_cbranch_vccnz .LBB462_2
; %bb.1:
	s_cmp_lg_u64 s[20:21], 0
	s_cselect_b32 s2, -1, 0
	s_cmp_neq_f32 s22, 0
	s_cselect_b32 s3, -1, 0
	s_delay_alu instid0(SALU_CYCLE_1)
	s_and_b32 s2, s2, s3
.LBB462_2:
	s_delay_alu instid0(SALU_CYCLE_1)
	s_and_not1_b32 vcc_lo, exec_lo, s2
	s_cbranch_vccnz .LBB462_35
; %bb.3:
	s_load_b32 s28, s[0:1], 0x68
	s_lshr_b32 s24, ttmp7, 16
	s_wait_kmcnt 0x0
	s_cmp_ge_u32 s24, s28
	s_cbranch_scc1 .LBB462_35
; %bb.4:
	s_clause 0x4
	s_load_b32 s29, s[0:1], 0x0
	s_load_b256 s[8:15], s[0:1], 0x18
	s_load_b128 s[4:7], s[0:1], 0x38
	s_load_b128 s[16:19], s[0:1], 0x50
	s_load_b64 s[26:27], s[0:1], 0x60
	v_and_b32_e32 v5, 0x3ff, v0
	v_bfe_u32 v14, v0, 10, 10
	s_lshl_b32 s0, ttmp7, 5
	s_lshl_b32 s2, ttmp9, 5
	s_and_b32 s1, s0, 0x1fffe0
	s_cmp_neq_f32 s22, 0
	v_lshl_add_u32 v1, v14, 4, v5
	v_add_nc_u32_e32 v15, s1, v14
	v_cmp_gt_i64_e64 s34, s[20:21], 0
	s_cselect_b32 s33, -1, 0
	v_lshl_add_u32 v21, v14, 5, 0x400
	v_lshrrev_b32_e32 v17, 5, v1
	s_mov_b32 s25, 0
	s_wait_kmcnt 0x0
	v_mad_co_u64_u32 v[10:11], null, s18, v15, 0
	v_and_b32_e32 v16, 7, v0
	v_lshrrev_b32_e32 v0, 3, v1
	v_and_b32_e32 v1, 31, v1
	s_delay_alu instid0(VALU_DEP_2) | instskip(NEXT) | instid1(VALU_DEP_2)
	v_add_nc_u32_e32 v3, s1, v0
	v_or_b32_e32 v2, s2, v1
	v_lshlrev_b32_e32 v1, 2, v1
	s_ashr_i32 s1, s2, 31
	s_cmp_neq_f32 s23, 0
	v_mad_co_u64_u32 v[8:9], null, s4, v3, 0
	v_cmp_gt_i32_e64 s0, s29, v2
	v_mul_lo_u32 v4, s11, v2
	v_mad_co_u64_u32 v[6:7], null, s10, v2, 0
	v_lshl_or_b32 v18, v17, 7, v1
	v_dual_mov_b32 v1, v11 :: v_dual_lshlrev_b32 v2, 2, v16
	s_wait_alu 0xfffe
	s_mul_i32 s1, s10, s1
	s_wait_alu 0xfffe
	s_delay_alu instid0(VALU_DEP_3)
	v_add3_u32 v7, v7, s1, v4
	v_lshl_or_b32 v2, v0, 5, v2
	v_mov_b32_e32 v0, v9
	v_cmp_gt_i32_e64 s1, s29, v3
	v_lshlrev_b32_e32 v20, 2, v5
	v_lshlrev_b64_e32 v[6:7], 2, v[6:7]
	v_add_nc_u32_e32 v19, 0x400, v2
	v_mad_co_u64_u32 v[2:3], null, s5, v3, v[0:1]
	s_delay_alu instid0(VALU_DEP_1) | instskip(NEXT) | instid1(VALU_DEP_1)
	v_dual_mov_b32 v9, v2 :: v_dual_add_nc_u32 v22, 16, v15
	v_mad_co_u64_u32 v[12:13], null, s18, v22, 0
	v_add_nc_u32_e32 v0, s2, v5
	v_mad_co_u64_u32 v[3:4], null, s19, v15, v[1:2]
	s_cselect_b32 s18, -1, 0
	v_lshlrev_b64_e32 v[8:9], 2, v[8:9]
	s_and_b32 s33, s33, s34
	v_dual_mov_b32 v1, v13 :: v_dual_add_nc_u32 v2, 16, v0
	v_cmp_le_i32_e32 vcc_lo, v15, v0
	v_cmp_gt_i32_e64 s2, s29, v0
	v_mov_b32_e32 v11, v3
	s_delay_alu instid0(VALU_DEP_4)
	v_mad_co_u64_u32 v[4:5], null, s19, v22, v[1:2]
	s_and_b32 s19, vcc_lo, s2
	v_cmp_le_i32_e32 vcc_lo, v22, v0
	v_mov_b32_e32 v5, 0
	v_cmp_le_i32_e64 s3, v15, v2
	v_cmp_gt_i32_e64 s4, s29, v2
	v_cmp_le_i32_e64 s5, v22, v2
	v_mov_b32_e32 v13, v4
	v_lshlrev_b64_e32 v[10:11], 2, v[10:11]
	v_ashrrev_i32_e32 v1, 31, v0
	v_ashrrev_i32_e32 v3, 31, v2
	s_and_b32 s29, s3, s4
	v_lshlrev_b64_e32 v[12:13], 2, v[12:13]
	s_and_b32 s30, vcc_lo, s2
	s_and_b32 s31, s5, s4
	s_lshl_b64 s[2:3], s[6:7], 2
	s_lshl_b64 s[4:5], s[12:13], 2
	;; [unrolled: 1-line block ×3, first 2 shown]
	s_branch .LBB462_6
.LBB462_5:                              ;   in Loop: Header=BB462_6 Depth=1
	s_wait_alu 0xfffe
	s_or_b32 exec_lo, exec_lo, s10
	s_add_co_i32 s24, s24, 0x10000
	s_delay_alu instid0(SALU_CYCLE_1)
	s_cmp_lt_u32 s24, s28
	s_cbranch_scc0 .LBB462_35
.LBB462_6:                              ; =>This Loop Header: Depth=1
                                        ;     Child Loop BB462_9 Depth 2
	s_lshl_b64 s[10:11], s[24:25], 3
	v_dual_mov_b32 v25, v5 :: v_dual_mov_b32 v24, v5
	s_wait_alu 0xfffe
	s_add_nc_u64 s[12:13], s[16:17], s[10:11]
	v_dual_mov_b32 v23, v5 :: v_dual_mov_b32 v22, v5
	global_load_b64 v[14:15], v5, s[12:13]
	s_and_not1_b32 vcc_lo, exec_lo, s33
	s_wait_alu 0xfffe
	s_cbranch_vccnz .LBB462_15
; %bb.7:                                ;   in Loop: Header=BB462_6 Depth=1
	s_add_nc_u64 s[12:13], s[8:9], s[10:11]
	s_add_nc_u64 s[10:11], s[14:15], s[10:11]
	s_clause 0x1
	global_load_b64 v[25:26], v5, s[12:13]
	global_load_b64 v[27:28], v5, s[10:11]
	v_dual_mov_b32 v22, 0 :: v_dual_mov_b32 v23, 0
	v_mov_b32_e32 v24, 0
	s_mov_b64 s[10:11], 0
	s_wait_loadcnt 0x1
	v_add_co_u32 v4, vcc_lo, v25, s4
	s_wait_alu 0xfffd
	v_add_co_ci_u32_e64 v25, null, s5, v26, vcc_lo
	s_wait_loadcnt 0x0
	v_add_co_u32 v29, vcc_lo, v27, s2
	s_wait_alu 0xfffd
	v_add_co_ci_u32_e64 v30, null, s3, v28, vcc_lo
	v_add_co_u32 v26, vcc_lo, v4, v6
	s_wait_alu 0xfffd
	v_add_co_ci_u32_e64 v27, null, v25, v7, vcc_lo
	;; [unrolled: 3-line block ×3, first 2 shown]
	v_mov_b32_e32 v25, 0
	s_branch .LBB462_9
.LBB462_8:                              ;   in Loop: Header=BB462_9 Depth=2
	s_or_b32 exec_lo, exec_lo, s12
	s_wait_loadcnt_dscnt 0x0
	ds_store_b32 v19, v31
	s_wait_dscnt 0x0
	s_barrier_signal -1
	s_barrier_wait -1
	global_inv scope:SCOPE_SE
	ds_load_b128 v[30:33], v21
	ds_load_2addr_b32 v[46:47], v20 offset1:16
	ds_load_b128 v[34:37], v21 offset:512
	ds_load_2addr_b32 v[48:49], v20 offset0:32 offset1:48
	ds_load_2addr_b32 v[50:51], v20 offset0:64 offset1:80
	;; [unrolled: 1-line block ×3, first 2 shown]
	ds_load_b128 v[38:41], v21 offset:16
	ds_load_2addr_b32 v[54:55], v20 offset0:128 offset1:144
	ds_load_b128 v[42:45], v21 offset:528
	ds_load_2addr_b32 v[56:57], v20 offset0:160 offset1:176
	s_add_nc_u64 s[10:11], s[10:11], 8
	s_wait_alu 0xfffe
	v_cmp_gt_i64_e64 s12, s[20:21], s[10:11]
	s_and_b32 vcc_lo, exec_lo, s12
	s_wait_dscnt 0x8
	v_fmac_f32_e32 v24, v47, v30
	v_fmac_f32_e32 v25, v46, v30
	s_wait_dscnt 0x7
	v_fmac_f32_e32 v22, v47, v34
	v_fmac_f32_e32 v23, v46, v34
	ds_load_2addr_b32 v[46:47], v20 offset0:192 offset1:208
	s_wait_dscnt 0x7
	v_fmac_f32_e32 v24, v49, v31
	v_fmac_f32_e32 v25, v48, v31
	;; [unrolled: 1-line block ×4, first 2 shown]
	ds_load_2addr_b32 v[30:31], v20 offset0:224 offset1:240
	s_wait_dscnt 0x7
	v_fmac_f32_e32 v24, v51, v32
	v_fmac_f32_e32 v25, v50, v32
	;; [unrolled: 1-line block ×4, first 2 shown]
	s_wait_loadcnt_dscnt 0x0
	v_fmac_f32_e32 v24, v53, v33
	v_fmac_f32_e32 v25, v52, v33
	v_fmac_f32_e32 v22, v53, v37
	v_fmac_f32_e32 v23, v52, v37
	s_barrier_signal -1
	v_fmac_f32_e32 v24, v55, v38
	v_fmac_f32_e32 v25, v54, v38
	;; [unrolled: 1-line block ×4, first 2 shown]
	s_barrier_wait -1
	v_fmac_f32_e32 v24, v57, v39
	v_fmac_f32_e32 v25, v56, v39
	;; [unrolled: 1-line block ×4, first 2 shown]
	global_inv scope:SCOPE_SE
	v_fmac_f32_e32 v24, v47, v40
	v_fmac_f32_e32 v25, v46, v40
	;; [unrolled: 1-line block ×3, first 2 shown]
	s_delay_alu instid0(VALU_DEP_3) | instskip(NEXT) | instid1(VALU_DEP_3)
	v_dual_fmac_f32 v23, v46, v44 :: v_dual_fmac_f32 v24, v31, v41
	v_fmac_f32_e32 v25, v30, v41
	s_delay_alu instid0(VALU_DEP_3) | instskip(NEXT) | instid1(VALU_DEP_3)
	v_fmac_f32_e32 v22, v31, v45
	v_fmac_f32_e32 v23, v30, v45
	s_wait_alu 0xfffe
	s_cbranch_vccz .LBB462_15
.LBB462_9:                              ;   Parent Loop BB462_6 Depth=1
                                        ; =>  This Inner Loop Header: Depth=2
	v_mov_b32_e32 v30, 0
	s_and_saveexec_b32 s12, s0
	s_cbranch_execz .LBB462_13
; %bb.10:                               ;   in Loop: Header=BB462_9 Depth=2
	s_wait_alu 0xfffe
	v_add_nc_u32_e32 v4, s10, v17
	v_mov_b32_e32 v30, 0
	s_mov_b32 s13, exec_lo
	s_delay_alu instid0(VALU_DEP_2)
	v_cmpx_gt_u64_e64 s[20:21], v[4:5]
	s_cbranch_execz .LBB462_12
; %bb.11:                               ;   in Loop: Header=BB462_9 Depth=2
	v_lshlrev_b64_e32 v[30:31], 2, v[4:5]
	s_delay_alu instid0(VALU_DEP_1) | instskip(SKIP_1) | instid1(VALU_DEP_2)
	v_add_co_u32 v30, vcc_lo, v26, v30
	s_wait_alu 0xfffd
	v_add_co_ci_u32_e64 v31, null, v27, v31, vcc_lo
	flat_load_b32 v30, v[30:31]
.LBB462_12:                             ;   in Loop: Header=BB462_9 Depth=2
	s_or_b32 exec_lo, exec_lo, s13
.LBB462_13:                             ;   in Loop: Header=BB462_9 Depth=2
	s_delay_alu instid0(SALU_CYCLE_1)
	s_or_b32 exec_lo, exec_lo, s12
	s_wait_alu 0xfffe
	v_dual_mov_b32 v31, 0 :: v_dual_add_nc_u32 v4, s10, v16
	s_wait_loadcnt_dscnt 0x0
	ds_store_b32 v18, v30
	v_cmp_gt_u64_e32 vcc_lo, s[20:21], v[4:5]
	s_and_b32 s13, vcc_lo, s1
	s_delay_alu instid0(SALU_CYCLE_1)
	s_and_saveexec_b32 s12, s13
	s_cbranch_execz .LBB462_8
; %bb.14:                               ;   in Loop: Header=BB462_9 Depth=2
	v_lshlrev_b64_e32 v[30:31], 2, v[4:5]
	s_delay_alu instid0(VALU_DEP_1) | instskip(SKIP_1) | instid1(VALU_DEP_2)
	v_add_co_u32 v30, vcc_lo, v28, v30
	s_wait_alu 0xfffd
	v_add_co_ci_u32_e64 v31, null, v29, v31, vcc_lo
	flat_load_b32 v31, v[30:31]
	s_branch .LBB462_8
.LBB462_15:                             ;   in Loop: Header=BB462_6 Depth=1
	s_wait_loadcnt 0x0
	v_add_co_u32 v4, vcc_lo, v14, s6
	s_wait_alu 0xfffd
	v_add_co_ci_u32_e64 v14, null, s7, v15, vcc_lo
	s_delay_alu instid0(VALU_DEP_2) | instskip(SKIP_1) | instid1(VALU_DEP_2)
	v_add_co_u32 v15, vcc_lo, v4, v10
	s_wait_alu 0xfffd
	v_add_co_ci_u32_e64 v26, null, v14, v11, vcc_lo
	s_and_saveexec_b32 s10, s19
	s_cbranch_execz .LBB462_19
; %bb.16:                               ;   in Loop: Header=BB462_6 Depth=1
	v_mul_f32_e32 v25, s22, v25
	s_and_b32 vcc_lo, exec_lo, s18
	s_wait_alu 0xfffe
	s_cbranch_vccz .LBB462_30
; %bb.17:                               ;   in Loop: Header=BB462_6 Depth=1
	v_lshlrev_b64_e32 v[27:28], 2, v[0:1]
	s_delay_alu instid0(VALU_DEP_1) | instskip(SKIP_1) | instid1(VALU_DEP_2)
	v_add_co_u32 v27, vcc_lo, v15, v27
	s_wait_alu 0xfffd
	v_add_co_ci_u32_e64 v28, null, v26, v28, vcc_lo
	flat_load_b32 v29, v[27:28]
	s_wait_loadcnt_dscnt 0x0
	v_fma_f32 v29, s23, v29, v25
	flat_store_b32 v[27:28], v29
	s_cbranch_execnz .LBB462_19
.LBB462_18:                             ;   in Loop: Header=BB462_6 Depth=1
	v_lshlrev_b64_e32 v[27:28], 2, v[0:1]
	s_delay_alu instid0(VALU_DEP_1) | instskip(SKIP_1) | instid1(VALU_DEP_2)
	v_add_co_u32 v27, vcc_lo, v15, v27
	s_wait_alu 0xfffd
	v_add_co_ci_u32_e64 v28, null, v26, v28, vcc_lo
	flat_store_b32 v[27:28], v25
.LBB462_19:                             ;   in Loop: Header=BB462_6 Depth=1
	s_wait_alu 0xfffe
	s_or_b32 exec_lo, exec_lo, s10
	s_and_saveexec_b32 s10, s29
	s_cbranch_execz .LBB462_23
; %bb.20:                               ;   in Loop: Header=BB462_6 Depth=1
	v_mul_f32_e32 v24, s22, v24
	s_and_not1_b32 vcc_lo, exec_lo, s18
	s_wait_alu 0xfffe
	s_cbranch_vccnz .LBB462_31
; %bb.21:                               ;   in Loop: Header=BB462_6 Depth=1
	v_lshlrev_b64_e32 v[27:28], 2, v[2:3]
	s_delay_alu instid0(VALU_DEP_1) | instskip(SKIP_1) | instid1(VALU_DEP_2)
	v_add_co_u32 v27, vcc_lo, v15, v27
	s_wait_alu 0xfffd
	v_add_co_ci_u32_e64 v28, null, v26, v28, vcc_lo
	flat_load_b32 v25, v[27:28]
	s_wait_loadcnt_dscnt 0x0
	v_fma_f32 v25, s23, v25, v24
	flat_store_b32 v[27:28], v25
	s_cbranch_execnz .LBB462_23
.LBB462_22:                             ;   in Loop: Header=BB462_6 Depth=1
	v_lshlrev_b64_e32 v[27:28], 2, v[2:3]
	s_delay_alu instid0(VALU_DEP_1) | instskip(SKIP_1) | instid1(VALU_DEP_2)
	v_add_co_u32 v25, vcc_lo, v15, v27
	s_wait_alu 0xfffd
	v_add_co_ci_u32_e64 v26, null, v26, v28, vcc_lo
	flat_store_b32 v[25:26], v24
.LBB462_23:                             ;   in Loop: Header=BB462_6 Depth=1
	s_wait_alu 0xfffe
	s_or_b32 exec_lo, exec_lo, s10
	v_add_co_u32 v4, vcc_lo, v4, v12
	s_wait_alu 0xfffd
	v_add_co_ci_u32_e64 v24, null, v14, v13, vcc_lo
	s_and_saveexec_b32 s10, s30
	s_cbranch_execz .LBB462_27
; %bb.24:                               ;   in Loop: Header=BB462_6 Depth=1
	v_lshlrev_b64_e32 v[14:15], 2, v[0:1]
	v_mul_f32_e32 v23, s22, v23
	s_and_not1_b32 vcc_lo, exec_lo, s18
	s_wait_alu 0xfffe
	s_cbranch_vccnz .LBB462_32
; %bb.25:                               ;   in Loop: Header=BB462_6 Depth=1
	s_delay_alu instid0(VALU_DEP_2)
	v_add_co_u32 v25, vcc_lo, v4, v14
	s_wait_alu 0xfffd
	v_add_co_ci_u32_e64 v26, null, v24, v15, vcc_lo
	flat_load_b32 v27, v[25:26]
	s_wait_loadcnt_dscnt 0x0
	v_fma_f32 v27, s23, v27, v23
	flat_store_b32 v[25:26], v27
	s_cbranch_execnz .LBB462_27
.LBB462_26:                             ;   in Loop: Header=BB462_6 Depth=1
	v_add_co_u32 v14, vcc_lo, v4, v14
	s_wait_alu 0xfffd
	v_add_co_ci_u32_e64 v15, null, v24, v15, vcc_lo
	flat_store_b32 v[14:15], v23
.LBB462_27:                             ;   in Loop: Header=BB462_6 Depth=1
	s_wait_alu 0xfffe
	s_or_b32 exec_lo, exec_lo, s10
	s_and_saveexec_b32 s10, s31
	s_cbranch_execz .LBB462_5
; %bb.28:                               ;   in Loop: Header=BB462_6 Depth=1
	v_lshlrev_b64_e32 v[14:15], 2, v[2:3]
	v_mul_f32_e32 v22, s22, v22
	s_and_not1_b32 vcc_lo, exec_lo, s18
	s_wait_alu 0xfffe
	s_cbranch_vccnz .LBB462_33
; %bb.29:                               ;   in Loop: Header=BB462_6 Depth=1
	s_delay_alu instid0(VALU_DEP_2)
	v_add_co_u32 v25, vcc_lo, v4, v14
	s_wait_alu 0xfffd
	v_add_co_ci_u32_e64 v26, null, v24, v15, vcc_lo
	flat_load_b32 v23, v[25:26]
	s_wait_loadcnt_dscnt 0x0
	v_fma_f32 v23, s23, v23, v22
	flat_store_b32 v[25:26], v23
	s_cbranch_execnz .LBB462_5
	s_branch .LBB462_34
.LBB462_30:                             ;   in Loop: Header=BB462_6 Depth=1
	s_branch .LBB462_18
.LBB462_31:                             ;   in Loop: Header=BB462_6 Depth=1
	s_branch .LBB462_22
.LBB462_32:                             ;   in Loop: Header=BB462_6 Depth=1
	s_branch .LBB462_26
.LBB462_33:                             ;   in Loop: Header=BB462_6 Depth=1
.LBB462_34:                             ;   in Loop: Header=BB462_6 Depth=1
	s_delay_alu instid0(VALU_DEP_2)
	v_add_co_u32 v14, vcc_lo, v4, v14
	s_wait_alu 0xfffd
	v_add_co_ci_u32_e64 v15, null, v24, v15, vcc_lo
	flat_store_b32 v[14:15], v22
	s_branch .LBB462_5
.LBB462_35:
	s_endpgm
	.section	.rodata,"a",@progbits
	.p2align	6, 0x0
	.amdhsa_kernel _ZL29rocblas_internal_gemmt_kernelIlLi16ELi32ELi8ELc84ELc78ELc76ELb0ELb0EffPKPKfPKPfEviT_T9_T10_S7_lS9_S7_lS8_T11_S7_li
		.amdhsa_group_segment_fixed_size 2048
		.amdhsa_private_segment_fixed_size 0
		.amdhsa_kernarg_size 108
		.amdhsa_user_sgpr_count 2
		.amdhsa_user_sgpr_dispatch_ptr 0
		.amdhsa_user_sgpr_queue_ptr 0
		.amdhsa_user_sgpr_kernarg_segment_ptr 1
		.amdhsa_user_sgpr_dispatch_id 0
		.amdhsa_user_sgpr_private_segment_size 0
		.amdhsa_wavefront_size32 1
		.amdhsa_uses_dynamic_stack 0
		.amdhsa_enable_private_segment 0
		.amdhsa_system_sgpr_workgroup_id_x 1
		.amdhsa_system_sgpr_workgroup_id_y 1
		.amdhsa_system_sgpr_workgroup_id_z 1
		.amdhsa_system_sgpr_workgroup_info 0
		.amdhsa_system_vgpr_workitem_id 1
		.amdhsa_next_free_vgpr 58
		.amdhsa_next_free_sgpr 35
		.amdhsa_reserve_vcc 1
		.amdhsa_float_round_mode_32 0
		.amdhsa_float_round_mode_16_64 0
		.amdhsa_float_denorm_mode_32 3
		.amdhsa_float_denorm_mode_16_64 3
		.amdhsa_fp16_overflow 0
		.amdhsa_workgroup_processor_mode 1
		.amdhsa_memory_ordered 1
		.amdhsa_forward_progress 1
		.amdhsa_inst_pref_size 16
		.amdhsa_round_robin_scheduling 0
		.amdhsa_exception_fp_ieee_invalid_op 0
		.amdhsa_exception_fp_denorm_src 0
		.amdhsa_exception_fp_ieee_div_zero 0
		.amdhsa_exception_fp_ieee_overflow 0
		.amdhsa_exception_fp_ieee_underflow 0
		.amdhsa_exception_fp_ieee_inexact 0
		.amdhsa_exception_int_div_zero 0
	.end_amdhsa_kernel
	.section	.text._ZL29rocblas_internal_gemmt_kernelIlLi16ELi32ELi8ELc84ELc78ELc76ELb0ELb0EffPKPKfPKPfEviT_T9_T10_S7_lS9_S7_lS8_T11_S7_li,"axG",@progbits,_ZL29rocblas_internal_gemmt_kernelIlLi16ELi32ELi8ELc84ELc78ELc76ELb0ELb0EffPKPKfPKPfEviT_T9_T10_S7_lS9_S7_lS8_T11_S7_li,comdat
.Lfunc_end462:
	.size	_ZL29rocblas_internal_gemmt_kernelIlLi16ELi32ELi8ELc84ELc78ELc76ELb0ELb0EffPKPKfPKPfEviT_T9_T10_S7_lS9_S7_lS8_T11_S7_li, .Lfunc_end462-_ZL29rocblas_internal_gemmt_kernelIlLi16ELi32ELi8ELc84ELc78ELc76ELb0ELb0EffPKPKfPKPfEviT_T9_T10_S7_lS9_S7_lS8_T11_S7_li
                                        ; -- End function
	.set _ZL29rocblas_internal_gemmt_kernelIlLi16ELi32ELi8ELc84ELc78ELc76ELb0ELb0EffPKPKfPKPfEviT_T9_T10_S7_lS9_S7_lS8_T11_S7_li.num_vgpr, 58
	.set _ZL29rocblas_internal_gemmt_kernelIlLi16ELi32ELi8ELc84ELc78ELc76ELb0ELb0EffPKPKfPKPfEviT_T9_T10_S7_lS9_S7_lS8_T11_S7_li.num_agpr, 0
	.set _ZL29rocblas_internal_gemmt_kernelIlLi16ELi32ELi8ELc84ELc78ELc76ELb0ELb0EffPKPKfPKPfEviT_T9_T10_S7_lS9_S7_lS8_T11_S7_li.numbered_sgpr, 35
	.set _ZL29rocblas_internal_gemmt_kernelIlLi16ELi32ELi8ELc84ELc78ELc76ELb0ELb0EffPKPKfPKPfEviT_T9_T10_S7_lS9_S7_lS8_T11_S7_li.num_named_barrier, 0
	.set _ZL29rocblas_internal_gemmt_kernelIlLi16ELi32ELi8ELc84ELc78ELc76ELb0ELb0EffPKPKfPKPfEviT_T9_T10_S7_lS9_S7_lS8_T11_S7_li.private_seg_size, 0
	.set _ZL29rocblas_internal_gemmt_kernelIlLi16ELi32ELi8ELc84ELc78ELc76ELb0ELb0EffPKPKfPKPfEviT_T9_T10_S7_lS9_S7_lS8_T11_S7_li.uses_vcc, 1
	.set _ZL29rocblas_internal_gemmt_kernelIlLi16ELi32ELi8ELc84ELc78ELc76ELb0ELb0EffPKPKfPKPfEviT_T9_T10_S7_lS9_S7_lS8_T11_S7_li.uses_flat_scratch, 0
	.set _ZL29rocblas_internal_gemmt_kernelIlLi16ELi32ELi8ELc84ELc78ELc76ELb0ELb0EffPKPKfPKPfEviT_T9_T10_S7_lS9_S7_lS8_T11_S7_li.has_dyn_sized_stack, 0
	.set _ZL29rocblas_internal_gemmt_kernelIlLi16ELi32ELi8ELc84ELc78ELc76ELb0ELb0EffPKPKfPKPfEviT_T9_T10_S7_lS9_S7_lS8_T11_S7_li.has_recursion, 0
	.set _ZL29rocblas_internal_gemmt_kernelIlLi16ELi32ELi8ELc84ELc78ELc76ELb0ELb0EffPKPKfPKPfEviT_T9_T10_S7_lS9_S7_lS8_T11_S7_li.has_indirect_call, 0
	.section	.AMDGPU.csdata,"",@progbits
; Kernel info:
; codeLenInByte = 1940
; TotalNumSgprs: 37
; NumVgprs: 58
; ScratchSize: 0
; MemoryBound: 0
; FloatMode: 240
; IeeeMode: 1
; LDSByteSize: 2048 bytes/workgroup (compile time only)
; SGPRBlocks: 0
; VGPRBlocks: 7
; NumSGPRsForWavesPerEU: 37
; NumVGPRsForWavesPerEU: 58
; Occupancy: 16
; WaveLimiterHint : 1
; COMPUTE_PGM_RSRC2:SCRATCH_EN: 0
; COMPUTE_PGM_RSRC2:USER_SGPR: 2
; COMPUTE_PGM_RSRC2:TRAP_HANDLER: 0
; COMPUTE_PGM_RSRC2:TGID_X_EN: 1
; COMPUTE_PGM_RSRC2:TGID_Y_EN: 1
; COMPUTE_PGM_RSRC2:TGID_Z_EN: 1
; COMPUTE_PGM_RSRC2:TIDIG_COMP_CNT: 1
	.section	.text._ZL29rocblas_internal_gemmt_kernelIlLi16ELi32ELi8ELc84ELc84ELc76ELb0ELb0EffPKPKfPKPfEviT_T9_T10_S7_lS9_S7_lS8_T11_S7_li,"axG",@progbits,_ZL29rocblas_internal_gemmt_kernelIlLi16ELi32ELi8ELc84ELc84ELc76ELb0ELb0EffPKPKfPKPfEviT_T9_T10_S7_lS9_S7_lS8_T11_S7_li,comdat
	.globl	_ZL29rocblas_internal_gemmt_kernelIlLi16ELi32ELi8ELc84ELc84ELc76ELb0ELb0EffPKPKfPKPfEviT_T9_T10_S7_lS9_S7_lS8_T11_S7_li ; -- Begin function _ZL29rocblas_internal_gemmt_kernelIlLi16ELi32ELi8ELc84ELc84ELc76ELb0ELb0EffPKPKfPKPfEviT_T9_T10_S7_lS9_S7_lS8_T11_S7_li
	.p2align	8
	.type	_ZL29rocblas_internal_gemmt_kernelIlLi16ELi32ELi8ELc84ELc84ELc76ELb0ELb0EffPKPKfPKPfEviT_T9_T10_S7_lS9_S7_lS8_T11_S7_li,@function
_ZL29rocblas_internal_gemmt_kernelIlLi16ELi32ELi8ELc84ELc84ELc76ELb0ELb0EffPKPKfPKPfEviT_T9_T10_S7_lS9_S7_lS8_T11_S7_li: ; @_ZL29rocblas_internal_gemmt_kernelIlLi16ELi32ELi8ELc84ELc84ELc76ELb0ELb0EffPKPKfPKPfEviT_T9_T10_S7_lS9_S7_lS8_T11_S7_li
; %bb.0:
	s_clause 0x1
	s_load_b32 s27, s[0:1], 0x48
	s_load_b96 s[24:26], s[0:1], 0x8
	s_wait_kmcnt 0x0
	s_cmp_neq_f32 s27, 1.0
	s_cselect_b32 s2, -1, 0
	s_delay_alu instid0(SALU_CYCLE_1)
	s_and_b32 vcc_lo, exec_lo, s2
	s_cbranch_vccnz .LBB463_2
; %bb.1:
	s_cmp_lg_u64 s[24:25], 0
	s_cselect_b32 s2, -1, 0
	s_cmp_neq_f32 s26, 0
	s_cselect_b32 s3, -1, 0
	s_delay_alu instid0(SALU_CYCLE_1)
	s_and_b32 s2, s2, s3
.LBB463_2:
	s_delay_alu instid0(SALU_CYCLE_1)
	s_and_not1_b32 vcc_lo, exec_lo, s2
	s_cbranch_vccnz .LBB463_35
; %bb.3:
	s_load_b32 s30, s[0:1], 0x68
	s_lshr_b32 s6, ttmp7, 16
	s_wait_kmcnt 0x0
	s_cmp_ge_u32 s6, s30
	s_cbranch_scc1 .LBB463_35
; %bb.4:
	s_clause 0x3
	s_load_b32 s4, s[0:1], 0x0
	s_load_b128 s[16:19], s[0:1], 0x38
	s_load_b128 s[20:23], s[0:1], 0x50
	s_load_b64 s[28:29], s[0:1], 0x60
	v_bfe_u32 v5, v0, 10, 10
	s_load_b256 s[8:15], s[0:1], 0x18
	s_lshl_b32 s0, ttmp7, 5
	v_and_b32_e32 v14, 7, v0
	s_and_b32 s0, s0, 0x1fffe0
	s_lshl_b32 s2, ttmp9, 5
	v_add_nc_u32_e32 v12, s0, v5
	s_cmp_neq_f32 s26, 0
	v_cmp_gt_i64_e64 s36, s[24:25], 0
	v_lshl_add_u32 v19, v5, 5, 0x400
	s_mov_b32 s7, 0
	s_cselect_b32 s35, -1, 0
	s_ashr_i32 s1, s2, 31
	v_add_nc_u32_e32 v20, 16, v12
	s_cmp_neq_f32 s27, 0
	s_wait_kmcnt 0x0
	v_mad_co_u64_u32 v[8:9], null, s22, v12, 0
	v_and_b32_e32 v4, 0x3ff, v0
	s_wait_alu 0xfffe
	s_mul_i32 s1, s10, s1
	s_delay_alu instid0(VALU_DEP_1) | instskip(NEXT) | instid1(VALU_DEP_1)
	v_lshl_add_u32 v0, v5, 4, v4
	v_lshrrev_b32_e32 v15, 5, v0
	v_lshrrev_b32_e32 v1, 3, v0
	v_and_b32_e32 v0, 31, v0
	s_delay_alu instid0(VALU_DEP_2) | instskip(NEXT) | instid1(VALU_DEP_2)
	v_add_nc_u32_e32 v13, s0, v1
	v_or_b32_e32 v2, s2, v0
	s_delay_alu instid0(VALU_DEP_1) | instskip(SKIP_3) | instid1(VALU_DEP_2)
	v_mul_lo_u32 v3, s11, v2
	v_mad_co_u64_u32 v[6:7], null, s10, v2, 0
	v_cmp_gt_i32_e64 s0, s4, v2
	s_wait_alu 0xfffe
	v_add3_u32 v7, v7, s1, v3
	v_dual_mov_b32 v3, 0 :: v_dual_lshlrev_b32 v10, 2, v14
	v_cmp_gt_i32_e64 s1, s4, v13
	s_delay_alu instid0(VALU_DEP_3) | instskip(NEXT) | instid1(VALU_DEP_3)
	v_lshlrev_b64_e32 v[6:7], 2, v[6:7]
	v_lshl_or_b32 v2, v1, 5, v10
	v_mov_b32_e32 v1, v9
	v_mad_co_u64_u32 v[10:11], null, s22, v20, 0
	v_lshlrev_b32_e32 v18, 2, v4
	s_delay_alu instid0(VALU_DEP_4) | instskip(NEXT) | instid1(VALU_DEP_4)
	v_add_nc_u32_e32 v17, 0x400, v2
	v_mad_co_u64_u32 v[1:2], null, s23, v12, v[1:2]
	s_cselect_b32 s22, -1, 0
	s_and_b32 s35, s35, s36
	s_lshl_b64 s[10:11], s[28:29], 2
	v_dual_mov_b32 v9, v1 :: v_dual_lshlrev_b32 v0, 2, v0
	v_mov_b32_e32 v1, v11
	s_delay_alu instid0(VALU_DEP_2) | instskip(NEXT) | instid1(VALU_DEP_3)
	v_lshlrev_b64_e32 v[8:9], 2, v[8:9]
	v_lshl_or_b32 v16, v15, 7, v0
	v_add_nc_u32_e32 v0, s2, v4
	s_delay_alu instid0(VALU_DEP_1) | instskip(SKIP_2) | instid1(VALU_DEP_3)
	v_add_nc_u32_e32 v4, 16, v0
	v_cmp_le_i32_e32 vcc_lo, v12, v0
	v_cmp_gt_i32_e64 s2, s4, v0
	v_cmp_le_i32_e64 s3, v12, v4
	v_mad_co_u64_u32 v[11:12], null, s23, v20, v[1:2]
	v_cmp_gt_i32_e64 s4, s4, v4
	s_and_b32 s23, vcc_lo, s2
	v_cmp_le_i32_e32 vcc_lo, v20, v0
	v_cmp_le_i32_e64 s5, v20, v4
	v_ashrrev_i32_e32 v1, 31, v0
	v_ashrrev_i32_e32 v5, 31, v4
	v_lshlrev_b64_e32 v[10:11], 2, v[10:11]
	v_lshlrev_b32_e32 v20, 2, v13
	s_and_b32 s31, s3, s4
	s_and_b32 s33, vcc_lo, s2
	s_and_b32 s34, s5, s4
	s_lshl_b64 s[2:3], s[18:19], 2
	s_lshl_b64 s[4:5], s[12:13], 2
	s_branch .LBB463_6
.LBB463_5:                              ;   in Loop: Header=BB463_6 Depth=1
	s_wait_alu 0xfffe
	s_or_b32 exec_lo, exec_lo, s12
	s_add_co_i32 s6, s6, 0x10000
	s_delay_alu instid0(SALU_CYCLE_1)
	s_cmp_lt_u32 s6, s30
	s_cbranch_scc0 .LBB463_35
.LBB463_6:                              ; =>This Loop Header: Depth=1
                                        ;     Child Loop BB463_9 Depth 2
	s_lshl_b64 s[12:13], s[6:7], 3
	v_dual_mov_b32 v24, v3 :: v_dual_mov_b32 v23, v3
	s_wait_alu 0xfffe
	s_add_nc_u64 s[18:19], s[20:21], s[12:13]
	v_dual_mov_b32 v22, v3 :: v_dual_mov_b32 v21, v3
	global_load_b64 v[12:13], v3, s[18:19]
	s_and_not1_b32 vcc_lo, exec_lo, s35
	s_wait_alu 0xfffe
	s_cbranch_vccnz .LBB463_15
; %bb.7:                                ;   in Loop: Header=BB463_6 Depth=1
	s_add_nc_u64 s[18:19], s[8:9], s[12:13]
	s_add_nc_u64 s[12:13], s[14:15], s[12:13]
	s_clause 0x1
	global_load_b64 v[24:25], v3, s[18:19]
	global_load_b64 v[26:27], v3, s[12:13]
	v_dual_mov_b32 v21, 0 :: v_dual_mov_b32 v22, 0
	v_mov_b32_e32 v23, 0
	s_mov_b64 s[12:13], 0
	s_wait_loadcnt 0x1
	v_add_co_u32 v2, vcc_lo, v24, s4
	s_wait_alu 0xfffd
	v_add_co_ci_u32_e64 v24, null, s5, v25, vcc_lo
	s_wait_loadcnt 0x0
	v_add_co_u32 v28, vcc_lo, v26, s2
	s_wait_alu 0xfffd
	v_add_co_ci_u32_e64 v29, null, s3, v27, vcc_lo
	v_add_co_u32 v25, vcc_lo, v2, v6
	s_wait_alu 0xfffd
	v_add_co_ci_u32_e64 v26, null, v24, v7, vcc_lo
	;; [unrolled: 3-line block ×3, first 2 shown]
	v_mov_b32_e32 v24, 0
	s_branch .LBB463_9
.LBB463_8:                              ;   in Loop: Header=BB463_9 Depth=2
	s_or_b32 exec_lo, exec_lo, s18
	s_wait_loadcnt_dscnt 0x0
	ds_store_b32 v17, v30
	s_wait_dscnt 0x0
	s_barrier_signal -1
	s_barrier_wait -1
	global_inv scope:SCOPE_SE
	ds_load_b128 v[29:32], v19
	ds_load_2addr_b32 v[45:46], v18 offset1:16
	ds_load_b128 v[33:36], v19 offset:512
	ds_load_2addr_b32 v[47:48], v18 offset0:32 offset1:48
	ds_load_2addr_b32 v[49:50], v18 offset0:64 offset1:80
	;; [unrolled: 1-line block ×3, first 2 shown]
	ds_load_b128 v[37:40], v19 offset:16
	ds_load_2addr_b32 v[53:54], v18 offset0:128 offset1:144
	ds_load_b128 v[41:44], v19 offset:528
	ds_load_2addr_b32 v[55:56], v18 offset0:160 offset1:176
	s_add_nc_u64 s[12:13], s[12:13], 8
	s_wait_alu 0xfffe
	v_cmp_gt_i64_e64 s18, s[24:25], s[12:13]
	s_and_b32 vcc_lo, exec_lo, s18
	s_wait_dscnt 0x8
	v_fmac_f32_e32 v23, v46, v29
	v_fmac_f32_e32 v24, v45, v29
	s_wait_dscnt 0x7
	v_fmac_f32_e32 v21, v46, v33
	v_fmac_f32_e32 v22, v45, v33
	ds_load_2addr_b32 v[45:46], v18 offset0:192 offset1:208
	s_wait_dscnt 0x7
	v_fmac_f32_e32 v23, v48, v30
	v_fmac_f32_e32 v24, v47, v30
	;; [unrolled: 1-line block ×4, first 2 shown]
	ds_load_2addr_b32 v[29:30], v18 offset0:224 offset1:240
	s_wait_dscnt 0x7
	v_fmac_f32_e32 v23, v50, v31
	v_fmac_f32_e32 v24, v49, v31
	;; [unrolled: 1-line block ×4, first 2 shown]
	s_wait_loadcnt_dscnt 0x0
	v_fmac_f32_e32 v23, v52, v32
	v_fmac_f32_e32 v24, v51, v32
	;; [unrolled: 1-line block ×4, first 2 shown]
	s_barrier_signal -1
	v_fmac_f32_e32 v23, v54, v37
	v_fmac_f32_e32 v24, v53, v37
	;; [unrolled: 1-line block ×4, first 2 shown]
	s_barrier_wait -1
	v_fmac_f32_e32 v23, v56, v38
	v_fmac_f32_e32 v24, v55, v38
	;; [unrolled: 1-line block ×4, first 2 shown]
	global_inv scope:SCOPE_SE
	v_fmac_f32_e32 v23, v46, v39
	v_fmac_f32_e32 v24, v45, v39
	;; [unrolled: 1-line block ×3, first 2 shown]
	s_delay_alu instid0(VALU_DEP_3) | instskip(NEXT) | instid1(VALU_DEP_3)
	v_dual_fmac_f32 v22, v45, v43 :: v_dual_fmac_f32 v23, v30, v40
	v_fmac_f32_e32 v24, v29, v40
	s_delay_alu instid0(VALU_DEP_3) | instskip(NEXT) | instid1(VALU_DEP_3)
	v_fmac_f32_e32 v21, v30, v44
	v_fmac_f32_e32 v22, v29, v44
	s_wait_alu 0xfffe
	s_cbranch_vccz .LBB463_15
.LBB463_9:                              ;   Parent Loop BB463_6 Depth=1
                                        ; =>  This Inner Loop Header: Depth=2
	v_mov_b32_e32 v29, 0
	s_and_saveexec_b32 s18, s0
	s_cbranch_execz .LBB463_13
; %bb.10:                               ;   in Loop: Header=BB463_9 Depth=2
	s_wait_alu 0xfffe
	v_dual_mov_b32 v29, 0 :: v_dual_add_nc_u32 v2, s12, v15
	s_mov_b32 s19, exec_lo
	s_delay_alu instid0(VALU_DEP_1)
	v_cmpx_gt_u64_e64 s[24:25], v[2:3]
	s_cbranch_execz .LBB463_12
; %bb.11:                               ;   in Loop: Header=BB463_9 Depth=2
	v_lshlrev_b64_e32 v[29:30], 2, v[2:3]
	s_delay_alu instid0(VALU_DEP_1) | instskip(SKIP_1) | instid1(VALU_DEP_2)
	v_add_co_u32 v29, vcc_lo, v25, v29
	s_wait_alu 0xfffd
	v_add_co_ci_u32_e64 v30, null, v26, v30, vcc_lo
	flat_load_b32 v29, v[29:30]
.LBB463_12:                             ;   in Loop: Header=BB463_9 Depth=2
	s_or_b32 exec_lo, exec_lo, s19
.LBB463_13:                             ;   in Loop: Header=BB463_9 Depth=2
	s_delay_alu instid0(SALU_CYCLE_1)
	s_or_b32 exec_lo, exec_lo, s18
	s_wait_alu 0xfffe
	v_add_nc_u32_e32 v2, s12, v14
	v_mov_b32_e32 v30, 0
	s_wait_loadcnt_dscnt 0x0
	ds_store_b32 v16, v29
	v_cmp_gt_u64_e32 vcc_lo, s[24:25], v[2:3]
	s_and_b32 s19, vcc_lo, s1
	s_delay_alu instid0(SALU_CYCLE_1)
	s_and_saveexec_b32 s18, s19
	s_cbranch_execz .LBB463_8
; %bb.14:                               ;   in Loop: Header=BB463_9 Depth=2
	v_mad_co_u64_u32 v[29:30], null, s16, v2, 0
	s_delay_alu instid0(VALU_DEP_1) | instskip(NEXT) | instid1(VALU_DEP_1)
	v_mad_co_u64_u32 v[30:31], null, s17, v2, v[30:31]
	v_lshlrev_b64_e32 v[29:30], 2, v[29:30]
	s_delay_alu instid0(VALU_DEP_1) | instskip(SKIP_1) | instid1(VALU_DEP_2)
	v_add_co_u32 v29, vcc_lo, v27, v29
	s_wait_alu 0xfffd
	v_add_co_ci_u32_e64 v30, null, v28, v30, vcc_lo
	flat_load_b32 v30, v[29:30]
	s_branch .LBB463_8
.LBB463_15:                             ;   in Loop: Header=BB463_6 Depth=1
	s_wait_loadcnt 0x0
	s_wait_alu 0xfffe
	v_add_co_u32 v2, vcc_lo, v12, s10
	s_wait_alu 0xfffd
	v_add_co_ci_u32_e64 v12, null, s11, v13, vcc_lo
	s_delay_alu instid0(VALU_DEP_2) | instskip(SKIP_1) | instid1(VALU_DEP_2)
	v_add_co_u32 v13, vcc_lo, v2, v8
	s_wait_alu 0xfffd
	v_add_co_ci_u32_e64 v25, null, v12, v9, vcc_lo
	s_and_saveexec_b32 s12, s23
	s_cbranch_execz .LBB463_19
; %bb.16:                               ;   in Loop: Header=BB463_6 Depth=1
	v_mul_f32_e32 v24, s26, v24
	s_and_b32 vcc_lo, exec_lo, s22
	s_wait_alu 0xfffe
	s_cbranch_vccz .LBB463_30
; %bb.17:                               ;   in Loop: Header=BB463_6 Depth=1
	v_lshlrev_b64_e32 v[26:27], 2, v[0:1]
	s_delay_alu instid0(VALU_DEP_1) | instskip(SKIP_1) | instid1(VALU_DEP_2)
	v_add_co_u32 v26, vcc_lo, v13, v26
	s_wait_alu 0xfffd
	v_add_co_ci_u32_e64 v27, null, v25, v27, vcc_lo
	flat_load_b32 v28, v[26:27]
	s_wait_loadcnt_dscnt 0x0
	v_fma_f32 v28, s27, v28, v24
	flat_store_b32 v[26:27], v28
	s_cbranch_execnz .LBB463_19
.LBB463_18:                             ;   in Loop: Header=BB463_6 Depth=1
	v_lshlrev_b64_e32 v[26:27], 2, v[0:1]
	s_delay_alu instid0(VALU_DEP_1) | instskip(SKIP_1) | instid1(VALU_DEP_2)
	v_add_co_u32 v26, vcc_lo, v13, v26
	s_wait_alu 0xfffd
	v_add_co_ci_u32_e64 v27, null, v25, v27, vcc_lo
	flat_store_b32 v[26:27], v24
.LBB463_19:                             ;   in Loop: Header=BB463_6 Depth=1
	s_wait_alu 0xfffe
	s_or_b32 exec_lo, exec_lo, s12
	s_and_saveexec_b32 s12, s31
	s_cbranch_execz .LBB463_23
; %bb.20:                               ;   in Loop: Header=BB463_6 Depth=1
	v_mul_f32_e32 v23, s26, v23
	s_and_not1_b32 vcc_lo, exec_lo, s22
	s_wait_alu 0xfffe
	s_cbranch_vccnz .LBB463_31
; %bb.21:                               ;   in Loop: Header=BB463_6 Depth=1
	v_lshlrev_b64_e32 v[26:27], 2, v[4:5]
	s_delay_alu instid0(VALU_DEP_1) | instskip(SKIP_1) | instid1(VALU_DEP_2)
	v_add_co_u32 v26, vcc_lo, v13, v26
	s_wait_alu 0xfffd
	v_add_co_ci_u32_e64 v27, null, v25, v27, vcc_lo
	flat_load_b32 v24, v[26:27]
	s_wait_loadcnt_dscnt 0x0
	v_fma_f32 v24, s27, v24, v23
	flat_store_b32 v[26:27], v24
	s_cbranch_execnz .LBB463_23
.LBB463_22:                             ;   in Loop: Header=BB463_6 Depth=1
	v_lshlrev_b64_e32 v[26:27], 2, v[4:5]
	s_delay_alu instid0(VALU_DEP_1) | instskip(SKIP_1) | instid1(VALU_DEP_2)
	v_add_co_u32 v24, vcc_lo, v13, v26
	s_wait_alu 0xfffd
	v_add_co_ci_u32_e64 v25, null, v25, v27, vcc_lo
	flat_store_b32 v[24:25], v23
.LBB463_23:                             ;   in Loop: Header=BB463_6 Depth=1
	s_wait_alu 0xfffe
	s_or_b32 exec_lo, exec_lo, s12
	v_add_co_u32 v2, vcc_lo, v2, v10
	s_wait_alu 0xfffd
	v_add_co_ci_u32_e64 v23, null, v12, v11, vcc_lo
	s_and_saveexec_b32 s12, s33
	s_cbranch_execz .LBB463_27
; %bb.24:                               ;   in Loop: Header=BB463_6 Depth=1
	v_lshlrev_b64_e32 v[12:13], 2, v[0:1]
	v_mul_f32_e32 v22, s26, v22
	s_and_not1_b32 vcc_lo, exec_lo, s22
	s_wait_alu 0xfffe
	s_cbranch_vccnz .LBB463_32
; %bb.25:                               ;   in Loop: Header=BB463_6 Depth=1
	s_delay_alu instid0(VALU_DEP_2)
	v_add_co_u32 v24, vcc_lo, v2, v12
	s_wait_alu 0xfffd
	v_add_co_ci_u32_e64 v25, null, v23, v13, vcc_lo
	flat_load_b32 v26, v[24:25]
	s_wait_loadcnt_dscnt 0x0
	v_fma_f32 v26, s27, v26, v22
	flat_store_b32 v[24:25], v26
	s_cbranch_execnz .LBB463_27
.LBB463_26:                             ;   in Loop: Header=BB463_6 Depth=1
	v_add_co_u32 v12, vcc_lo, v2, v12
	s_wait_alu 0xfffd
	v_add_co_ci_u32_e64 v13, null, v23, v13, vcc_lo
	flat_store_b32 v[12:13], v22
.LBB463_27:                             ;   in Loop: Header=BB463_6 Depth=1
	s_wait_alu 0xfffe
	s_or_b32 exec_lo, exec_lo, s12
	s_and_saveexec_b32 s12, s34
	s_cbranch_execz .LBB463_5
; %bb.28:                               ;   in Loop: Header=BB463_6 Depth=1
	v_lshlrev_b64_e32 v[12:13], 2, v[4:5]
	v_mul_f32_e32 v21, s26, v21
	s_and_not1_b32 vcc_lo, exec_lo, s22
	s_wait_alu 0xfffe
	s_cbranch_vccnz .LBB463_33
; %bb.29:                               ;   in Loop: Header=BB463_6 Depth=1
	s_delay_alu instid0(VALU_DEP_2)
	v_add_co_u32 v24, vcc_lo, v2, v12
	s_wait_alu 0xfffd
	v_add_co_ci_u32_e64 v25, null, v23, v13, vcc_lo
	flat_load_b32 v22, v[24:25]
	s_wait_loadcnt_dscnt 0x0
	v_fma_f32 v22, s27, v22, v21
	flat_store_b32 v[24:25], v22
	s_cbranch_execnz .LBB463_5
	s_branch .LBB463_34
.LBB463_30:                             ;   in Loop: Header=BB463_6 Depth=1
	s_branch .LBB463_18
.LBB463_31:                             ;   in Loop: Header=BB463_6 Depth=1
	s_branch .LBB463_22
.LBB463_32:                             ;   in Loop: Header=BB463_6 Depth=1
	s_branch .LBB463_26
.LBB463_33:                             ;   in Loop: Header=BB463_6 Depth=1
.LBB463_34:                             ;   in Loop: Header=BB463_6 Depth=1
	s_delay_alu instid0(VALU_DEP_2)
	v_add_co_u32 v12, vcc_lo, v2, v12
	s_wait_alu 0xfffd
	v_add_co_ci_u32_e64 v13, null, v23, v13, vcc_lo
	flat_store_b32 v[12:13], v21
	s_branch .LBB463_5
.LBB463_35:
	s_endpgm
	.section	.rodata,"a",@progbits
	.p2align	6, 0x0
	.amdhsa_kernel _ZL29rocblas_internal_gemmt_kernelIlLi16ELi32ELi8ELc84ELc84ELc76ELb0ELb0EffPKPKfPKPfEviT_T9_T10_S7_lS9_S7_lS8_T11_S7_li
		.amdhsa_group_segment_fixed_size 2048
		.amdhsa_private_segment_fixed_size 0
		.amdhsa_kernarg_size 108
		.amdhsa_user_sgpr_count 2
		.amdhsa_user_sgpr_dispatch_ptr 0
		.amdhsa_user_sgpr_queue_ptr 0
		.amdhsa_user_sgpr_kernarg_segment_ptr 1
		.amdhsa_user_sgpr_dispatch_id 0
		.amdhsa_user_sgpr_private_segment_size 0
		.amdhsa_wavefront_size32 1
		.amdhsa_uses_dynamic_stack 0
		.amdhsa_enable_private_segment 0
		.amdhsa_system_sgpr_workgroup_id_x 1
		.amdhsa_system_sgpr_workgroup_id_y 1
		.amdhsa_system_sgpr_workgroup_id_z 1
		.amdhsa_system_sgpr_workgroup_info 0
		.amdhsa_system_vgpr_workitem_id 1
		.amdhsa_next_free_vgpr 57
		.amdhsa_next_free_sgpr 37
		.amdhsa_reserve_vcc 1
		.amdhsa_float_round_mode_32 0
		.amdhsa_float_round_mode_16_64 0
		.amdhsa_float_denorm_mode_32 3
		.amdhsa_float_denorm_mode_16_64 3
		.amdhsa_fp16_overflow 0
		.amdhsa_workgroup_processor_mode 1
		.amdhsa_memory_ordered 1
		.amdhsa_forward_progress 1
		.amdhsa_inst_pref_size 16
		.amdhsa_round_robin_scheduling 0
		.amdhsa_exception_fp_ieee_invalid_op 0
		.amdhsa_exception_fp_denorm_src 0
		.amdhsa_exception_fp_ieee_div_zero 0
		.amdhsa_exception_fp_ieee_overflow 0
		.amdhsa_exception_fp_ieee_underflow 0
		.amdhsa_exception_fp_ieee_inexact 0
		.amdhsa_exception_int_div_zero 0
	.end_amdhsa_kernel
	.section	.text._ZL29rocblas_internal_gemmt_kernelIlLi16ELi32ELi8ELc84ELc84ELc76ELb0ELb0EffPKPKfPKPfEviT_T9_T10_S7_lS9_S7_lS8_T11_S7_li,"axG",@progbits,_ZL29rocblas_internal_gemmt_kernelIlLi16ELi32ELi8ELc84ELc84ELc76ELb0ELb0EffPKPKfPKPfEviT_T9_T10_S7_lS9_S7_lS8_T11_S7_li,comdat
.Lfunc_end463:
	.size	_ZL29rocblas_internal_gemmt_kernelIlLi16ELi32ELi8ELc84ELc84ELc76ELb0ELb0EffPKPKfPKPfEviT_T9_T10_S7_lS9_S7_lS8_T11_S7_li, .Lfunc_end463-_ZL29rocblas_internal_gemmt_kernelIlLi16ELi32ELi8ELc84ELc84ELc76ELb0ELb0EffPKPKfPKPfEviT_T9_T10_S7_lS9_S7_lS8_T11_S7_li
                                        ; -- End function
	.set _ZL29rocblas_internal_gemmt_kernelIlLi16ELi32ELi8ELc84ELc84ELc76ELb0ELb0EffPKPKfPKPfEviT_T9_T10_S7_lS9_S7_lS8_T11_S7_li.num_vgpr, 57
	.set _ZL29rocblas_internal_gemmt_kernelIlLi16ELi32ELi8ELc84ELc84ELc76ELb0ELb0EffPKPKfPKPfEviT_T9_T10_S7_lS9_S7_lS8_T11_S7_li.num_agpr, 0
	.set _ZL29rocblas_internal_gemmt_kernelIlLi16ELi32ELi8ELc84ELc84ELc76ELb0ELb0EffPKPKfPKPfEviT_T9_T10_S7_lS9_S7_lS8_T11_S7_li.numbered_sgpr, 37
	.set _ZL29rocblas_internal_gemmt_kernelIlLi16ELi32ELi8ELc84ELc84ELc76ELb0ELb0EffPKPKfPKPfEviT_T9_T10_S7_lS9_S7_lS8_T11_S7_li.num_named_barrier, 0
	.set _ZL29rocblas_internal_gemmt_kernelIlLi16ELi32ELi8ELc84ELc84ELc76ELb0ELb0EffPKPKfPKPfEviT_T9_T10_S7_lS9_S7_lS8_T11_S7_li.private_seg_size, 0
	.set _ZL29rocblas_internal_gemmt_kernelIlLi16ELi32ELi8ELc84ELc84ELc76ELb0ELb0EffPKPKfPKPfEviT_T9_T10_S7_lS9_S7_lS8_T11_S7_li.uses_vcc, 1
	.set _ZL29rocblas_internal_gemmt_kernelIlLi16ELi32ELi8ELc84ELc84ELc76ELb0ELb0EffPKPKfPKPfEviT_T9_T10_S7_lS9_S7_lS8_T11_S7_li.uses_flat_scratch, 0
	.set _ZL29rocblas_internal_gemmt_kernelIlLi16ELi32ELi8ELc84ELc84ELc76ELb0ELb0EffPKPKfPKPfEviT_T9_T10_S7_lS9_S7_lS8_T11_S7_li.has_dyn_sized_stack, 0
	.set _ZL29rocblas_internal_gemmt_kernelIlLi16ELi32ELi8ELc84ELc84ELc76ELb0ELb0EffPKPKfPKPfEviT_T9_T10_S7_lS9_S7_lS8_T11_S7_li.has_recursion, 0
	.set _ZL29rocblas_internal_gemmt_kernelIlLi16ELi32ELi8ELc84ELc84ELc76ELb0ELb0EffPKPKfPKPfEviT_T9_T10_S7_lS9_S7_lS8_T11_S7_li.has_indirect_call, 0
	.section	.AMDGPU.csdata,"",@progbits
; Kernel info:
; codeLenInByte = 1948
; TotalNumSgprs: 39
; NumVgprs: 57
; ScratchSize: 0
; MemoryBound: 0
; FloatMode: 240
; IeeeMode: 1
; LDSByteSize: 2048 bytes/workgroup (compile time only)
; SGPRBlocks: 0
; VGPRBlocks: 7
; NumSGPRsForWavesPerEU: 39
; NumVGPRsForWavesPerEU: 57
; Occupancy: 16
; WaveLimiterHint : 1
; COMPUTE_PGM_RSRC2:SCRATCH_EN: 0
; COMPUTE_PGM_RSRC2:USER_SGPR: 2
; COMPUTE_PGM_RSRC2:TRAP_HANDLER: 0
; COMPUTE_PGM_RSRC2:TGID_X_EN: 1
; COMPUTE_PGM_RSRC2:TGID_Y_EN: 1
; COMPUTE_PGM_RSRC2:TGID_Z_EN: 1
; COMPUTE_PGM_RSRC2:TIDIG_COMP_CNT: 1
	.section	.text._ZL29rocblas_internal_gemmt_kernelIlLi16ELi32ELi8ELc84ELc67ELc76ELb0ELb0EffPKPKfPKPfEviT_T9_T10_S7_lS9_S7_lS8_T11_S7_li,"axG",@progbits,_ZL29rocblas_internal_gemmt_kernelIlLi16ELi32ELi8ELc84ELc67ELc76ELb0ELb0EffPKPKfPKPfEviT_T9_T10_S7_lS9_S7_lS8_T11_S7_li,comdat
	.globl	_ZL29rocblas_internal_gemmt_kernelIlLi16ELi32ELi8ELc84ELc67ELc76ELb0ELb0EffPKPKfPKPfEviT_T9_T10_S7_lS9_S7_lS8_T11_S7_li ; -- Begin function _ZL29rocblas_internal_gemmt_kernelIlLi16ELi32ELi8ELc84ELc67ELc76ELb0ELb0EffPKPKfPKPfEviT_T9_T10_S7_lS9_S7_lS8_T11_S7_li
	.p2align	8
	.type	_ZL29rocblas_internal_gemmt_kernelIlLi16ELi32ELi8ELc84ELc67ELc76ELb0ELb0EffPKPKfPKPfEviT_T9_T10_S7_lS9_S7_lS8_T11_S7_li,@function
_ZL29rocblas_internal_gemmt_kernelIlLi16ELi32ELi8ELc84ELc67ELc76ELb0ELb0EffPKPKfPKPfEviT_T9_T10_S7_lS9_S7_lS8_T11_S7_li: ; @_ZL29rocblas_internal_gemmt_kernelIlLi16ELi32ELi8ELc84ELc67ELc76ELb0ELb0EffPKPKfPKPfEviT_T9_T10_S7_lS9_S7_lS8_T11_S7_li
; %bb.0:
	s_clause 0x1
	s_load_b32 s27, s[0:1], 0x48
	s_load_b96 s[24:26], s[0:1], 0x8
	s_wait_kmcnt 0x0
	s_cmp_neq_f32 s27, 1.0
	s_cselect_b32 s2, -1, 0
	s_delay_alu instid0(SALU_CYCLE_1)
	s_and_b32 vcc_lo, exec_lo, s2
	s_cbranch_vccnz .LBB464_2
; %bb.1:
	s_cmp_lg_u64 s[24:25], 0
	s_cselect_b32 s2, -1, 0
	s_cmp_neq_f32 s26, 0
	s_cselect_b32 s3, -1, 0
	s_delay_alu instid0(SALU_CYCLE_1)
	s_and_b32 s2, s2, s3
.LBB464_2:
	s_delay_alu instid0(SALU_CYCLE_1)
	s_and_not1_b32 vcc_lo, exec_lo, s2
	s_cbranch_vccnz .LBB464_35
; %bb.3:
	s_load_b32 s30, s[0:1], 0x68
	s_lshr_b32 s6, ttmp7, 16
	s_wait_kmcnt 0x0
	s_cmp_ge_u32 s6, s30
	s_cbranch_scc1 .LBB464_35
; %bb.4:
	s_clause 0x3
	s_load_b32 s4, s[0:1], 0x0
	s_load_b128 s[16:19], s[0:1], 0x38
	s_load_b128 s[20:23], s[0:1], 0x50
	s_load_b64 s[28:29], s[0:1], 0x60
	v_bfe_u32 v5, v0, 10, 10
	s_load_b256 s[8:15], s[0:1], 0x18
	s_lshl_b32 s0, ttmp7, 5
	v_and_b32_e32 v14, 7, v0
	s_and_b32 s0, s0, 0x1fffe0
	s_lshl_b32 s2, ttmp9, 5
	v_add_nc_u32_e32 v12, s0, v5
	s_cmp_neq_f32 s26, 0
	v_cmp_gt_i64_e64 s36, s[24:25], 0
	v_lshl_add_u32 v19, v5, 5, 0x400
	s_mov_b32 s7, 0
	s_cselect_b32 s35, -1, 0
	s_ashr_i32 s1, s2, 31
	v_add_nc_u32_e32 v20, 16, v12
	s_cmp_neq_f32 s27, 0
	s_wait_kmcnt 0x0
	v_mad_co_u64_u32 v[8:9], null, s22, v12, 0
	v_and_b32_e32 v4, 0x3ff, v0
	s_wait_alu 0xfffe
	s_mul_i32 s1, s10, s1
	s_delay_alu instid0(VALU_DEP_1) | instskip(NEXT) | instid1(VALU_DEP_1)
	v_lshl_add_u32 v0, v5, 4, v4
	v_lshrrev_b32_e32 v15, 5, v0
	v_lshrrev_b32_e32 v1, 3, v0
	v_and_b32_e32 v0, 31, v0
	s_delay_alu instid0(VALU_DEP_2) | instskip(NEXT) | instid1(VALU_DEP_2)
	v_add_nc_u32_e32 v13, s0, v1
	v_or_b32_e32 v2, s2, v0
	s_delay_alu instid0(VALU_DEP_1) | instskip(SKIP_3) | instid1(VALU_DEP_2)
	v_mul_lo_u32 v3, s11, v2
	v_mad_co_u64_u32 v[6:7], null, s10, v2, 0
	v_cmp_gt_i32_e64 s0, s4, v2
	s_wait_alu 0xfffe
	v_add3_u32 v7, v7, s1, v3
	v_dual_mov_b32 v3, 0 :: v_dual_lshlrev_b32 v10, 2, v14
	v_cmp_gt_i32_e64 s1, s4, v13
	s_delay_alu instid0(VALU_DEP_3) | instskip(NEXT) | instid1(VALU_DEP_3)
	v_lshlrev_b64_e32 v[6:7], 2, v[6:7]
	v_lshl_or_b32 v2, v1, 5, v10
	v_mov_b32_e32 v1, v9
	v_mad_co_u64_u32 v[10:11], null, s22, v20, 0
	v_lshlrev_b32_e32 v18, 2, v4
	s_delay_alu instid0(VALU_DEP_4) | instskip(NEXT) | instid1(VALU_DEP_4)
	v_add_nc_u32_e32 v17, 0x400, v2
	v_mad_co_u64_u32 v[1:2], null, s23, v12, v[1:2]
	s_cselect_b32 s22, -1, 0
	s_and_b32 s35, s35, s36
	s_lshl_b64 s[10:11], s[28:29], 2
	v_dual_mov_b32 v9, v1 :: v_dual_lshlrev_b32 v0, 2, v0
	v_mov_b32_e32 v1, v11
	s_delay_alu instid0(VALU_DEP_2) | instskip(NEXT) | instid1(VALU_DEP_3)
	v_lshlrev_b64_e32 v[8:9], 2, v[8:9]
	v_lshl_or_b32 v16, v15, 7, v0
	v_add_nc_u32_e32 v0, s2, v4
	s_delay_alu instid0(VALU_DEP_1) | instskip(SKIP_2) | instid1(VALU_DEP_3)
	v_add_nc_u32_e32 v4, 16, v0
	v_cmp_le_i32_e32 vcc_lo, v12, v0
	v_cmp_gt_i32_e64 s2, s4, v0
	v_cmp_le_i32_e64 s3, v12, v4
	v_mad_co_u64_u32 v[11:12], null, s23, v20, v[1:2]
	v_cmp_gt_i32_e64 s4, s4, v4
	s_and_b32 s23, vcc_lo, s2
	v_cmp_le_i32_e32 vcc_lo, v20, v0
	v_cmp_le_i32_e64 s5, v20, v4
	v_ashrrev_i32_e32 v1, 31, v0
	v_ashrrev_i32_e32 v5, 31, v4
	v_lshlrev_b64_e32 v[10:11], 2, v[10:11]
	v_lshlrev_b32_e32 v20, 2, v13
	s_and_b32 s31, s3, s4
	s_and_b32 s33, vcc_lo, s2
	s_and_b32 s34, s5, s4
	s_lshl_b64 s[2:3], s[18:19], 2
	s_lshl_b64 s[4:5], s[12:13], 2
	s_branch .LBB464_6
.LBB464_5:                              ;   in Loop: Header=BB464_6 Depth=1
	s_wait_alu 0xfffe
	s_or_b32 exec_lo, exec_lo, s12
	s_add_co_i32 s6, s6, 0x10000
	s_delay_alu instid0(SALU_CYCLE_1)
	s_cmp_lt_u32 s6, s30
	s_cbranch_scc0 .LBB464_35
.LBB464_6:                              ; =>This Loop Header: Depth=1
                                        ;     Child Loop BB464_9 Depth 2
	s_lshl_b64 s[12:13], s[6:7], 3
	v_dual_mov_b32 v24, v3 :: v_dual_mov_b32 v23, v3
	s_wait_alu 0xfffe
	s_add_nc_u64 s[18:19], s[20:21], s[12:13]
	v_dual_mov_b32 v22, v3 :: v_dual_mov_b32 v21, v3
	global_load_b64 v[12:13], v3, s[18:19]
	s_and_not1_b32 vcc_lo, exec_lo, s35
	s_wait_alu 0xfffe
	s_cbranch_vccnz .LBB464_15
; %bb.7:                                ;   in Loop: Header=BB464_6 Depth=1
	s_add_nc_u64 s[18:19], s[8:9], s[12:13]
	s_add_nc_u64 s[12:13], s[14:15], s[12:13]
	s_clause 0x1
	global_load_b64 v[24:25], v3, s[18:19]
	global_load_b64 v[26:27], v3, s[12:13]
	v_dual_mov_b32 v21, 0 :: v_dual_mov_b32 v22, 0
	v_mov_b32_e32 v23, 0
	s_mov_b64 s[12:13], 0
	s_wait_loadcnt 0x1
	v_add_co_u32 v2, vcc_lo, v24, s4
	s_wait_alu 0xfffd
	v_add_co_ci_u32_e64 v24, null, s5, v25, vcc_lo
	s_wait_loadcnt 0x0
	v_add_co_u32 v28, vcc_lo, v26, s2
	s_wait_alu 0xfffd
	v_add_co_ci_u32_e64 v29, null, s3, v27, vcc_lo
	v_add_co_u32 v25, vcc_lo, v2, v6
	s_wait_alu 0xfffd
	v_add_co_ci_u32_e64 v26, null, v24, v7, vcc_lo
	v_add_co_u32 v27, vcc_lo, v28, v20
	s_wait_alu 0xfffd
	v_add_co_ci_u32_e64 v28, null, 0, v29, vcc_lo
	v_mov_b32_e32 v24, 0
	s_branch .LBB464_9
.LBB464_8:                              ;   in Loop: Header=BB464_9 Depth=2
	s_or_b32 exec_lo, exec_lo, s18
	s_wait_loadcnt_dscnt 0x0
	ds_store_b32 v17, v30
	s_wait_dscnt 0x0
	s_barrier_signal -1
	s_barrier_wait -1
	global_inv scope:SCOPE_SE
	ds_load_b128 v[29:32], v19
	ds_load_2addr_b32 v[45:46], v18 offset1:16
	ds_load_b128 v[33:36], v19 offset:512
	ds_load_2addr_b32 v[47:48], v18 offset0:32 offset1:48
	ds_load_2addr_b32 v[49:50], v18 offset0:64 offset1:80
	;; [unrolled: 1-line block ×3, first 2 shown]
	ds_load_b128 v[37:40], v19 offset:16
	ds_load_2addr_b32 v[53:54], v18 offset0:128 offset1:144
	ds_load_b128 v[41:44], v19 offset:528
	ds_load_2addr_b32 v[55:56], v18 offset0:160 offset1:176
	s_add_nc_u64 s[12:13], s[12:13], 8
	s_wait_alu 0xfffe
	v_cmp_gt_i64_e64 s18, s[24:25], s[12:13]
	s_and_b32 vcc_lo, exec_lo, s18
	s_wait_dscnt 0x8
	v_fmac_f32_e32 v23, v46, v29
	v_fmac_f32_e32 v24, v45, v29
	s_wait_dscnt 0x7
	v_fmac_f32_e32 v21, v46, v33
	v_fmac_f32_e32 v22, v45, v33
	ds_load_2addr_b32 v[45:46], v18 offset0:192 offset1:208
	s_wait_dscnt 0x7
	v_fmac_f32_e32 v23, v48, v30
	v_fmac_f32_e32 v24, v47, v30
	;; [unrolled: 1-line block ×4, first 2 shown]
	ds_load_2addr_b32 v[29:30], v18 offset0:224 offset1:240
	s_wait_dscnt 0x7
	v_fmac_f32_e32 v23, v50, v31
	v_fmac_f32_e32 v24, v49, v31
	;; [unrolled: 1-line block ×4, first 2 shown]
	s_wait_loadcnt_dscnt 0x0
	v_fmac_f32_e32 v23, v52, v32
	v_fmac_f32_e32 v24, v51, v32
	;; [unrolled: 1-line block ×4, first 2 shown]
	s_barrier_signal -1
	v_fmac_f32_e32 v23, v54, v37
	v_fmac_f32_e32 v24, v53, v37
	;; [unrolled: 1-line block ×4, first 2 shown]
	s_barrier_wait -1
	v_fmac_f32_e32 v23, v56, v38
	v_fmac_f32_e32 v24, v55, v38
	;; [unrolled: 1-line block ×4, first 2 shown]
	global_inv scope:SCOPE_SE
	v_fmac_f32_e32 v23, v46, v39
	v_fmac_f32_e32 v24, v45, v39
	;; [unrolled: 1-line block ×3, first 2 shown]
	s_delay_alu instid0(VALU_DEP_3) | instskip(NEXT) | instid1(VALU_DEP_3)
	v_dual_fmac_f32 v22, v45, v43 :: v_dual_fmac_f32 v23, v30, v40
	v_fmac_f32_e32 v24, v29, v40
	s_delay_alu instid0(VALU_DEP_3) | instskip(NEXT) | instid1(VALU_DEP_3)
	v_fmac_f32_e32 v21, v30, v44
	v_fmac_f32_e32 v22, v29, v44
	s_wait_alu 0xfffe
	s_cbranch_vccz .LBB464_15
.LBB464_9:                              ;   Parent Loop BB464_6 Depth=1
                                        ; =>  This Inner Loop Header: Depth=2
	v_mov_b32_e32 v29, 0
	s_and_saveexec_b32 s18, s0
	s_cbranch_execz .LBB464_13
; %bb.10:                               ;   in Loop: Header=BB464_9 Depth=2
	s_wait_alu 0xfffe
	v_dual_mov_b32 v29, 0 :: v_dual_add_nc_u32 v2, s12, v15
	s_mov_b32 s19, exec_lo
	s_delay_alu instid0(VALU_DEP_1)
	v_cmpx_gt_u64_e64 s[24:25], v[2:3]
	s_cbranch_execz .LBB464_12
; %bb.11:                               ;   in Loop: Header=BB464_9 Depth=2
	v_lshlrev_b64_e32 v[29:30], 2, v[2:3]
	s_delay_alu instid0(VALU_DEP_1) | instskip(SKIP_1) | instid1(VALU_DEP_2)
	v_add_co_u32 v29, vcc_lo, v25, v29
	s_wait_alu 0xfffd
	v_add_co_ci_u32_e64 v30, null, v26, v30, vcc_lo
	flat_load_b32 v29, v[29:30]
.LBB464_12:                             ;   in Loop: Header=BB464_9 Depth=2
	s_or_b32 exec_lo, exec_lo, s19
.LBB464_13:                             ;   in Loop: Header=BB464_9 Depth=2
	s_delay_alu instid0(SALU_CYCLE_1)
	s_or_b32 exec_lo, exec_lo, s18
	s_wait_alu 0xfffe
	v_add_nc_u32_e32 v2, s12, v14
	v_mov_b32_e32 v30, 0
	s_wait_loadcnt_dscnt 0x0
	ds_store_b32 v16, v29
	v_cmp_gt_u64_e32 vcc_lo, s[24:25], v[2:3]
	s_and_b32 s19, vcc_lo, s1
	s_delay_alu instid0(SALU_CYCLE_1)
	s_and_saveexec_b32 s18, s19
	s_cbranch_execz .LBB464_8
; %bb.14:                               ;   in Loop: Header=BB464_9 Depth=2
	v_mad_co_u64_u32 v[29:30], null, s16, v2, 0
	s_delay_alu instid0(VALU_DEP_1) | instskip(NEXT) | instid1(VALU_DEP_1)
	v_mad_co_u64_u32 v[30:31], null, s17, v2, v[30:31]
	v_lshlrev_b64_e32 v[29:30], 2, v[29:30]
	s_delay_alu instid0(VALU_DEP_1) | instskip(SKIP_1) | instid1(VALU_DEP_2)
	v_add_co_u32 v29, vcc_lo, v27, v29
	s_wait_alu 0xfffd
	v_add_co_ci_u32_e64 v30, null, v28, v30, vcc_lo
	flat_load_b32 v30, v[29:30]
	s_branch .LBB464_8
.LBB464_15:                             ;   in Loop: Header=BB464_6 Depth=1
	s_wait_loadcnt 0x0
	s_wait_alu 0xfffe
	v_add_co_u32 v2, vcc_lo, v12, s10
	s_wait_alu 0xfffd
	v_add_co_ci_u32_e64 v12, null, s11, v13, vcc_lo
	s_delay_alu instid0(VALU_DEP_2) | instskip(SKIP_1) | instid1(VALU_DEP_2)
	v_add_co_u32 v13, vcc_lo, v2, v8
	s_wait_alu 0xfffd
	v_add_co_ci_u32_e64 v25, null, v12, v9, vcc_lo
	s_and_saveexec_b32 s12, s23
	s_cbranch_execz .LBB464_19
; %bb.16:                               ;   in Loop: Header=BB464_6 Depth=1
	v_mul_f32_e32 v24, s26, v24
	s_and_b32 vcc_lo, exec_lo, s22
	s_wait_alu 0xfffe
	s_cbranch_vccz .LBB464_30
; %bb.17:                               ;   in Loop: Header=BB464_6 Depth=1
	v_lshlrev_b64_e32 v[26:27], 2, v[0:1]
	s_delay_alu instid0(VALU_DEP_1) | instskip(SKIP_1) | instid1(VALU_DEP_2)
	v_add_co_u32 v26, vcc_lo, v13, v26
	s_wait_alu 0xfffd
	v_add_co_ci_u32_e64 v27, null, v25, v27, vcc_lo
	flat_load_b32 v28, v[26:27]
	s_wait_loadcnt_dscnt 0x0
	v_fma_f32 v28, s27, v28, v24
	flat_store_b32 v[26:27], v28
	s_cbranch_execnz .LBB464_19
.LBB464_18:                             ;   in Loop: Header=BB464_6 Depth=1
	v_lshlrev_b64_e32 v[26:27], 2, v[0:1]
	s_delay_alu instid0(VALU_DEP_1) | instskip(SKIP_1) | instid1(VALU_DEP_2)
	v_add_co_u32 v26, vcc_lo, v13, v26
	s_wait_alu 0xfffd
	v_add_co_ci_u32_e64 v27, null, v25, v27, vcc_lo
	flat_store_b32 v[26:27], v24
.LBB464_19:                             ;   in Loop: Header=BB464_6 Depth=1
	s_wait_alu 0xfffe
	s_or_b32 exec_lo, exec_lo, s12
	s_and_saveexec_b32 s12, s31
	s_cbranch_execz .LBB464_23
; %bb.20:                               ;   in Loop: Header=BB464_6 Depth=1
	v_mul_f32_e32 v23, s26, v23
	s_and_not1_b32 vcc_lo, exec_lo, s22
	s_wait_alu 0xfffe
	s_cbranch_vccnz .LBB464_31
; %bb.21:                               ;   in Loop: Header=BB464_6 Depth=1
	v_lshlrev_b64_e32 v[26:27], 2, v[4:5]
	s_delay_alu instid0(VALU_DEP_1) | instskip(SKIP_1) | instid1(VALU_DEP_2)
	v_add_co_u32 v26, vcc_lo, v13, v26
	s_wait_alu 0xfffd
	v_add_co_ci_u32_e64 v27, null, v25, v27, vcc_lo
	flat_load_b32 v24, v[26:27]
	s_wait_loadcnt_dscnt 0x0
	v_fma_f32 v24, s27, v24, v23
	flat_store_b32 v[26:27], v24
	s_cbranch_execnz .LBB464_23
.LBB464_22:                             ;   in Loop: Header=BB464_6 Depth=1
	v_lshlrev_b64_e32 v[26:27], 2, v[4:5]
	s_delay_alu instid0(VALU_DEP_1) | instskip(SKIP_1) | instid1(VALU_DEP_2)
	v_add_co_u32 v24, vcc_lo, v13, v26
	s_wait_alu 0xfffd
	v_add_co_ci_u32_e64 v25, null, v25, v27, vcc_lo
	flat_store_b32 v[24:25], v23
.LBB464_23:                             ;   in Loop: Header=BB464_6 Depth=1
	s_wait_alu 0xfffe
	s_or_b32 exec_lo, exec_lo, s12
	v_add_co_u32 v2, vcc_lo, v2, v10
	s_wait_alu 0xfffd
	v_add_co_ci_u32_e64 v23, null, v12, v11, vcc_lo
	s_and_saveexec_b32 s12, s33
	s_cbranch_execz .LBB464_27
; %bb.24:                               ;   in Loop: Header=BB464_6 Depth=1
	v_lshlrev_b64_e32 v[12:13], 2, v[0:1]
	v_mul_f32_e32 v22, s26, v22
	s_and_not1_b32 vcc_lo, exec_lo, s22
	s_wait_alu 0xfffe
	s_cbranch_vccnz .LBB464_32
; %bb.25:                               ;   in Loop: Header=BB464_6 Depth=1
	s_delay_alu instid0(VALU_DEP_2)
	v_add_co_u32 v24, vcc_lo, v2, v12
	s_wait_alu 0xfffd
	v_add_co_ci_u32_e64 v25, null, v23, v13, vcc_lo
	flat_load_b32 v26, v[24:25]
	s_wait_loadcnt_dscnt 0x0
	v_fma_f32 v26, s27, v26, v22
	flat_store_b32 v[24:25], v26
	s_cbranch_execnz .LBB464_27
.LBB464_26:                             ;   in Loop: Header=BB464_6 Depth=1
	v_add_co_u32 v12, vcc_lo, v2, v12
	s_wait_alu 0xfffd
	v_add_co_ci_u32_e64 v13, null, v23, v13, vcc_lo
	flat_store_b32 v[12:13], v22
.LBB464_27:                             ;   in Loop: Header=BB464_6 Depth=1
	s_wait_alu 0xfffe
	s_or_b32 exec_lo, exec_lo, s12
	s_and_saveexec_b32 s12, s34
	s_cbranch_execz .LBB464_5
; %bb.28:                               ;   in Loop: Header=BB464_6 Depth=1
	v_lshlrev_b64_e32 v[12:13], 2, v[4:5]
	v_mul_f32_e32 v21, s26, v21
	s_and_not1_b32 vcc_lo, exec_lo, s22
	s_wait_alu 0xfffe
	s_cbranch_vccnz .LBB464_33
; %bb.29:                               ;   in Loop: Header=BB464_6 Depth=1
	s_delay_alu instid0(VALU_DEP_2)
	v_add_co_u32 v24, vcc_lo, v2, v12
	s_wait_alu 0xfffd
	v_add_co_ci_u32_e64 v25, null, v23, v13, vcc_lo
	flat_load_b32 v22, v[24:25]
	s_wait_loadcnt_dscnt 0x0
	v_fma_f32 v22, s27, v22, v21
	flat_store_b32 v[24:25], v22
	s_cbranch_execnz .LBB464_5
	s_branch .LBB464_34
.LBB464_30:                             ;   in Loop: Header=BB464_6 Depth=1
	s_branch .LBB464_18
.LBB464_31:                             ;   in Loop: Header=BB464_6 Depth=1
	s_branch .LBB464_22
.LBB464_32:                             ;   in Loop: Header=BB464_6 Depth=1
	s_branch .LBB464_26
.LBB464_33:                             ;   in Loop: Header=BB464_6 Depth=1
.LBB464_34:                             ;   in Loop: Header=BB464_6 Depth=1
	s_delay_alu instid0(VALU_DEP_2)
	v_add_co_u32 v12, vcc_lo, v2, v12
	s_wait_alu 0xfffd
	v_add_co_ci_u32_e64 v13, null, v23, v13, vcc_lo
	flat_store_b32 v[12:13], v21
	s_branch .LBB464_5
.LBB464_35:
	s_endpgm
	.section	.rodata,"a",@progbits
	.p2align	6, 0x0
	.amdhsa_kernel _ZL29rocblas_internal_gemmt_kernelIlLi16ELi32ELi8ELc84ELc67ELc76ELb0ELb0EffPKPKfPKPfEviT_T9_T10_S7_lS9_S7_lS8_T11_S7_li
		.amdhsa_group_segment_fixed_size 2048
		.amdhsa_private_segment_fixed_size 0
		.amdhsa_kernarg_size 108
		.amdhsa_user_sgpr_count 2
		.amdhsa_user_sgpr_dispatch_ptr 0
		.amdhsa_user_sgpr_queue_ptr 0
		.amdhsa_user_sgpr_kernarg_segment_ptr 1
		.amdhsa_user_sgpr_dispatch_id 0
		.amdhsa_user_sgpr_private_segment_size 0
		.amdhsa_wavefront_size32 1
		.amdhsa_uses_dynamic_stack 0
		.amdhsa_enable_private_segment 0
		.amdhsa_system_sgpr_workgroup_id_x 1
		.amdhsa_system_sgpr_workgroup_id_y 1
		.amdhsa_system_sgpr_workgroup_id_z 1
		.amdhsa_system_sgpr_workgroup_info 0
		.amdhsa_system_vgpr_workitem_id 1
		.amdhsa_next_free_vgpr 57
		.amdhsa_next_free_sgpr 37
		.amdhsa_reserve_vcc 1
		.amdhsa_float_round_mode_32 0
		.amdhsa_float_round_mode_16_64 0
		.amdhsa_float_denorm_mode_32 3
		.amdhsa_float_denorm_mode_16_64 3
		.amdhsa_fp16_overflow 0
		.amdhsa_workgroup_processor_mode 1
		.amdhsa_memory_ordered 1
		.amdhsa_forward_progress 1
		.amdhsa_inst_pref_size 16
		.amdhsa_round_robin_scheduling 0
		.amdhsa_exception_fp_ieee_invalid_op 0
		.amdhsa_exception_fp_denorm_src 0
		.amdhsa_exception_fp_ieee_div_zero 0
		.amdhsa_exception_fp_ieee_overflow 0
		.amdhsa_exception_fp_ieee_underflow 0
		.amdhsa_exception_fp_ieee_inexact 0
		.amdhsa_exception_int_div_zero 0
	.end_amdhsa_kernel
	.section	.text._ZL29rocblas_internal_gemmt_kernelIlLi16ELi32ELi8ELc84ELc67ELc76ELb0ELb0EffPKPKfPKPfEviT_T9_T10_S7_lS9_S7_lS8_T11_S7_li,"axG",@progbits,_ZL29rocblas_internal_gemmt_kernelIlLi16ELi32ELi8ELc84ELc67ELc76ELb0ELb0EffPKPKfPKPfEviT_T9_T10_S7_lS9_S7_lS8_T11_S7_li,comdat
.Lfunc_end464:
	.size	_ZL29rocblas_internal_gemmt_kernelIlLi16ELi32ELi8ELc84ELc67ELc76ELb0ELb0EffPKPKfPKPfEviT_T9_T10_S7_lS9_S7_lS8_T11_S7_li, .Lfunc_end464-_ZL29rocblas_internal_gemmt_kernelIlLi16ELi32ELi8ELc84ELc67ELc76ELb0ELb0EffPKPKfPKPfEviT_T9_T10_S7_lS9_S7_lS8_T11_S7_li
                                        ; -- End function
	.set _ZL29rocblas_internal_gemmt_kernelIlLi16ELi32ELi8ELc84ELc67ELc76ELb0ELb0EffPKPKfPKPfEviT_T9_T10_S7_lS9_S7_lS8_T11_S7_li.num_vgpr, 57
	.set _ZL29rocblas_internal_gemmt_kernelIlLi16ELi32ELi8ELc84ELc67ELc76ELb0ELb0EffPKPKfPKPfEviT_T9_T10_S7_lS9_S7_lS8_T11_S7_li.num_agpr, 0
	.set _ZL29rocblas_internal_gemmt_kernelIlLi16ELi32ELi8ELc84ELc67ELc76ELb0ELb0EffPKPKfPKPfEviT_T9_T10_S7_lS9_S7_lS8_T11_S7_li.numbered_sgpr, 37
	.set _ZL29rocblas_internal_gemmt_kernelIlLi16ELi32ELi8ELc84ELc67ELc76ELb0ELb0EffPKPKfPKPfEviT_T9_T10_S7_lS9_S7_lS8_T11_S7_li.num_named_barrier, 0
	.set _ZL29rocblas_internal_gemmt_kernelIlLi16ELi32ELi8ELc84ELc67ELc76ELb0ELb0EffPKPKfPKPfEviT_T9_T10_S7_lS9_S7_lS8_T11_S7_li.private_seg_size, 0
	.set _ZL29rocblas_internal_gemmt_kernelIlLi16ELi32ELi8ELc84ELc67ELc76ELb0ELb0EffPKPKfPKPfEviT_T9_T10_S7_lS9_S7_lS8_T11_S7_li.uses_vcc, 1
	.set _ZL29rocblas_internal_gemmt_kernelIlLi16ELi32ELi8ELc84ELc67ELc76ELb0ELb0EffPKPKfPKPfEviT_T9_T10_S7_lS9_S7_lS8_T11_S7_li.uses_flat_scratch, 0
	.set _ZL29rocblas_internal_gemmt_kernelIlLi16ELi32ELi8ELc84ELc67ELc76ELb0ELb0EffPKPKfPKPfEviT_T9_T10_S7_lS9_S7_lS8_T11_S7_li.has_dyn_sized_stack, 0
	.set _ZL29rocblas_internal_gemmt_kernelIlLi16ELi32ELi8ELc84ELc67ELc76ELb0ELb0EffPKPKfPKPfEviT_T9_T10_S7_lS9_S7_lS8_T11_S7_li.has_recursion, 0
	.set _ZL29rocblas_internal_gemmt_kernelIlLi16ELi32ELi8ELc84ELc67ELc76ELb0ELb0EffPKPKfPKPfEviT_T9_T10_S7_lS9_S7_lS8_T11_S7_li.has_indirect_call, 0
	.section	.AMDGPU.csdata,"",@progbits
; Kernel info:
; codeLenInByte = 1948
; TotalNumSgprs: 39
; NumVgprs: 57
; ScratchSize: 0
; MemoryBound: 0
; FloatMode: 240
; IeeeMode: 1
; LDSByteSize: 2048 bytes/workgroup (compile time only)
; SGPRBlocks: 0
; VGPRBlocks: 7
; NumSGPRsForWavesPerEU: 39
; NumVGPRsForWavesPerEU: 57
; Occupancy: 16
; WaveLimiterHint : 1
; COMPUTE_PGM_RSRC2:SCRATCH_EN: 0
; COMPUTE_PGM_RSRC2:USER_SGPR: 2
; COMPUTE_PGM_RSRC2:TRAP_HANDLER: 0
; COMPUTE_PGM_RSRC2:TGID_X_EN: 1
; COMPUTE_PGM_RSRC2:TGID_Y_EN: 1
; COMPUTE_PGM_RSRC2:TGID_Z_EN: 1
; COMPUTE_PGM_RSRC2:TIDIG_COMP_CNT: 1
	.section	.text._ZL29rocblas_internal_gemmt_kernelIlLi16ELi32ELi8ELc67ELc78ELc76ELb0ELb0EffPKPKfPKPfEviT_T9_T10_S7_lS9_S7_lS8_T11_S7_li,"axG",@progbits,_ZL29rocblas_internal_gemmt_kernelIlLi16ELi32ELi8ELc67ELc78ELc76ELb0ELb0EffPKPKfPKPfEviT_T9_T10_S7_lS9_S7_lS8_T11_S7_li,comdat
	.globl	_ZL29rocblas_internal_gemmt_kernelIlLi16ELi32ELi8ELc67ELc78ELc76ELb0ELb0EffPKPKfPKPfEviT_T9_T10_S7_lS9_S7_lS8_T11_S7_li ; -- Begin function _ZL29rocblas_internal_gemmt_kernelIlLi16ELi32ELi8ELc67ELc78ELc76ELb0ELb0EffPKPKfPKPfEviT_T9_T10_S7_lS9_S7_lS8_T11_S7_li
	.p2align	8
	.type	_ZL29rocblas_internal_gemmt_kernelIlLi16ELi32ELi8ELc67ELc78ELc76ELb0ELb0EffPKPKfPKPfEviT_T9_T10_S7_lS9_S7_lS8_T11_S7_li,@function
_ZL29rocblas_internal_gemmt_kernelIlLi16ELi32ELi8ELc67ELc78ELc76ELb0ELb0EffPKPKfPKPfEviT_T9_T10_S7_lS9_S7_lS8_T11_S7_li: ; @_ZL29rocblas_internal_gemmt_kernelIlLi16ELi32ELi8ELc67ELc78ELc76ELb0ELb0EffPKPKfPKPfEviT_T9_T10_S7_lS9_S7_lS8_T11_S7_li
; %bb.0:
	s_clause 0x1
	s_load_b32 s23, s[0:1], 0x48
	s_load_b96 s[20:22], s[0:1], 0x8
	s_wait_kmcnt 0x0
	s_cmp_neq_f32 s23, 1.0
	s_cselect_b32 s2, -1, 0
	s_delay_alu instid0(SALU_CYCLE_1)
	s_and_b32 vcc_lo, exec_lo, s2
	s_cbranch_vccnz .LBB465_2
; %bb.1:
	s_cmp_lg_u64 s[20:21], 0
	s_cselect_b32 s2, -1, 0
	s_cmp_neq_f32 s22, 0
	s_cselect_b32 s3, -1, 0
	s_delay_alu instid0(SALU_CYCLE_1)
	s_and_b32 s2, s2, s3
.LBB465_2:
	s_delay_alu instid0(SALU_CYCLE_1)
	s_and_not1_b32 vcc_lo, exec_lo, s2
	s_cbranch_vccnz .LBB465_35
; %bb.3:
	s_load_b32 s28, s[0:1], 0x68
	s_lshr_b32 s24, ttmp7, 16
	s_wait_kmcnt 0x0
	s_cmp_ge_u32 s24, s28
	s_cbranch_scc1 .LBB465_35
; %bb.4:
	s_clause 0x4
	s_load_b32 s29, s[0:1], 0x0
	s_load_b256 s[8:15], s[0:1], 0x18
	s_load_b128 s[4:7], s[0:1], 0x38
	s_load_b128 s[16:19], s[0:1], 0x50
	s_load_b64 s[26:27], s[0:1], 0x60
	v_and_b32_e32 v5, 0x3ff, v0
	v_bfe_u32 v14, v0, 10, 10
	s_lshl_b32 s0, ttmp7, 5
	s_lshl_b32 s2, ttmp9, 5
	s_and_b32 s1, s0, 0x1fffe0
	s_cmp_neq_f32 s22, 0
	v_lshl_add_u32 v1, v14, 4, v5
	v_add_nc_u32_e32 v15, s1, v14
	v_cmp_gt_i64_e64 s34, s[20:21], 0
	s_cselect_b32 s33, -1, 0
	v_lshl_add_u32 v21, v14, 5, 0x400
	v_lshrrev_b32_e32 v17, 5, v1
	s_mov_b32 s25, 0
	s_wait_kmcnt 0x0
	v_mad_co_u64_u32 v[10:11], null, s18, v15, 0
	v_and_b32_e32 v16, 7, v0
	v_lshrrev_b32_e32 v0, 3, v1
	v_and_b32_e32 v1, 31, v1
	s_delay_alu instid0(VALU_DEP_2) | instskip(NEXT) | instid1(VALU_DEP_2)
	v_add_nc_u32_e32 v3, s1, v0
	v_or_b32_e32 v2, s2, v1
	v_lshlrev_b32_e32 v1, 2, v1
	s_ashr_i32 s1, s2, 31
	s_cmp_neq_f32 s23, 0
	v_mad_co_u64_u32 v[8:9], null, s4, v3, 0
	v_cmp_gt_i32_e64 s0, s29, v2
	v_mul_lo_u32 v4, s11, v2
	v_mad_co_u64_u32 v[6:7], null, s10, v2, 0
	v_lshl_or_b32 v18, v17, 7, v1
	v_dual_mov_b32 v1, v11 :: v_dual_lshlrev_b32 v2, 2, v16
	s_wait_alu 0xfffe
	s_mul_i32 s1, s10, s1
	s_wait_alu 0xfffe
	s_delay_alu instid0(VALU_DEP_3)
	v_add3_u32 v7, v7, s1, v4
	v_lshl_or_b32 v2, v0, 5, v2
	v_mov_b32_e32 v0, v9
	v_cmp_gt_i32_e64 s1, s29, v3
	v_lshlrev_b32_e32 v20, 2, v5
	v_lshlrev_b64_e32 v[6:7], 2, v[6:7]
	v_add_nc_u32_e32 v19, 0x400, v2
	v_mad_co_u64_u32 v[2:3], null, s5, v3, v[0:1]
	s_delay_alu instid0(VALU_DEP_1) | instskip(NEXT) | instid1(VALU_DEP_1)
	v_dual_mov_b32 v9, v2 :: v_dual_add_nc_u32 v22, 16, v15
	v_mad_co_u64_u32 v[12:13], null, s18, v22, 0
	v_add_nc_u32_e32 v0, s2, v5
	v_mad_co_u64_u32 v[3:4], null, s19, v15, v[1:2]
	s_cselect_b32 s18, -1, 0
	v_lshlrev_b64_e32 v[8:9], 2, v[8:9]
	s_and_b32 s33, s33, s34
	v_dual_mov_b32 v1, v13 :: v_dual_add_nc_u32 v2, 16, v0
	v_cmp_le_i32_e32 vcc_lo, v15, v0
	v_cmp_gt_i32_e64 s2, s29, v0
	v_mov_b32_e32 v11, v3
	s_delay_alu instid0(VALU_DEP_4)
	v_mad_co_u64_u32 v[4:5], null, s19, v22, v[1:2]
	s_and_b32 s19, vcc_lo, s2
	v_cmp_le_i32_e32 vcc_lo, v22, v0
	v_mov_b32_e32 v5, 0
	v_cmp_le_i32_e64 s3, v15, v2
	v_cmp_gt_i32_e64 s4, s29, v2
	v_cmp_le_i32_e64 s5, v22, v2
	v_mov_b32_e32 v13, v4
	v_lshlrev_b64_e32 v[10:11], 2, v[10:11]
	v_ashrrev_i32_e32 v1, 31, v0
	v_ashrrev_i32_e32 v3, 31, v2
	s_and_b32 s29, s3, s4
	v_lshlrev_b64_e32 v[12:13], 2, v[12:13]
	s_and_b32 s30, vcc_lo, s2
	s_and_b32 s31, s5, s4
	s_lshl_b64 s[2:3], s[6:7], 2
	s_lshl_b64 s[4:5], s[12:13], 2
	;; [unrolled: 1-line block ×3, first 2 shown]
	s_branch .LBB465_6
.LBB465_5:                              ;   in Loop: Header=BB465_6 Depth=1
	s_wait_alu 0xfffe
	s_or_b32 exec_lo, exec_lo, s10
	s_add_co_i32 s24, s24, 0x10000
	s_delay_alu instid0(SALU_CYCLE_1)
	s_cmp_lt_u32 s24, s28
	s_cbranch_scc0 .LBB465_35
.LBB465_6:                              ; =>This Loop Header: Depth=1
                                        ;     Child Loop BB465_9 Depth 2
	s_lshl_b64 s[10:11], s[24:25], 3
	v_dual_mov_b32 v25, v5 :: v_dual_mov_b32 v24, v5
	s_wait_alu 0xfffe
	s_add_nc_u64 s[12:13], s[16:17], s[10:11]
	v_dual_mov_b32 v23, v5 :: v_dual_mov_b32 v22, v5
	global_load_b64 v[14:15], v5, s[12:13]
	s_and_not1_b32 vcc_lo, exec_lo, s33
	s_wait_alu 0xfffe
	s_cbranch_vccnz .LBB465_15
; %bb.7:                                ;   in Loop: Header=BB465_6 Depth=1
	s_add_nc_u64 s[12:13], s[8:9], s[10:11]
	s_add_nc_u64 s[10:11], s[14:15], s[10:11]
	s_clause 0x1
	global_load_b64 v[25:26], v5, s[12:13]
	global_load_b64 v[27:28], v5, s[10:11]
	v_dual_mov_b32 v22, 0 :: v_dual_mov_b32 v23, 0
	v_mov_b32_e32 v24, 0
	s_mov_b64 s[10:11], 0
	s_wait_loadcnt 0x1
	v_add_co_u32 v4, vcc_lo, v25, s4
	s_wait_alu 0xfffd
	v_add_co_ci_u32_e64 v25, null, s5, v26, vcc_lo
	s_wait_loadcnt 0x0
	v_add_co_u32 v29, vcc_lo, v27, s2
	s_wait_alu 0xfffd
	v_add_co_ci_u32_e64 v30, null, s3, v28, vcc_lo
	v_add_co_u32 v26, vcc_lo, v4, v6
	s_wait_alu 0xfffd
	v_add_co_ci_u32_e64 v27, null, v25, v7, vcc_lo
	;; [unrolled: 3-line block ×3, first 2 shown]
	v_mov_b32_e32 v25, 0
	s_branch .LBB465_9
.LBB465_8:                              ;   in Loop: Header=BB465_9 Depth=2
	s_or_b32 exec_lo, exec_lo, s12
	s_wait_loadcnt_dscnt 0x0
	ds_store_b32 v19, v31
	s_wait_dscnt 0x0
	s_barrier_signal -1
	s_barrier_wait -1
	global_inv scope:SCOPE_SE
	ds_load_b128 v[30:33], v21
	ds_load_2addr_b32 v[46:47], v20 offset1:16
	ds_load_b128 v[34:37], v21 offset:512
	ds_load_2addr_b32 v[48:49], v20 offset0:32 offset1:48
	ds_load_2addr_b32 v[50:51], v20 offset0:64 offset1:80
	;; [unrolled: 1-line block ×3, first 2 shown]
	ds_load_b128 v[38:41], v21 offset:16
	ds_load_2addr_b32 v[54:55], v20 offset0:128 offset1:144
	ds_load_b128 v[42:45], v21 offset:528
	ds_load_2addr_b32 v[56:57], v20 offset0:160 offset1:176
	s_add_nc_u64 s[10:11], s[10:11], 8
	s_wait_alu 0xfffe
	v_cmp_gt_i64_e64 s12, s[20:21], s[10:11]
	s_and_b32 vcc_lo, exec_lo, s12
	s_wait_dscnt 0x8
	v_fmac_f32_e32 v24, v47, v30
	v_fmac_f32_e32 v25, v46, v30
	s_wait_dscnt 0x7
	v_fmac_f32_e32 v22, v47, v34
	v_fmac_f32_e32 v23, v46, v34
	ds_load_2addr_b32 v[46:47], v20 offset0:192 offset1:208
	s_wait_dscnt 0x7
	v_fmac_f32_e32 v24, v49, v31
	v_fmac_f32_e32 v25, v48, v31
	;; [unrolled: 1-line block ×4, first 2 shown]
	ds_load_2addr_b32 v[30:31], v20 offset0:224 offset1:240
	s_wait_dscnt 0x7
	v_fmac_f32_e32 v24, v51, v32
	v_fmac_f32_e32 v25, v50, v32
	;; [unrolled: 1-line block ×4, first 2 shown]
	s_wait_loadcnt_dscnt 0x0
	v_fmac_f32_e32 v24, v53, v33
	v_fmac_f32_e32 v25, v52, v33
	;; [unrolled: 1-line block ×4, first 2 shown]
	s_barrier_signal -1
	v_fmac_f32_e32 v24, v55, v38
	v_fmac_f32_e32 v25, v54, v38
	;; [unrolled: 1-line block ×4, first 2 shown]
	s_barrier_wait -1
	v_fmac_f32_e32 v24, v57, v39
	v_fmac_f32_e32 v25, v56, v39
	;; [unrolled: 1-line block ×4, first 2 shown]
	global_inv scope:SCOPE_SE
	v_fmac_f32_e32 v24, v47, v40
	v_fmac_f32_e32 v25, v46, v40
	;; [unrolled: 1-line block ×3, first 2 shown]
	s_delay_alu instid0(VALU_DEP_3) | instskip(NEXT) | instid1(VALU_DEP_3)
	v_dual_fmac_f32 v23, v46, v44 :: v_dual_fmac_f32 v24, v31, v41
	v_fmac_f32_e32 v25, v30, v41
	s_delay_alu instid0(VALU_DEP_3) | instskip(NEXT) | instid1(VALU_DEP_3)
	v_fmac_f32_e32 v22, v31, v45
	v_fmac_f32_e32 v23, v30, v45
	s_wait_alu 0xfffe
	s_cbranch_vccz .LBB465_15
.LBB465_9:                              ;   Parent Loop BB465_6 Depth=1
                                        ; =>  This Inner Loop Header: Depth=2
	v_mov_b32_e32 v30, 0
	s_and_saveexec_b32 s12, s0
	s_cbranch_execz .LBB465_13
; %bb.10:                               ;   in Loop: Header=BB465_9 Depth=2
	s_wait_alu 0xfffe
	v_add_nc_u32_e32 v4, s10, v17
	v_mov_b32_e32 v30, 0
	s_mov_b32 s13, exec_lo
	s_delay_alu instid0(VALU_DEP_2)
	v_cmpx_gt_u64_e64 s[20:21], v[4:5]
	s_cbranch_execz .LBB465_12
; %bb.11:                               ;   in Loop: Header=BB465_9 Depth=2
	v_lshlrev_b64_e32 v[30:31], 2, v[4:5]
	s_delay_alu instid0(VALU_DEP_1) | instskip(SKIP_1) | instid1(VALU_DEP_2)
	v_add_co_u32 v30, vcc_lo, v26, v30
	s_wait_alu 0xfffd
	v_add_co_ci_u32_e64 v31, null, v27, v31, vcc_lo
	flat_load_b32 v30, v[30:31]
.LBB465_12:                             ;   in Loop: Header=BB465_9 Depth=2
	s_or_b32 exec_lo, exec_lo, s13
.LBB465_13:                             ;   in Loop: Header=BB465_9 Depth=2
	s_delay_alu instid0(SALU_CYCLE_1)
	s_or_b32 exec_lo, exec_lo, s12
	s_wait_alu 0xfffe
	v_dual_mov_b32 v31, 0 :: v_dual_add_nc_u32 v4, s10, v16
	s_wait_loadcnt_dscnt 0x0
	ds_store_b32 v18, v30
	v_cmp_gt_u64_e32 vcc_lo, s[20:21], v[4:5]
	s_and_b32 s13, vcc_lo, s1
	s_delay_alu instid0(SALU_CYCLE_1)
	s_and_saveexec_b32 s12, s13
	s_cbranch_execz .LBB465_8
; %bb.14:                               ;   in Loop: Header=BB465_9 Depth=2
	v_lshlrev_b64_e32 v[30:31], 2, v[4:5]
	s_delay_alu instid0(VALU_DEP_1) | instskip(SKIP_1) | instid1(VALU_DEP_2)
	v_add_co_u32 v30, vcc_lo, v28, v30
	s_wait_alu 0xfffd
	v_add_co_ci_u32_e64 v31, null, v29, v31, vcc_lo
	flat_load_b32 v31, v[30:31]
	s_branch .LBB465_8
.LBB465_15:                             ;   in Loop: Header=BB465_6 Depth=1
	s_wait_loadcnt 0x0
	v_add_co_u32 v4, vcc_lo, v14, s6
	s_wait_alu 0xfffd
	v_add_co_ci_u32_e64 v14, null, s7, v15, vcc_lo
	s_delay_alu instid0(VALU_DEP_2) | instskip(SKIP_1) | instid1(VALU_DEP_2)
	v_add_co_u32 v15, vcc_lo, v4, v10
	s_wait_alu 0xfffd
	v_add_co_ci_u32_e64 v26, null, v14, v11, vcc_lo
	s_and_saveexec_b32 s10, s19
	s_cbranch_execz .LBB465_19
; %bb.16:                               ;   in Loop: Header=BB465_6 Depth=1
	v_mul_f32_e32 v25, s22, v25
	s_and_b32 vcc_lo, exec_lo, s18
	s_wait_alu 0xfffe
	s_cbranch_vccz .LBB465_30
; %bb.17:                               ;   in Loop: Header=BB465_6 Depth=1
	v_lshlrev_b64_e32 v[27:28], 2, v[0:1]
	s_delay_alu instid0(VALU_DEP_1) | instskip(SKIP_1) | instid1(VALU_DEP_2)
	v_add_co_u32 v27, vcc_lo, v15, v27
	s_wait_alu 0xfffd
	v_add_co_ci_u32_e64 v28, null, v26, v28, vcc_lo
	flat_load_b32 v29, v[27:28]
	s_wait_loadcnt_dscnt 0x0
	v_fma_f32 v29, s23, v29, v25
	flat_store_b32 v[27:28], v29
	s_cbranch_execnz .LBB465_19
.LBB465_18:                             ;   in Loop: Header=BB465_6 Depth=1
	v_lshlrev_b64_e32 v[27:28], 2, v[0:1]
	s_delay_alu instid0(VALU_DEP_1) | instskip(SKIP_1) | instid1(VALU_DEP_2)
	v_add_co_u32 v27, vcc_lo, v15, v27
	s_wait_alu 0xfffd
	v_add_co_ci_u32_e64 v28, null, v26, v28, vcc_lo
	flat_store_b32 v[27:28], v25
.LBB465_19:                             ;   in Loop: Header=BB465_6 Depth=1
	s_wait_alu 0xfffe
	s_or_b32 exec_lo, exec_lo, s10
	s_and_saveexec_b32 s10, s29
	s_cbranch_execz .LBB465_23
; %bb.20:                               ;   in Loop: Header=BB465_6 Depth=1
	v_mul_f32_e32 v24, s22, v24
	s_and_not1_b32 vcc_lo, exec_lo, s18
	s_wait_alu 0xfffe
	s_cbranch_vccnz .LBB465_31
; %bb.21:                               ;   in Loop: Header=BB465_6 Depth=1
	v_lshlrev_b64_e32 v[27:28], 2, v[2:3]
	s_delay_alu instid0(VALU_DEP_1) | instskip(SKIP_1) | instid1(VALU_DEP_2)
	v_add_co_u32 v27, vcc_lo, v15, v27
	s_wait_alu 0xfffd
	v_add_co_ci_u32_e64 v28, null, v26, v28, vcc_lo
	flat_load_b32 v25, v[27:28]
	s_wait_loadcnt_dscnt 0x0
	v_fma_f32 v25, s23, v25, v24
	flat_store_b32 v[27:28], v25
	s_cbranch_execnz .LBB465_23
.LBB465_22:                             ;   in Loop: Header=BB465_6 Depth=1
	v_lshlrev_b64_e32 v[27:28], 2, v[2:3]
	s_delay_alu instid0(VALU_DEP_1) | instskip(SKIP_1) | instid1(VALU_DEP_2)
	v_add_co_u32 v25, vcc_lo, v15, v27
	s_wait_alu 0xfffd
	v_add_co_ci_u32_e64 v26, null, v26, v28, vcc_lo
	flat_store_b32 v[25:26], v24
.LBB465_23:                             ;   in Loop: Header=BB465_6 Depth=1
	s_wait_alu 0xfffe
	s_or_b32 exec_lo, exec_lo, s10
	v_add_co_u32 v4, vcc_lo, v4, v12
	s_wait_alu 0xfffd
	v_add_co_ci_u32_e64 v24, null, v14, v13, vcc_lo
	s_and_saveexec_b32 s10, s30
	s_cbranch_execz .LBB465_27
; %bb.24:                               ;   in Loop: Header=BB465_6 Depth=1
	v_lshlrev_b64_e32 v[14:15], 2, v[0:1]
	v_mul_f32_e32 v23, s22, v23
	s_and_not1_b32 vcc_lo, exec_lo, s18
	s_wait_alu 0xfffe
	s_cbranch_vccnz .LBB465_32
; %bb.25:                               ;   in Loop: Header=BB465_6 Depth=1
	s_delay_alu instid0(VALU_DEP_2)
	v_add_co_u32 v25, vcc_lo, v4, v14
	s_wait_alu 0xfffd
	v_add_co_ci_u32_e64 v26, null, v24, v15, vcc_lo
	flat_load_b32 v27, v[25:26]
	s_wait_loadcnt_dscnt 0x0
	v_fma_f32 v27, s23, v27, v23
	flat_store_b32 v[25:26], v27
	s_cbranch_execnz .LBB465_27
.LBB465_26:                             ;   in Loop: Header=BB465_6 Depth=1
	v_add_co_u32 v14, vcc_lo, v4, v14
	s_wait_alu 0xfffd
	v_add_co_ci_u32_e64 v15, null, v24, v15, vcc_lo
	flat_store_b32 v[14:15], v23
.LBB465_27:                             ;   in Loop: Header=BB465_6 Depth=1
	s_wait_alu 0xfffe
	s_or_b32 exec_lo, exec_lo, s10
	s_and_saveexec_b32 s10, s31
	s_cbranch_execz .LBB465_5
; %bb.28:                               ;   in Loop: Header=BB465_6 Depth=1
	v_lshlrev_b64_e32 v[14:15], 2, v[2:3]
	v_mul_f32_e32 v22, s22, v22
	s_and_not1_b32 vcc_lo, exec_lo, s18
	s_wait_alu 0xfffe
	s_cbranch_vccnz .LBB465_33
; %bb.29:                               ;   in Loop: Header=BB465_6 Depth=1
	s_delay_alu instid0(VALU_DEP_2)
	v_add_co_u32 v25, vcc_lo, v4, v14
	s_wait_alu 0xfffd
	v_add_co_ci_u32_e64 v26, null, v24, v15, vcc_lo
	flat_load_b32 v23, v[25:26]
	s_wait_loadcnt_dscnt 0x0
	v_fma_f32 v23, s23, v23, v22
	flat_store_b32 v[25:26], v23
	s_cbranch_execnz .LBB465_5
	s_branch .LBB465_34
.LBB465_30:                             ;   in Loop: Header=BB465_6 Depth=1
	s_branch .LBB465_18
.LBB465_31:                             ;   in Loop: Header=BB465_6 Depth=1
	s_branch .LBB465_22
.LBB465_32:                             ;   in Loop: Header=BB465_6 Depth=1
	s_branch .LBB465_26
.LBB465_33:                             ;   in Loop: Header=BB465_6 Depth=1
.LBB465_34:                             ;   in Loop: Header=BB465_6 Depth=1
	s_delay_alu instid0(VALU_DEP_2)
	v_add_co_u32 v14, vcc_lo, v4, v14
	s_wait_alu 0xfffd
	v_add_co_ci_u32_e64 v15, null, v24, v15, vcc_lo
	flat_store_b32 v[14:15], v22
	s_branch .LBB465_5
.LBB465_35:
	s_endpgm
	.section	.rodata,"a",@progbits
	.p2align	6, 0x0
	.amdhsa_kernel _ZL29rocblas_internal_gemmt_kernelIlLi16ELi32ELi8ELc67ELc78ELc76ELb0ELb0EffPKPKfPKPfEviT_T9_T10_S7_lS9_S7_lS8_T11_S7_li
		.amdhsa_group_segment_fixed_size 2048
		.amdhsa_private_segment_fixed_size 0
		.amdhsa_kernarg_size 108
		.amdhsa_user_sgpr_count 2
		.amdhsa_user_sgpr_dispatch_ptr 0
		.amdhsa_user_sgpr_queue_ptr 0
		.amdhsa_user_sgpr_kernarg_segment_ptr 1
		.amdhsa_user_sgpr_dispatch_id 0
		.amdhsa_user_sgpr_private_segment_size 0
		.amdhsa_wavefront_size32 1
		.amdhsa_uses_dynamic_stack 0
		.amdhsa_enable_private_segment 0
		.amdhsa_system_sgpr_workgroup_id_x 1
		.amdhsa_system_sgpr_workgroup_id_y 1
		.amdhsa_system_sgpr_workgroup_id_z 1
		.amdhsa_system_sgpr_workgroup_info 0
		.amdhsa_system_vgpr_workitem_id 1
		.amdhsa_next_free_vgpr 58
		.amdhsa_next_free_sgpr 35
		.amdhsa_reserve_vcc 1
		.amdhsa_float_round_mode_32 0
		.amdhsa_float_round_mode_16_64 0
		.amdhsa_float_denorm_mode_32 3
		.amdhsa_float_denorm_mode_16_64 3
		.amdhsa_fp16_overflow 0
		.amdhsa_workgroup_processor_mode 1
		.amdhsa_memory_ordered 1
		.amdhsa_forward_progress 1
		.amdhsa_inst_pref_size 16
		.amdhsa_round_robin_scheduling 0
		.amdhsa_exception_fp_ieee_invalid_op 0
		.amdhsa_exception_fp_denorm_src 0
		.amdhsa_exception_fp_ieee_div_zero 0
		.amdhsa_exception_fp_ieee_overflow 0
		.amdhsa_exception_fp_ieee_underflow 0
		.amdhsa_exception_fp_ieee_inexact 0
		.amdhsa_exception_int_div_zero 0
	.end_amdhsa_kernel
	.section	.text._ZL29rocblas_internal_gemmt_kernelIlLi16ELi32ELi8ELc67ELc78ELc76ELb0ELb0EffPKPKfPKPfEviT_T9_T10_S7_lS9_S7_lS8_T11_S7_li,"axG",@progbits,_ZL29rocblas_internal_gemmt_kernelIlLi16ELi32ELi8ELc67ELc78ELc76ELb0ELb0EffPKPKfPKPfEviT_T9_T10_S7_lS9_S7_lS8_T11_S7_li,comdat
.Lfunc_end465:
	.size	_ZL29rocblas_internal_gemmt_kernelIlLi16ELi32ELi8ELc67ELc78ELc76ELb0ELb0EffPKPKfPKPfEviT_T9_T10_S7_lS9_S7_lS8_T11_S7_li, .Lfunc_end465-_ZL29rocblas_internal_gemmt_kernelIlLi16ELi32ELi8ELc67ELc78ELc76ELb0ELb0EffPKPKfPKPfEviT_T9_T10_S7_lS9_S7_lS8_T11_S7_li
                                        ; -- End function
	.set _ZL29rocblas_internal_gemmt_kernelIlLi16ELi32ELi8ELc67ELc78ELc76ELb0ELb0EffPKPKfPKPfEviT_T9_T10_S7_lS9_S7_lS8_T11_S7_li.num_vgpr, 58
	.set _ZL29rocblas_internal_gemmt_kernelIlLi16ELi32ELi8ELc67ELc78ELc76ELb0ELb0EffPKPKfPKPfEviT_T9_T10_S7_lS9_S7_lS8_T11_S7_li.num_agpr, 0
	.set _ZL29rocblas_internal_gemmt_kernelIlLi16ELi32ELi8ELc67ELc78ELc76ELb0ELb0EffPKPKfPKPfEviT_T9_T10_S7_lS9_S7_lS8_T11_S7_li.numbered_sgpr, 35
	.set _ZL29rocblas_internal_gemmt_kernelIlLi16ELi32ELi8ELc67ELc78ELc76ELb0ELb0EffPKPKfPKPfEviT_T9_T10_S7_lS9_S7_lS8_T11_S7_li.num_named_barrier, 0
	.set _ZL29rocblas_internal_gemmt_kernelIlLi16ELi32ELi8ELc67ELc78ELc76ELb0ELb0EffPKPKfPKPfEviT_T9_T10_S7_lS9_S7_lS8_T11_S7_li.private_seg_size, 0
	.set _ZL29rocblas_internal_gemmt_kernelIlLi16ELi32ELi8ELc67ELc78ELc76ELb0ELb0EffPKPKfPKPfEviT_T9_T10_S7_lS9_S7_lS8_T11_S7_li.uses_vcc, 1
	.set _ZL29rocblas_internal_gemmt_kernelIlLi16ELi32ELi8ELc67ELc78ELc76ELb0ELb0EffPKPKfPKPfEviT_T9_T10_S7_lS9_S7_lS8_T11_S7_li.uses_flat_scratch, 0
	.set _ZL29rocblas_internal_gemmt_kernelIlLi16ELi32ELi8ELc67ELc78ELc76ELb0ELb0EffPKPKfPKPfEviT_T9_T10_S7_lS9_S7_lS8_T11_S7_li.has_dyn_sized_stack, 0
	.set _ZL29rocblas_internal_gemmt_kernelIlLi16ELi32ELi8ELc67ELc78ELc76ELb0ELb0EffPKPKfPKPfEviT_T9_T10_S7_lS9_S7_lS8_T11_S7_li.has_recursion, 0
	.set _ZL29rocblas_internal_gemmt_kernelIlLi16ELi32ELi8ELc67ELc78ELc76ELb0ELb0EffPKPKfPKPfEviT_T9_T10_S7_lS9_S7_lS8_T11_S7_li.has_indirect_call, 0
	.section	.AMDGPU.csdata,"",@progbits
; Kernel info:
; codeLenInByte = 1940
; TotalNumSgprs: 37
; NumVgprs: 58
; ScratchSize: 0
; MemoryBound: 0
; FloatMode: 240
; IeeeMode: 1
; LDSByteSize: 2048 bytes/workgroup (compile time only)
; SGPRBlocks: 0
; VGPRBlocks: 7
; NumSGPRsForWavesPerEU: 37
; NumVGPRsForWavesPerEU: 58
; Occupancy: 16
; WaveLimiterHint : 1
; COMPUTE_PGM_RSRC2:SCRATCH_EN: 0
; COMPUTE_PGM_RSRC2:USER_SGPR: 2
; COMPUTE_PGM_RSRC2:TRAP_HANDLER: 0
; COMPUTE_PGM_RSRC2:TGID_X_EN: 1
; COMPUTE_PGM_RSRC2:TGID_Y_EN: 1
; COMPUTE_PGM_RSRC2:TGID_Z_EN: 1
; COMPUTE_PGM_RSRC2:TIDIG_COMP_CNT: 1
	.section	.text._ZL29rocblas_internal_gemmt_kernelIlLi16ELi32ELi8ELc67ELc84ELc76ELb0ELb0EffPKPKfPKPfEviT_T9_T10_S7_lS9_S7_lS8_T11_S7_li,"axG",@progbits,_ZL29rocblas_internal_gemmt_kernelIlLi16ELi32ELi8ELc67ELc84ELc76ELb0ELb0EffPKPKfPKPfEviT_T9_T10_S7_lS9_S7_lS8_T11_S7_li,comdat
	.globl	_ZL29rocblas_internal_gemmt_kernelIlLi16ELi32ELi8ELc67ELc84ELc76ELb0ELb0EffPKPKfPKPfEviT_T9_T10_S7_lS9_S7_lS8_T11_S7_li ; -- Begin function _ZL29rocblas_internal_gemmt_kernelIlLi16ELi32ELi8ELc67ELc84ELc76ELb0ELb0EffPKPKfPKPfEviT_T9_T10_S7_lS9_S7_lS8_T11_S7_li
	.p2align	8
	.type	_ZL29rocblas_internal_gemmt_kernelIlLi16ELi32ELi8ELc67ELc84ELc76ELb0ELb0EffPKPKfPKPfEviT_T9_T10_S7_lS9_S7_lS8_T11_S7_li,@function
_ZL29rocblas_internal_gemmt_kernelIlLi16ELi32ELi8ELc67ELc84ELc76ELb0ELb0EffPKPKfPKPfEviT_T9_T10_S7_lS9_S7_lS8_T11_S7_li: ; @_ZL29rocblas_internal_gemmt_kernelIlLi16ELi32ELi8ELc67ELc84ELc76ELb0ELb0EffPKPKfPKPfEviT_T9_T10_S7_lS9_S7_lS8_T11_S7_li
; %bb.0:
	s_clause 0x1
	s_load_b32 s27, s[0:1], 0x48
	s_load_b96 s[24:26], s[0:1], 0x8
	s_wait_kmcnt 0x0
	s_cmp_neq_f32 s27, 1.0
	s_cselect_b32 s2, -1, 0
	s_delay_alu instid0(SALU_CYCLE_1)
	s_and_b32 vcc_lo, exec_lo, s2
	s_cbranch_vccnz .LBB466_2
; %bb.1:
	s_cmp_lg_u64 s[24:25], 0
	s_cselect_b32 s2, -1, 0
	s_cmp_neq_f32 s26, 0
	s_cselect_b32 s3, -1, 0
	s_delay_alu instid0(SALU_CYCLE_1)
	s_and_b32 s2, s2, s3
.LBB466_2:
	s_delay_alu instid0(SALU_CYCLE_1)
	s_and_not1_b32 vcc_lo, exec_lo, s2
	s_cbranch_vccnz .LBB466_35
; %bb.3:
	s_load_b32 s30, s[0:1], 0x68
	s_lshr_b32 s6, ttmp7, 16
	s_wait_kmcnt 0x0
	s_cmp_ge_u32 s6, s30
	s_cbranch_scc1 .LBB466_35
; %bb.4:
	s_clause 0x3
	s_load_b32 s4, s[0:1], 0x0
	s_load_b128 s[16:19], s[0:1], 0x38
	s_load_b128 s[20:23], s[0:1], 0x50
	s_load_b64 s[28:29], s[0:1], 0x60
	v_bfe_u32 v5, v0, 10, 10
	s_load_b256 s[8:15], s[0:1], 0x18
	s_lshl_b32 s0, ttmp7, 5
	v_and_b32_e32 v14, 7, v0
	s_and_b32 s0, s0, 0x1fffe0
	s_lshl_b32 s2, ttmp9, 5
	v_add_nc_u32_e32 v12, s0, v5
	s_cmp_neq_f32 s26, 0
	v_cmp_gt_i64_e64 s36, s[24:25], 0
	v_lshl_add_u32 v19, v5, 5, 0x400
	s_mov_b32 s7, 0
	s_cselect_b32 s35, -1, 0
	s_ashr_i32 s1, s2, 31
	v_add_nc_u32_e32 v20, 16, v12
	s_cmp_neq_f32 s27, 0
	s_wait_kmcnt 0x0
	v_mad_co_u64_u32 v[8:9], null, s22, v12, 0
	v_and_b32_e32 v4, 0x3ff, v0
	s_wait_alu 0xfffe
	s_mul_i32 s1, s10, s1
	s_delay_alu instid0(VALU_DEP_1) | instskip(NEXT) | instid1(VALU_DEP_1)
	v_lshl_add_u32 v0, v5, 4, v4
	v_lshrrev_b32_e32 v15, 5, v0
	v_lshrrev_b32_e32 v1, 3, v0
	v_and_b32_e32 v0, 31, v0
	s_delay_alu instid0(VALU_DEP_2) | instskip(NEXT) | instid1(VALU_DEP_2)
	v_add_nc_u32_e32 v13, s0, v1
	v_or_b32_e32 v2, s2, v0
	s_delay_alu instid0(VALU_DEP_1) | instskip(SKIP_3) | instid1(VALU_DEP_2)
	v_mul_lo_u32 v3, s11, v2
	v_mad_co_u64_u32 v[6:7], null, s10, v2, 0
	v_cmp_gt_i32_e64 s0, s4, v2
	s_wait_alu 0xfffe
	v_add3_u32 v7, v7, s1, v3
	v_dual_mov_b32 v3, 0 :: v_dual_lshlrev_b32 v10, 2, v14
	v_cmp_gt_i32_e64 s1, s4, v13
	s_delay_alu instid0(VALU_DEP_3) | instskip(NEXT) | instid1(VALU_DEP_3)
	v_lshlrev_b64_e32 v[6:7], 2, v[6:7]
	v_lshl_or_b32 v2, v1, 5, v10
	v_mov_b32_e32 v1, v9
	v_mad_co_u64_u32 v[10:11], null, s22, v20, 0
	v_lshlrev_b32_e32 v18, 2, v4
	s_delay_alu instid0(VALU_DEP_4) | instskip(NEXT) | instid1(VALU_DEP_4)
	v_add_nc_u32_e32 v17, 0x400, v2
	v_mad_co_u64_u32 v[1:2], null, s23, v12, v[1:2]
	s_cselect_b32 s22, -1, 0
	s_and_b32 s35, s35, s36
	s_lshl_b64 s[10:11], s[28:29], 2
	v_dual_mov_b32 v9, v1 :: v_dual_lshlrev_b32 v0, 2, v0
	v_mov_b32_e32 v1, v11
	s_delay_alu instid0(VALU_DEP_2) | instskip(NEXT) | instid1(VALU_DEP_3)
	v_lshlrev_b64_e32 v[8:9], 2, v[8:9]
	v_lshl_or_b32 v16, v15, 7, v0
	v_add_nc_u32_e32 v0, s2, v4
	s_delay_alu instid0(VALU_DEP_1) | instskip(SKIP_2) | instid1(VALU_DEP_3)
	v_add_nc_u32_e32 v4, 16, v0
	v_cmp_le_i32_e32 vcc_lo, v12, v0
	v_cmp_gt_i32_e64 s2, s4, v0
	v_cmp_le_i32_e64 s3, v12, v4
	v_mad_co_u64_u32 v[11:12], null, s23, v20, v[1:2]
	v_cmp_gt_i32_e64 s4, s4, v4
	s_and_b32 s23, vcc_lo, s2
	v_cmp_le_i32_e32 vcc_lo, v20, v0
	v_cmp_le_i32_e64 s5, v20, v4
	v_ashrrev_i32_e32 v1, 31, v0
	v_ashrrev_i32_e32 v5, 31, v4
	v_lshlrev_b64_e32 v[10:11], 2, v[10:11]
	v_lshlrev_b32_e32 v20, 2, v13
	s_and_b32 s31, s3, s4
	s_and_b32 s33, vcc_lo, s2
	s_and_b32 s34, s5, s4
	s_lshl_b64 s[2:3], s[18:19], 2
	s_lshl_b64 s[4:5], s[12:13], 2
	s_branch .LBB466_6
.LBB466_5:                              ;   in Loop: Header=BB466_6 Depth=1
	s_wait_alu 0xfffe
	s_or_b32 exec_lo, exec_lo, s12
	s_add_co_i32 s6, s6, 0x10000
	s_delay_alu instid0(SALU_CYCLE_1)
	s_cmp_lt_u32 s6, s30
	s_cbranch_scc0 .LBB466_35
.LBB466_6:                              ; =>This Loop Header: Depth=1
                                        ;     Child Loop BB466_9 Depth 2
	s_lshl_b64 s[12:13], s[6:7], 3
	v_dual_mov_b32 v24, v3 :: v_dual_mov_b32 v23, v3
	s_wait_alu 0xfffe
	s_add_nc_u64 s[18:19], s[20:21], s[12:13]
	v_dual_mov_b32 v22, v3 :: v_dual_mov_b32 v21, v3
	global_load_b64 v[12:13], v3, s[18:19]
	s_and_not1_b32 vcc_lo, exec_lo, s35
	s_wait_alu 0xfffe
	s_cbranch_vccnz .LBB466_15
; %bb.7:                                ;   in Loop: Header=BB466_6 Depth=1
	s_add_nc_u64 s[18:19], s[8:9], s[12:13]
	s_add_nc_u64 s[12:13], s[14:15], s[12:13]
	s_clause 0x1
	global_load_b64 v[24:25], v3, s[18:19]
	global_load_b64 v[26:27], v3, s[12:13]
	v_dual_mov_b32 v21, 0 :: v_dual_mov_b32 v22, 0
	v_mov_b32_e32 v23, 0
	s_mov_b64 s[12:13], 0
	s_wait_loadcnt 0x1
	v_add_co_u32 v2, vcc_lo, v24, s4
	s_wait_alu 0xfffd
	v_add_co_ci_u32_e64 v24, null, s5, v25, vcc_lo
	s_wait_loadcnt 0x0
	v_add_co_u32 v28, vcc_lo, v26, s2
	s_wait_alu 0xfffd
	v_add_co_ci_u32_e64 v29, null, s3, v27, vcc_lo
	v_add_co_u32 v25, vcc_lo, v2, v6
	s_wait_alu 0xfffd
	v_add_co_ci_u32_e64 v26, null, v24, v7, vcc_lo
	;; [unrolled: 3-line block ×3, first 2 shown]
	v_mov_b32_e32 v24, 0
	s_branch .LBB466_9
.LBB466_8:                              ;   in Loop: Header=BB466_9 Depth=2
	s_or_b32 exec_lo, exec_lo, s18
	s_wait_loadcnt_dscnt 0x0
	ds_store_b32 v17, v30
	s_wait_dscnt 0x0
	s_barrier_signal -1
	s_barrier_wait -1
	global_inv scope:SCOPE_SE
	ds_load_b128 v[29:32], v19
	ds_load_2addr_b32 v[45:46], v18 offset1:16
	ds_load_b128 v[33:36], v19 offset:512
	ds_load_2addr_b32 v[47:48], v18 offset0:32 offset1:48
	ds_load_2addr_b32 v[49:50], v18 offset0:64 offset1:80
	;; [unrolled: 1-line block ×3, first 2 shown]
	ds_load_b128 v[37:40], v19 offset:16
	ds_load_2addr_b32 v[53:54], v18 offset0:128 offset1:144
	ds_load_b128 v[41:44], v19 offset:528
	ds_load_2addr_b32 v[55:56], v18 offset0:160 offset1:176
	s_add_nc_u64 s[12:13], s[12:13], 8
	s_wait_alu 0xfffe
	v_cmp_gt_i64_e64 s18, s[24:25], s[12:13]
	s_and_b32 vcc_lo, exec_lo, s18
	s_wait_dscnt 0x8
	v_fmac_f32_e32 v23, v46, v29
	v_fmac_f32_e32 v24, v45, v29
	s_wait_dscnt 0x7
	v_fmac_f32_e32 v21, v46, v33
	v_fmac_f32_e32 v22, v45, v33
	ds_load_2addr_b32 v[45:46], v18 offset0:192 offset1:208
	s_wait_dscnt 0x7
	v_fmac_f32_e32 v23, v48, v30
	v_fmac_f32_e32 v24, v47, v30
	;; [unrolled: 1-line block ×4, first 2 shown]
	ds_load_2addr_b32 v[29:30], v18 offset0:224 offset1:240
	s_wait_dscnt 0x7
	v_fmac_f32_e32 v23, v50, v31
	v_fmac_f32_e32 v24, v49, v31
	;; [unrolled: 1-line block ×4, first 2 shown]
	s_wait_loadcnt_dscnt 0x0
	v_fmac_f32_e32 v23, v52, v32
	v_fmac_f32_e32 v24, v51, v32
	;; [unrolled: 1-line block ×4, first 2 shown]
	s_barrier_signal -1
	v_fmac_f32_e32 v23, v54, v37
	v_fmac_f32_e32 v24, v53, v37
	;; [unrolled: 1-line block ×4, first 2 shown]
	s_barrier_wait -1
	v_fmac_f32_e32 v23, v56, v38
	v_fmac_f32_e32 v24, v55, v38
	v_fmac_f32_e32 v21, v56, v42
	v_fmac_f32_e32 v22, v55, v42
	global_inv scope:SCOPE_SE
	v_fmac_f32_e32 v23, v46, v39
	v_fmac_f32_e32 v24, v45, v39
	;; [unrolled: 1-line block ×3, first 2 shown]
	s_delay_alu instid0(VALU_DEP_3) | instskip(NEXT) | instid1(VALU_DEP_3)
	v_dual_fmac_f32 v22, v45, v43 :: v_dual_fmac_f32 v23, v30, v40
	v_fmac_f32_e32 v24, v29, v40
	s_delay_alu instid0(VALU_DEP_3) | instskip(NEXT) | instid1(VALU_DEP_3)
	v_fmac_f32_e32 v21, v30, v44
	v_fmac_f32_e32 v22, v29, v44
	s_wait_alu 0xfffe
	s_cbranch_vccz .LBB466_15
.LBB466_9:                              ;   Parent Loop BB466_6 Depth=1
                                        ; =>  This Inner Loop Header: Depth=2
	v_mov_b32_e32 v29, 0
	s_and_saveexec_b32 s18, s0
	s_cbranch_execz .LBB466_13
; %bb.10:                               ;   in Loop: Header=BB466_9 Depth=2
	s_wait_alu 0xfffe
	v_dual_mov_b32 v29, 0 :: v_dual_add_nc_u32 v2, s12, v15
	s_mov_b32 s19, exec_lo
	s_delay_alu instid0(VALU_DEP_1)
	v_cmpx_gt_u64_e64 s[24:25], v[2:3]
	s_cbranch_execz .LBB466_12
; %bb.11:                               ;   in Loop: Header=BB466_9 Depth=2
	v_lshlrev_b64_e32 v[29:30], 2, v[2:3]
	s_delay_alu instid0(VALU_DEP_1) | instskip(SKIP_1) | instid1(VALU_DEP_2)
	v_add_co_u32 v29, vcc_lo, v25, v29
	s_wait_alu 0xfffd
	v_add_co_ci_u32_e64 v30, null, v26, v30, vcc_lo
	flat_load_b32 v29, v[29:30]
.LBB466_12:                             ;   in Loop: Header=BB466_9 Depth=2
	s_or_b32 exec_lo, exec_lo, s19
.LBB466_13:                             ;   in Loop: Header=BB466_9 Depth=2
	s_delay_alu instid0(SALU_CYCLE_1)
	s_or_b32 exec_lo, exec_lo, s18
	s_wait_alu 0xfffe
	v_add_nc_u32_e32 v2, s12, v14
	v_mov_b32_e32 v30, 0
	s_wait_loadcnt_dscnt 0x0
	ds_store_b32 v16, v29
	v_cmp_gt_u64_e32 vcc_lo, s[24:25], v[2:3]
	s_and_b32 s19, vcc_lo, s1
	s_delay_alu instid0(SALU_CYCLE_1)
	s_and_saveexec_b32 s18, s19
	s_cbranch_execz .LBB466_8
; %bb.14:                               ;   in Loop: Header=BB466_9 Depth=2
	v_mad_co_u64_u32 v[29:30], null, s16, v2, 0
	s_delay_alu instid0(VALU_DEP_1) | instskip(NEXT) | instid1(VALU_DEP_1)
	v_mad_co_u64_u32 v[30:31], null, s17, v2, v[30:31]
	v_lshlrev_b64_e32 v[29:30], 2, v[29:30]
	s_delay_alu instid0(VALU_DEP_1) | instskip(SKIP_1) | instid1(VALU_DEP_2)
	v_add_co_u32 v29, vcc_lo, v27, v29
	s_wait_alu 0xfffd
	v_add_co_ci_u32_e64 v30, null, v28, v30, vcc_lo
	flat_load_b32 v30, v[29:30]
	s_branch .LBB466_8
.LBB466_15:                             ;   in Loop: Header=BB466_6 Depth=1
	s_wait_loadcnt 0x0
	s_wait_alu 0xfffe
	v_add_co_u32 v2, vcc_lo, v12, s10
	s_wait_alu 0xfffd
	v_add_co_ci_u32_e64 v12, null, s11, v13, vcc_lo
	s_delay_alu instid0(VALU_DEP_2) | instskip(SKIP_1) | instid1(VALU_DEP_2)
	v_add_co_u32 v13, vcc_lo, v2, v8
	s_wait_alu 0xfffd
	v_add_co_ci_u32_e64 v25, null, v12, v9, vcc_lo
	s_and_saveexec_b32 s12, s23
	s_cbranch_execz .LBB466_19
; %bb.16:                               ;   in Loop: Header=BB466_6 Depth=1
	v_mul_f32_e32 v24, s26, v24
	s_and_b32 vcc_lo, exec_lo, s22
	s_wait_alu 0xfffe
	s_cbranch_vccz .LBB466_30
; %bb.17:                               ;   in Loop: Header=BB466_6 Depth=1
	v_lshlrev_b64_e32 v[26:27], 2, v[0:1]
	s_delay_alu instid0(VALU_DEP_1) | instskip(SKIP_1) | instid1(VALU_DEP_2)
	v_add_co_u32 v26, vcc_lo, v13, v26
	s_wait_alu 0xfffd
	v_add_co_ci_u32_e64 v27, null, v25, v27, vcc_lo
	flat_load_b32 v28, v[26:27]
	s_wait_loadcnt_dscnt 0x0
	v_fma_f32 v28, s27, v28, v24
	flat_store_b32 v[26:27], v28
	s_cbranch_execnz .LBB466_19
.LBB466_18:                             ;   in Loop: Header=BB466_6 Depth=1
	v_lshlrev_b64_e32 v[26:27], 2, v[0:1]
	s_delay_alu instid0(VALU_DEP_1) | instskip(SKIP_1) | instid1(VALU_DEP_2)
	v_add_co_u32 v26, vcc_lo, v13, v26
	s_wait_alu 0xfffd
	v_add_co_ci_u32_e64 v27, null, v25, v27, vcc_lo
	flat_store_b32 v[26:27], v24
.LBB466_19:                             ;   in Loop: Header=BB466_6 Depth=1
	s_wait_alu 0xfffe
	s_or_b32 exec_lo, exec_lo, s12
	s_and_saveexec_b32 s12, s31
	s_cbranch_execz .LBB466_23
; %bb.20:                               ;   in Loop: Header=BB466_6 Depth=1
	v_mul_f32_e32 v23, s26, v23
	s_and_not1_b32 vcc_lo, exec_lo, s22
	s_wait_alu 0xfffe
	s_cbranch_vccnz .LBB466_31
; %bb.21:                               ;   in Loop: Header=BB466_6 Depth=1
	v_lshlrev_b64_e32 v[26:27], 2, v[4:5]
	s_delay_alu instid0(VALU_DEP_1) | instskip(SKIP_1) | instid1(VALU_DEP_2)
	v_add_co_u32 v26, vcc_lo, v13, v26
	s_wait_alu 0xfffd
	v_add_co_ci_u32_e64 v27, null, v25, v27, vcc_lo
	flat_load_b32 v24, v[26:27]
	s_wait_loadcnt_dscnt 0x0
	v_fma_f32 v24, s27, v24, v23
	flat_store_b32 v[26:27], v24
	s_cbranch_execnz .LBB466_23
.LBB466_22:                             ;   in Loop: Header=BB466_6 Depth=1
	v_lshlrev_b64_e32 v[26:27], 2, v[4:5]
	s_delay_alu instid0(VALU_DEP_1) | instskip(SKIP_1) | instid1(VALU_DEP_2)
	v_add_co_u32 v24, vcc_lo, v13, v26
	s_wait_alu 0xfffd
	v_add_co_ci_u32_e64 v25, null, v25, v27, vcc_lo
	flat_store_b32 v[24:25], v23
.LBB466_23:                             ;   in Loop: Header=BB466_6 Depth=1
	s_wait_alu 0xfffe
	s_or_b32 exec_lo, exec_lo, s12
	v_add_co_u32 v2, vcc_lo, v2, v10
	s_wait_alu 0xfffd
	v_add_co_ci_u32_e64 v23, null, v12, v11, vcc_lo
	s_and_saveexec_b32 s12, s33
	s_cbranch_execz .LBB466_27
; %bb.24:                               ;   in Loop: Header=BB466_6 Depth=1
	v_lshlrev_b64_e32 v[12:13], 2, v[0:1]
	v_mul_f32_e32 v22, s26, v22
	s_and_not1_b32 vcc_lo, exec_lo, s22
	s_wait_alu 0xfffe
	s_cbranch_vccnz .LBB466_32
; %bb.25:                               ;   in Loop: Header=BB466_6 Depth=1
	s_delay_alu instid0(VALU_DEP_2)
	v_add_co_u32 v24, vcc_lo, v2, v12
	s_wait_alu 0xfffd
	v_add_co_ci_u32_e64 v25, null, v23, v13, vcc_lo
	flat_load_b32 v26, v[24:25]
	s_wait_loadcnt_dscnt 0x0
	v_fma_f32 v26, s27, v26, v22
	flat_store_b32 v[24:25], v26
	s_cbranch_execnz .LBB466_27
.LBB466_26:                             ;   in Loop: Header=BB466_6 Depth=1
	v_add_co_u32 v12, vcc_lo, v2, v12
	s_wait_alu 0xfffd
	v_add_co_ci_u32_e64 v13, null, v23, v13, vcc_lo
	flat_store_b32 v[12:13], v22
.LBB466_27:                             ;   in Loop: Header=BB466_6 Depth=1
	s_wait_alu 0xfffe
	s_or_b32 exec_lo, exec_lo, s12
	s_and_saveexec_b32 s12, s34
	s_cbranch_execz .LBB466_5
; %bb.28:                               ;   in Loop: Header=BB466_6 Depth=1
	v_lshlrev_b64_e32 v[12:13], 2, v[4:5]
	v_mul_f32_e32 v21, s26, v21
	s_and_not1_b32 vcc_lo, exec_lo, s22
	s_wait_alu 0xfffe
	s_cbranch_vccnz .LBB466_33
; %bb.29:                               ;   in Loop: Header=BB466_6 Depth=1
	s_delay_alu instid0(VALU_DEP_2)
	v_add_co_u32 v24, vcc_lo, v2, v12
	s_wait_alu 0xfffd
	v_add_co_ci_u32_e64 v25, null, v23, v13, vcc_lo
	flat_load_b32 v22, v[24:25]
	s_wait_loadcnt_dscnt 0x0
	v_fma_f32 v22, s27, v22, v21
	flat_store_b32 v[24:25], v22
	s_cbranch_execnz .LBB466_5
	s_branch .LBB466_34
.LBB466_30:                             ;   in Loop: Header=BB466_6 Depth=1
	s_branch .LBB466_18
.LBB466_31:                             ;   in Loop: Header=BB466_6 Depth=1
	s_branch .LBB466_22
.LBB466_32:                             ;   in Loop: Header=BB466_6 Depth=1
	s_branch .LBB466_26
.LBB466_33:                             ;   in Loop: Header=BB466_6 Depth=1
.LBB466_34:                             ;   in Loop: Header=BB466_6 Depth=1
	s_delay_alu instid0(VALU_DEP_2)
	v_add_co_u32 v12, vcc_lo, v2, v12
	s_wait_alu 0xfffd
	v_add_co_ci_u32_e64 v13, null, v23, v13, vcc_lo
	flat_store_b32 v[12:13], v21
	s_branch .LBB466_5
.LBB466_35:
	s_endpgm
	.section	.rodata,"a",@progbits
	.p2align	6, 0x0
	.amdhsa_kernel _ZL29rocblas_internal_gemmt_kernelIlLi16ELi32ELi8ELc67ELc84ELc76ELb0ELb0EffPKPKfPKPfEviT_T9_T10_S7_lS9_S7_lS8_T11_S7_li
		.amdhsa_group_segment_fixed_size 2048
		.amdhsa_private_segment_fixed_size 0
		.amdhsa_kernarg_size 108
		.amdhsa_user_sgpr_count 2
		.amdhsa_user_sgpr_dispatch_ptr 0
		.amdhsa_user_sgpr_queue_ptr 0
		.amdhsa_user_sgpr_kernarg_segment_ptr 1
		.amdhsa_user_sgpr_dispatch_id 0
		.amdhsa_user_sgpr_private_segment_size 0
		.amdhsa_wavefront_size32 1
		.amdhsa_uses_dynamic_stack 0
		.amdhsa_enable_private_segment 0
		.amdhsa_system_sgpr_workgroup_id_x 1
		.amdhsa_system_sgpr_workgroup_id_y 1
		.amdhsa_system_sgpr_workgroup_id_z 1
		.amdhsa_system_sgpr_workgroup_info 0
		.amdhsa_system_vgpr_workitem_id 1
		.amdhsa_next_free_vgpr 57
		.amdhsa_next_free_sgpr 37
		.amdhsa_reserve_vcc 1
		.amdhsa_float_round_mode_32 0
		.amdhsa_float_round_mode_16_64 0
		.amdhsa_float_denorm_mode_32 3
		.amdhsa_float_denorm_mode_16_64 3
		.amdhsa_fp16_overflow 0
		.amdhsa_workgroup_processor_mode 1
		.amdhsa_memory_ordered 1
		.amdhsa_forward_progress 1
		.amdhsa_inst_pref_size 16
		.amdhsa_round_robin_scheduling 0
		.amdhsa_exception_fp_ieee_invalid_op 0
		.amdhsa_exception_fp_denorm_src 0
		.amdhsa_exception_fp_ieee_div_zero 0
		.amdhsa_exception_fp_ieee_overflow 0
		.amdhsa_exception_fp_ieee_underflow 0
		.amdhsa_exception_fp_ieee_inexact 0
		.amdhsa_exception_int_div_zero 0
	.end_amdhsa_kernel
	.section	.text._ZL29rocblas_internal_gemmt_kernelIlLi16ELi32ELi8ELc67ELc84ELc76ELb0ELb0EffPKPKfPKPfEviT_T9_T10_S7_lS9_S7_lS8_T11_S7_li,"axG",@progbits,_ZL29rocblas_internal_gemmt_kernelIlLi16ELi32ELi8ELc67ELc84ELc76ELb0ELb0EffPKPKfPKPfEviT_T9_T10_S7_lS9_S7_lS8_T11_S7_li,comdat
.Lfunc_end466:
	.size	_ZL29rocblas_internal_gemmt_kernelIlLi16ELi32ELi8ELc67ELc84ELc76ELb0ELb0EffPKPKfPKPfEviT_T9_T10_S7_lS9_S7_lS8_T11_S7_li, .Lfunc_end466-_ZL29rocblas_internal_gemmt_kernelIlLi16ELi32ELi8ELc67ELc84ELc76ELb0ELb0EffPKPKfPKPfEviT_T9_T10_S7_lS9_S7_lS8_T11_S7_li
                                        ; -- End function
	.set _ZL29rocblas_internal_gemmt_kernelIlLi16ELi32ELi8ELc67ELc84ELc76ELb0ELb0EffPKPKfPKPfEviT_T9_T10_S7_lS9_S7_lS8_T11_S7_li.num_vgpr, 57
	.set _ZL29rocblas_internal_gemmt_kernelIlLi16ELi32ELi8ELc67ELc84ELc76ELb0ELb0EffPKPKfPKPfEviT_T9_T10_S7_lS9_S7_lS8_T11_S7_li.num_agpr, 0
	.set _ZL29rocblas_internal_gemmt_kernelIlLi16ELi32ELi8ELc67ELc84ELc76ELb0ELb0EffPKPKfPKPfEviT_T9_T10_S7_lS9_S7_lS8_T11_S7_li.numbered_sgpr, 37
	.set _ZL29rocblas_internal_gemmt_kernelIlLi16ELi32ELi8ELc67ELc84ELc76ELb0ELb0EffPKPKfPKPfEviT_T9_T10_S7_lS9_S7_lS8_T11_S7_li.num_named_barrier, 0
	.set _ZL29rocblas_internal_gemmt_kernelIlLi16ELi32ELi8ELc67ELc84ELc76ELb0ELb0EffPKPKfPKPfEviT_T9_T10_S7_lS9_S7_lS8_T11_S7_li.private_seg_size, 0
	.set _ZL29rocblas_internal_gemmt_kernelIlLi16ELi32ELi8ELc67ELc84ELc76ELb0ELb0EffPKPKfPKPfEviT_T9_T10_S7_lS9_S7_lS8_T11_S7_li.uses_vcc, 1
	.set _ZL29rocblas_internal_gemmt_kernelIlLi16ELi32ELi8ELc67ELc84ELc76ELb0ELb0EffPKPKfPKPfEviT_T9_T10_S7_lS9_S7_lS8_T11_S7_li.uses_flat_scratch, 0
	.set _ZL29rocblas_internal_gemmt_kernelIlLi16ELi32ELi8ELc67ELc84ELc76ELb0ELb0EffPKPKfPKPfEviT_T9_T10_S7_lS9_S7_lS8_T11_S7_li.has_dyn_sized_stack, 0
	.set _ZL29rocblas_internal_gemmt_kernelIlLi16ELi32ELi8ELc67ELc84ELc76ELb0ELb0EffPKPKfPKPfEviT_T9_T10_S7_lS9_S7_lS8_T11_S7_li.has_recursion, 0
	.set _ZL29rocblas_internal_gemmt_kernelIlLi16ELi32ELi8ELc67ELc84ELc76ELb0ELb0EffPKPKfPKPfEviT_T9_T10_S7_lS9_S7_lS8_T11_S7_li.has_indirect_call, 0
	.section	.AMDGPU.csdata,"",@progbits
; Kernel info:
; codeLenInByte = 1948
; TotalNumSgprs: 39
; NumVgprs: 57
; ScratchSize: 0
; MemoryBound: 0
; FloatMode: 240
; IeeeMode: 1
; LDSByteSize: 2048 bytes/workgroup (compile time only)
; SGPRBlocks: 0
; VGPRBlocks: 7
; NumSGPRsForWavesPerEU: 39
; NumVGPRsForWavesPerEU: 57
; Occupancy: 16
; WaveLimiterHint : 1
; COMPUTE_PGM_RSRC2:SCRATCH_EN: 0
; COMPUTE_PGM_RSRC2:USER_SGPR: 2
; COMPUTE_PGM_RSRC2:TRAP_HANDLER: 0
; COMPUTE_PGM_RSRC2:TGID_X_EN: 1
; COMPUTE_PGM_RSRC2:TGID_Y_EN: 1
; COMPUTE_PGM_RSRC2:TGID_Z_EN: 1
; COMPUTE_PGM_RSRC2:TIDIG_COMP_CNT: 1
	.section	.text._ZL29rocblas_internal_gemmt_kernelIlLi16ELi32ELi8ELc67ELc67ELc76ELb0ELb0EffPKPKfPKPfEviT_T9_T10_S7_lS9_S7_lS8_T11_S7_li,"axG",@progbits,_ZL29rocblas_internal_gemmt_kernelIlLi16ELi32ELi8ELc67ELc67ELc76ELb0ELb0EffPKPKfPKPfEviT_T9_T10_S7_lS9_S7_lS8_T11_S7_li,comdat
	.globl	_ZL29rocblas_internal_gemmt_kernelIlLi16ELi32ELi8ELc67ELc67ELc76ELb0ELb0EffPKPKfPKPfEviT_T9_T10_S7_lS9_S7_lS8_T11_S7_li ; -- Begin function _ZL29rocblas_internal_gemmt_kernelIlLi16ELi32ELi8ELc67ELc67ELc76ELb0ELb0EffPKPKfPKPfEviT_T9_T10_S7_lS9_S7_lS8_T11_S7_li
	.p2align	8
	.type	_ZL29rocblas_internal_gemmt_kernelIlLi16ELi32ELi8ELc67ELc67ELc76ELb0ELb0EffPKPKfPKPfEviT_T9_T10_S7_lS9_S7_lS8_T11_S7_li,@function
_ZL29rocblas_internal_gemmt_kernelIlLi16ELi32ELi8ELc67ELc67ELc76ELb0ELb0EffPKPKfPKPfEviT_T9_T10_S7_lS9_S7_lS8_T11_S7_li: ; @_ZL29rocblas_internal_gemmt_kernelIlLi16ELi32ELi8ELc67ELc67ELc76ELb0ELb0EffPKPKfPKPfEviT_T9_T10_S7_lS9_S7_lS8_T11_S7_li
; %bb.0:
	s_clause 0x1
	s_load_b32 s27, s[0:1], 0x48
	s_load_b96 s[24:26], s[0:1], 0x8
	s_wait_kmcnt 0x0
	s_cmp_neq_f32 s27, 1.0
	s_cselect_b32 s2, -1, 0
	s_delay_alu instid0(SALU_CYCLE_1)
	s_and_b32 vcc_lo, exec_lo, s2
	s_cbranch_vccnz .LBB467_2
; %bb.1:
	s_cmp_lg_u64 s[24:25], 0
	s_cselect_b32 s2, -1, 0
	s_cmp_neq_f32 s26, 0
	s_cselect_b32 s3, -1, 0
	s_delay_alu instid0(SALU_CYCLE_1)
	s_and_b32 s2, s2, s3
.LBB467_2:
	s_delay_alu instid0(SALU_CYCLE_1)
	s_and_not1_b32 vcc_lo, exec_lo, s2
	s_cbranch_vccnz .LBB467_35
; %bb.3:
	s_load_b32 s30, s[0:1], 0x68
	s_lshr_b32 s6, ttmp7, 16
	s_wait_kmcnt 0x0
	s_cmp_ge_u32 s6, s30
	s_cbranch_scc1 .LBB467_35
; %bb.4:
	s_clause 0x3
	s_load_b32 s4, s[0:1], 0x0
	s_load_b128 s[16:19], s[0:1], 0x38
	s_load_b128 s[20:23], s[0:1], 0x50
	s_load_b64 s[28:29], s[0:1], 0x60
	v_bfe_u32 v5, v0, 10, 10
	s_load_b256 s[8:15], s[0:1], 0x18
	s_lshl_b32 s0, ttmp7, 5
	v_and_b32_e32 v14, 7, v0
	s_and_b32 s0, s0, 0x1fffe0
	s_lshl_b32 s2, ttmp9, 5
	v_add_nc_u32_e32 v12, s0, v5
	s_cmp_neq_f32 s26, 0
	v_cmp_gt_i64_e64 s36, s[24:25], 0
	v_lshl_add_u32 v19, v5, 5, 0x400
	s_mov_b32 s7, 0
	s_cselect_b32 s35, -1, 0
	s_ashr_i32 s1, s2, 31
	v_add_nc_u32_e32 v20, 16, v12
	s_cmp_neq_f32 s27, 0
	s_wait_kmcnt 0x0
	v_mad_co_u64_u32 v[8:9], null, s22, v12, 0
	v_and_b32_e32 v4, 0x3ff, v0
	s_wait_alu 0xfffe
	s_mul_i32 s1, s10, s1
	s_delay_alu instid0(VALU_DEP_1) | instskip(NEXT) | instid1(VALU_DEP_1)
	v_lshl_add_u32 v0, v5, 4, v4
	v_lshrrev_b32_e32 v15, 5, v0
	v_lshrrev_b32_e32 v1, 3, v0
	v_and_b32_e32 v0, 31, v0
	s_delay_alu instid0(VALU_DEP_2) | instskip(NEXT) | instid1(VALU_DEP_2)
	v_add_nc_u32_e32 v13, s0, v1
	v_or_b32_e32 v2, s2, v0
	s_delay_alu instid0(VALU_DEP_1) | instskip(SKIP_3) | instid1(VALU_DEP_2)
	v_mul_lo_u32 v3, s11, v2
	v_mad_co_u64_u32 v[6:7], null, s10, v2, 0
	v_cmp_gt_i32_e64 s0, s4, v2
	s_wait_alu 0xfffe
	v_add3_u32 v7, v7, s1, v3
	v_dual_mov_b32 v3, 0 :: v_dual_lshlrev_b32 v10, 2, v14
	v_cmp_gt_i32_e64 s1, s4, v13
	s_delay_alu instid0(VALU_DEP_3) | instskip(NEXT) | instid1(VALU_DEP_3)
	v_lshlrev_b64_e32 v[6:7], 2, v[6:7]
	v_lshl_or_b32 v2, v1, 5, v10
	v_mov_b32_e32 v1, v9
	v_mad_co_u64_u32 v[10:11], null, s22, v20, 0
	v_lshlrev_b32_e32 v18, 2, v4
	s_delay_alu instid0(VALU_DEP_4) | instskip(NEXT) | instid1(VALU_DEP_4)
	v_add_nc_u32_e32 v17, 0x400, v2
	v_mad_co_u64_u32 v[1:2], null, s23, v12, v[1:2]
	s_cselect_b32 s22, -1, 0
	s_and_b32 s35, s35, s36
	s_lshl_b64 s[10:11], s[28:29], 2
	v_dual_mov_b32 v9, v1 :: v_dual_lshlrev_b32 v0, 2, v0
	v_mov_b32_e32 v1, v11
	s_delay_alu instid0(VALU_DEP_2) | instskip(NEXT) | instid1(VALU_DEP_3)
	v_lshlrev_b64_e32 v[8:9], 2, v[8:9]
	v_lshl_or_b32 v16, v15, 7, v0
	v_add_nc_u32_e32 v0, s2, v4
	s_delay_alu instid0(VALU_DEP_1) | instskip(SKIP_2) | instid1(VALU_DEP_3)
	v_add_nc_u32_e32 v4, 16, v0
	v_cmp_le_i32_e32 vcc_lo, v12, v0
	v_cmp_gt_i32_e64 s2, s4, v0
	v_cmp_le_i32_e64 s3, v12, v4
	v_mad_co_u64_u32 v[11:12], null, s23, v20, v[1:2]
	v_cmp_gt_i32_e64 s4, s4, v4
	s_and_b32 s23, vcc_lo, s2
	v_cmp_le_i32_e32 vcc_lo, v20, v0
	v_cmp_le_i32_e64 s5, v20, v4
	v_ashrrev_i32_e32 v1, 31, v0
	v_ashrrev_i32_e32 v5, 31, v4
	v_lshlrev_b64_e32 v[10:11], 2, v[10:11]
	v_lshlrev_b32_e32 v20, 2, v13
	s_and_b32 s31, s3, s4
	s_and_b32 s33, vcc_lo, s2
	s_and_b32 s34, s5, s4
	s_lshl_b64 s[2:3], s[18:19], 2
	s_lshl_b64 s[4:5], s[12:13], 2
	s_branch .LBB467_6
.LBB467_5:                              ;   in Loop: Header=BB467_6 Depth=1
	s_wait_alu 0xfffe
	s_or_b32 exec_lo, exec_lo, s12
	s_add_co_i32 s6, s6, 0x10000
	s_delay_alu instid0(SALU_CYCLE_1)
	s_cmp_lt_u32 s6, s30
	s_cbranch_scc0 .LBB467_35
.LBB467_6:                              ; =>This Loop Header: Depth=1
                                        ;     Child Loop BB467_9 Depth 2
	s_lshl_b64 s[12:13], s[6:7], 3
	v_dual_mov_b32 v24, v3 :: v_dual_mov_b32 v23, v3
	s_wait_alu 0xfffe
	s_add_nc_u64 s[18:19], s[20:21], s[12:13]
	v_dual_mov_b32 v22, v3 :: v_dual_mov_b32 v21, v3
	global_load_b64 v[12:13], v3, s[18:19]
	s_and_not1_b32 vcc_lo, exec_lo, s35
	s_wait_alu 0xfffe
	s_cbranch_vccnz .LBB467_15
; %bb.7:                                ;   in Loop: Header=BB467_6 Depth=1
	s_add_nc_u64 s[18:19], s[8:9], s[12:13]
	s_add_nc_u64 s[12:13], s[14:15], s[12:13]
	s_clause 0x1
	global_load_b64 v[24:25], v3, s[18:19]
	global_load_b64 v[26:27], v3, s[12:13]
	v_dual_mov_b32 v21, 0 :: v_dual_mov_b32 v22, 0
	v_mov_b32_e32 v23, 0
	s_mov_b64 s[12:13], 0
	s_wait_loadcnt 0x1
	v_add_co_u32 v2, vcc_lo, v24, s4
	s_wait_alu 0xfffd
	v_add_co_ci_u32_e64 v24, null, s5, v25, vcc_lo
	s_wait_loadcnt 0x0
	v_add_co_u32 v28, vcc_lo, v26, s2
	s_wait_alu 0xfffd
	v_add_co_ci_u32_e64 v29, null, s3, v27, vcc_lo
	v_add_co_u32 v25, vcc_lo, v2, v6
	s_wait_alu 0xfffd
	v_add_co_ci_u32_e64 v26, null, v24, v7, vcc_lo
	;; [unrolled: 3-line block ×3, first 2 shown]
	v_mov_b32_e32 v24, 0
	s_branch .LBB467_9
.LBB467_8:                              ;   in Loop: Header=BB467_9 Depth=2
	s_or_b32 exec_lo, exec_lo, s18
	s_wait_loadcnt_dscnt 0x0
	ds_store_b32 v17, v30
	s_wait_dscnt 0x0
	s_barrier_signal -1
	s_barrier_wait -1
	global_inv scope:SCOPE_SE
	ds_load_b128 v[29:32], v19
	ds_load_2addr_b32 v[45:46], v18 offset1:16
	ds_load_b128 v[33:36], v19 offset:512
	ds_load_2addr_b32 v[47:48], v18 offset0:32 offset1:48
	ds_load_2addr_b32 v[49:50], v18 offset0:64 offset1:80
	;; [unrolled: 1-line block ×3, first 2 shown]
	ds_load_b128 v[37:40], v19 offset:16
	ds_load_2addr_b32 v[53:54], v18 offset0:128 offset1:144
	ds_load_b128 v[41:44], v19 offset:528
	ds_load_2addr_b32 v[55:56], v18 offset0:160 offset1:176
	s_add_nc_u64 s[12:13], s[12:13], 8
	s_wait_alu 0xfffe
	v_cmp_gt_i64_e64 s18, s[24:25], s[12:13]
	s_and_b32 vcc_lo, exec_lo, s18
	s_wait_dscnt 0x8
	v_fmac_f32_e32 v23, v46, v29
	v_fmac_f32_e32 v24, v45, v29
	s_wait_dscnt 0x7
	v_fmac_f32_e32 v21, v46, v33
	v_fmac_f32_e32 v22, v45, v33
	ds_load_2addr_b32 v[45:46], v18 offset0:192 offset1:208
	s_wait_dscnt 0x7
	v_fmac_f32_e32 v23, v48, v30
	v_fmac_f32_e32 v24, v47, v30
	;; [unrolled: 1-line block ×4, first 2 shown]
	ds_load_2addr_b32 v[29:30], v18 offset0:224 offset1:240
	s_wait_dscnt 0x7
	v_fmac_f32_e32 v23, v50, v31
	v_fmac_f32_e32 v24, v49, v31
	;; [unrolled: 1-line block ×4, first 2 shown]
	s_wait_loadcnt_dscnt 0x0
	v_fmac_f32_e32 v23, v52, v32
	v_fmac_f32_e32 v24, v51, v32
	v_fmac_f32_e32 v21, v52, v36
	v_fmac_f32_e32 v22, v51, v36
	s_barrier_signal -1
	v_fmac_f32_e32 v23, v54, v37
	v_fmac_f32_e32 v24, v53, v37
	;; [unrolled: 1-line block ×4, first 2 shown]
	s_barrier_wait -1
	v_fmac_f32_e32 v23, v56, v38
	v_fmac_f32_e32 v24, v55, v38
	;; [unrolled: 1-line block ×4, first 2 shown]
	global_inv scope:SCOPE_SE
	v_fmac_f32_e32 v23, v46, v39
	v_fmac_f32_e32 v24, v45, v39
	;; [unrolled: 1-line block ×3, first 2 shown]
	s_delay_alu instid0(VALU_DEP_3) | instskip(NEXT) | instid1(VALU_DEP_3)
	v_dual_fmac_f32 v22, v45, v43 :: v_dual_fmac_f32 v23, v30, v40
	v_fmac_f32_e32 v24, v29, v40
	s_delay_alu instid0(VALU_DEP_3) | instskip(NEXT) | instid1(VALU_DEP_3)
	v_fmac_f32_e32 v21, v30, v44
	v_fmac_f32_e32 v22, v29, v44
	s_wait_alu 0xfffe
	s_cbranch_vccz .LBB467_15
.LBB467_9:                              ;   Parent Loop BB467_6 Depth=1
                                        ; =>  This Inner Loop Header: Depth=2
	v_mov_b32_e32 v29, 0
	s_and_saveexec_b32 s18, s0
	s_cbranch_execz .LBB467_13
; %bb.10:                               ;   in Loop: Header=BB467_9 Depth=2
	s_wait_alu 0xfffe
	v_dual_mov_b32 v29, 0 :: v_dual_add_nc_u32 v2, s12, v15
	s_mov_b32 s19, exec_lo
	s_delay_alu instid0(VALU_DEP_1)
	v_cmpx_gt_u64_e64 s[24:25], v[2:3]
	s_cbranch_execz .LBB467_12
; %bb.11:                               ;   in Loop: Header=BB467_9 Depth=2
	v_lshlrev_b64_e32 v[29:30], 2, v[2:3]
	s_delay_alu instid0(VALU_DEP_1) | instskip(SKIP_1) | instid1(VALU_DEP_2)
	v_add_co_u32 v29, vcc_lo, v25, v29
	s_wait_alu 0xfffd
	v_add_co_ci_u32_e64 v30, null, v26, v30, vcc_lo
	flat_load_b32 v29, v[29:30]
.LBB467_12:                             ;   in Loop: Header=BB467_9 Depth=2
	s_or_b32 exec_lo, exec_lo, s19
.LBB467_13:                             ;   in Loop: Header=BB467_9 Depth=2
	s_delay_alu instid0(SALU_CYCLE_1)
	s_or_b32 exec_lo, exec_lo, s18
	s_wait_alu 0xfffe
	v_add_nc_u32_e32 v2, s12, v14
	v_mov_b32_e32 v30, 0
	s_wait_loadcnt_dscnt 0x0
	ds_store_b32 v16, v29
	v_cmp_gt_u64_e32 vcc_lo, s[24:25], v[2:3]
	s_and_b32 s19, vcc_lo, s1
	s_delay_alu instid0(SALU_CYCLE_1)
	s_and_saveexec_b32 s18, s19
	s_cbranch_execz .LBB467_8
; %bb.14:                               ;   in Loop: Header=BB467_9 Depth=2
	v_mad_co_u64_u32 v[29:30], null, s16, v2, 0
	s_delay_alu instid0(VALU_DEP_1) | instskip(NEXT) | instid1(VALU_DEP_1)
	v_mad_co_u64_u32 v[30:31], null, s17, v2, v[30:31]
	v_lshlrev_b64_e32 v[29:30], 2, v[29:30]
	s_delay_alu instid0(VALU_DEP_1) | instskip(SKIP_1) | instid1(VALU_DEP_2)
	v_add_co_u32 v29, vcc_lo, v27, v29
	s_wait_alu 0xfffd
	v_add_co_ci_u32_e64 v30, null, v28, v30, vcc_lo
	flat_load_b32 v30, v[29:30]
	s_branch .LBB467_8
.LBB467_15:                             ;   in Loop: Header=BB467_6 Depth=1
	s_wait_loadcnt 0x0
	s_wait_alu 0xfffe
	v_add_co_u32 v2, vcc_lo, v12, s10
	s_wait_alu 0xfffd
	v_add_co_ci_u32_e64 v12, null, s11, v13, vcc_lo
	s_delay_alu instid0(VALU_DEP_2) | instskip(SKIP_1) | instid1(VALU_DEP_2)
	v_add_co_u32 v13, vcc_lo, v2, v8
	s_wait_alu 0xfffd
	v_add_co_ci_u32_e64 v25, null, v12, v9, vcc_lo
	s_and_saveexec_b32 s12, s23
	s_cbranch_execz .LBB467_19
; %bb.16:                               ;   in Loop: Header=BB467_6 Depth=1
	v_mul_f32_e32 v24, s26, v24
	s_and_b32 vcc_lo, exec_lo, s22
	s_wait_alu 0xfffe
	s_cbranch_vccz .LBB467_30
; %bb.17:                               ;   in Loop: Header=BB467_6 Depth=1
	v_lshlrev_b64_e32 v[26:27], 2, v[0:1]
	s_delay_alu instid0(VALU_DEP_1) | instskip(SKIP_1) | instid1(VALU_DEP_2)
	v_add_co_u32 v26, vcc_lo, v13, v26
	s_wait_alu 0xfffd
	v_add_co_ci_u32_e64 v27, null, v25, v27, vcc_lo
	flat_load_b32 v28, v[26:27]
	s_wait_loadcnt_dscnt 0x0
	v_fma_f32 v28, s27, v28, v24
	flat_store_b32 v[26:27], v28
	s_cbranch_execnz .LBB467_19
.LBB467_18:                             ;   in Loop: Header=BB467_6 Depth=1
	v_lshlrev_b64_e32 v[26:27], 2, v[0:1]
	s_delay_alu instid0(VALU_DEP_1) | instskip(SKIP_1) | instid1(VALU_DEP_2)
	v_add_co_u32 v26, vcc_lo, v13, v26
	s_wait_alu 0xfffd
	v_add_co_ci_u32_e64 v27, null, v25, v27, vcc_lo
	flat_store_b32 v[26:27], v24
.LBB467_19:                             ;   in Loop: Header=BB467_6 Depth=1
	s_wait_alu 0xfffe
	s_or_b32 exec_lo, exec_lo, s12
	s_and_saveexec_b32 s12, s31
	s_cbranch_execz .LBB467_23
; %bb.20:                               ;   in Loop: Header=BB467_6 Depth=1
	v_mul_f32_e32 v23, s26, v23
	s_and_not1_b32 vcc_lo, exec_lo, s22
	s_wait_alu 0xfffe
	s_cbranch_vccnz .LBB467_31
; %bb.21:                               ;   in Loop: Header=BB467_6 Depth=1
	v_lshlrev_b64_e32 v[26:27], 2, v[4:5]
	s_delay_alu instid0(VALU_DEP_1) | instskip(SKIP_1) | instid1(VALU_DEP_2)
	v_add_co_u32 v26, vcc_lo, v13, v26
	s_wait_alu 0xfffd
	v_add_co_ci_u32_e64 v27, null, v25, v27, vcc_lo
	flat_load_b32 v24, v[26:27]
	s_wait_loadcnt_dscnt 0x0
	v_fma_f32 v24, s27, v24, v23
	flat_store_b32 v[26:27], v24
	s_cbranch_execnz .LBB467_23
.LBB467_22:                             ;   in Loop: Header=BB467_6 Depth=1
	v_lshlrev_b64_e32 v[26:27], 2, v[4:5]
	s_delay_alu instid0(VALU_DEP_1) | instskip(SKIP_1) | instid1(VALU_DEP_2)
	v_add_co_u32 v24, vcc_lo, v13, v26
	s_wait_alu 0xfffd
	v_add_co_ci_u32_e64 v25, null, v25, v27, vcc_lo
	flat_store_b32 v[24:25], v23
.LBB467_23:                             ;   in Loop: Header=BB467_6 Depth=1
	s_wait_alu 0xfffe
	s_or_b32 exec_lo, exec_lo, s12
	v_add_co_u32 v2, vcc_lo, v2, v10
	s_wait_alu 0xfffd
	v_add_co_ci_u32_e64 v23, null, v12, v11, vcc_lo
	s_and_saveexec_b32 s12, s33
	s_cbranch_execz .LBB467_27
; %bb.24:                               ;   in Loop: Header=BB467_6 Depth=1
	v_lshlrev_b64_e32 v[12:13], 2, v[0:1]
	v_mul_f32_e32 v22, s26, v22
	s_and_not1_b32 vcc_lo, exec_lo, s22
	s_wait_alu 0xfffe
	s_cbranch_vccnz .LBB467_32
; %bb.25:                               ;   in Loop: Header=BB467_6 Depth=1
	s_delay_alu instid0(VALU_DEP_2)
	v_add_co_u32 v24, vcc_lo, v2, v12
	s_wait_alu 0xfffd
	v_add_co_ci_u32_e64 v25, null, v23, v13, vcc_lo
	flat_load_b32 v26, v[24:25]
	s_wait_loadcnt_dscnt 0x0
	v_fma_f32 v26, s27, v26, v22
	flat_store_b32 v[24:25], v26
	s_cbranch_execnz .LBB467_27
.LBB467_26:                             ;   in Loop: Header=BB467_6 Depth=1
	v_add_co_u32 v12, vcc_lo, v2, v12
	s_wait_alu 0xfffd
	v_add_co_ci_u32_e64 v13, null, v23, v13, vcc_lo
	flat_store_b32 v[12:13], v22
.LBB467_27:                             ;   in Loop: Header=BB467_6 Depth=1
	s_wait_alu 0xfffe
	s_or_b32 exec_lo, exec_lo, s12
	s_and_saveexec_b32 s12, s34
	s_cbranch_execz .LBB467_5
; %bb.28:                               ;   in Loop: Header=BB467_6 Depth=1
	v_lshlrev_b64_e32 v[12:13], 2, v[4:5]
	v_mul_f32_e32 v21, s26, v21
	s_and_not1_b32 vcc_lo, exec_lo, s22
	s_wait_alu 0xfffe
	s_cbranch_vccnz .LBB467_33
; %bb.29:                               ;   in Loop: Header=BB467_6 Depth=1
	s_delay_alu instid0(VALU_DEP_2)
	v_add_co_u32 v24, vcc_lo, v2, v12
	s_wait_alu 0xfffd
	v_add_co_ci_u32_e64 v25, null, v23, v13, vcc_lo
	flat_load_b32 v22, v[24:25]
	s_wait_loadcnt_dscnt 0x0
	v_fma_f32 v22, s27, v22, v21
	flat_store_b32 v[24:25], v22
	s_cbranch_execnz .LBB467_5
	s_branch .LBB467_34
.LBB467_30:                             ;   in Loop: Header=BB467_6 Depth=1
	s_branch .LBB467_18
.LBB467_31:                             ;   in Loop: Header=BB467_6 Depth=1
	s_branch .LBB467_22
.LBB467_32:                             ;   in Loop: Header=BB467_6 Depth=1
	s_branch .LBB467_26
.LBB467_33:                             ;   in Loop: Header=BB467_6 Depth=1
.LBB467_34:                             ;   in Loop: Header=BB467_6 Depth=1
	s_delay_alu instid0(VALU_DEP_2)
	v_add_co_u32 v12, vcc_lo, v2, v12
	s_wait_alu 0xfffd
	v_add_co_ci_u32_e64 v13, null, v23, v13, vcc_lo
	flat_store_b32 v[12:13], v21
	s_branch .LBB467_5
.LBB467_35:
	s_endpgm
	.section	.rodata,"a",@progbits
	.p2align	6, 0x0
	.amdhsa_kernel _ZL29rocblas_internal_gemmt_kernelIlLi16ELi32ELi8ELc67ELc67ELc76ELb0ELb0EffPKPKfPKPfEviT_T9_T10_S7_lS9_S7_lS8_T11_S7_li
		.amdhsa_group_segment_fixed_size 2048
		.amdhsa_private_segment_fixed_size 0
		.amdhsa_kernarg_size 108
		.amdhsa_user_sgpr_count 2
		.amdhsa_user_sgpr_dispatch_ptr 0
		.amdhsa_user_sgpr_queue_ptr 0
		.amdhsa_user_sgpr_kernarg_segment_ptr 1
		.amdhsa_user_sgpr_dispatch_id 0
		.amdhsa_user_sgpr_private_segment_size 0
		.amdhsa_wavefront_size32 1
		.amdhsa_uses_dynamic_stack 0
		.amdhsa_enable_private_segment 0
		.amdhsa_system_sgpr_workgroup_id_x 1
		.amdhsa_system_sgpr_workgroup_id_y 1
		.amdhsa_system_sgpr_workgroup_id_z 1
		.amdhsa_system_sgpr_workgroup_info 0
		.amdhsa_system_vgpr_workitem_id 1
		.amdhsa_next_free_vgpr 57
		.amdhsa_next_free_sgpr 37
		.amdhsa_reserve_vcc 1
		.amdhsa_float_round_mode_32 0
		.amdhsa_float_round_mode_16_64 0
		.amdhsa_float_denorm_mode_32 3
		.amdhsa_float_denorm_mode_16_64 3
		.amdhsa_fp16_overflow 0
		.amdhsa_workgroup_processor_mode 1
		.amdhsa_memory_ordered 1
		.amdhsa_forward_progress 1
		.amdhsa_inst_pref_size 16
		.amdhsa_round_robin_scheduling 0
		.amdhsa_exception_fp_ieee_invalid_op 0
		.amdhsa_exception_fp_denorm_src 0
		.amdhsa_exception_fp_ieee_div_zero 0
		.amdhsa_exception_fp_ieee_overflow 0
		.amdhsa_exception_fp_ieee_underflow 0
		.amdhsa_exception_fp_ieee_inexact 0
		.amdhsa_exception_int_div_zero 0
	.end_amdhsa_kernel
	.section	.text._ZL29rocblas_internal_gemmt_kernelIlLi16ELi32ELi8ELc67ELc67ELc76ELb0ELb0EffPKPKfPKPfEviT_T9_T10_S7_lS9_S7_lS8_T11_S7_li,"axG",@progbits,_ZL29rocblas_internal_gemmt_kernelIlLi16ELi32ELi8ELc67ELc67ELc76ELb0ELb0EffPKPKfPKPfEviT_T9_T10_S7_lS9_S7_lS8_T11_S7_li,comdat
.Lfunc_end467:
	.size	_ZL29rocblas_internal_gemmt_kernelIlLi16ELi32ELi8ELc67ELc67ELc76ELb0ELb0EffPKPKfPKPfEviT_T9_T10_S7_lS9_S7_lS8_T11_S7_li, .Lfunc_end467-_ZL29rocblas_internal_gemmt_kernelIlLi16ELi32ELi8ELc67ELc67ELc76ELb0ELb0EffPKPKfPKPfEviT_T9_T10_S7_lS9_S7_lS8_T11_S7_li
                                        ; -- End function
	.set _ZL29rocblas_internal_gemmt_kernelIlLi16ELi32ELi8ELc67ELc67ELc76ELb0ELb0EffPKPKfPKPfEviT_T9_T10_S7_lS9_S7_lS8_T11_S7_li.num_vgpr, 57
	.set _ZL29rocblas_internal_gemmt_kernelIlLi16ELi32ELi8ELc67ELc67ELc76ELb0ELb0EffPKPKfPKPfEviT_T9_T10_S7_lS9_S7_lS8_T11_S7_li.num_agpr, 0
	.set _ZL29rocblas_internal_gemmt_kernelIlLi16ELi32ELi8ELc67ELc67ELc76ELb0ELb0EffPKPKfPKPfEviT_T9_T10_S7_lS9_S7_lS8_T11_S7_li.numbered_sgpr, 37
	.set _ZL29rocblas_internal_gemmt_kernelIlLi16ELi32ELi8ELc67ELc67ELc76ELb0ELb0EffPKPKfPKPfEviT_T9_T10_S7_lS9_S7_lS8_T11_S7_li.num_named_barrier, 0
	.set _ZL29rocblas_internal_gemmt_kernelIlLi16ELi32ELi8ELc67ELc67ELc76ELb0ELb0EffPKPKfPKPfEviT_T9_T10_S7_lS9_S7_lS8_T11_S7_li.private_seg_size, 0
	.set _ZL29rocblas_internal_gemmt_kernelIlLi16ELi32ELi8ELc67ELc67ELc76ELb0ELb0EffPKPKfPKPfEviT_T9_T10_S7_lS9_S7_lS8_T11_S7_li.uses_vcc, 1
	.set _ZL29rocblas_internal_gemmt_kernelIlLi16ELi32ELi8ELc67ELc67ELc76ELb0ELb0EffPKPKfPKPfEviT_T9_T10_S7_lS9_S7_lS8_T11_S7_li.uses_flat_scratch, 0
	.set _ZL29rocblas_internal_gemmt_kernelIlLi16ELi32ELi8ELc67ELc67ELc76ELb0ELb0EffPKPKfPKPfEviT_T9_T10_S7_lS9_S7_lS8_T11_S7_li.has_dyn_sized_stack, 0
	.set _ZL29rocblas_internal_gemmt_kernelIlLi16ELi32ELi8ELc67ELc67ELc76ELb0ELb0EffPKPKfPKPfEviT_T9_T10_S7_lS9_S7_lS8_T11_S7_li.has_recursion, 0
	.set _ZL29rocblas_internal_gemmt_kernelIlLi16ELi32ELi8ELc67ELc67ELc76ELb0ELb0EffPKPKfPKPfEviT_T9_T10_S7_lS9_S7_lS8_T11_S7_li.has_indirect_call, 0
	.section	.AMDGPU.csdata,"",@progbits
; Kernel info:
; codeLenInByte = 1948
; TotalNumSgprs: 39
; NumVgprs: 57
; ScratchSize: 0
; MemoryBound: 0
; FloatMode: 240
; IeeeMode: 1
; LDSByteSize: 2048 bytes/workgroup (compile time only)
; SGPRBlocks: 0
; VGPRBlocks: 7
; NumSGPRsForWavesPerEU: 39
; NumVGPRsForWavesPerEU: 57
; Occupancy: 16
; WaveLimiterHint : 1
; COMPUTE_PGM_RSRC2:SCRATCH_EN: 0
; COMPUTE_PGM_RSRC2:USER_SGPR: 2
; COMPUTE_PGM_RSRC2:TRAP_HANDLER: 0
; COMPUTE_PGM_RSRC2:TGID_X_EN: 1
; COMPUTE_PGM_RSRC2:TGID_Y_EN: 1
; COMPUTE_PGM_RSRC2:TGID_Z_EN: 1
; COMPUTE_PGM_RSRC2:TIDIG_COMP_CNT: 1
	.section	.text._ZL29rocblas_internal_gemmt_kernelIlLi16ELi32ELi8ELc78ELc78ELc85ELb0ELb0EdPKdPKS1_PKPdEviT_T9_T10_S7_lS9_S7_lS8_T11_S7_li,"axG",@progbits,_ZL29rocblas_internal_gemmt_kernelIlLi16ELi32ELi8ELc78ELc78ELc85ELb0ELb0EdPKdPKS1_PKPdEviT_T9_T10_S7_lS9_S7_lS8_T11_S7_li,comdat
	.globl	_ZL29rocblas_internal_gemmt_kernelIlLi16ELi32ELi8ELc78ELc78ELc85ELb0ELb0EdPKdPKS1_PKPdEviT_T9_T10_S7_lS9_S7_lS8_T11_S7_li ; -- Begin function _ZL29rocblas_internal_gemmt_kernelIlLi16ELi32ELi8ELc78ELc78ELc85ELb0ELb0EdPKdPKS1_PKPdEviT_T9_T10_S7_lS9_S7_lS8_T11_S7_li
	.p2align	8
	.type	_ZL29rocblas_internal_gemmt_kernelIlLi16ELi32ELi8ELc78ELc78ELc85ELb0ELb0EdPKdPKS1_PKPdEviT_T9_T10_S7_lS9_S7_lS8_T11_S7_li,@function
_ZL29rocblas_internal_gemmt_kernelIlLi16ELi32ELi8ELc78ELc78ELc85ELb0ELb0EdPKdPKS1_PKPdEviT_T9_T10_S7_lS9_S7_lS8_T11_S7_li: ; @_ZL29rocblas_internal_gemmt_kernelIlLi16ELi32ELi8ELc78ELc78ELc85ELb0ELb0EdPKdPKS1_PKPdEviT_T9_T10_S7_lS9_S7_lS8_T11_S7_li
; %bb.0:
	s_clause 0x1
	s_load_b256 s[24:31], s[0:1], 0x48
	s_load_b512 s[8:23], s[0:1], 0x8
	s_wait_kmcnt 0x0
	s_load_b64 s[6:7], s[24:25], 0x0
	s_load_b64 s[10:11], s[10:11], 0x0
	s_wait_kmcnt 0x0
	v_cmp_neq_f64_e64 s2, s[6:7], 1.0
	s_and_b32 vcc_lo, exec_lo, s2
	s_cbranch_vccnz .LBB468_2
; %bb.1:
	v_cmp_neq_f64_e64 s2, s[10:11], 0
	s_cmp_lg_u64 s[8:9], 0
	s_cselect_b32 s3, -1, 0
	s_delay_alu instid0(SALU_CYCLE_1)
	s_and_b32 s2, s3, s2
.LBB468_2:
	s_delay_alu instid0(SALU_CYCLE_1)
	s_and_not1_b32 vcc_lo, exec_lo, s2
	s_cbranch_vccnz .LBB468_35
; %bb.3:
	s_load_b32 s33, s[0:1], 0x68
	s_lshr_b32 s24, ttmp7, 16
	s_wait_kmcnt 0x0
	s_cmp_ge_u32 s24, s33
	s_cbranch_scc1 .LBB468_35
; %bb.4:
	v_bfe_u32 v5, v0, 10, 10
	s_load_b32 s3, s[0:1], 0x0
	s_lshl_b32 s1, ttmp7, 5
	s_lshl_b32 s0, ttmp9, 5
	s_and_b32 s1, s1, 0x1fffe0
	v_cmp_neq_f64_e64 s37, s[10:11], 0
	v_add_nc_u32_e32 v15, s1, v5
	v_cmp_neq_f64_e64 s34, s[6:7], 0
	v_lshl_add_u32 v33, v5, 6, 0x800
	v_cmp_gt_i64_e64 s38, s[8:9], 0
	s_mov_b32 s25, 0
	v_mad_co_u64_u32 v[10:11], null, s28, v15, 0
	v_and_b32_e32 v1, 0x3ff, v0
	v_add_nc_u32_e32 v16, 16, v15
	s_delay_alu instid0(VALU_DEP_2) | instskip(NEXT) | instid1(VALU_DEP_2)
	v_lshl_add_u32 v2, v5, 4, v1
	v_mad_co_u64_u32 v[12:13], null, s28, v16, 0
	v_lshlrev_b32_e32 v29, 3, v1
	s_wait_kmcnt 0x0
	v_cmp_gt_i32_e32 vcc_lo, s3, v15
	v_lshrrev_b32_e32 v3, 3, v2
	v_lshrrev_b32_e32 v30, 5, v2
	s_delay_alu instid0(VALU_DEP_2) | instskip(NEXT) | instid1(VALU_DEP_1)
	v_add_nc_u32_e32 v14, s1, v3
	v_mad_co_u64_u32 v[8:9], null, s20, v14, 0
	v_and_b32_e32 v28, 7, v0
	v_add_nc_u32_e32 v0, s0, v1
	v_dual_mov_b32 v2, v11 :: v_dual_and_b32 v1, 31, v2
	s_delay_alu instid0(VALU_DEP_1) | instskip(SKIP_3) | instid1(VALU_DEP_3)
	v_or_b32_e32 v6, s0, v1
	v_lshlrev_b32_e32 v7, 3, v1
	v_dual_mov_b32 v1, v9 :: v_dual_lshlrev_b32 v4, 3, v28
	s_and_b32 s37, s37, s38
	v_cmp_gt_i32_e64 s0, s3, v6
	s_delay_alu instid0(VALU_DEP_3) | instskip(SKIP_3) | instid1(VALU_DEP_3)
	v_lshl_or_b32 v31, v30, 8, v7
	v_ashrrev_i32_e32 v7, 31, v6
	v_lshl_or_b32 v17, v3, 6, v4
	v_mad_co_u64_u32 v[3:4], null, s21, v14, v[1:2]
	v_lshlrev_b64_e32 v[6:7], 3, v[6:7]
	s_delay_alu instid0(VALU_DEP_3) | instskip(NEXT) | instid1(VALU_DEP_3)
	v_add_nc_u32_e32 v32, 0x800, v17
	v_mad_co_u64_u32 v[1:2], null, s29, v15, v[2:3]
	v_mov_b32_e32 v9, v3
	v_mov_b32_e32 v3, v13
	v_cmp_gt_i32_e64 s1, s3, v14
	s_delay_alu instid0(VALU_DEP_3) | instskip(NEXT) | instid1(VALU_DEP_3)
	v_lshlrev_b64_e32 v[8:9], 3, v[8:9]
	v_mad_co_u64_u32 v[4:5], null, s29, v16, v[3:4]
	v_mov_b32_e32 v11, v1
	v_cmp_le_i32_e64 s2, v0, v15
	v_add_nc_u32_e32 v2, 16, v0
	v_ashrrev_i32_e32 v1, 31, v0
	v_mov_b32_e32 v5, 0
	v_lshlrev_b64_e32 v[10:11], 3, v[10:11]
	v_mov_b32_e32 v13, v4
	s_and_b32 s28, vcc_lo, s2
	v_cmp_le_i32_e64 s2, v2, v15
	v_cmp_gt_i32_e64 s3, s3, v16
	v_cmp_le_i32_e64 s4, v0, v16
	v_cmp_le_i32_e64 s5, v2, v16
	v_lshlrev_b64_e32 v[12:13], 3, v[12:13]
	v_ashrrev_i32_e32 v3, 31, v2
	s_and_b32 s29, vcc_lo, s2
	s_and_b32 s35, s3, s4
	s_and_b32 s36, s3, s5
	s_lshl_b64 s[2:3], s[22:23], 3
	s_lshl_b64 s[4:5], s[16:17], 3
	;; [unrolled: 1-line block ×3, first 2 shown]
	s_branch .LBB468_6
.LBB468_5:                              ;   in Loop: Header=BB468_6 Depth=1
	s_wait_alu 0xfffe
	s_or_b32 exec_lo, exec_lo, s20
	s_add_co_i32 s24, s24, 0x10000
	s_delay_alu instid0(SALU_CYCLE_1)
	s_cmp_lt_u32 s24, s33
	s_cbranch_scc0 .LBB468_35
.LBB468_6:                              ; =>This Loop Header: Depth=1
                                        ;     Child Loop BB468_9 Depth 2
	s_lshl_b64 s[20:21], s[24:25], 3
	v_mov_b32_e32 v22, 0
	s_wait_alu 0xfffe
	s_add_nc_u64 s[22:23], s[26:27], s[20:21]
	v_mov_b32_e32 v16, 0
	global_load_b64 v[18:19], v5, s[22:23]
	v_dual_mov_b32 v23, 0 :: v_dual_mov_b32 v20, 0
	v_dual_mov_b32 v17, 0 :: v_dual_mov_b32 v14, 0
	v_mov_b32_e32 v21, 0
	v_mov_b32_e32 v15, 0
	s_and_not1_b32 vcc_lo, exec_lo, s37
	s_wait_alu 0xfffe
	s_cbranch_vccnz .LBB468_15
; %bb.7:                                ;   in Loop: Header=BB468_6 Depth=1
	s_add_nc_u64 s[22:23], s[12:13], s[20:21]
	s_add_nc_u64 s[20:21], s[18:19], s[20:21]
	s_clause 0x1
	global_load_b64 v[24:25], v5, s[22:23]
	global_load_b64 v[26:27], v5, s[20:21]
	v_mov_b32_e32 v14, 0
	v_dual_mov_b32 v20, 0 :: v_dual_mov_b32 v15, 0
	v_dual_mov_b32 v16, 0 :: v_dual_mov_b32 v21, 0
	;; [unrolled: 1-line block ×3, first 2 shown]
	v_mov_b32_e32 v23, 0
	s_mov_b64 s[20:21], 0
	s_wait_loadcnt 0x1
	v_add_co_u32 v4, vcc_lo, v24, s4
	s_wait_alu 0xfffd
	v_add_co_ci_u32_e64 v24, null, s5, v25, vcc_lo
	s_wait_loadcnt 0x0
	v_add_co_u32 v25, vcc_lo, v26, s2
	s_wait_alu 0xfffd
	v_add_co_ci_u32_e64 v26, null, s3, v27, vcc_lo
	v_add_co_u32 v34, vcc_lo, v4, v6
	s_wait_alu 0xfffd
	v_add_co_ci_u32_e64 v35, null, v24, v7, vcc_lo
	;; [unrolled: 3-line block ×3, first 2 shown]
	s_branch .LBB468_9
.LBB468_8:                              ;   in Loop: Header=BB468_9 Depth=2
	s_or_b32 exec_lo, exec_lo, s22
	s_wait_loadcnt_dscnt 0x0
	ds_store_b64 v32, v[26:27]
	s_wait_dscnt 0x0
	s_barrier_signal -1
	s_barrier_wait -1
	global_inv scope:SCOPE_SE
	ds_load_b128 v[24:27], v33
	ds_load_2addr_b64 v[38:41], v29 offset1:16
	ds_load_b128 v[42:45], v33 offset:1024
	ds_load_b128 v[46:49], v33 offset:16
	;; [unrolled: 1-line block ×3, first 2 shown]
	s_add_nc_u64 s[20:21], s[20:21], 8
	s_wait_alu 0xfffe
	v_cmp_gt_i64_e64 s22, s[8:9], s[20:21]
	s_and_b32 vcc_lo, exec_lo, s22
	s_wait_dscnt 0x3
	v_fma_f64 v[22:23], v[38:39], v[24:25], v[22:23]
	v_fma_f64 v[20:21], v[40:41], v[24:25], v[20:21]
	s_wait_dscnt 0x2
	v_fma_f64 v[24:25], v[38:39], v[42:43], v[16:17]
	v_fma_f64 v[38:39], v[40:41], v[42:43], v[14:15]
	ds_load_2addr_b64 v[14:17], v29 offset0:32 offset1:48
	s_wait_dscnt 0x0
	v_fma_f64 v[22:23], v[14:15], v[26:27], v[22:23]
	v_fma_f64 v[20:21], v[16:17], v[26:27], v[20:21]
	v_fma_f64 v[24:25], v[14:15], v[44:45], v[24:25]
	v_fma_f64 v[26:27], v[16:17], v[44:45], v[38:39]
	ds_load_2addr_b64 v[14:17], v29 offset0:64 offset1:80
	s_wait_dscnt 0x0
	v_fma_f64 v[22:23], v[14:15], v[46:47], v[22:23]
	v_fma_f64 v[20:21], v[16:17], v[46:47], v[20:21]
	;; [unrolled: 6-line block ×3, first 2 shown]
	v_fma_f64 v[50:51], v[14:15], v[52:53], v[24:25]
	v_fma_f64 v[52:53], v[16:17], v[52:53], v[26:27]
	ds_load_b128 v[14:17], v33 offset:32
	ds_load_2addr_b64 v[20:23], v29 offset0:128 offset1:144
	ds_load_b128 v[24:27], v33 offset:1056
	ds_load_b128 v[38:41], v33 offset:48
	;; [unrolled: 1-line block ×3, first 2 shown]
	s_wait_dscnt 0x3
	v_fma_f64 v[46:47], v[20:21], v[14:15], v[46:47]
	v_fma_f64 v[14:15], v[22:23], v[14:15], v[48:49]
	s_wait_dscnt 0x2
	v_fma_f64 v[48:49], v[20:21], v[24:25], v[50:51]
	v_fma_f64 v[24:25], v[22:23], v[24:25], v[52:53]
	ds_load_2addr_b64 v[20:23], v29 offset0:160 offset1:176
	s_wait_dscnt 0x0
	v_fma_f64 v[46:47], v[20:21], v[16:17], v[46:47]
	v_fma_f64 v[50:51], v[22:23], v[16:17], v[14:15]
	;; [unrolled: 1-line block ×4, first 2 shown]
	ds_load_2addr_b64 v[14:17], v29 offset0:192 offset1:208
	ds_load_2addr_b64 v[24:27], v29 offset0:224 offset1:240
	s_wait_loadcnt_dscnt 0x0
	s_barrier_signal -1
	s_barrier_wait -1
	global_inv scope:SCOPE_SE
	v_fma_f64 v[46:47], v[14:15], v[38:39], v[46:47]
	v_fma_f64 v[38:39], v[16:17], v[38:39], v[50:51]
	;; [unrolled: 1-line block ×4, first 2 shown]
	s_delay_alu instid0(VALU_DEP_4) | instskip(NEXT) | instid1(VALU_DEP_4)
	v_fma_f64 v[22:23], v[24:25], v[40:41], v[46:47]
	v_fma_f64 v[20:21], v[26:27], v[40:41], v[38:39]
	s_delay_alu instid0(VALU_DEP_4) | instskip(NEXT) | instid1(VALU_DEP_4)
	v_fma_f64 v[16:17], v[24:25], v[44:45], v[14:15]
	v_fma_f64 v[14:15], v[26:27], v[44:45], v[42:43]
	s_wait_alu 0xfffe
	s_cbranch_vccz .LBB468_15
.LBB468_9:                              ;   Parent Loop BB468_6 Depth=1
                                        ; =>  This Inner Loop Header: Depth=2
	v_mov_b32_e32 v24, 0
	v_mov_b32_e32 v25, 0
	s_and_saveexec_b32 s22, s0
	s_cbranch_execz .LBB468_13
; %bb.10:                               ;   in Loop: Header=BB468_9 Depth=2
	v_mov_b32_e32 v24, 0
	s_wait_alu 0xfffe
	v_dual_mov_b32 v25, 0 :: v_dual_add_nc_u32 v4, s20, v30
	s_mov_b32 s23, exec_lo
	s_delay_alu instid0(VALU_DEP_1)
	v_cmpx_gt_u64_e64 s[8:9], v[4:5]
	s_cbranch_execz .LBB468_12
; %bb.11:                               ;   in Loop: Header=BB468_9 Depth=2
	v_mad_co_u64_u32 v[24:25], null, s14, v4, 0
	s_delay_alu instid0(VALU_DEP_1) | instskip(NEXT) | instid1(VALU_DEP_1)
	v_mad_co_u64_u32 v[25:26], null, s15, v4, v[25:26]
	v_lshlrev_b64_e32 v[24:25], 3, v[24:25]
	s_delay_alu instid0(VALU_DEP_1) | instskip(SKIP_1) | instid1(VALU_DEP_2)
	v_add_co_u32 v24, vcc_lo, v34, v24
	s_wait_alu 0xfffd
	v_add_co_ci_u32_e64 v25, null, v35, v25, vcc_lo
	flat_load_b64 v[24:25], v[24:25]
.LBB468_12:                             ;   in Loop: Header=BB468_9 Depth=2
	s_or_b32 exec_lo, exec_lo, s23
.LBB468_13:                             ;   in Loop: Header=BB468_9 Depth=2
	s_delay_alu instid0(SALU_CYCLE_1)
	s_or_b32 exec_lo, exec_lo, s22
	s_wait_alu 0xfffe
	v_add_nc_u32_e32 v4, s20, v28
	v_mov_b32_e32 v26, 0
	v_mov_b32_e32 v27, 0
	s_wait_loadcnt_dscnt 0x0
	ds_store_b64 v31, v[24:25]
	v_cmp_gt_u64_e32 vcc_lo, s[8:9], v[4:5]
	s_and_b32 s23, vcc_lo, s1
	s_delay_alu instid0(SALU_CYCLE_1)
	s_and_saveexec_b32 s22, s23
	s_cbranch_execz .LBB468_8
; %bb.14:                               ;   in Loop: Header=BB468_9 Depth=2
	v_lshlrev_b64_e32 v[24:25], 3, v[4:5]
	s_delay_alu instid0(VALU_DEP_1) | instskip(SKIP_1) | instid1(VALU_DEP_2)
	v_add_co_u32 v24, vcc_lo, v36, v24
	s_wait_alu 0xfffd
	v_add_co_ci_u32_e64 v25, null, v37, v25, vcc_lo
	flat_load_b64 v[26:27], v[24:25]
	s_branch .LBB468_8
.LBB468_15:                             ;   in Loop: Header=BB468_6 Depth=1
	s_wait_loadcnt 0x0
	v_add_co_u32 v4, vcc_lo, v18, s16
	s_wait_alu 0xfffd
	v_add_co_ci_u32_e64 v24, null, s17, v19, vcc_lo
	s_delay_alu instid0(VALU_DEP_2) | instskip(SKIP_1) | instid1(VALU_DEP_2)
	v_add_co_u32 v25, vcc_lo, v4, v10
	s_wait_alu 0xfffd
	v_add_co_ci_u32_e64 v26, null, v24, v11, vcc_lo
	s_and_saveexec_b32 s20, s28
	s_cbranch_execz .LBB468_19
; %bb.16:                               ;   in Loop: Header=BB468_6 Depth=1
	v_mul_f64_e32 v[18:19], s[10:11], v[22:23]
	s_and_b32 vcc_lo, exec_lo, s34
	s_wait_alu 0xfffe
	s_cbranch_vccz .LBB468_30
; %bb.17:                               ;   in Loop: Header=BB468_6 Depth=1
	v_lshlrev_b64_e32 v[22:23], 3, v[0:1]
	s_delay_alu instid0(VALU_DEP_1) | instskip(SKIP_1) | instid1(VALU_DEP_2)
	v_add_co_u32 v22, vcc_lo, v25, v22
	s_wait_alu 0xfffd
	v_add_co_ci_u32_e64 v23, null, v26, v23, vcc_lo
	flat_load_b64 v[34:35], v[22:23]
	s_wait_loadcnt_dscnt 0x0
	v_fma_f64 v[34:35], s[6:7], v[34:35], v[18:19]
	flat_store_b64 v[22:23], v[34:35]
	s_cbranch_execnz .LBB468_19
.LBB468_18:                             ;   in Loop: Header=BB468_6 Depth=1
	v_lshlrev_b64_e32 v[22:23], 3, v[0:1]
	s_delay_alu instid0(VALU_DEP_1) | instskip(SKIP_1) | instid1(VALU_DEP_2)
	v_add_co_u32 v22, vcc_lo, v25, v22
	s_wait_alu 0xfffd
	v_add_co_ci_u32_e64 v23, null, v26, v23, vcc_lo
	flat_store_b64 v[22:23], v[18:19]
.LBB468_19:                             ;   in Loop: Header=BB468_6 Depth=1
	s_wait_alu 0xfffe
	s_or_b32 exec_lo, exec_lo, s20
	s_and_saveexec_b32 s20, s29
	s_cbranch_execz .LBB468_23
; %bb.20:                               ;   in Loop: Header=BB468_6 Depth=1
	v_mul_f64_e32 v[18:19], s[10:11], v[20:21]
	s_and_not1_b32 vcc_lo, exec_lo, s34
	s_wait_alu 0xfffe
	s_cbranch_vccnz .LBB468_31
; %bb.21:                               ;   in Loop: Header=BB468_6 Depth=1
	v_lshlrev_b64_e32 v[20:21], 3, v[2:3]
	s_delay_alu instid0(VALU_DEP_1) | instskip(SKIP_1) | instid1(VALU_DEP_2)
	v_add_co_u32 v20, vcc_lo, v25, v20
	s_wait_alu 0xfffd
	v_add_co_ci_u32_e64 v21, null, v26, v21, vcc_lo
	flat_load_b64 v[22:23], v[20:21]
	s_wait_loadcnt_dscnt 0x0
	v_fma_f64 v[22:23], s[6:7], v[22:23], v[18:19]
	flat_store_b64 v[20:21], v[22:23]
	s_cbranch_execnz .LBB468_23
.LBB468_22:                             ;   in Loop: Header=BB468_6 Depth=1
	v_lshlrev_b64_e32 v[20:21], 3, v[2:3]
	s_delay_alu instid0(VALU_DEP_1) | instskip(SKIP_1) | instid1(VALU_DEP_2)
	v_add_co_u32 v20, vcc_lo, v25, v20
	s_wait_alu 0xfffd
	v_add_co_ci_u32_e64 v21, null, v26, v21, vcc_lo
	flat_store_b64 v[20:21], v[18:19]
.LBB468_23:                             ;   in Loop: Header=BB468_6 Depth=1
	s_wait_alu 0xfffe
	s_or_b32 exec_lo, exec_lo, s20
	v_add_co_u32 v4, vcc_lo, v4, v12
	s_wait_alu 0xfffd
	v_add_co_ci_u32_e64 v20, null, v24, v13, vcc_lo
	s_and_saveexec_b32 s20, s35
	s_cbranch_execz .LBB468_27
; %bb.24:                               ;   in Loop: Header=BB468_6 Depth=1
	v_mul_f64_e32 v[16:17], s[10:11], v[16:17]
	v_lshlrev_b64_e32 v[18:19], 3, v[0:1]
	s_and_not1_b32 vcc_lo, exec_lo, s34
	s_wait_alu 0xfffe
	s_cbranch_vccnz .LBB468_32
; %bb.25:                               ;   in Loop: Header=BB468_6 Depth=1
	s_delay_alu instid0(VALU_DEP_1)
	v_add_co_u32 v21, vcc_lo, v4, v18
	s_wait_alu 0xfffd
	v_add_co_ci_u32_e64 v22, null, v20, v19, vcc_lo
	flat_load_b64 v[23:24], v[21:22]
	s_wait_loadcnt_dscnt 0x0
	v_fma_f64 v[23:24], s[6:7], v[23:24], v[16:17]
	flat_store_b64 v[21:22], v[23:24]
	s_cbranch_execnz .LBB468_27
.LBB468_26:                             ;   in Loop: Header=BB468_6 Depth=1
	s_delay_alu instid0(VALU_DEP_1)
	v_add_co_u32 v18, vcc_lo, v4, v18
	s_wait_alu 0xfffd
	v_add_co_ci_u32_e64 v19, null, v20, v19, vcc_lo
	flat_store_b64 v[18:19], v[16:17]
.LBB468_27:                             ;   in Loop: Header=BB468_6 Depth=1
	s_wait_alu 0xfffe
	s_or_b32 exec_lo, exec_lo, s20
	s_and_saveexec_b32 s20, s36
	s_cbranch_execz .LBB468_5
; %bb.28:                               ;   in Loop: Header=BB468_6 Depth=1
	v_mul_f64_e32 v[14:15], s[10:11], v[14:15]
	v_lshlrev_b64_e32 v[16:17], 3, v[2:3]
	s_and_not1_b32 vcc_lo, exec_lo, s34
	s_wait_alu 0xfffe
	s_cbranch_vccnz .LBB468_33
; %bb.29:                               ;   in Loop: Header=BB468_6 Depth=1
	s_delay_alu instid0(VALU_DEP_1)
	v_add_co_u32 v18, vcc_lo, v4, v16
	s_wait_alu 0xfffd
	v_add_co_ci_u32_e64 v19, null, v20, v17, vcc_lo
	flat_load_b64 v[21:22], v[18:19]
	s_wait_loadcnt_dscnt 0x0
	v_fma_f64 v[21:22], s[6:7], v[21:22], v[14:15]
	flat_store_b64 v[18:19], v[21:22]
	s_cbranch_execnz .LBB468_5
	s_branch .LBB468_34
.LBB468_30:                             ;   in Loop: Header=BB468_6 Depth=1
	s_branch .LBB468_18
.LBB468_31:                             ;   in Loop: Header=BB468_6 Depth=1
	s_branch .LBB468_22
.LBB468_32:                             ;   in Loop: Header=BB468_6 Depth=1
	s_branch .LBB468_26
.LBB468_33:                             ;   in Loop: Header=BB468_6 Depth=1
.LBB468_34:                             ;   in Loop: Header=BB468_6 Depth=1
	s_delay_alu instid0(VALU_DEP_1)
	v_add_co_u32 v16, vcc_lo, v4, v16
	s_wait_alu 0xfffd
	v_add_co_ci_u32_e64 v17, null, v20, v17, vcc_lo
	flat_store_b64 v[16:17], v[14:15]
	s_branch .LBB468_5
.LBB468_35:
	s_endpgm
	.section	.rodata,"a",@progbits
	.p2align	6, 0x0
	.amdhsa_kernel _ZL29rocblas_internal_gemmt_kernelIlLi16ELi32ELi8ELc78ELc78ELc85ELb0ELb0EdPKdPKS1_PKPdEviT_T9_T10_S7_lS9_S7_lS8_T11_S7_li
		.amdhsa_group_segment_fixed_size 4096
		.amdhsa_private_segment_fixed_size 0
		.amdhsa_kernarg_size 108
		.amdhsa_user_sgpr_count 2
		.amdhsa_user_sgpr_dispatch_ptr 0
		.amdhsa_user_sgpr_queue_ptr 0
		.amdhsa_user_sgpr_kernarg_segment_ptr 1
		.amdhsa_user_sgpr_dispatch_id 0
		.amdhsa_user_sgpr_private_segment_size 0
		.amdhsa_wavefront_size32 1
		.amdhsa_uses_dynamic_stack 0
		.amdhsa_enable_private_segment 0
		.amdhsa_system_sgpr_workgroup_id_x 1
		.amdhsa_system_sgpr_workgroup_id_y 1
		.amdhsa_system_sgpr_workgroup_id_z 1
		.amdhsa_system_sgpr_workgroup_info 0
		.amdhsa_system_vgpr_workitem_id 1
		.amdhsa_next_free_vgpr 54
		.amdhsa_next_free_sgpr 39
		.amdhsa_reserve_vcc 1
		.amdhsa_float_round_mode_32 0
		.amdhsa_float_round_mode_16_64 0
		.amdhsa_float_denorm_mode_32 3
		.amdhsa_float_denorm_mode_16_64 3
		.amdhsa_fp16_overflow 0
		.amdhsa_workgroup_processor_mode 1
		.amdhsa_memory_ordered 1
		.amdhsa_forward_progress 1
		.amdhsa_inst_pref_size 17
		.amdhsa_round_robin_scheduling 0
		.amdhsa_exception_fp_ieee_invalid_op 0
		.amdhsa_exception_fp_denorm_src 0
		.amdhsa_exception_fp_ieee_div_zero 0
		.amdhsa_exception_fp_ieee_overflow 0
		.amdhsa_exception_fp_ieee_underflow 0
		.amdhsa_exception_fp_ieee_inexact 0
		.amdhsa_exception_int_div_zero 0
	.end_amdhsa_kernel
	.section	.text._ZL29rocblas_internal_gemmt_kernelIlLi16ELi32ELi8ELc78ELc78ELc85ELb0ELb0EdPKdPKS1_PKPdEviT_T9_T10_S7_lS9_S7_lS8_T11_S7_li,"axG",@progbits,_ZL29rocblas_internal_gemmt_kernelIlLi16ELi32ELi8ELc78ELc78ELc85ELb0ELb0EdPKdPKS1_PKPdEviT_T9_T10_S7_lS9_S7_lS8_T11_S7_li,comdat
.Lfunc_end468:
	.size	_ZL29rocblas_internal_gemmt_kernelIlLi16ELi32ELi8ELc78ELc78ELc85ELb0ELb0EdPKdPKS1_PKPdEviT_T9_T10_S7_lS9_S7_lS8_T11_S7_li, .Lfunc_end468-_ZL29rocblas_internal_gemmt_kernelIlLi16ELi32ELi8ELc78ELc78ELc85ELb0ELb0EdPKdPKS1_PKPdEviT_T9_T10_S7_lS9_S7_lS8_T11_S7_li
                                        ; -- End function
	.set _ZL29rocblas_internal_gemmt_kernelIlLi16ELi32ELi8ELc78ELc78ELc85ELb0ELb0EdPKdPKS1_PKPdEviT_T9_T10_S7_lS9_S7_lS8_T11_S7_li.num_vgpr, 54
	.set _ZL29rocblas_internal_gemmt_kernelIlLi16ELi32ELi8ELc78ELc78ELc85ELb0ELb0EdPKdPKS1_PKPdEviT_T9_T10_S7_lS9_S7_lS8_T11_S7_li.num_agpr, 0
	.set _ZL29rocblas_internal_gemmt_kernelIlLi16ELi32ELi8ELc78ELc78ELc85ELb0ELb0EdPKdPKS1_PKPdEviT_T9_T10_S7_lS9_S7_lS8_T11_S7_li.numbered_sgpr, 39
	.set _ZL29rocblas_internal_gemmt_kernelIlLi16ELi32ELi8ELc78ELc78ELc85ELb0ELb0EdPKdPKS1_PKPdEviT_T9_T10_S7_lS9_S7_lS8_T11_S7_li.num_named_barrier, 0
	.set _ZL29rocblas_internal_gemmt_kernelIlLi16ELi32ELi8ELc78ELc78ELc85ELb0ELb0EdPKdPKS1_PKPdEviT_T9_T10_S7_lS9_S7_lS8_T11_S7_li.private_seg_size, 0
	.set _ZL29rocblas_internal_gemmt_kernelIlLi16ELi32ELi8ELc78ELc78ELc85ELb0ELb0EdPKdPKS1_PKPdEviT_T9_T10_S7_lS9_S7_lS8_T11_S7_li.uses_vcc, 1
	.set _ZL29rocblas_internal_gemmt_kernelIlLi16ELi32ELi8ELc78ELc78ELc85ELb0ELb0EdPKdPKS1_PKPdEviT_T9_T10_S7_lS9_S7_lS8_T11_S7_li.uses_flat_scratch, 0
	.set _ZL29rocblas_internal_gemmt_kernelIlLi16ELi32ELi8ELc78ELc78ELc85ELb0ELb0EdPKdPKS1_PKPdEviT_T9_T10_S7_lS9_S7_lS8_T11_S7_li.has_dyn_sized_stack, 0
	.set _ZL29rocblas_internal_gemmt_kernelIlLi16ELi32ELi8ELc78ELc78ELc85ELb0ELb0EdPKdPKS1_PKPdEviT_T9_T10_S7_lS9_S7_lS8_T11_S7_li.has_recursion, 0
	.set _ZL29rocblas_internal_gemmt_kernelIlLi16ELi32ELi8ELc78ELc78ELc85ELb0ELb0EdPKdPKS1_PKPdEviT_T9_T10_S7_lS9_S7_lS8_T11_S7_li.has_indirect_call, 0
	.section	.AMDGPU.csdata,"",@progbits
; Kernel info:
; codeLenInByte = 2140
; TotalNumSgprs: 41
; NumVgprs: 54
; ScratchSize: 0
; MemoryBound: 0
; FloatMode: 240
; IeeeMode: 1
; LDSByteSize: 4096 bytes/workgroup (compile time only)
; SGPRBlocks: 0
; VGPRBlocks: 6
; NumSGPRsForWavesPerEU: 41
; NumVGPRsForWavesPerEU: 54
; Occupancy: 16
; WaveLimiterHint : 1
; COMPUTE_PGM_RSRC2:SCRATCH_EN: 0
; COMPUTE_PGM_RSRC2:USER_SGPR: 2
; COMPUTE_PGM_RSRC2:TRAP_HANDLER: 0
; COMPUTE_PGM_RSRC2:TGID_X_EN: 1
; COMPUTE_PGM_RSRC2:TGID_Y_EN: 1
; COMPUTE_PGM_RSRC2:TGID_Z_EN: 1
; COMPUTE_PGM_RSRC2:TIDIG_COMP_CNT: 1
	.section	.text._ZL29rocblas_internal_gemmt_kernelIlLi16ELi32ELi8ELc78ELc84ELc85ELb0ELb0EdPKdPKS1_PKPdEviT_T9_T10_S7_lS9_S7_lS8_T11_S7_li,"axG",@progbits,_ZL29rocblas_internal_gemmt_kernelIlLi16ELi32ELi8ELc78ELc84ELc85ELb0ELb0EdPKdPKS1_PKPdEviT_T9_T10_S7_lS9_S7_lS8_T11_S7_li,comdat
	.globl	_ZL29rocblas_internal_gemmt_kernelIlLi16ELi32ELi8ELc78ELc84ELc85ELb0ELb0EdPKdPKS1_PKPdEviT_T9_T10_S7_lS9_S7_lS8_T11_S7_li ; -- Begin function _ZL29rocblas_internal_gemmt_kernelIlLi16ELi32ELi8ELc78ELc84ELc85ELb0ELb0EdPKdPKS1_PKPdEviT_T9_T10_S7_lS9_S7_lS8_T11_S7_li
	.p2align	8
	.type	_ZL29rocblas_internal_gemmt_kernelIlLi16ELi32ELi8ELc78ELc84ELc85ELb0ELb0EdPKdPKS1_PKPdEviT_T9_T10_S7_lS9_S7_lS8_T11_S7_li,@function
_ZL29rocblas_internal_gemmt_kernelIlLi16ELi32ELi8ELc78ELc84ELc85ELb0ELb0EdPKdPKS1_PKPdEviT_T9_T10_S7_lS9_S7_lS8_T11_S7_li: ; @_ZL29rocblas_internal_gemmt_kernelIlLi16ELi32ELi8ELc78ELc84ELc85ELb0ELb0EdPKdPKS1_PKPdEviT_T9_T10_S7_lS9_S7_lS8_T11_S7_li
; %bb.0:
	s_clause 0x1
	s_load_b256 s[24:31], s[0:1], 0x48
	s_load_b512 s[8:23], s[0:1], 0x8
	s_wait_kmcnt 0x0
	s_load_b64 s[6:7], s[24:25], 0x0
	s_load_b64 s[10:11], s[10:11], 0x0
	s_wait_kmcnt 0x0
	v_cmp_neq_f64_e64 s2, s[6:7], 1.0
	s_and_b32 vcc_lo, exec_lo, s2
	s_cbranch_vccnz .LBB469_2
; %bb.1:
	v_cmp_neq_f64_e64 s2, s[10:11], 0
	s_cmp_lg_u64 s[8:9], 0
	s_cselect_b32 s3, -1, 0
	s_delay_alu instid0(SALU_CYCLE_1)
	s_and_b32 s2, s3, s2
.LBB469_2:
	s_delay_alu instid0(SALU_CYCLE_1)
	s_and_not1_b32 vcc_lo, exec_lo, s2
	s_cbranch_vccnz .LBB469_35
; %bb.3:
	s_load_b32 s33, s[0:1], 0x68
	s_lshr_b32 s24, ttmp7, 16
	s_wait_kmcnt 0x0
	s_cmp_ge_u32 s24, s33
	s_cbranch_scc1 .LBB469_35
; %bb.4:
	v_bfe_u32 v5, v0, 10, 10
	s_load_b32 s3, s[0:1], 0x0
	s_lshl_b32 s0, ttmp7, 5
	v_and_b32_e32 v26, 7, v0
	s_and_b32 s0, s0, 0x1fffe0
	v_cmp_neq_f64_e64 s37, s[10:11], 0
	v_add_nc_u32_e32 v13, s0, v5
	v_cmp_neq_f64_e64 s34, s[6:7], 0
	v_lshlrev_b32_e32 v3, 3, v26
	s_lshl_b32 s2, ttmp9, 5
	v_cmp_gt_i64_e64 s38, s[8:9], 0
	v_mad_co_u64_u32 v[8:9], null, s28, v13, 0
	v_and_b32_e32 v4, 0x3ff, v0
	v_add_nc_u32_e32 v15, 16, v13
	v_lshl_add_u32 v31, v5, 6, 0x800
	s_mov_b32 s25, 0
	s_delay_alu instid0(VALU_DEP_3) | instskip(NEXT) | instid1(VALU_DEP_3)
	v_lshl_add_u32 v0, v5, 4, v4
	v_mad_co_u64_u32 v[10:11], null, s28, v15, 0
	s_wait_kmcnt 0x0
	v_cmp_gt_i32_e32 vcc_lo, s3, v13
	s_delay_alu instid0(VALU_DEP_3) | instskip(SKIP_2) | instid1(VALU_DEP_3)
	v_and_b32_e32 v1, 31, v0
	v_lshrrev_b32_e32 v2, 3, v0
	v_lshrrev_b32_e32 v27, 5, v0
	v_or_b32_e32 v6, s2, v1
	v_lshlrev_b32_e32 v0, 3, v1
	s_delay_alu instid0(VALU_DEP_4) | instskip(SKIP_1) | instid1(VALU_DEP_4)
	v_lshl_or_b32 v1, v2, 6, v3
	v_dual_mov_b32 v3, 0 :: v_dual_add_nc_u32 v14, s0, v2
	v_ashrrev_i32_e32 v7, 31, v6
	s_delay_alu instid0(VALU_DEP_4) | instskip(NEXT) | instid1(VALU_DEP_4)
	v_lshl_or_b32 v28, v27, 8, v0
	v_add_nc_u32_e32 v29, 0x800, v1
	v_dual_mov_b32 v1, v9 :: v_dual_add_nc_u32 v0, s2, v4
	v_lshlrev_b32_e32 v30, 3, v4
	v_cmp_gt_i32_e64 s0, s3, v6
	v_lshlrev_b64_e32 v[6:7], 3, v[6:7]
	s_delay_alu instid0(VALU_DEP_4)
	v_mad_co_u64_u32 v[1:2], null, s29, v13, v[1:2]
	v_mov_b32_e32 v2, v11
	v_cmp_le_i32_e64 s2, v0, v13
	v_add_nc_u32_e32 v4, 16, v0
	v_cmp_le_i32_e64 s4, v0, v15
	s_and_b32 s37, s37, s38
	v_mad_co_u64_u32 v[11:12], null, s29, v15, v[2:3]
	v_mov_b32_e32 v9, v1
	v_cmp_gt_i32_e64 s1, s3, v14
	s_and_b32 s28, vcc_lo, s2
	v_cmp_le_i32_e64 s2, v4, v13
	v_cmp_gt_i32_e64 s3, s3, v15
	v_cmp_le_i32_e64 s5, v4, v15
	v_lshlrev_b64_e32 v[8:9], 3, v[8:9]
	v_lshlrev_b64_e32 v[10:11], 3, v[10:11]
	v_ashrrev_i32_e32 v1, 31, v0
	v_ashrrev_i32_e32 v5, 31, v4
	v_lshlrev_b32_e32 v32, 3, v14
	s_and_b32 s29, vcc_lo, s2
	s_and_b32 s35, s3, s4
	s_and_b32 s36, s3, s5
	s_lshl_b64 s[2:3], s[22:23], 3
	s_lshl_b64 s[4:5], s[16:17], 3
	;; [unrolled: 1-line block ×3, first 2 shown]
	s_branch .LBB469_6
.LBB469_5:                              ;   in Loop: Header=BB469_6 Depth=1
	s_wait_alu 0xfffe
	s_or_b32 exec_lo, exec_lo, s22
	s_add_co_i32 s24, s24, 0x10000
	s_delay_alu instid0(SALU_CYCLE_1)
	s_cmp_lt_u32 s24, s33
	s_cbranch_scc0 .LBB469_35
.LBB469_6:                              ; =>This Loop Header: Depth=1
                                        ;     Child Loop BB469_9 Depth 2
	s_lshl_b64 s[22:23], s[24:25], 3
	v_mov_b32_e32 v20, 0
	s_wait_alu 0xfffe
	s_add_nc_u64 s[30:31], s[26:27], s[22:23]
	v_mov_b32_e32 v14, 0
	global_load_b64 v[16:17], v3, s[30:31]
	v_dual_mov_b32 v21, 0 :: v_dual_mov_b32 v18, 0
	v_dual_mov_b32 v15, 0 :: v_dual_mov_b32 v12, 0
	v_mov_b32_e32 v19, 0
	v_mov_b32_e32 v13, 0
	s_and_not1_b32 vcc_lo, exec_lo, s37
	s_wait_alu 0xfffe
	s_cbranch_vccnz .LBB469_15
; %bb.7:                                ;   in Loop: Header=BB469_6 Depth=1
	s_add_nc_u64 s[30:31], s[12:13], s[22:23]
	s_add_nc_u64 s[22:23], s[18:19], s[22:23]
	s_clause 0x1
	global_load_b64 v[22:23], v3, s[30:31]
	global_load_b64 v[24:25], v3, s[22:23]
	v_mov_b32_e32 v12, 0
	v_dual_mov_b32 v18, 0 :: v_dual_mov_b32 v13, 0
	v_dual_mov_b32 v14, 0 :: v_dual_mov_b32 v19, 0
	v_dual_mov_b32 v20, 0 :: v_dual_mov_b32 v15, 0
	v_mov_b32_e32 v21, 0
	s_mov_b64 s[22:23], 0
	s_wait_loadcnt 0x1
	v_add_co_u32 v2, vcc_lo, v22, s4
	s_wait_alu 0xfffd
	v_add_co_ci_u32_e64 v22, null, s5, v23, vcc_lo
	s_wait_loadcnt 0x0
	v_add_co_u32 v23, vcc_lo, v24, s2
	s_wait_alu 0xfffd
	v_add_co_ci_u32_e64 v24, null, s3, v25, vcc_lo
	v_add_co_u32 v33, vcc_lo, v2, v6
	s_wait_alu 0xfffd
	v_add_co_ci_u32_e64 v34, null, v22, v7, vcc_lo
	;; [unrolled: 3-line block ×3, first 2 shown]
	s_branch .LBB469_9
.LBB469_8:                              ;   in Loop: Header=BB469_9 Depth=2
	s_or_b32 exec_lo, exec_lo, s30
	s_wait_loadcnt_dscnt 0x0
	ds_store_b64 v29, v[24:25]
	s_wait_dscnt 0x0
	s_barrier_signal -1
	s_barrier_wait -1
	global_inv scope:SCOPE_SE
	ds_load_b128 v[22:25], v31
	ds_load_2addr_b64 v[37:40], v30 offset1:16
	ds_load_b128 v[41:44], v31 offset:1024
	ds_load_b128 v[45:48], v31 offset:16
	;; [unrolled: 1-line block ×3, first 2 shown]
	s_add_nc_u64 s[22:23], s[22:23], 8
	s_wait_alu 0xfffe
	v_cmp_gt_i64_e64 s30, s[8:9], s[22:23]
	s_and_b32 vcc_lo, exec_lo, s30
	s_wait_dscnt 0x3
	v_fma_f64 v[20:21], v[37:38], v[22:23], v[20:21]
	v_fma_f64 v[18:19], v[39:40], v[22:23], v[18:19]
	s_wait_dscnt 0x2
	v_fma_f64 v[22:23], v[37:38], v[41:42], v[14:15]
	v_fma_f64 v[37:38], v[39:40], v[41:42], v[12:13]
	ds_load_2addr_b64 v[12:15], v30 offset0:32 offset1:48
	s_wait_dscnt 0x0
	v_fma_f64 v[20:21], v[12:13], v[24:25], v[20:21]
	v_fma_f64 v[18:19], v[14:15], v[24:25], v[18:19]
	v_fma_f64 v[22:23], v[12:13], v[43:44], v[22:23]
	v_fma_f64 v[24:25], v[14:15], v[43:44], v[37:38]
	ds_load_2addr_b64 v[12:15], v30 offset0:64 offset1:80
	s_wait_dscnt 0x0
	v_fma_f64 v[20:21], v[12:13], v[45:46], v[20:21]
	v_fma_f64 v[18:19], v[14:15], v[45:46], v[18:19]
	;; [unrolled: 6-line block ×3, first 2 shown]
	v_fma_f64 v[49:50], v[12:13], v[51:52], v[22:23]
	v_fma_f64 v[51:52], v[14:15], v[51:52], v[24:25]
	ds_load_b128 v[12:15], v31 offset:32
	ds_load_2addr_b64 v[18:21], v30 offset0:128 offset1:144
	ds_load_b128 v[22:25], v31 offset:1056
	ds_load_b128 v[37:40], v31 offset:48
	;; [unrolled: 1-line block ×3, first 2 shown]
	s_wait_dscnt 0x3
	v_fma_f64 v[45:46], v[18:19], v[12:13], v[45:46]
	v_fma_f64 v[12:13], v[20:21], v[12:13], v[47:48]
	s_wait_dscnt 0x2
	v_fma_f64 v[47:48], v[18:19], v[22:23], v[49:50]
	v_fma_f64 v[22:23], v[20:21], v[22:23], v[51:52]
	ds_load_2addr_b64 v[18:21], v30 offset0:160 offset1:176
	s_wait_dscnt 0x0
	v_fma_f64 v[45:46], v[18:19], v[14:15], v[45:46]
	v_fma_f64 v[49:50], v[20:21], v[14:15], v[12:13]
	;; [unrolled: 1-line block ×4, first 2 shown]
	ds_load_2addr_b64 v[12:15], v30 offset0:192 offset1:208
	ds_load_2addr_b64 v[22:25], v30 offset0:224 offset1:240
	s_wait_loadcnt_dscnt 0x0
	s_barrier_signal -1
	s_barrier_wait -1
	global_inv scope:SCOPE_SE
	v_fma_f64 v[45:46], v[12:13], v[37:38], v[45:46]
	v_fma_f64 v[37:38], v[14:15], v[37:38], v[49:50]
	;; [unrolled: 1-line block ×4, first 2 shown]
	s_delay_alu instid0(VALU_DEP_4) | instskip(NEXT) | instid1(VALU_DEP_4)
	v_fma_f64 v[20:21], v[22:23], v[39:40], v[45:46]
	v_fma_f64 v[18:19], v[24:25], v[39:40], v[37:38]
	s_delay_alu instid0(VALU_DEP_4) | instskip(NEXT) | instid1(VALU_DEP_4)
	v_fma_f64 v[14:15], v[22:23], v[43:44], v[12:13]
	v_fma_f64 v[12:13], v[24:25], v[43:44], v[41:42]
	s_wait_alu 0xfffe
	s_cbranch_vccz .LBB469_15
.LBB469_9:                              ;   Parent Loop BB469_6 Depth=1
                                        ; =>  This Inner Loop Header: Depth=2
	v_mov_b32_e32 v22, 0
	v_mov_b32_e32 v23, 0
	s_and_saveexec_b32 s30, s0
	s_cbranch_execz .LBB469_13
; %bb.10:                               ;   in Loop: Header=BB469_9 Depth=2
	v_mov_b32_e32 v22, 0
	s_wait_alu 0xfffe
	v_dual_mov_b32 v23, 0 :: v_dual_add_nc_u32 v2, s22, v27
	s_mov_b32 s31, exec_lo
	s_delay_alu instid0(VALU_DEP_1)
	v_cmpx_gt_u64_e64 s[8:9], v[2:3]
	s_cbranch_execz .LBB469_12
; %bb.11:                               ;   in Loop: Header=BB469_9 Depth=2
	v_mad_co_u64_u32 v[22:23], null, s14, v2, 0
	s_delay_alu instid0(VALU_DEP_1) | instskip(NEXT) | instid1(VALU_DEP_1)
	v_mad_co_u64_u32 v[23:24], null, s15, v2, v[23:24]
	v_lshlrev_b64_e32 v[22:23], 3, v[22:23]
	s_delay_alu instid0(VALU_DEP_1) | instskip(SKIP_1) | instid1(VALU_DEP_2)
	v_add_co_u32 v22, vcc_lo, v33, v22
	s_wait_alu 0xfffd
	v_add_co_ci_u32_e64 v23, null, v34, v23, vcc_lo
	flat_load_b64 v[22:23], v[22:23]
.LBB469_12:                             ;   in Loop: Header=BB469_9 Depth=2
	s_or_b32 exec_lo, exec_lo, s31
.LBB469_13:                             ;   in Loop: Header=BB469_9 Depth=2
	s_delay_alu instid0(SALU_CYCLE_1)
	s_or_b32 exec_lo, exec_lo, s30
	s_wait_alu 0xfffe
	v_add_nc_u32_e32 v2, s22, v26
	v_mov_b32_e32 v24, 0
	v_mov_b32_e32 v25, 0
	s_wait_loadcnt_dscnt 0x0
	ds_store_b64 v28, v[22:23]
	v_cmp_gt_u64_e32 vcc_lo, s[8:9], v[2:3]
	s_and_b32 s31, vcc_lo, s1
	s_delay_alu instid0(SALU_CYCLE_1)
	s_and_saveexec_b32 s30, s31
	s_cbranch_execz .LBB469_8
; %bb.14:                               ;   in Loop: Header=BB469_9 Depth=2
	v_mad_co_u64_u32 v[22:23], null, s20, v2, 0
	s_delay_alu instid0(VALU_DEP_1) | instskip(NEXT) | instid1(VALU_DEP_1)
	v_mad_co_u64_u32 v[23:24], null, s21, v2, v[23:24]
	v_lshlrev_b64_e32 v[22:23], 3, v[22:23]
	s_delay_alu instid0(VALU_DEP_1) | instskip(SKIP_1) | instid1(VALU_DEP_2)
	v_add_co_u32 v22, vcc_lo, v35, v22
	s_wait_alu 0xfffd
	v_add_co_ci_u32_e64 v23, null, v36, v23, vcc_lo
	flat_load_b64 v[24:25], v[22:23]
	s_branch .LBB469_8
.LBB469_15:                             ;   in Loop: Header=BB469_6 Depth=1
	s_wait_loadcnt 0x0
	v_add_co_u32 v2, vcc_lo, v16, s16
	s_wait_alu 0xfffd
	v_add_co_ci_u32_e64 v22, null, s17, v17, vcc_lo
	s_delay_alu instid0(VALU_DEP_2) | instskip(SKIP_1) | instid1(VALU_DEP_2)
	v_add_co_u32 v23, vcc_lo, v2, v8
	s_wait_alu 0xfffd
	v_add_co_ci_u32_e64 v24, null, v22, v9, vcc_lo
	s_wait_alu 0xfffe
	s_and_saveexec_b32 s22, s28
	s_cbranch_execz .LBB469_19
; %bb.16:                               ;   in Loop: Header=BB469_6 Depth=1
	v_mul_f64_e32 v[16:17], s[10:11], v[20:21]
	s_and_b32 vcc_lo, exec_lo, s34
	s_wait_alu 0xfffe
	s_cbranch_vccz .LBB469_30
; %bb.17:                               ;   in Loop: Header=BB469_6 Depth=1
	v_lshlrev_b64_e32 v[20:21], 3, v[0:1]
	s_delay_alu instid0(VALU_DEP_1) | instskip(SKIP_1) | instid1(VALU_DEP_2)
	v_add_co_u32 v20, vcc_lo, v23, v20
	s_wait_alu 0xfffd
	v_add_co_ci_u32_e64 v21, null, v24, v21, vcc_lo
	flat_load_b64 v[33:34], v[20:21]
	s_wait_loadcnt_dscnt 0x0
	v_fma_f64 v[33:34], s[6:7], v[33:34], v[16:17]
	flat_store_b64 v[20:21], v[33:34]
	s_cbranch_execnz .LBB469_19
.LBB469_18:                             ;   in Loop: Header=BB469_6 Depth=1
	v_lshlrev_b64_e32 v[20:21], 3, v[0:1]
	s_delay_alu instid0(VALU_DEP_1) | instskip(SKIP_1) | instid1(VALU_DEP_2)
	v_add_co_u32 v20, vcc_lo, v23, v20
	s_wait_alu 0xfffd
	v_add_co_ci_u32_e64 v21, null, v24, v21, vcc_lo
	flat_store_b64 v[20:21], v[16:17]
.LBB469_19:                             ;   in Loop: Header=BB469_6 Depth=1
	s_wait_alu 0xfffe
	s_or_b32 exec_lo, exec_lo, s22
	s_and_saveexec_b32 s22, s29
	s_cbranch_execz .LBB469_23
; %bb.20:                               ;   in Loop: Header=BB469_6 Depth=1
	v_mul_f64_e32 v[16:17], s[10:11], v[18:19]
	s_and_not1_b32 vcc_lo, exec_lo, s34
	s_wait_alu 0xfffe
	s_cbranch_vccnz .LBB469_31
; %bb.21:                               ;   in Loop: Header=BB469_6 Depth=1
	v_lshlrev_b64_e32 v[18:19], 3, v[4:5]
	s_delay_alu instid0(VALU_DEP_1) | instskip(SKIP_1) | instid1(VALU_DEP_2)
	v_add_co_u32 v18, vcc_lo, v23, v18
	s_wait_alu 0xfffd
	v_add_co_ci_u32_e64 v19, null, v24, v19, vcc_lo
	flat_load_b64 v[20:21], v[18:19]
	s_wait_loadcnt_dscnt 0x0
	v_fma_f64 v[20:21], s[6:7], v[20:21], v[16:17]
	flat_store_b64 v[18:19], v[20:21]
	s_cbranch_execnz .LBB469_23
.LBB469_22:                             ;   in Loop: Header=BB469_6 Depth=1
	v_lshlrev_b64_e32 v[18:19], 3, v[4:5]
	s_delay_alu instid0(VALU_DEP_1) | instskip(SKIP_1) | instid1(VALU_DEP_2)
	v_add_co_u32 v18, vcc_lo, v23, v18
	s_wait_alu 0xfffd
	v_add_co_ci_u32_e64 v19, null, v24, v19, vcc_lo
	flat_store_b64 v[18:19], v[16:17]
.LBB469_23:                             ;   in Loop: Header=BB469_6 Depth=1
	s_wait_alu 0xfffe
	s_or_b32 exec_lo, exec_lo, s22
	v_add_co_u32 v2, vcc_lo, v2, v10
	s_wait_alu 0xfffd
	v_add_co_ci_u32_e64 v18, null, v22, v11, vcc_lo
	s_and_saveexec_b32 s22, s35
	s_cbranch_execz .LBB469_27
; %bb.24:                               ;   in Loop: Header=BB469_6 Depth=1
	v_mul_f64_e32 v[14:15], s[10:11], v[14:15]
	v_lshlrev_b64_e32 v[16:17], 3, v[0:1]
	s_and_not1_b32 vcc_lo, exec_lo, s34
	s_wait_alu 0xfffe
	s_cbranch_vccnz .LBB469_32
; %bb.25:                               ;   in Loop: Header=BB469_6 Depth=1
	s_delay_alu instid0(VALU_DEP_1)
	v_add_co_u32 v19, vcc_lo, v2, v16
	s_wait_alu 0xfffd
	v_add_co_ci_u32_e64 v20, null, v18, v17, vcc_lo
	flat_load_b64 v[21:22], v[19:20]
	s_wait_loadcnt_dscnt 0x0
	v_fma_f64 v[21:22], s[6:7], v[21:22], v[14:15]
	flat_store_b64 v[19:20], v[21:22]
	s_cbranch_execnz .LBB469_27
.LBB469_26:                             ;   in Loop: Header=BB469_6 Depth=1
	s_delay_alu instid0(VALU_DEP_1)
	v_add_co_u32 v16, vcc_lo, v2, v16
	s_wait_alu 0xfffd
	v_add_co_ci_u32_e64 v17, null, v18, v17, vcc_lo
	flat_store_b64 v[16:17], v[14:15]
.LBB469_27:                             ;   in Loop: Header=BB469_6 Depth=1
	s_wait_alu 0xfffe
	s_or_b32 exec_lo, exec_lo, s22
	s_and_saveexec_b32 s22, s36
	s_cbranch_execz .LBB469_5
; %bb.28:                               ;   in Loop: Header=BB469_6 Depth=1
	v_mul_f64_e32 v[12:13], s[10:11], v[12:13]
	v_lshlrev_b64_e32 v[14:15], 3, v[4:5]
	s_and_not1_b32 vcc_lo, exec_lo, s34
	s_wait_alu 0xfffe
	s_cbranch_vccnz .LBB469_33
; %bb.29:                               ;   in Loop: Header=BB469_6 Depth=1
	s_delay_alu instid0(VALU_DEP_1)
	v_add_co_u32 v16, vcc_lo, v2, v14
	s_wait_alu 0xfffd
	v_add_co_ci_u32_e64 v17, null, v18, v15, vcc_lo
	flat_load_b64 v[19:20], v[16:17]
	s_wait_loadcnt_dscnt 0x0
	v_fma_f64 v[19:20], s[6:7], v[19:20], v[12:13]
	flat_store_b64 v[16:17], v[19:20]
	s_cbranch_execnz .LBB469_5
	s_branch .LBB469_34
.LBB469_30:                             ;   in Loop: Header=BB469_6 Depth=1
	s_branch .LBB469_18
.LBB469_31:                             ;   in Loop: Header=BB469_6 Depth=1
	s_branch .LBB469_22
.LBB469_32:                             ;   in Loop: Header=BB469_6 Depth=1
	s_branch .LBB469_26
.LBB469_33:                             ;   in Loop: Header=BB469_6 Depth=1
.LBB469_34:                             ;   in Loop: Header=BB469_6 Depth=1
	s_delay_alu instid0(VALU_DEP_1)
	v_add_co_u32 v14, vcc_lo, v2, v14
	s_wait_alu 0xfffd
	v_add_co_ci_u32_e64 v15, null, v18, v15, vcc_lo
	flat_store_b64 v[14:15], v[12:13]
	s_branch .LBB469_5
.LBB469_35:
	s_endpgm
	.section	.rodata,"a",@progbits
	.p2align	6, 0x0
	.amdhsa_kernel _ZL29rocblas_internal_gemmt_kernelIlLi16ELi32ELi8ELc78ELc84ELc85ELb0ELb0EdPKdPKS1_PKPdEviT_T9_T10_S7_lS9_S7_lS8_T11_S7_li
		.amdhsa_group_segment_fixed_size 4096
		.amdhsa_private_segment_fixed_size 0
		.amdhsa_kernarg_size 108
		.amdhsa_user_sgpr_count 2
		.amdhsa_user_sgpr_dispatch_ptr 0
		.amdhsa_user_sgpr_queue_ptr 0
		.amdhsa_user_sgpr_kernarg_segment_ptr 1
		.amdhsa_user_sgpr_dispatch_id 0
		.amdhsa_user_sgpr_private_segment_size 0
		.amdhsa_wavefront_size32 1
		.amdhsa_uses_dynamic_stack 0
		.amdhsa_enable_private_segment 0
		.amdhsa_system_sgpr_workgroup_id_x 1
		.amdhsa_system_sgpr_workgroup_id_y 1
		.amdhsa_system_sgpr_workgroup_id_z 1
		.amdhsa_system_sgpr_workgroup_info 0
		.amdhsa_system_vgpr_workitem_id 1
		.amdhsa_next_free_vgpr 53
		.amdhsa_next_free_sgpr 39
		.amdhsa_reserve_vcc 1
		.amdhsa_float_round_mode_32 0
		.amdhsa_float_round_mode_16_64 0
		.amdhsa_float_denorm_mode_32 3
		.amdhsa_float_denorm_mode_16_64 3
		.amdhsa_fp16_overflow 0
		.amdhsa_workgroup_processor_mode 1
		.amdhsa_memory_ordered 1
		.amdhsa_forward_progress 1
		.amdhsa_inst_pref_size 17
		.amdhsa_round_robin_scheduling 0
		.amdhsa_exception_fp_ieee_invalid_op 0
		.amdhsa_exception_fp_denorm_src 0
		.amdhsa_exception_fp_ieee_div_zero 0
		.amdhsa_exception_fp_ieee_overflow 0
		.amdhsa_exception_fp_ieee_underflow 0
		.amdhsa_exception_fp_ieee_inexact 0
		.amdhsa_exception_int_div_zero 0
	.end_amdhsa_kernel
	.section	.text._ZL29rocblas_internal_gemmt_kernelIlLi16ELi32ELi8ELc78ELc84ELc85ELb0ELb0EdPKdPKS1_PKPdEviT_T9_T10_S7_lS9_S7_lS8_T11_S7_li,"axG",@progbits,_ZL29rocblas_internal_gemmt_kernelIlLi16ELi32ELi8ELc78ELc84ELc85ELb0ELb0EdPKdPKS1_PKPdEviT_T9_T10_S7_lS9_S7_lS8_T11_S7_li,comdat
.Lfunc_end469:
	.size	_ZL29rocblas_internal_gemmt_kernelIlLi16ELi32ELi8ELc78ELc84ELc85ELb0ELb0EdPKdPKS1_PKPdEviT_T9_T10_S7_lS9_S7_lS8_T11_S7_li, .Lfunc_end469-_ZL29rocblas_internal_gemmt_kernelIlLi16ELi32ELi8ELc78ELc84ELc85ELb0ELb0EdPKdPKS1_PKPdEviT_T9_T10_S7_lS9_S7_lS8_T11_S7_li
                                        ; -- End function
	.set _ZL29rocblas_internal_gemmt_kernelIlLi16ELi32ELi8ELc78ELc84ELc85ELb0ELb0EdPKdPKS1_PKPdEviT_T9_T10_S7_lS9_S7_lS8_T11_S7_li.num_vgpr, 53
	.set _ZL29rocblas_internal_gemmt_kernelIlLi16ELi32ELi8ELc78ELc84ELc85ELb0ELb0EdPKdPKS1_PKPdEviT_T9_T10_S7_lS9_S7_lS8_T11_S7_li.num_agpr, 0
	.set _ZL29rocblas_internal_gemmt_kernelIlLi16ELi32ELi8ELc78ELc84ELc85ELb0ELb0EdPKdPKS1_PKPdEviT_T9_T10_S7_lS9_S7_lS8_T11_S7_li.numbered_sgpr, 39
	.set _ZL29rocblas_internal_gemmt_kernelIlLi16ELi32ELi8ELc78ELc84ELc85ELb0ELb0EdPKdPKS1_PKPdEviT_T9_T10_S7_lS9_S7_lS8_T11_S7_li.num_named_barrier, 0
	.set _ZL29rocblas_internal_gemmt_kernelIlLi16ELi32ELi8ELc78ELc84ELc85ELb0ELb0EdPKdPKS1_PKPdEviT_T9_T10_S7_lS9_S7_lS8_T11_S7_li.private_seg_size, 0
	.set _ZL29rocblas_internal_gemmt_kernelIlLi16ELi32ELi8ELc78ELc84ELc85ELb0ELb0EdPKdPKS1_PKPdEviT_T9_T10_S7_lS9_S7_lS8_T11_S7_li.uses_vcc, 1
	.set _ZL29rocblas_internal_gemmt_kernelIlLi16ELi32ELi8ELc78ELc84ELc85ELb0ELb0EdPKdPKS1_PKPdEviT_T9_T10_S7_lS9_S7_lS8_T11_S7_li.uses_flat_scratch, 0
	.set _ZL29rocblas_internal_gemmt_kernelIlLi16ELi32ELi8ELc78ELc84ELc85ELb0ELb0EdPKdPKS1_PKPdEviT_T9_T10_S7_lS9_S7_lS8_T11_S7_li.has_dyn_sized_stack, 0
	.set _ZL29rocblas_internal_gemmt_kernelIlLi16ELi32ELi8ELc78ELc84ELc85ELb0ELb0EdPKdPKS1_PKPdEviT_T9_T10_S7_lS9_S7_lS8_T11_S7_li.has_recursion, 0
	.set _ZL29rocblas_internal_gemmt_kernelIlLi16ELi32ELi8ELc78ELc84ELc85ELb0ELb0EdPKdPKS1_PKPdEviT_T9_T10_S7_lS9_S7_lS8_T11_S7_li.has_indirect_call, 0
	.section	.AMDGPU.csdata,"",@progbits
; Kernel info:
; codeLenInByte = 2132
; TotalNumSgprs: 41
; NumVgprs: 53
; ScratchSize: 0
; MemoryBound: 0
; FloatMode: 240
; IeeeMode: 1
; LDSByteSize: 4096 bytes/workgroup (compile time only)
; SGPRBlocks: 0
; VGPRBlocks: 6
; NumSGPRsForWavesPerEU: 41
; NumVGPRsForWavesPerEU: 53
; Occupancy: 16
; WaveLimiterHint : 1
; COMPUTE_PGM_RSRC2:SCRATCH_EN: 0
; COMPUTE_PGM_RSRC2:USER_SGPR: 2
; COMPUTE_PGM_RSRC2:TRAP_HANDLER: 0
; COMPUTE_PGM_RSRC2:TGID_X_EN: 1
; COMPUTE_PGM_RSRC2:TGID_Y_EN: 1
; COMPUTE_PGM_RSRC2:TGID_Z_EN: 1
; COMPUTE_PGM_RSRC2:TIDIG_COMP_CNT: 1
	.section	.text._ZL29rocblas_internal_gemmt_kernelIlLi16ELi32ELi8ELc78ELc67ELc85ELb0ELb0EdPKdPKS1_PKPdEviT_T9_T10_S7_lS9_S7_lS8_T11_S7_li,"axG",@progbits,_ZL29rocblas_internal_gemmt_kernelIlLi16ELi32ELi8ELc78ELc67ELc85ELb0ELb0EdPKdPKS1_PKPdEviT_T9_T10_S7_lS9_S7_lS8_T11_S7_li,comdat
	.globl	_ZL29rocblas_internal_gemmt_kernelIlLi16ELi32ELi8ELc78ELc67ELc85ELb0ELb0EdPKdPKS1_PKPdEviT_T9_T10_S7_lS9_S7_lS8_T11_S7_li ; -- Begin function _ZL29rocblas_internal_gemmt_kernelIlLi16ELi32ELi8ELc78ELc67ELc85ELb0ELb0EdPKdPKS1_PKPdEviT_T9_T10_S7_lS9_S7_lS8_T11_S7_li
	.p2align	8
	.type	_ZL29rocblas_internal_gemmt_kernelIlLi16ELi32ELi8ELc78ELc67ELc85ELb0ELb0EdPKdPKS1_PKPdEviT_T9_T10_S7_lS9_S7_lS8_T11_S7_li,@function
_ZL29rocblas_internal_gemmt_kernelIlLi16ELi32ELi8ELc78ELc67ELc85ELb0ELb0EdPKdPKS1_PKPdEviT_T9_T10_S7_lS9_S7_lS8_T11_S7_li: ; @_ZL29rocblas_internal_gemmt_kernelIlLi16ELi32ELi8ELc78ELc67ELc85ELb0ELb0EdPKdPKS1_PKPdEviT_T9_T10_S7_lS9_S7_lS8_T11_S7_li
; %bb.0:
	s_clause 0x1
	s_load_b256 s[24:31], s[0:1], 0x48
	s_load_b512 s[8:23], s[0:1], 0x8
	s_wait_kmcnt 0x0
	s_load_b64 s[6:7], s[24:25], 0x0
	s_load_b64 s[10:11], s[10:11], 0x0
	s_wait_kmcnt 0x0
	v_cmp_neq_f64_e64 s2, s[6:7], 1.0
	s_and_b32 vcc_lo, exec_lo, s2
	s_cbranch_vccnz .LBB470_2
; %bb.1:
	v_cmp_neq_f64_e64 s2, s[10:11], 0
	s_cmp_lg_u64 s[8:9], 0
	s_cselect_b32 s3, -1, 0
	s_delay_alu instid0(SALU_CYCLE_1)
	s_and_b32 s2, s3, s2
.LBB470_2:
	s_delay_alu instid0(SALU_CYCLE_1)
	s_and_not1_b32 vcc_lo, exec_lo, s2
	s_cbranch_vccnz .LBB470_35
; %bb.3:
	s_load_b32 s33, s[0:1], 0x68
	s_lshr_b32 s24, ttmp7, 16
	s_wait_kmcnt 0x0
	s_cmp_ge_u32 s24, s33
	s_cbranch_scc1 .LBB470_35
; %bb.4:
	v_bfe_u32 v5, v0, 10, 10
	s_load_b32 s3, s[0:1], 0x0
	s_lshl_b32 s0, ttmp7, 5
	v_and_b32_e32 v26, 7, v0
	s_and_b32 s0, s0, 0x1fffe0
	v_cmp_neq_f64_e64 s37, s[10:11], 0
	v_add_nc_u32_e32 v13, s0, v5
	v_cmp_neq_f64_e64 s34, s[6:7], 0
	v_lshlrev_b32_e32 v3, 3, v26
	s_lshl_b32 s2, ttmp9, 5
	v_cmp_gt_i64_e64 s38, s[8:9], 0
	v_mad_co_u64_u32 v[8:9], null, s28, v13, 0
	v_and_b32_e32 v4, 0x3ff, v0
	v_add_nc_u32_e32 v15, 16, v13
	v_lshl_add_u32 v31, v5, 6, 0x800
	s_mov_b32 s25, 0
	s_delay_alu instid0(VALU_DEP_3) | instskip(NEXT) | instid1(VALU_DEP_3)
	v_lshl_add_u32 v0, v5, 4, v4
	v_mad_co_u64_u32 v[10:11], null, s28, v15, 0
	s_wait_kmcnt 0x0
	v_cmp_gt_i32_e32 vcc_lo, s3, v13
	s_delay_alu instid0(VALU_DEP_3) | instskip(SKIP_2) | instid1(VALU_DEP_3)
	v_and_b32_e32 v1, 31, v0
	v_lshrrev_b32_e32 v2, 3, v0
	v_lshrrev_b32_e32 v27, 5, v0
	v_or_b32_e32 v6, s2, v1
	v_lshlrev_b32_e32 v0, 3, v1
	s_delay_alu instid0(VALU_DEP_4) | instskip(SKIP_1) | instid1(VALU_DEP_4)
	v_lshl_or_b32 v1, v2, 6, v3
	v_dual_mov_b32 v3, 0 :: v_dual_add_nc_u32 v14, s0, v2
	v_ashrrev_i32_e32 v7, 31, v6
	s_delay_alu instid0(VALU_DEP_4) | instskip(NEXT) | instid1(VALU_DEP_4)
	v_lshl_or_b32 v28, v27, 8, v0
	v_add_nc_u32_e32 v29, 0x800, v1
	v_dual_mov_b32 v1, v9 :: v_dual_add_nc_u32 v0, s2, v4
	v_lshlrev_b32_e32 v30, 3, v4
	v_cmp_gt_i32_e64 s0, s3, v6
	v_lshlrev_b64_e32 v[6:7], 3, v[6:7]
	s_delay_alu instid0(VALU_DEP_4)
	v_mad_co_u64_u32 v[1:2], null, s29, v13, v[1:2]
	v_mov_b32_e32 v2, v11
	v_cmp_le_i32_e64 s2, v0, v13
	v_add_nc_u32_e32 v4, 16, v0
	v_cmp_le_i32_e64 s4, v0, v15
	s_and_b32 s37, s37, s38
	v_mad_co_u64_u32 v[11:12], null, s29, v15, v[2:3]
	v_mov_b32_e32 v9, v1
	v_cmp_gt_i32_e64 s1, s3, v14
	s_and_b32 s28, vcc_lo, s2
	v_cmp_le_i32_e64 s2, v4, v13
	v_cmp_gt_i32_e64 s3, s3, v15
	v_cmp_le_i32_e64 s5, v4, v15
	v_lshlrev_b64_e32 v[8:9], 3, v[8:9]
	v_lshlrev_b64_e32 v[10:11], 3, v[10:11]
	v_ashrrev_i32_e32 v1, 31, v0
	v_ashrrev_i32_e32 v5, 31, v4
	v_lshlrev_b32_e32 v32, 3, v14
	s_and_b32 s29, vcc_lo, s2
	s_and_b32 s35, s3, s4
	s_and_b32 s36, s3, s5
	s_lshl_b64 s[2:3], s[22:23], 3
	s_lshl_b64 s[4:5], s[16:17], 3
	s_lshl_b64 s[16:17], s[30:31], 3
	s_branch .LBB470_6
.LBB470_5:                              ;   in Loop: Header=BB470_6 Depth=1
	s_wait_alu 0xfffe
	s_or_b32 exec_lo, exec_lo, s22
	s_add_co_i32 s24, s24, 0x10000
	s_delay_alu instid0(SALU_CYCLE_1)
	s_cmp_lt_u32 s24, s33
	s_cbranch_scc0 .LBB470_35
.LBB470_6:                              ; =>This Loop Header: Depth=1
                                        ;     Child Loop BB470_9 Depth 2
	s_lshl_b64 s[22:23], s[24:25], 3
	v_mov_b32_e32 v20, 0
	s_wait_alu 0xfffe
	s_add_nc_u64 s[30:31], s[26:27], s[22:23]
	v_mov_b32_e32 v14, 0
	global_load_b64 v[16:17], v3, s[30:31]
	v_dual_mov_b32 v21, 0 :: v_dual_mov_b32 v18, 0
	v_dual_mov_b32 v15, 0 :: v_dual_mov_b32 v12, 0
	v_mov_b32_e32 v19, 0
	v_mov_b32_e32 v13, 0
	s_and_not1_b32 vcc_lo, exec_lo, s37
	s_wait_alu 0xfffe
	s_cbranch_vccnz .LBB470_15
; %bb.7:                                ;   in Loop: Header=BB470_6 Depth=1
	s_add_nc_u64 s[30:31], s[12:13], s[22:23]
	s_add_nc_u64 s[22:23], s[18:19], s[22:23]
	s_clause 0x1
	global_load_b64 v[22:23], v3, s[30:31]
	global_load_b64 v[24:25], v3, s[22:23]
	v_mov_b32_e32 v12, 0
	v_dual_mov_b32 v18, 0 :: v_dual_mov_b32 v13, 0
	v_dual_mov_b32 v14, 0 :: v_dual_mov_b32 v19, 0
	;; [unrolled: 1-line block ×3, first 2 shown]
	v_mov_b32_e32 v21, 0
	s_mov_b64 s[22:23], 0
	s_wait_loadcnt 0x1
	v_add_co_u32 v2, vcc_lo, v22, s4
	s_wait_alu 0xfffd
	v_add_co_ci_u32_e64 v22, null, s5, v23, vcc_lo
	s_wait_loadcnt 0x0
	v_add_co_u32 v23, vcc_lo, v24, s2
	s_wait_alu 0xfffd
	v_add_co_ci_u32_e64 v24, null, s3, v25, vcc_lo
	v_add_co_u32 v33, vcc_lo, v2, v6
	s_wait_alu 0xfffd
	v_add_co_ci_u32_e64 v34, null, v22, v7, vcc_lo
	;; [unrolled: 3-line block ×3, first 2 shown]
	s_branch .LBB470_9
.LBB470_8:                              ;   in Loop: Header=BB470_9 Depth=2
	s_or_b32 exec_lo, exec_lo, s30
	s_wait_loadcnt_dscnt 0x0
	ds_store_b64 v29, v[24:25]
	s_wait_dscnt 0x0
	s_barrier_signal -1
	s_barrier_wait -1
	global_inv scope:SCOPE_SE
	ds_load_b128 v[22:25], v31
	ds_load_2addr_b64 v[37:40], v30 offset1:16
	ds_load_b128 v[41:44], v31 offset:1024
	ds_load_b128 v[45:48], v31 offset:16
	;; [unrolled: 1-line block ×3, first 2 shown]
	s_add_nc_u64 s[22:23], s[22:23], 8
	s_wait_alu 0xfffe
	v_cmp_gt_i64_e64 s30, s[8:9], s[22:23]
	s_and_b32 vcc_lo, exec_lo, s30
	s_wait_dscnt 0x3
	v_fma_f64 v[20:21], v[37:38], v[22:23], v[20:21]
	v_fma_f64 v[18:19], v[39:40], v[22:23], v[18:19]
	s_wait_dscnt 0x2
	v_fma_f64 v[22:23], v[37:38], v[41:42], v[14:15]
	v_fma_f64 v[37:38], v[39:40], v[41:42], v[12:13]
	ds_load_2addr_b64 v[12:15], v30 offset0:32 offset1:48
	s_wait_dscnt 0x0
	v_fma_f64 v[20:21], v[12:13], v[24:25], v[20:21]
	v_fma_f64 v[18:19], v[14:15], v[24:25], v[18:19]
	v_fma_f64 v[22:23], v[12:13], v[43:44], v[22:23]
	v_fma_f64 v[24:25], v[14:15], v[43:44], v[37:38]
	ds_load_2addr_b64 v[12:15], v30 offset0:64 offset1:80
	s_wait_dscnt 0x0
	v_fma_f64 v[20:21], v[12:13], v[45:46], v[20:21]
	v_fma_f64 v[18:19], v[14:15], v[45:46], v[18:19]
	;; [unrolled: 6-line block ×3, first 2 shown]
	v_fma_f64 v[49:50], v[12:13], v[51:52], v[22:23]
	v_fma_f64 v[51:52], v[14:15], v[51:52], v[24:25]
	ds_load_b128 v[12:15], v31 offset:32
	ds_load_2addr_b64 v[18:21], v30 offset0:128 offset1:144
	ds_load_b128 v[22:25], v31 offset:1056
	ds_load_b128 v[37:40], v31 offset:48
	ds_load_b128 v[41:44], v31 offset:1072
	s_wait_dscnt 0x3
	v_fma_f64 v[45:46], v[18:19], v[12:13], v[45:46]
	v_fma_f64 v[12:13], v[20:21], v[12:13], v[47:48]
	s_wait_dscnt 0x2
	v_fma_f64 v[47:48], v[18:19], v[22:23], v[49:50]
	v_fma_f64 v[22:23], v[20:21], v[22:23], v[51:52]
	ds_load_2addr_b64 v[18:21], v30 offset0:160 offset1:176
	s_wait_dscnt 0x0
	v_fma_f64 v[45:46], v[18:19], v[14:15], v[45:46]
	v_fma_f64 v[49:50], v[20:21], v[14:15], v[12:13]
	;; [unrolled: 1-line block ×4, first 2 shown]
	ds_load_2addr_b64 v[12:15], v30 offset0:192 offset1:208
	ds_load_2addr_b64 v[22:25], v30 offset0:224 offset1:240
	s_wait_loadcnt_dscnt 0x0
	s_barrier_signal -1
	s_barrier_wait -1
	global_inv scope:SCOPE_SE
	v_fma_f64 v[45:46], v[12:13], v[37:38], v[45:46]
	v_fma_f64 v[37:38], v[14:15], v[37:38], v[49:50]
	;; [unrolled: 1-line block ×4, first 2 shown]
	s_delay_alu instid0(VALU_DEP_4) | instskip(NEXT) | instid1(VALU_DEP_4)
	v_fma_f64 v[20:21], v[22:23], v[39:40], v[45:46]
	v_fma_f64 v[18:19], v[24:25], v[39:40], v[37:38]
	s_delay_alu instid0(VALU_DEP_4) | instskip(NEXT) | instid1(VALU_DEP_4)
	v_fma_f64 v[14:15], v[22:23], v[43:44], v[12:13]
	v_fma_f64 v[12:13], v[24:25], v[43:44], v[41:42]
	s_wait_alu 0xfffe
	s_cbranch_vccz .LBB470_15
.LBB470_9:                              ;   Parent Loop BB470_6 Depth=1
                                        ; =>  This Inner Loop Header: Depth=2
	v_mov_b32_e32 v22, 0
	v_mov_b32_e32 v23, 0
	s_and_saveexec_b32 s30, s0
	s_cbranch_execz .LBB470_13
; %bb.10:                               ;   in Loop: Header=BB470_9 Depth=2
	v_mov_b32_e32 v22, 0
	s_wait_alu 0xfffe
	v_dual_mov_b32 v23, 0 :: v_dual_add_nc_u32 v2, s22, v27
	s_mov_b32 s31, exec_lo
	s_delay_alu instid0(VALU_DEP_1)
	v_cmpx_gt_u64_e64 s[8:9], v[2:3]
	s_cbranch_execz .LBB470_12
; %bb.11:                               ;   in Loop: Header=BB470_9 Depth=2
	v_mad_co_u64_u32 v[22:23], null, s14, v2, 0
	s_delay_alu instid0(VALU_DEP_1) | instskip(NEXT) | instid1(VALU_DEP_1)
	v_mad_co_u64_u32 v[23:24], null, s15, v2, v[23:24]
	v_lshlrev_b64_e32 v[22:23], 3, v[22:23]
	s_delay_alu instid0(VALU_DEP_1) | instskip(SKIP_1) | instid1(VALU_DEP_2)
	v_add_co_u32 v22, vcc_lo, v33, v22
	s_wait_alu 0xfffd
	v_add_co_ci_u32_e64 v23, null, v34, v23, vcc_lo
	flat_load_b64 v[22:23], v[22:23]
.LBB470_12:                             ;   in Loop: Header=BB470_9 Depth=2
	s_or_b32 exec_lo, exec_lo, s31
.LBB470_13:                             ;   in Loop: Header=BB470_9 Depth=2
	s_delay_alu instid0(SALU_CYCLE_1)
	s_or_b32 exec_lo, exec_lo, s30
	s_wait_alu 0xfffe
	v_add_nc_u32_e32 v2, s22, v26
	v_mov_b32_e32 v24, 0
	v_mov_b32_e32 v25, 0
	s_wait_loadcnt_dscnt 0x0
	ds_store_b64 v28, v[22:23]
	v_cmp_gt_u64_e32 vcc_lo, s[8:9], v[2:3]
	s_and_b32 s31, vcc_lo, s1
	s_delay_alu instid0(SALU_CYCLE_1)
	s_and_saveexec_b32 s30, s31
	s_cbranch_execz .LBB470_8
; %bb.14:                               ;   in Loop: Header=BB470_9 Depth=2
	v_mad_co_u64_u32 v[22:23], null, s20, v2, 0
	s_delay_alu instid0(VALU_DEP_1) | instskip(NEXT) | instid1(VALU_DEP_1)
	v_mad_co_u64_u32 v[23:24], null, s21, v2, v[23:24]
	v_lshlrev_b64_e32 v[22:23], 3, v[22:23]
	s_delay_alu instid0(VALU_DEP_1) | instskip(SKIP_1) | instid1(VALU_DEP_2)
	v_add_co_u32 v22, vcc_lo, v35, v22
	s_wait_alu 0xfffd
	v_add_co_ci_u32_e64 v23, null, v36, v23, vcc_lo
	flat_load_b64 v[24:25], v[22:23]
	s_branch .LBB470_8
.LBB470_15:                             ;   in Loop: Header=BB470_6 Depth=1
	s_wait_loadcnt 0x0
	v_add_co_u32 v2, vcc_lo, v16, s16
	s_wait_alu 0xfffd
	v_add_co_ci_u32_e64 v22, null, s17, v17, vcc_lo
	s_delay_alu instid0(VALU_DEP_2) | instskip(SKIP_1) | instid1(VALU_DEP_2)
	v_add_co_u32 v23, vcc_lo, v2, v8
	s_wait_alu 0xfffd
	v_add_co_ci_u32_e64 v24, null, v22, v9, vcc_lo
	s_wait_alu 0xfffe
	s_and_saveexec_b32 s22, s28
	s_cbranch_execz .LBB470_19
; %bb.16:                               ;   in Loop: Header=BB470_6 Depth=1
	v_mul_f64_e32 v[16:17], s[10:11], v[20:21]
	s_and_b32 vcc_lo, exec_lo, s34
	s_wait_alu 0xfffe
	s_cbranch_vccz .LBB470_30
; %bb.17:                               ;   in Loop: Header=BB470_6 Depth=1
	v_lshlrev_b64_e32 v[20:21], 3, v[0:1]
	s_delay_alu instid0(VALU_DEP_1) | instskip(SKIP_1) | instid1(VALU_DEP_2)
	v_add_co_u32 v20, vcc_lo, v23, v20
	s_wait_alu 0xfffd
	v_add_co_ci_u32_e64 v21, null, v24, v21, vcc_lo
	flat_load_b64 v[33:34], v[20:21]
	s_wait_loadcnt_dscnt 0x0
	v_fma_f64 v[33:34], s[6:7], v[33:34], v[16:17]
	flat_store_b64 v[20:21], v[33:34]
	s_cbranch_execnz .LBB470_19
.LBB470_18:                             ;   in Loop: Header=BB470_6 Depth=1
	v_lshlrev_b64_e32 v[20:21], 3, v[0:1]
	s_delay_alu instid0(VALU_DEP_1) | instskip(SKIP_1) | instid1(VALU_DEP_2)
	v_add_co_u32 v20, vcc_lo, v23, v20
	s_wait_alu 0xfffd
	v_add_co_ci_u32_e64 v21, null, v24, v21, vcc_lo
	flat_store_b64 v[20:21], v[16:17]
.LBB470_19:                             ;   in Loop: Header=BB470_6 Depth=1
	s_wait_alu 0xfffe
	s_or_b32 exec_lo, exec_lo, s22
	s_and_saveexec_b32 s22, s29
	s_cbranch_execz .LBB470_23
; %bb.20:                               ;   in Loop: Header=BB470_6 Depth=1
	v_mul_f64_e32 v[16:17], s[10:11], v[18:19]
	s_and_not1_b32 vcc_lo, exec_lo, s34
	s_wait_alu 0xfffe
	s_cbranch_vccnz .LBB470_31
; %bb.21:                               ;   in Loop: Header=BB470_6 Depth=1
	v_lshlrev_b64_e32 v[18:19], 3, v[4:5]
	s_delay_alu instid0(VALU_DEP_1) | instskip(SKIP_1) | instid1(VALU_DEP_2)
	v_add_co_u32 v18, vcc_lo, v23, v18
	s_wait_alu 0xfffd
	v_add_co_ci_u32_e64 v19, null, v24, v19, vcc_lo
	flat_load_b64 v[20:21], v[18:19]
	s_wait_loadcnt_dscnt 0x0
	v_fma_f64 v[20:21], s[6:7], v[20:21], v[16:17]
	flat_store_b64 v[18:19], v[20:21]
	s_cbranch_execnz .LBB470_23
.LBB470_22:                             ;   in Loop: Header=BB470_6 Depth=1
	v_lshlrev_b64_e32 v[18:19], 3, v[4:5]
	s_delay_alu instid0(VALU_DEP_1) | instskip(SKIP_1) | instid1(VALU_DEP_2)
	v_add_co_u32 v18, vcc_lo, v23, v18
	s_wait_alu 0xfffd
	v_add_co_ci_u32_e64 v19, null, v24, v19, vcc_lo
	flat_store_b64 v[18:19], v[16:17]
.LBB470_23:                             ;   in Loop: Header=BB470_6 Depth=1
	s_wait_alu 0xfffe
	s_or_b32 exec_lo, exec_lo, s22
	v_add_co_u32 v2, vcc_lo, v2, v10
	s_wait_alu 0xfffd
	v_add_co_ci_u32_e64 v18, null, v22, v11, vcc_lo
	s_and_saveexec_b32 s22, s35
	s_cbranch_execz .LBB470_27
; %bb.24:                               ;   in Loop: Header=BB470_6 Depth=1
	v_mul_f64_e32 v[14:15], s[10:11], v[14:15]
	v_lshlrev_b64_e32 v[16:17], 3, v[0:1]
	s_and_not1_b32 vcc_lo, exec_lo, s34
	s_wait_alu 0xfffe
	s_cbranch_vccnz .LBB470_32
; %bb.25:                               ;   in Loop: Header=BB470_6 Depth=1
	s_delay_alu instid0(VALU_DEP_1)
	v_add_co_u32 v19, vcc_lo, v2, v16
	s_wait_alu 0xfffd
	v_add_co_ci_u32_e64 v20, null, v18, v17, vcc_lo
	flat_load_b64 v[21:22], v[19:20]
	s_wait_loadcnt_dscnt 0x0
	v_fma_f64 v[21:22], s[6:7], v[21:22], v[14:15]
	flat_store_b64 v[19:20], v[21:22]
	s_cbranch_execnz .LBB470_27
.LBB470_26:                             ;   in Loop: Header=BB470_6 Depth=1
	s_delay_alu instid0(VALU_DEP_1)
	v_add_co_u32 v16, vcc_lo, v2, v16
	s_wait_alu 0xfffd
	v_add_co_ci_u32_e64 v17, null, v18, v17, vcc_lo
	flat_store_b64 v[16:17], v[14:15]
.LBB470_27:                             ;   in Loop: Header=BB470_6 Depth=1
	s_wait_alu 0xfffe
	s_or_b32 exec_lo, exec_lo, s22
	s_and_saveexec_b32 s22, s36
	s_cbranch_execz .LBB470_5
; %bb.28:                               ;   in Loop: Header=BB470_6 Depth=1
	v_mul_f64_e32 v[12:13], s[10:11], v[12:13]
	v_lshlrev_b64_e32 v[14:15], 3, v[4:5]
	s_and_not1_b32 vcc_lo, exec_lo, s34
	s_wait_alu 0xfffe
	s_cbranch_vccnz .LBB470_33
; %bb.29:                               ;   in Loop: Header=BB470_6 Depth=1
	s_delay_alu instid0(VALU_DEP_1)
	v_add_co_u32 v16, vcc_lo, v2, v14
	s_wait_alu 0xfffd
	v_add_co_ci_u32_e64 v17, null, v18, v15, vcc_lo
	flat_load_b64 v[19:20], v[16:17]
	s_wait_loadcnt_dscnt 0x0
	v_fma_f64 v[19:20], s[6:7], v[19:20], v[12:13]
	flat_store_b64 v[16:17], v[19:20]
	s_cbranch_execnz .LBB470_5
	s_branch .LBB470_34
.LBB470_30:                             ;   in Loop: Header=BB470_6 Depth=1
	s_branch .LBB470_18
.LBB470_31:                             ;   in Loop: Header=BB470_6 Depth=1
	s_branch .LBB470_22
.LBB470_32:                             ;   in Loop: Header=BB470_6 Depth=1
	s_branch .LBB470_26
.LBB470_33:                             ;   in Loop: Header=BB470_6 Depth=1
.LBB470_34:                             ;   in Loop: Header=BB470_6 Depth=1
	s_delay_alu instid0(VALU_DEP_1)
	v_add_co_u32 v14, vcc_lo, v2, v14
	s_wait_alu 0xfffd
	v_add_co_ci_u32_e64 v15, null, v18, v15, vcc_lo
	flat_store_b64 v[14:15], v[12:13]
	s_branch .LBB470_5
.LBB470_35:
	s_endpgm
	.section	.rodata,"a",@progbits
	.p2align	6, 0x0
	.amdhsa_kernel _ZL29rocblas_internal_gemmt_kernelIlLi16ELi32ELi8ELc78ELc67ELc85ELb0ELb0EdPKdPKS1_PKPdEviT_T9_T10_S7_lS9_S7_lS8_T11_S7_li
		.amdhsa_group_segment_fixed_size 4096
		.amdhsa_private_segment_fixed_size 0
		.amdhsa_kernarg_size 108
		.amdhsa_user_sgpr_count 2
		.amdhsa_user_sgpr_dispatch_ptr 0
		.amdhsa_user_sgpr_queue_ptr 0
		.amdhsa_user_sgpr_kernarg_segment_ptr 1
		.amdhsa_user_sgpr_dispatch_id 0
		.amdhsa_user_sgpr_private_segment_size 0
		.amdhsa_wavefront_size32 1
		.amdhsa_uses_dynamic_stack 0
		.amdhsa_enable_private_segment 0
		.amdhsa_system_sgpr_workgroup_id_x 1
		.amdhsa_system_sgpr_workgroup_id_y 1
		.amdhsa_system_sgpr_workgroup_id_z 1
		.amdhsa_system_sgpr_workgroup_info 0
		.amdhsa_system_vgpr_workitem_id 1
		.amdhsa_next_free_vgpr 53
		.amdhsa_next_free_sgpr 39
		.amdhsa_reserve_vcc 1
		.amdhsa_float_round_mode_32 0
		.amdhsa_float_round_mode_16_64 0
		.amdhsa_float_denorm_mode_32 3
		.amdhsa_float_denorm_mode_16_64 3
		.amdhsa_fp16_overflow 0
		.amdhsa_workgroup_processor_mode 1
		.amdhsa_memory_ordered 1
		.amdhsa_forward_progress 1
		.amdhsa_inst_pref_size 17
		.amdhsa_round_robin_scheduling 0
		.amdhsa_exception_fp_ieee_invalid_op 0
		.amdhsa_exception_fp_denorm_src 0
		.amdhsa_exception_fp_ieee_div_zero 0
		.amdhsa_exception_fp_ieee_overflow 0
		.amdhsa_exception_fp_ieee_underflow 0
		.amdhsa_exception_fp_ieee_inexact 0
		.amdhsa_exception_int_div_zero 0
	.end_amdhsa_kernel
	.section	.text._ZL29rocblas_internal_gemmt_kernelIlLi16ELi32ELi8ELc78ELc67ELc85ELb0ELb0EdPKdPKS1_PKPdEviT_T9_T10_S7_lS9_S7_lS8_T11_S7_li,"axG",@progbits,_ZL29rocblas_internal_gemmt_kernelIlLi16ELi32ELi8ELc78ELc67ELc85ELb0ELb0EdPKdPKS1_PKPdEviT_T9_T10_S7_lS9_S7_lS8_T11_S7_li,comdat
.Lfunc_end470:
	.size	_ZL29rocblas_internal_gemmt_kernelIlLi16ELi32ELi8ELc78ELc67ELc85ELb0ELb0EdPKdPKS1_PKPdEviT_T9_T10_S7_lS9_S7_lS8_T11_S7_li, .Lfunc_end470-_ZL29rocblas_internal_gemmt_kernelIlLi16ELi32ELi8ELc78ELc67ELc85ELb0ELb0EdPKdPKS1_PKPdEviT_T9_T10_S7_lS9_S7_lS8_T11_S7_li
                                        ; -- End function
	.set _ZL29rocblas_internal_gemmt_kernelIlLi16ELi32ELi8ELc78ELc67ELc85ELb0ELb0EdPKdPKS1_PKPdEviT_T9_T10_S7_lS9_S7_lS8_T11_S7_li.num_vgpr, 53
	.set _ZL29rocblas_internal_gemmt_kernelIlLi16ELi32ELi8ELc78ELc67ELc85ELb0ELb0EdPKdPKS1_PKPdEviT_T9_T10_S7_lS9_S7_lS8_T11_S7_li.num_agpr, 0
	.set _ZL29rocblas_internal_gemmt_kernelIlLi16ELi32ELi8ELc78ELc67ELc85ELb0ELb0EdPKdPKS1_PKPdEviT_T9_T10_S7_lS9_S7_lS8_T11_S7_li.numbered_sgpr, 39
	.set _ZL29rocblas_internal_gemmt_kernelIlLi16ELi32ELi8ELc78ELc67ELc85ELb0ELb0EdPKdPKS1_PKPdEviT_T9_T10_S7_lS9_S7_lS8_T11_S7_li.num_named_barrier, 0
	.set _ZL29rocblas_internal_gemmt_kernelIlLi16ELi32ELi8ELc78ELc67ELc85ELb0ELb0EdPKdPKS1_PKPdEviT_T9_T10_S7_lS9_S7_lS8_T11_S7_li.private_seg_size, 0
	.set _ZL29rocblas_internal_gemmt_kernelIlLi16ELi32ELi8ELc78ELc67ELc85ELb0ELb0EdPKdPKS1_PKPdEviT_T9_T10_S7_lS9_S7_lS8_T11_S7_li.uses_vcc, 1
	.set _ZL29rocblas_internal_gemmt_kernelIlLi16ELi32ELi8ELc78ELc67ELc85ELb0ELb0EdPKdPKS1_PKPdEviT_T9_T10_S7_lS9_S7_lS8_T11_S7_li.uses_flat_scratch, 0
	.set _ZL29rocblas_internal_gemmt_kernelIlLi16ELi32ELi8ELc78ELc67ELc85ELb0ELb0EdPKdPKS1_PKPdEviT_T9_T10_S7_lS9_S7_lS8_T11_S7_li.has_dyn_sized_stack, 0
	.set _ZL29rocblas_internal_gemmt_kernelIlLi16ELi32ELi8ELc78ELc67ELc85ELb0ELb0EdPKdPKS1_PKPdEviT_T9_T10_S7_lS9_S7_lS8_T11_S7_li.has_recursion, 0
	.set _ZL29rocblas_internal_gemmt_kernelIlLi16ELi32ELi8ELc78ELc67ELc85ELb0ELb0EdPKdPKS1_PKPdEviT_T9_T10_S7_lS9_S7_lS8_T11_S7_li.has_indirect_call, 0
	.section	.AMDGPU.csdata,"",@progbits
; Kernel info:
; codeLenInByte = 2132
; TotalNumSgprs: 41
; NumVgprs: 53
; ScratchSize: 0
; MemoryBound: 0
; FloatMode: 240
; IeeeMode: 1
; LDSByteSize: 4096 bytes/workgroup (compile time only)
; SGPRBlocks: 0
; VGPRBlocks: 6
; NumSGPRsForWavesPerEU: 41
; NumVGPRsForWavesPerEU: 53
; Occupancy: 16
; WaveLimiterHint : 1
; COMPUTE_PGM_RSRC2:SCRATCH_EN: 0
; COMPUTE_PGM_RSRC2:USER_SGPR: 2
; COMPUTE_PGM_RSRC2:TRAP_HANDLER: 0
; COMPUTE_PGM_RSRC2:TGID_X_EN: 1
; COMPUTE_PGM_RSRC2:TGID_Y_EN: 1
; COMPUTE_PGM_RSRC2:TGID_Z_EN: 1
; COMPUTE_PGM_RSRC2:TIDIG_COMP_CNT: 1
	.section	.text._ZL29rocblas_internal_gemmt_kernelIlLi16ELi32ELi8ELc84ELc78ELc85ELb0ELb0EdPKdPKS1_PKPdEviT_T9_T10_S7_lS9_S7_lS8_T11_S7_li,"axG",@progbits,_ZL29rocblas_internal_gemmt_kernelIlLi16ELi32ELi8ELc84ELc78ELc85ELb0ELb0EdPKdPKS1_PKPdEviT_T9_T10_S7_lS9_S7_lS8_T11_S7_li,comdat
	.globl	_ZL29rocblas_internal_gemmt_kernelIlLi16ELi32ELi8ELc84ELc78ELc85ELb0ELb0EdPKdPKS1_PKPdEviT_T9_T10_S7_lS9_S7_lS8_T11_S7_li ; -- Begin function _ZL29rocblas_internal_gemmt_kernelIlLi16ELi32ELi8ELc84ELc78ELc85ELb0ELb0EdPKdPKS1_PKPdEviT_T9_T10_S7_lS9_S7_lS8_T11_S7_li
	.p2align	8
	.type	_ZL29rocblas_internal_gemmt_kernelIlLi16ELi32ELi8ELc84ELc78ELc85ELb0ELb0EdPKdPKS1_PKPdEviT_T9_T10_S7_lS9_S7_lS8_T11_S7_li,@function
_ZL29rocblas_internal_gemmt_kernelIlLi16ELi32ELi8ELc84ELc78ELc85ELb0ELb0EdPKdPKS1_PKPdEviT_T9_T10_S7_lS9_S7_lS8_T11_S7_li: ; @_ZL29rocblas_internal_gemmt_kernelIlLi16ELi32ELi8ELc84ELc78ELc85ELb0ELb0EdPKdPKS1_PKPdEviT_T9_T10_S7_lS9_S7_lS8_T11_S7_li
; %bb.0:
	s_clause 0x1
	s_load_b256 s[24:31], s[0:1], 0x48
	s_load_b512 s[8:23], s[0:1], 0x8
	s_wait_kmcnt 0x0
	s_load_b64 s[6:7], s[24:25], 0x0
	s_load_b64 s[10:11], s[10:11], 0x0
	s_wait_kmcnt 0x0
	v_cmp_neq_f64_e64 s2, s[6:7], 1.0
	s_and_b32 vcc_lo, exec_lo, s2
	s_cbranch_vccnz .LBB471_2
; %bb.1:
	v_cmp_neq_f64_e64 s2, s[10:11], 0
	s_cmp_lg_u64 s[8:9], 0
	s_cselect_b32 s3, -1, 0
	s_delay_alu instid0(SALU_CYCLE_1)
	s_and_b32 s2, s3, s2
.LBB471_2:
	s_delay_alu instid0(SALU_CYCLE_1)
	s_and_not1_b32 vcc_lo, exec_lo, s2
	s_cbranch_vccnz .LBB471_35
; %bb.3:
	s_load_b32 s33, s[0:1], 0x68
	s_lshr_b32 s24, ttmp7, 16
	s_wait_kmcnt 0x0
	s_cmp_ge_u32 s24, s33
	s_cbranch_scc1 .LBB471_35
; %bb.4:
	v_bfe_u32 v14, v0, 10, 10
	s_load_b32 s3, s[0:1], 0x0
	s_lshl_b32 s0, ttmp7, 5
	v_and_b32_e32 v5, 0x3ff, v0
	s_and_b32 s0, s0, 0x1fffe0
	v_and_b32_e32 v28, 7, v0
	v_add_nc_u32_e32 v15, s0, v14
	s_lshl_b32 s2, ttmp9, 5
	v_lshl_add_u32 v0, v14, 4, v5
	v_cmp_neq_f64_e64 s35, s[10:11], 0
	s_ashr_i32 s1, s2, 31
	v_add_nc_u32_e32 v16, 16, v15
	s_wait_alu 0xfffe
	s_mul_i32 s1, s14, s1
	v_lshrrev_b32_e32 v1, 3, v0
	v_lshrrev_b32_e32 v29, 5, v0
	v_cmp_gt_i64_e64 s36, s[8:9], 0
	v_mad_co_u64_u32 v[12:13], null, s28, v16, 0
	v_and_b32_e32 v2, 31, v0
	v_add_nc_u32_e32 v4, s0, v1
	v_lshl_add_u32 v33, v14, 6, 0x800
	s_wait_kmcnt 0x0
	v_cmp_gt_i32_e32 vcc_lo, s3, v15
	s_mov_b32 s25, 0
	v_or_b32_e32 v10, s2, v2
	v_mad_co_u64_u32 v[8:9], null, s20, v4, 0
	v_lshlrev_b32_e32 v0, 3, v2
	v_cmp_neq_f64_e64 s20, s[6:7], 0
	s_delay_alu instid0(VALU_DEP_4)
	v_mul_lo_u32 v2, s15, v10
	v_mad_co_u64_u32 v[6:7], null, s14, v10, 0
	v_cmp_gt_i32_e64 s0, s3, v10
	v_mad_co_u64_u32 v[10:11], null, s28, v15, 0
	v_lshlrev_b32_e32 v3, 3, v28
	v_lshl_or_b32 v30, v29, 8, v0
	v_mov_b32_e32 v0, v9
	s_wait_alu 0xfffe
	v_add3_u32 v7, v7, s1, v2
	v_cmp_gt_i32_e64 s1, s3, v4
	v_lshl_or_b32 v1, v1, 6, v3
	v_lshlrev_b32_e32 v32, 3, v5
	s_lshl_b64 s[14:15], s[30:31], 3
	v_lshlrev_b64_e32 v[6:7], 3, v[6:7]
	s_delay_alu instid0(VALU_DEP_3) | instskip(SKIP_4) | instid1(VALU_DEP_2)
	v_add_nc_u32_e32 v31, 0x800, v1
	v_mad_co_u64_u32 v[1:2], null, s21, v4, v[0:1]
	v_add_nc_u32_e32 v0, s2, v5
	v_mov_b32_e32 v2, v11
	s_and_b32 s35, s35, s36
	v_cmp_le_i32_e64 s2, v0, v15
	s_delay_alu instid0(VALU_DEP_2) | instskip(SKIP_2) | instid1(VALU_DEP_4)
	v_mad_co_u64_u32 v[3:4], null, s29, v15, v[2:3]
	v_mov_b32_e32 v9, v1
	v_dual_mov_b32 v1, v13 :: v_dual_add_nc_u32 v2, 16, v0
	s_and_b32 s21, vcc_lo, s2
	s_delay_alu instid0(VALU_DEP_2) | instskip(NEXT) | instid1(VALU_DEP_4)
	v_lshlrev_b64_e32 v[8:9], 3, v[8:9]
	v_mov_b32_e32 v11, v3
	s_delay_alu instid0(VALU_DEP_3)
	v_mad_co_u64_u32 v[4:5], null, s29, v16, v[1:2]
	v_cmp_le_i32_e64 s2, v2, v15
	v_mov_b32_e32 v5, 0
	v_cmp_gt_i32_e64 s3, s3, v16
	v_cmp_le_i32_e64 s4, v0, v16
	v_cmp_le_i32_e64 s5, v2, v16
	v_lshlrev_b64_e32 v[10:11], 3, v[10:11]
	v_mov_b32_e32 v13, v4
	v_ashrrev_i32_e32 v1, 31, v0
	v_ashrrev_i32_e32 v3, 31, v2
	s_and_b32 s28, vcc_lo, s2
	s_and_b32 s29, s3, s4
	v_lshlrev_b64_e32 v[12:13], 3, v[12:13]
	s_and_b32 s34, s3, s5
	s_lshl_b64 s[2:3], s[22:23], 3
	s_lshl_b64 s[4:5], s[16:17], 3
	s_branch .LBB471_6
.LBB471_5:                              ;   in Loop: Header=BB471_6 Depth=1
	s_wait_alu 0xfffe
	s_or_b32 exec_lo, exec_lo, s16
	s_add_co_i32 s24, s24, 0x10000
	s_delay_alu instid0(SALU_CYCLE_1)
	s_cmp_lt_u32 s24, s33
	s_cbranch_scc0 .LBB471_35
.LBB471_6:                              ; =>This Loop Header: Depth=1
                                        ;     Child Loop BB471_9 Depth 2
	s_lshl_b64 s[16:17], s[24:25], 3
	v_mov_b32_e32 v22, 0
	s_wait_alu 0xfffe
	s_add_nc_u64 s[22:23], s[26:27], s[16:17]
	v_mov_b32_e32 v16, 0
	global_load_b64 v[18:19], v5, s[22:23]
	v_dual_mov_b32 v23, 0 :: v_dual_mov_b32 v20, 0
	v_dual_mov_b32 v17, 0 :: v_dual_mov_b32 v14, 0
	v_mov_b32_e32 v21, 0
	v_mov_b32_e32 v15, 0
	s_and_not1_b32 vcc_lo, exec_lo, s35
	s_wait_alu 0xfffe
	s_cbranch_vccnz .LBB471_15
; %bb.7:                                ;   in Loop: Header=BB471_6 Depth=1
	s_add_nc_u64 s[22:23], s[12:13], s[16:17]
	s_add_nc_u64 s[16:17], s[18:19], s[16:17]
	s_clause 0x1
	global_load_b64 v[24:25], v5, s[22:23]
	global_load_b64 v[26:27], v5, s[16:17]
	v_mov_b32_e32 v14, 0
	v_dual_mov_b32 v20, 0 :: v_dual_mov_b32 v15, 0
	v_dual_mov_b32 v16, 0 :: v_dual_mov_b32 v21, 0
	;; [unrolled: 1-line block ×3, first 2 shown]
	v_mov_b32_e32 v23, 0
	s_mov_b64 s[16:17], 0
	s_wait_loadcnt 0x1
	v_add_co_u32 v4, vcc_lo, v24, s4
	s_wait_alu 0xfffd
	v_add_co_ci_u32_e64 v24, null, s5, v25, vcc_lo
	s_wait_loadcnt 0x0
	v_add_co_u32 v25, vcc_lo, v26, s2
	s_wait_alu 0xfffd
	v_add_co_ci_u32_e64 v26, null, s3, v27, vcc_lo
	v_add_co_u32 v34, vcc_lo, v4, v6
	s_wait_alu 0xfffd
	v_add_co_ci_u32_e64 v35, null, v24, v7, vcc_lo
	;; [unrolled: 3-line block ×3, first 2 shown]
	s_branch .LBB471_9
.LBB471_8:                              ;   in Loop: Header=BB471_9 Depth=2
	s_or_b32 exec_lo, exec_lo, s22
	s_wait_loadcnt_dscnt 0x0
	ds_store_b64 v31, v[26:27]
	s_wait_dscnt 0x0
	s_barrier_signal -1
	s_barrier_wait -1
	global_inv scope:SCOPE_SE
	ds_load_b128 v[24:27], v33
	ds_load_2addr_b64 v[38:41], v32 offset1:16
	ds_load_b128 v[42:45], v33 offset:1024
	ds_load_b128 v[46:49], v33 offset:16
	;; [unrolled: 1-line block ×3, first 2 shown]
	s_add_nc_u64 s[16:17], s[16:17], 8
	s_wait_alu 0xfffe
	v_cmp_gt_i64_e64 s22, s[8:9], s[16:17]
	s_and_b32 vcc_lo, exec_lo, s22
	s_wait_dscnt 0x3
	v_fma_f64 v[22:23], v[38:39], v[24:25], v[22:23]
	v_fma_f64 v[20:21], v[40:41], v[24:25], v[20:21]
	s_wait_dscnt 0x2
	v_fma_f64 v[24:25], v[38:39], v[42:43], v[16:17]
	v_fma_f64 v[38:39], v[40:41], v[42:43], v[14:15]
	ds_load_2addr_b64 v[14:17], v32 offset0:32 offset1:48
	s_wait_dscnt 0x0
	v_fma_f64 v[22:23], v[14:15], v[26:27], v[22:23]
	v_fma_f64 v[20:21], v[16:17], v[26:27], v[20:21]
	v_fma_f64 v[24:25], v[14:15], v[44:45], v[24:25]
	v_fma_f64 v[26:27], v[16:17], v[44:45], v[38:39]
	ds_load_2addr_b64 v[14:17], v32 offset0:64 offset1:80
	s_wait_dscnt 0x0
	v_fma_f64 v[22:23], v[14:15], v[46:47], v[22:23]
	v_fma_f64 v[20:21], v[16:17], v[46:47], v[20:21]
	;; [unrolled: 6-line block ×3, first 2 shown]
	v_fma_f64 v[50:51], v[14:15], v[52:53], v[24:25]
	v_fma_f64 v[52:53], v[16:17], v[52:53], v[26:27]
	ds_load_b128 v[14:17], v33 offset:32
	ds_load_2addr_b64 v[20:23], v32 offset0:128 offset1:144
	ds_load_b128 v[24:27], v33 offset:1056
	ds_load_b128 v[38:41], v33 offset:48
	;; [unrolled: 1-line block ×3, first 2 shown]
	s_wait_dscnt 0x3
	v_fma_f64 v[46:47], v[20:21], v[14:15], v[46:47]
	v_fma_f64 v[14:15], v[22:23], v[14:15], v[48:49]
	s_wait_dscnt 0x2
	v_fma_f64 v[48:49], v[20:21], v[24:25], v[50:51]
	v_fma_f64 v[24:25], v[22:23], v[24:25], v[52:53]
	ds_load_2addr_b64 v[20:23], v32 offset0:160 offset1:176
	s_wait_dscnt 0x0
	v_fma_f64 v[46:47], v[20:21], v[16:17], v[46:47]
	v_fma_f64 v[50:51], v[22:23], v[16:17], v[14:15]
	;; [unrolled: 1-line block ×4, first 2 shown]
	ds_load_2addr_b64 v[14:17], v32 offset0:192 offset1:208
	ds_load_2addr_b64 v[24:27], v32 offset0:224 offset1:240
	s_wait_loadcnt_dscnt 0x0
	s_barrier_signal -1
	s_barrier_wait -1
	global_inv scope:SCOPE_SE
	v_fma_f64 v[46:47], v[14:15], v[38:39], v[46:47]
	v_fma_f64 v[38:39], v[16:17], v[38:39], v[50:51]
	;; [unrolled: 1-line block ×4, first 2 shown]
	s_delay_alu instid0(VALU_DEP_4) | instskip(NEXT) | instid1(VALU_DEP_4)
	v_fma_f64 v[22:23], v[24:25], v[40:41], v[46:47]
	v_fma_f64 v[20:21], v[26:27], v[40:41], v[38:39]
	s_delay_alu instid0(VALU_DEP_4) | instskip(NEXT) | instid1(VALU_DEP_4)
	v_fma_f64 v[16:17], v[24:25], v[44:45], v[14:15]
	v_fma_f64 v[14:15], v[26:27], v[44:45], v[42:43]
	s_wait_alu 0xfffe
	s_cbranch_vccz .LBB471_15
.LBB471_9:                              ;   Parent Loop BB471_6 Depth=1
                                        ; =>  This Inner Loop Header: Depth=2
	v_mov_b32_e32 v24, 0
	v_mov_b32_e32 v25, 0
	s_and_saveexec_b32 s22, s0
	s_cbranch_execz .LBB471_13
; %bb.10:                               ;   in Loop: Header=BB471_9 Depth=2
	v_mov_b32_e32 v24, 0
	s_wait_alu 0xfffe
	v_dual_mov_b32 v25, 0 :: v_dual_add_nc_u32 v4, s16, v29
	s_mov_b32 s23, exec_lo
	s_delay_alu instid0(VALU_DEP_1)
	v_cmpx_gt_u64_e64 s[8:9], v[4:5]
	s_cbranch_execz .LBB471_12
; %bb.11:                               ;   in Loop: Header=BB471_9 Depth=2
	v_lshlrev_b64_e32 v[24:25], 3, v[4:5]
	s_delay_alu instid0(VALU_DEP_1) | instskip(SKIP_1) | instid1(VALU_DEP_2)
	v_add_co_u32 v24, vcc_lo, v34, v24
	s_wait_alu 0xfffd
	v_add_co_ci_u32_e64 v25, null, v35, v25, vcc_lo
	flat_load_b64 v[24:25], v[24:25]
.LBB471_12:                             ;   in Loop: Header=BB471_9 Depth=2
	s_or_b32 exec_lo, exec_lo, s23
.LBB471_13:                             ;   in Loop: Header=BB471_9 Depth=2
	s_delay_alu instid0(SALU_CYCLE_1)
	s_or_b32 exec_lo, exec_lo, s22
	s_wait_alu 0xfffe
	v_add_nc_u32_e32 v4, s16, v28
	v_mov_b32_e32 v26, 0
	v_mov_b32_e32 v27, 0
	s_wait_loadcnt_dscnt 0x0
	ds_store_b64 v30, v[24:25]
	v_cmp_gt_u64_e32 vcc_lo, s[8:9], v[4:5]
	s_and_b32 s23, vcc_lo, s1
	s_delay_alu instid0(SALU_CYCLE_1)
	s_and_saveexec_b32 s22, s23
	s_cbranch_execz .LBB471_8
; %bb.14:                               ;   in Loop: Header=BB471_9 Depth=2
	v_lshlrev_b64_e32 v[24:25], 3, v[4:5]
	s_delay_alu instid0(VALU_DEP_1) | instskip(SKIP_1) | instid1(VALU_DEP_2)
	v_add_co_u32 v24, vcc_lo, v36, v24
	s_wait_alu 0xfffd
	v_add_co_ci_u32_e64 v25, null, v37, v25, vcc_lo
	flat_load_b64 v[26:27], v[24:25]
	s_branch .LBB471_8
.LBB471_15:                             ;   in Loop: Header=BB471_6 Depth=1
	s_wait_loadcnt 0x0
	s_wait_alu 0xfffe
	v_add_co_u32 v4, vcc_lo, v18, s14
	s_wait_alu 0xfffd
	v_add_co_ci_u32_e64 v24, null, s15, v19, vcc_lo
	s_delay_alu instid0(VALU_DEP_2) | instskip(SKIP_1) | instid1(VALU_DEP_2)
	v_add_co_u32 v25, vcc_lo, v4, v10
	s_wait_alu 0xfffd
	v_add_co_ci_u32_e64 v26, null, v24, v11, vcc_lo
	s_and_saveexec_b32 s16, s21
	s_cbranch_execz .LBB471_19
; %bb.16:                               ;   in Loop: Header=BB471_6 Depth=1
	v_mul_f64_e32 v[18:19], s[10:11], v[22:23]
	s_and_b32 vcc_lo, exec_lo, s20
	s_wait_alu 0xfffe
	s_cbranch_vccz .LBB471_30
; %bb.17:                               ;   in Loop: Header=BB471_6 Depth=1
	v_lshlrev_b64_e32 v[22:23], 3, v[0:1]
	s_delay_alu instid0(VALU_DEP_1) | instskip(SKIP_1) | instid1(VALU_DEP_2)
	v_add_co_u32 v22, vcc_lo, v25, v22
	s_wait_alu 0xfffd
	v_add_co_ci_u32_e64 v23, null, v26, v23, vcc_lo
	flat_load_b64 v[34:35], v[22:23]
	s_wait_loadcnt_dscnt 0x0
	v_fma_f64 v[34:35], s[6:7], v[34:35], v[18:19]
	flat_store_b64 v[22:23], v[34:35]
	s_cbranch_execnz .LBB471_19
.LBB471_18:                             ;   in Loop: Header=BB471_6 Depth=1
	v_lshlrev_b64_e32 v[22:23], 3, v[0:1]
	s_delay_alu instid0(VALU_DEP_1) | instskip(SKIP_1) | instid1(VALU_DEP_2)
	v_add_co_u32 v22, vcc_lo, v25, v22
	s_wait_alu 0xfffd
	v_add_co_ci_u32_e64 v23, null, v26, v23, vcc_lo
	flat_store_b64 v[22:23], v[18:19]
.LBB471_19:                             ;   in Loop: Header=BB471_6 Depth=1
	s_wait_alu 0xfffe
	s_or_b32 exec_lo, exec_lo, s16
	s_and_saveexec_b32 s16, s28
	s_cbranch_execz .LBB471_23
; %bb.20:                               ;   in Loop: Header=BB471_6 Depth=1
	v_mul_f64_e32 v[18:19], s[10:11], v[20:21]
	s_and_not1_b32 vcc_lo, exec_lo, s20
	s_wait_alu 0xfffe
	s_cbranch_vccnz .LBB471_31
; %bb.21:                               ;   in Loop: Header=BB471_6 Depth=1
	v_lshlrev_b64_e32 v[20:21], 3, v[2:3]
	s_delay_alu instid0(VALU_DEP_1) | instskip(SKIP_1) | instid1(VALU_DEP_2)
	v_add_co_u32 v20, vcc_lo, v25, v20
	s_wait_alu 0xfffd
	v_add_co_ci_u32_e64 v21, null, v26, v21, vcc_lo
	flat_load_b64 v[22:23], v[20:21]
	s_wait_loadcnt_dscnt 0x0
	v_fma_f64 v[22:23], s[6:7], v[22:23], v[18:19]
	flat_store_b64 v[20:21], v[22:23]
	s_cbranch_execnz .LBB471_23
.LBB471_22:                             ;   in Loop: Header=BB471_6 Depth=1
	v_lshlrev_b64_e32 v[20:21], 3, v[2:3]
	s_delay_alu instid0(VALU_DEP_1) | instskip(SKIP_1) | instid1(VALU_DEP_2)
	v_add_co_u32 v20, vcc_lo, v25, v20
	s_wait_alu 0xfffd
	v_add_co_ci_u32_e64 v21, null, v26, v21, vcc_lo
	flat_store_b64 v[20:21], v[18:19]
.LBB471_23:                             ;   in Loop: Header=BB471_6 Depth=1
	s_wait_alu 0xfffe
	s_or_b32 exec_lo, exec_lo, s16
	v_add_co_u32 v4, vcc_lo, v4, v12
	s_wait_alu 0xfffd
	v_add_co_ci_u32_e64 v20, null, v24, v13, vcc_lo
	s_and_saveexec_b32 s16, s29
	s_cbranch_execz .LBB471_27
; %bb.24:                               ;   in Loop: Header=BB471_6 Depth=1
	v_mul_f64_e32 v[16:17], s[10:11], v[16:17]
	v_lshlrev_b64_e32 v[18:19], 3, v[0:1]
	s_and_not1_b32 vcc_lo, exec_lo, s20
	s_wait_alu 0xfffe
	s_cbranch_vccnz .LBB471_32
; %bb.25:                               ;   in Loop: Header=BB471_6 Depth=1
	s_delay_alu instid0(VALU_DEP_1)
	v_add_co_u32 v21, vcc_lo, v4, v18
	s_wait_alu 0xfffd
	v_add_co_ci_u32_e64 v22, null, v20, v19, vcc_lo
	flat_load_b64 v[23:24], v[21:22]
	s_wait_loadcnt_dscnt 0x0
	v_fma_f64 v[23:24], s[6:7], v[23:24], v[16:17]
	flat_store_b64 v[21:22], v[23:24]
	s_cbranch_execnz .LBB471_27
.LBB471_26:                             ;   in Loop: Header=BB471_6 Depth=1
	s_delay_alu instid0(VALU_DEP_1)
	v_add_co_u32 v18, vcc_lo, v4, v18
	s_wait_alu 0xfffd
	v_add_co_ci_u32_e64 v19, null, v20, v19, vcc_lo
	flat_store_b64 v[18:19], v[16:17]
.LBB471_27:                             ;   in Loop: Header=BB471_6 Depth=1
	s_wait_alu 0xfffe
	s_or_b32 exec_lo, exec_lo, s16
	s_and_saveexec_b32 s16, s34
	s_cbranch_execz .LBB471_5
; %bb.28:                               ;   in Loop: Header=BB471_6 Depth=1
	v_mul_f64_e32 v[14:15], s[10:11], v[14:15]
	v_lshlrev_b64_e32 v[16:17], 3, v[2:3]
	s_and_not1_b32 vcc_lo, exec_lo, s20
	s_wait_alu 0xfffe
	s_cbranch_vccnz .LBB471_33
; %bb.29:                               ;   in Loop: Header=BB471_6 Depth=1
	s_delay_alu instid0(VALU_DEP_1)
	v_add_co_u32 v18, vcc_lo, v4, v16
	s_wait_alu 0xfffd
	v_add_co_ci_u32_e64 v19, null, v20, v17, vcc_lo
	flat_load_b64 v[21:22], v[18:19]
	s_wait_loadcnt_dscnt 0x0
	v_fma_f64 v[21:22], s[6:7], v[21:22], v[14:15]
	flat_store_b64 v[18:19], v[21:22]
	s_cbranch_execnz .LBB471_5
	s_branch .LBB471_34
.LBB471_30:                             ;   in Loop: Header=BB471_6 Depth=1
	s_branch .LBB471_18
.LBB471_31:                             ;   in Loop: Header=BB471_6 Depth=1
	s_branch .LBB471_22
.LBB471_32:                             ;   in Loop: Header=BB471_6 Depth=1
	s_branch .LBB471_26
.LBB471_33:                             ;   in Loop: Header=BB471_6 Depth=1
.LBB471_34:                             ;   in Loop: Header=BB471_6 Depth=1
	s_delay_alu instid0(VALU_DEP_1)
	v_add_co_u32 v16, vcc_lo, v4, v16
	s_wait_alu 0xfffd
	v_add_co_ci_u32_e64 v17, null, v20, v17, vcc_lo
	flat_store_b64 v[16:17], v[14:15]
	s_branch .LBB471_5
.LBB471_35:
	s_endpgm
	.section	.rodata,"a",@progbits
	.p2align	6, 0x0
	.amdhsa_kernel _ZL29rocblas_internal_gemmt_kernelIlLi16ELi32ELi8ELc84ELc78ELc85ELb0ELb0EdPKdPKS1_PKPdEviT_T9_T10_S7_lS9_S7_lS8_T11_S7_li
		.amdhsa_group_segment_fixed_size 4096
		.amdhsa_private_segment_fixed_size 0
		.amdhsa_kernarg_size 108
		.amdhsa_user_sgpr_count 2
		.amdhsa_user_sgpr_dispatch_ptr 0
		.amdhsa_user_sgpr_queue_ptr 0
		.amdhsa_user_sgpr_kernarg_segment_ptr 1
		.amdhsa_user_sgpr_dispatch_id 0
		.amdhsa_user_sgpr_private_segment_size 0
		.amdhsa_wavefront_size32 1
		.amdhsa_uses_dynamic_stack 0
		.amdhsa_enable_private_segment 0
		.amdhsa_system_sgpr_workgroup_id_x 1
		.amdhsa_system_sgpr_workgroup_id_y 1
		.amdhsa_system_sgpr_workgroup_id_z 1
		.amdhsa_system_sgpr_workgroup_info 0
		.amdhsa_system_vgpr_workitem_id 1
		.amdhsa_next_free_vgpr 54
		.amdhsa_next_free_sgpr 37
		.amdhsa_reserve_vcc 1
		.amdhsa_float_round_mode_32 0
		.amdhsa_float_round_mode_16_64 0
		.amdhsa_float_denorm_mode_32 3
		.amdhsa_float_denorm_mode_16_64 3
		.amdhsa_fp16_overflow 0
		.amdhsa_workgroup_processor_mode 1
		.amdhsa_memory_ordered 1
		.amdhsa_forward_progress 1
		.amdhsa_inst_pref_size 17
		.amdhsa_round_robin_scheduling 0
		.amdhsa_exception_fp_ieee_invalid_op 0
		.amdhsa_exception_fp_denorm_src 0
		.amdhsa_exception_fp_ieee_div_zero 0
		.amdhsa_exception_fp_ieee_overflow 0
		.amdhsa_exception_fp_ieee_underflow 0
		.amdhsa_exception_fp_ieee_inexact 0
		.amdhsa_exception_int_div_zero 0
	.end_amdhsa_kernel
	.section	.text._ZL29rocblas_internal_gemmt_kernelIlLi16ELi32ELi8ELc84ELc78ELc85ELb0ELb0EdPKdPKS1_PKPdEviT_T9_T10_S7_lS9_S7_lS8_T11_S7_li,"axG",@progbits,_ZL29rocblas_internal_gemmt_kernelIlLi16ELi32ELi8ELc84ELc78ELc85ELb0ELb0EdPKdPKS1_PKPdEviT_T9_T10_S7_lS9_S7_lS8_T11_S7_li,comdat
.Lfunc_end471:
	.size	_ZL29rocblas_internal_gemmt_kernelIlLi16ELi32ELi8ELc84ELc78ELc85ELb0ELb0EdPKdPKS1_PKPdEviT_T9_T10_S7_lS9_S7_lS8_T11_S7_li, .Lfunc_end471-_ZL29rocblas_internal_gemmt_kernelIlLi16ELi32ELi8ELc84ELc78ELc85ELb0ELb0EdPKdPKS1_PKPdEviT_T9_T10_S7_lS9_S7_lS8_T11_S7_li
                                        ; -- End function
	.set _ZL29rocblas_internal_gemmt_kernelIlLi16ELi32ELi8ELc84ELc78ELc85ELb0ELb0EdPKdPKS1_PKPdEviT_T9_T10_S7_lS9_S7_lS8_T11_S7_li.num_vgpr, 54
	.set _ZL29rocblas_internal_gemmt_kernelIlLi16ELi32ELi8ELc84ELc78ELc85ELb0ELb0EdPKdPKS1_PKPdEviT_T9_T10_S7_lS9_S7_lS8_T11_S7_li.num_agpr, 0
	.set _ZL29rocblas_internal_gemmt_kernelIlLi16ELi32ELi8ELc84ELc78ELc85ELb0ELb0EdPKdPKS1_PKPdEviT_T9_T10_S7_lS9_S7_lS8_T11_S7_li.numbered_sgpr, 37
	.set _ZL29rocblas_internal_gemmt_kernelIlLi16ELi32ELi8ELc84ELc78ELc85ELb0ELb0EdPKdPKS1_PKPdEviT_T9_T10_S7_lS9_S7_lS8_T11_S7_li.num_named_barrier, 0
	.set _ZL29rocblas_internal_gemmt_kernelIlLi16ELi32ELi8ELc84ELc78ELc85ELb0ELb0EdPKdPKS1_PKPdEviT_T9_T10_S7_lS9_S7_lS8_T11_S7_li.private_seg_size, 0
	.set _ZL29rocblas_internal_gemmt_kernelIlLi16ELi32ELi8ELc84ELc78ELc85ELb0ELb0EdPKdPKS1_PKPdEviT_T9_T10_S7_lS9_S7_lS8_T11_S7_li.uses_vcc, 1
	.set _ZL29rocblas_internal_gemmt_kernelIlLi16ELi32ELi8ELc84ELc78ELc85ELb0ELb0EdPKdPKS1_PKPdEviT_T9_T10_S7_lS9_S7_lS8_T11_S7_li.uses_flat_scratch, 0
	.set _ZL29rocblas_internal_gemmt_kernelIlLi16ELi32ELi8ELc84ELc78ELc85ELb0ELb0EdPKdPKS1_PKPdEviT_T9_T10_S7_lS9_S7_lS8_T11_S7_li.has_dyn_sized_stack, 0
	.set _ZL29rocblas_internal_gemmt_kernelIlLi16ELi32ELi8ELc84ELc78ELc85ELb0ELb0EdPKdPKS1_PKPdEviT_T9_T10_S7_lS9_S7_lS8_T11_S7_li.has_recursion, 0
	.set _ZL29rocblas_internal_gemmt_kernelIlLi16ELi32ELi8ELc84ELc78ELc85ELb0ELb0EdPKdPKS1_PKPdEviT_T9_T10_S7_lS9_S7_lS8_T11_S7_li.has_indirect_call, 0
	.section	.AMDGPU.csdata,"",@progbits
; Kernel info:
; codeLenInByte = 2156
; TotalNumSgprs: 39
; NumVgprs: 54
; ScratchSize: 0
; MemoryBound: 0
; FloatMode: 240
; IeeeMode: 1
; LDSByteSize: 4096 bytes/workgroup (compile time only)
; SGPRBlocks: 0
; VGPRBlocks: 6
; NumSGPRsForWavesPerEU: 39
; NumVGPRsForWavesPerEU: 54
; Occupancy: 16
; WaveLimiterHint : 1
; COMPUTE_PGM_RSRC2:SCRATCH_EN: 0
; COMPUTE_PGM_RSRC2:USER_SGPR: 2
; COMPUTE_PGM_RSRC2:TRAP_HANDLER: 0
; COMPUTE_PGM_RSRC2:TGID_X_EN: 1
; COMPUTE_PGM_RSRC2:TGID_Y_EN: 1
; COMPUTE_PGM_RSRC2:TGID_Z_EN: 1
; COMPUTE_PGM_RSRC2:TIDIG_COMP_CNT: 1
	.section	.text._ZL29rocblas_internal_gemmt_kernelIlLi16ELi32ELi8ELc84ELc84ELc85ELb0ELb0EdPKdPKS1_PKPdEviT_T9_T10_S7_lS9_S7_lS8_T11_S7_li,"axG",@progbits,_ZL29rocblas_internal_gemmt_kernelIlLi16ELi32ELi8ELc84ELc84ELc85ELb0ELb0EdPKdPKS1_PKPdEviT_T9_T10_S7_lS9_S7_lS8_T11_S7_li,comdat
	.globl	_ZL29rocblas_internal_gemmt_kernelIlLi16ELi32ELi8ELc84ELc84ELc85ELb0ELb0EdPKdPKS1_PKPdEviT_T9_T10_S7_lS9_S7_lS8_T11_S7_li ; -- Begin function _ZL29rocblas_internal_gemmt_kernelIlLi16ELi32ELi8ELc84ELc84ELc85ELb0ELb0EdPKdPKS1_PKPdEviT_T9_T10_S7_lS9_S7_lS8_T11_S7_li
	.p2align	8
	.type	_ZL29rocblas_internal_gemmt_kernelIlLi16ELi32ELi8ELc84ELc84ELc85ELb0ELb0EdPKdPKS1_PKPdEviT_T9_T10_S7_lS9_S7_lS8_T11_S7_li,@function
_ZL29rocblas_internal_gemmt_kernelIlLi16ELi32ELi8ELc84ELc84ELc85ELb0ELb0EdPKdPKS1_PKPdEviT_T9_T10_S7_lS9_S7_lS8_T11_S7_li: ; @_ZL29rocblas_internal_gemmt_kernelIlLi16ELi32ELi8ELc84ELc84ELc85ELb0ELb0EdPKdPKS1_PKPdEviT_T9_T10_S7_lS9_S7_lS8_T11_S7_li
; %bb.0:
	s_clause 0x1
	s_load_b256 s[24:31], s[0:1], 0x48
	s_load_b512 s[8:23], s[0:1], 0x8
	s_wait_kmcnt 0x0
	s_load_b64 s[6:7], s[24:25], 0x0
	s_load_b64 s[10:11], s[10:11], 0x0
	s_wait_kmcnt 0x0
	v_cmp_neq_f64_e64 s2, s[6:7], 1.0
	s_and_b32 vcc_lo, exec_lo, s2
	s_cbranch_vccnz .LBB472_2
; %bb.1:
	v_cmp_neq_f64_e64 s2, s[10:11], 0
	s_cmp_lg_u64 s[8:9], 0
	s_cselect_b32 s3, -1, 0
	s_delay_alu instid0(SALU_CYCLE_1)
	s_and_b32 s2, s3, s2
.LBB472_2:
	s_delay_alu instid0(SALU_CYCLE_1)
	s_and_not1_b32 vcc_lo, exec_lo, s2
	s_cbranch_vccnz .LBB472_35
; %bb.3:
	s_load_b32 s33, s[0:1], 0x68
	s_lshr_b32 s24, ttmp7, 16
	s_wait_kmcnt 0x0
	s_cmp_ge_u32 s24, s33
	s_cbranch_scc1 .LBB472_35
; %bb.4:
	v_bfe_u32 v5, v0, 10, 10
	s_load_b32 s3, s[0:1], 0x0
	s_lshl_b32 s0, ttmp7, 5
	v_and_b32_e32 v26, 7, v0
	s_and_b32 s0, s0, 0x1fffe0
	s_lshl_b32 s2, ttmp9, 5
	v_add_nc_u32_e32 v13, s0, v5
	v_cmp_neq_f64_e64 s37, s[10:11], 0
	v_cmp_neq_f64_e64 s34, s[6:7], 0
	s_ashr_i32 s1, s2, 31
	v_lshlrev_b32_e32 v3, 3, v26
	v_mad_co_u64_u32 v[8:9], null, s28, v13, 0
	v_and_b32_e32 v4, 0x3ff, v0
	v_add_nc_u32_e32 v15, 16, v13
	s_wait_alu 0xfffe
	s_mul_i32 s1, s14, s1
	v_cmp_gt_i64_e64 s38, s[8:9], 0
	v_lshl_add_u32 v31, v5, 6, 0x800
	v_lshl_add_u32 v0, v5, 4, v4
	s_mov_b32 s25, 0
	s_wait_kmcnt 0x0
	v_cmp_gt_i32_e32 vcc_lo, s3, v13
	s_delay_alu instid0(VALU_DEP_2) | instskip(SKIP_2) | instid1(VALU_DEP_3)
	v_and_b32_e32 v1, 31, v0
	v_lshrrev_b32_e32 v27, 5, v0
	v_lshrrev_b32_e32 v0, 3, v0
	v_or_b32_e32 v2, s2, v1
	v_lshlrev_b32_e32 v1, 3, v1
	s_delay_alu instid0(VALU_DEP_3)
	v_add_nc_u32_e32 v14, s0, v0
	v_lshl_or_b32 v0, v0, 6, v3
	v_mov_b32_e32 v3, 0
	v_mul_lo_u32 v10, s15, v2
	v_mad_co_u64_u32 v[6:7], null, s14, v2, 0
	v_lshl_or_b32 v28, v27, 8, v1
	v_mov_b32_e32 v1, v9
	v_cmp_gt_i32_e64 s0, s3, v2
	v_add_nc_u32_e32 v29, 0x800, v0
	v_add_nc_u32_e32 v0, s2, v4
	v_lshlrev_b32_e32 v30, 3, v4
	s_wait_alu 0xfffe
	v_add3_u32 v7, v7, s1, v10
	v_mad_co_u64_u32 v[10:11], null, s28, v15, 0
	v_mad_co_u64_u32 v[1:2], null, s29, v13, v[1:2]
	v_cmp_le_i32_e64 s2, v0, v13
	v_add_nc_u32_e32 v4, 16, v0
	v_cmp_le_i32_e64 s4, v0, v15
	v_lshlrev_b64_e32 v[6:7], 3, v[6:7]
	v_mov_b32_e32 v2, v11
	s_and_b32 s28, vcc_lo, s2
	v_mov_b32_e32 v9, v1
	v_cmp_gt_i32_e64 s1, s3, v14
	v_cmp_le_i32_e64 s2, v4, v13
	v_mad_co_u64_u32 v[11:12], null, s29, v15, v[2:3]
	v_cmp_gt_i32_e64 s3, s3, v15
	v_cmp_le_i32_e64 s5, v4, v15
	v_lshlrev_b64_e32 v[8:9], 3, v[8:9]
	v_ashrrev_i32_e32 v1, 31, v0
	v_ashrrev_i32_e32 v5, 31, v4
	v_lshlrev_b32_e32 v32, 3, v14
	v_lshlrev_b64_e32 v[10:11], 3, v[10:11]
	s_and_b32 s29, vcc_lo, s2
	s_and_b32 s35, s3, s4
	s_and_b32 s36, s3, s5
	;; [unrolled: 1-line block ×3, first 2 shown]
	s_lshl_b64 s[2:3], s[22:23], 3
	s_lshl_b64 s[4:5], s[16:17], 3
	;; [unrolled: 1-line block ×3, first 2 shown]
	s_branch .LBB472_6
.LBB472_5:                              ;   in Loop: Header=BB472_6 Depth=1
	s_wait_alu 0xfffe
	s_or_b32 exec_lo, exec_lo, s16
	s_add_co_i32 s24, s24, 0x10000
	s_delay_alu instid0(SALU_CYCLE_1)
	s_cmp_lt_u32 s24, s33
	s_cbranch_scc0 .LBB472_35
.LBB472_6:                              ; =>This Loop Header: Depth=1
                                        ;     Child Loop BB472_9 Depth 2
	s_lshl_b64 s[16:17], s[24:25], 3
	v_mov_b32_e32 v20, 0
	s_wait_alu 0xfffe
	s_add_nc_u64 s[22:23], s[26:27], s[16:17]
	v_mov_b32_e32 v14, 0
	global_load_b64 v[16:17], v3, s[22:23]
	v_dual_mov_b32 v21, 0 :: v_dual_mov_b32 v18, 0
	v_dual_mov_b32 v15, 0 :: v_dual_mov_b32 v12, 0
	v_mov_b32_e32 v19, 0
	v_mov_b32_e32 v13, 0
	s_and_not1_b32 vcc_lo, exec_lo, s37
	s_wait_alu 0xfffe
	s_cbranch_vccnz .LBB472_15
; %bb.7:                                ;   in Loop: Header=BB472_6 Depth=1
	s_add_nc_u64 s[22:23], s[12:13], s[16:17]
	s_add_nc_u64 s[16:17], s[18:19], s[16:17]
	s_clause 0x1
	global_load_b64 v[22:23], v3, s[22:23]
	global_load_b64 v[24:25], v3, s[16:17]
	v_mov_b32_e32 v12, 0
	v_dual_mov_b32 v18, 0 :: v_dual_mov_b32 v13, 0
	v_dual_mov_b32 v14, 0 :: v_dual_mov_b32 v19, 0
	;; [unrolled: 1-line block ×3, first 2 shown]
	v_mov_b32_e32 v21, 0
	s_mov_b64 s[16:17], 0
	s_wait_loadcnt 0x1
	v_add_co_u32 v2, vcc_lo, v22, s4
	s_wait_alu 0xfffd
	v_add_co_ci_u32_e64 v22, null, s5, v23, vcc_lo
	s_wait_loadcnt 0x0
	v_add_co_u32 v23, vcc_lo, v24, s2
	s_wait_alu 0xfffd
	v_add_co_ci_u32_e64 v24, null, s3, v25, vcc_lo
	v_add_co_u32 v33, vcc_lo, v2, v6
	s_wait_alu 0xfffd
	v_add_co_ci_u32_e64 v34, null, v22, v7, vcc_lo
	;; [unrolled: 3-line block ×3, first 2 shown]
	s_branch .LBB472_9
.LBB472_8:                              ;   in Loop: Header=BB472_9 Depth=2
	s_or_b32 exec_lo, exec_lo, s22
	s_wait_loadcnt_dscnt 0x0
	ds_store_b64 v29, v[24:25]
	s_wait_dscnt 0x0
	s_barrier_signal -1
	s_barrier_wait -1
	global_inv scope:SCOPE_SE
	ds_load_b128 v[22:25], v31
	ds_load_2addr_b64 v[37:40], v30 offset1:16
	ds_load_b128 v[41:44], v31 offset:1024
	ds_load_b128 v[45:48], v31 offset:16
	;; [unrolled: 1-line block ×3, first 2 shown]
	s_add_nc_u64 s[16:17], s[16:17], 8
	s_wait_alu 0xfffe
	v_cmp_gt_i64_e64 s22, s[8:9], s[16:17]
	s_and_b32 vcc_lo, exec_lo, s22
	s_wait_dscnt 0x3
	v_fma_f64 v[20:21], v[37:38], v[22:23], v[20:21]
	v_fma_f64 v[18:19], v[39:40], v[22:23], v[18:19]
	s_wait_dscnt 0x2
	v_fma_f64 v[22:23], v[37:38], v[41:42], v[14:15]
	v_fma_f64 v[37:38], v[39:40], v[41:42], v[12:13]
	ds_load_2addr_b64 v[12:15], v30 offset0:32 offset1:48
	s_wait_dscnt 0x0
	v_fma_f64 v[20:21], v[12:13], v[24:25], v[20:21]
	v_fma_f64 v[18:19], v[14:15], v[24:25], v[18:19]
	v_fma_f64 v[22:23], v[12:13], v[43:44], v[22:23]
	v_fma_f64 v[24:25], v[14:15], v[43:44], v[37:38]
	ds_load_2addr_b64 v[12:15], v30 offset0:64 offset1:80
	s_wait_dscnt 0x0
	v_fma_f64 v[20:21], v[12:13], v[45:46], v[20:21]
	v_fma_f64 v[18:19], v[14:15], v[45:46], v[18:19]
	;; [unrolled: 6-line block ×3, first 2 shown]
	v_fma_f64 v[49:50], v[12:13], v[51:52], v[22:23]
	v_fma_f64 v[51:52], v[14:15], v[51:52], v[24:25]
	ds_load_b128 v[12:15], v31 offset:32
	ds_load_2addr_b64 v[18:21], v30 offset0:128 offset1:144
	ds_load_b128 v[22:25], v31 offset:1056
	ds_load_b128 v[37:40], v31 offset:48
	;; [unrolled: 1-line block ×3, first 2 shown]
	s_wait_dscnt 0x3
	v_fma_f64 v[45:46], v[18:19], v[12:13], v[45:46]
	v_fma_f64 v[12:13], v[20:21], v[12:13], v[47:48]
	s_wait_dscnt 0x2
	v_fma_f64 v[47:48], v[18:19], v[22:23], v[49:50]
	v_fma_f64 v[22:23], v[20:21], v[22:23], v[51:52]
	ds_load_2addr_b64 v[18:21], v30 offset0:160 offset1:176
	s_wait_dscnt 0x0
	v_fma_f64 v[45:46], v[18:19], v[14:15], v[45:46]
	v_fma_f64 v[49:50], v[20:21], v[14:15], v[12:13]
	;; [unrolled: 1-line block ×4, first 2 shown]
	ds_load_2addr_b64 v[12:15], v30 offset0:192 offset1:208
	ds_load_2addr_b64 v[22:25], v30 offset0:224 offset1:240
	s_wait_loadcnt_dscnt 0x0
	s_barrier_signal -1
	s_barrier_wait -1
	global_inv scope:SCOPE_SE
	v_fma_f64 v[45:46], v[12:13], v[37:38], v[45:46]
	v_fma_f64 v[37:38], v[14:15], v[37:38], v[49:50]
	;; [unrolled: 1-line block ×4, first 2 shown]
	s_delay_alu instid0(VALU_DEP_4) | instskip(NEXT) | instid1(VALU_DEP_4)
	v_fma_f64 v[20:21], v[22:23], v[39:40], v[45:46]
	v_fma_f64 v[18:19], v[24:25], v[39:40], v[37:38]
	s_delay_alu instid0(VALU_DEP_4) | instskip(NEXT) | instid1(VALU_DEP_4)
	v_fma_f64 v[14:15], v[22:23], v[43:44], v[12:13]
	v_fma_f64 v[12:13], v[24:25], v[43:44], v[41:42]
	s_wait_alu 0xfffe
	s_cbranch_vccz .LBB472_15
.LBB472_9:                              ;   Parent Loop BB472_6 Depth=1
                                        ; =>  This Inner Loop Header: Depth=2
	v_mov_b32_e32 v22, 0
	v_mov_b32_e32 v23, 0
	s_and_saveexec_b32 s22, s0
	s_cbranch_execz .LBB472_13
; %bb.10:                               ;   in Loop: Header=BB472_9 Depth=2
	v_mov_b32_e32 v22, 0
	s_wait_alu 0xfffe
	v_dual_mov_b32 v23, 0 :: v_dual_add_nc_u32 v2, s16, v27
	s_mov_b32 s23, exec_lo
	s_delay_alu instid0(VALU_DEP_1)
	v_cmpx_gt_u64_e64 s[8:9], v[2:3]
	s_cbranch_execz .LBB472_12
; %bb.11:                               ;   in Loop: Header=BB472_9 Depth=2
	v_lshlrev_b64_e32 v[22:23], 3, v[2:3]
	s_delay_alu instid0(VALU_DEP_1) | instskip(SKIP_1) | instid1(VALU_DEP_2)
	v_add_co_u32 v22, vcc_lo, v33, v22
	s_wait_alu 0xfffd
	v_add_co_ci_u32_e64 v23, null, v34, v23, vcc_lo
	flat_load_b64 v[22:23], v[22:23]
.LBB472_12:                             ;   in Loop: Header=BB472_9 Depth=2
	s_or_b32 exec_lo, exec_lo, s23
.LBB472_13:                             ;   in Loop: Header=BB472_9 Depth=2
	s_delay_alu instid0(SALU_CYCLE_1)
	s_or_b32 exec_lo, exec_lo, s22
	s_wait_alu 0xfffe
	v_add_nc_u32_e32 v2, s16, v26
	v_mov_b32_e32 v24, 0
	v_mov_b32_e32 v25, 0
	s_wait_loadcnt_dscnt 0x0
	ds_store_b64 v28, v[22:23]
	v_cmp_gt_u64_e32 vcc_lo, s[8:9], v[2:3]
	s_and_b32 s23, vcc_lo, s1
	s_delay_alu instid0(SALU_CYCLE_1)
	s_and_saveexec_b32 s22, s23
	s_cbranch_execz .LBB472_8
; %bb.14:                               ;   in Loop: Header=BB472_9 Depth=2
	v_mad_co_u64_u32 v[22:23], null, s20, v2, 0
	s_delay_alu instid0(VALU_DEP_1) | instskip(NEXT) | instid1(VALU_DEP_1)
	v_mad_co_u64_u32 v[23:24], null, s21, v2, v[23:24]
	v_lshlrev_b64_e32 v[22:23], 3, v[22:23]
	s_delay_alu instid0(VALU_DEP_1) | instskip(SKIP_1) | instid1(VALU_DEP_2)
	v_add_co_u32 v22, vcc_lo, v35, v22
	s_wait_alu 0xfffd
	v_add_co_ci_u32_e64 v23, null, v36, v23, vcc_lo
	flat_load_b64 v[24:25], v[22:23]
	s_branch .LBB472_8
.LBB472_15:                             ;   in Loop: Header=BB472_6 Depth=1
	s_wait_loadcnt 0x0
	s_wait_alu 0xfffe
	v_add_co_u32 v2, vcc_lo, v16, s14
	s_wait_alu 0xfffd
	v_add_co_ci_u32_e64 v22, null, s15, v17, vcc_lo
	s_delay_alu instid0(VALU_DEP_2) | instskip(SKIP_1) | instid1(VALU_DEP_2)
	v_add_co_u32 v23, vcc_lo, v2, v8
	s_wait_alu 0xfffd
	v_add_co_ci_u32_e64 v24, null, v22, v9, vcc_lo
	s_and_saveexec_b32 s16, s28
	s_cbranch_execz .LBB472_19
; %bb.16:                               ;   in Loop: Header=BB472_6 Depth=1
	v_mul_f64_e32 v[16:17], s[10:11], v[20:21]
	s_and_b32 vcc_lo, exec_lo, s34
	s_wait_alu 0xfffe
	s_cbranch_vccz .LBB472_30
; %bb.17:                               ;   in Loop: Header=BB472_6 Depth=1
	v_lshlrev_b64_e32 v[20:21], 3, v[0:1]
	s_delay_alu instid0(VALU_DEP_1) | instskip(SKIP_1) | instid1(VALU_DEP_2)
	v_add_co_u32 v20, vcc_lo, v23, v20
	s_wait_alu 0xfffd
	v_add_co_ci_u32_e64 v21, null, v24, v21, vcc_lo
	flat_load_b64 v[33:34], v[20:21]
	s_wait_loadcnt_dscnt 0x0
	v_fma_f64 v[33:34], s[6:7], v[33:34], v[16:17]
	flat_store_b64 v[20:21], v[33:34]
	s_cbranch_execnz .LBB472_19
.LBB472_18:                             ;   in Loop: Header=BB472_6 Depth=1
	v_lshlrev_b64_e32 v[20:21], 3, v[0:1]
	s_delay_alu instid0(VALU_DEP_1) | instskip(SKIP_1) | instid1(VALU_DEP_2)
	v_add_co_u32 v20, vcc_lo, v23, v20
	s_wait_alu 0xfffd
	v_add_co_ci_u32_e64 v21, null, v24, v21, vcc_lo
	flat_store_b64 v[20:21], v[16:17]
.LBB472_19:                             ;   in Loop: Header=BB472_6 Depth=1
	s_wait_alu 0xfffe
	s_or_b32 exec_lo, exec_lo, s16
	s_and_saveexec_b32 s16, s29
	s_cbranch_execz .LBB472_23
; %bb.20:                               ;   in Loop: Header=BB472_6 Depth=1
	v_mul_f64_e32 v[16:17], s[10:11], v[18:19]
	s_and_not1_b32 vcc_lo, exec_lo, s34
	s_wait_alu 0xfffe
	s_cbranch_vccnz .LBB472_31
; %bb.21:                               ;   in Loop: Header=BB472_6 Depth=1
	v_lshlrev_b64_e32 v[18:19], 3, v[4:5]
	s_delay_alu instid0(VALU_DEP_1) | instskip(SKIP_1) | instid1(VALU_DEP_2)
	v_add_co_u32 v18, vcc_lo, v23, v18
	s_wait_alu 0xfffd
	v_add_co_ci_u32_e64 v19, null, v24, v19, vcc_lo
	flat_load_b64 v[20:21], v[18:19]
	s_wait_loadcnt_dscnt 0x0
	v_fma_f64 v[20:21], s[6:7], v[20:21], v[16:17]
	flat_store_b64 v[18:19], v[20:21]
	s_cbranch_execnz .LBB472_23
.LBB472_22:                             ;   in Loop: Header=BB472_6 Depth=1
	v_lshlrev_b64_e32 v[18:19], 3, v[4:5]
	s_delay_alu instid0(VALU_DEP_1) | instskip(SKIP_1) | instid1(VALU_DEP_2)
	v_add_co_u32 v18, vcc_lo, v23, v18
	s_wait_alu 0xfffd
	v_add_co_ci_u32_e64 v19, null, v24, v19, vcc_lo
	flat_store_b64 v[18:19], v[16:17]
.LBB472_23:                             ;   in Loop: Header=BB472_6 Depth=1
	s_wait_alu 0xfffe
	s_or_b32 exec_lo, exec_lo, s16
	v_add_co_u32 v2, vcc_lo, v2, v10
	s_wait_alu 0xfffd
	v_add_co_ci_u32_e64 v18, null, v22, v11, vcc_lo
	s_and_saveexec_b32 s16, s35
	s_cbranch_execz .LBB472_27
; %bb.24:                               ;   in Loop: Header=BB472_6 Depth=1
	v_mul_f64_e32 v[14:15], s[10:11], v[14:15]
	v_lshlrev_b64_e32 v[16:17], 3, v[0:1]
	s_and_not1_b32 vcc_lo, exec_lo, s34
	s_wait_alu 0xfffe
	s_cbranch_vccnz .LBB472_32
; %bb.25:                               ;   in Loop: Header=BB472_6 Depth=1
	s_delay_alu instid0(VALU_DEP_1)
	v_add_co_u32 v19, vcc_lo, v2, v16
	s_wait_alu 0xfffd
	v_add_co_ci_u32_e64 v20, null, v18, v17, vcc_lo
	flat_load_b64 v[21:22], v[19:20]
	s_wait_loadcnt_dscnt 0x0
	v_fma_f64 v[21:22], s[6:7], v[21:22], v[14:15]
	flat_store_b64 v[19:20], v[21:22]
	s_cbranch_execnz .LBB472_27
.LBB472_26:                             ;   in Loop: Header=BB472_6 Depth=1
	s_delay_alu instid0(VALU_DEP_1)
	v_add_co_u32 v16, vcc_lo, v2, v16
	s_wait_alu 0xfffd
	v_add_co_ci_u32_e64 v17, null, v18, v17, vcc_lo
	flat_store_b64 v[16:17], v[14:15]
.LBB472_27:                             ;   in Loop: Header=BB472_6 Depth=1
	s_wait_alu 0xfffe
	s_or_b32 exec_lo, exec_lo, s16
	s_and_saveexec_b32 s16, s36
	s_cbranch_execz .LBB472_5
; %bb.28:                               ;   in Loop: Header=BB472_6 Depth=1
	v_mul_f64_e32 v[12:13], s[10:11], v[12:13]
	v_lshlrev_b64_e32 v[14:15], 3, v[4:5]
	s_and_not1_b32 vcc_lo, exec_lo, s34
	s_wait_alu 0xfffe
	s_cbranch_vccnz .LBB472_33
; %bb.29:                               ;   in Loop: Header=BB472_6 Depth=1
	s_delay_alu instid0(VALU_DEP_1)
	v_add_co_u32 v16, vcc_lo, v2, v14
	s_wait_alu 0xfffd
	v_add_co_ci_u32_e64 v17, null, v18, v15, vcc_lo
	flat_load_b64 v[19:20], v[16:17]
	s_wait_loadcnt_dscnt 0x0
	v_fma_f64 v[19:20], s[6:7], v[19:20], v[12:13]
	flat_store_b64 v[16:17], v[19:20]
	s_cbranch_execnz .LBB472_5
	s_branch .LBB472_34
.LBB472_30:                             ;   in Loop: Header=BB472_6 Depth=1
	s_branch .LBB472_18
.LBB472_31:                             ;   in Loop: Header=BB472_6 Depth=1
	s_branch .LBB472_22
.LBB472_32:                             ;   in Loop: Header=BB472_6 Depth=1
	s_branch .LBB472_26
.LBB472_33:                             ;   in Loop: Header=BB472_6 Depth=1
.LBB472_34:                             ;   in Loop: Header=BB472_6 Depth=1
	s_delay_alu instid0(VALU_DEP_1)
	v_add_co_u32 v14, vcc_lo, v2, v14
	s_wait_alu 0xfffd
	v_add_co_ci_u32_e64 v15, null, v18, v15, vcc_lo
	flat_store_b64 v[14:15], v[12:13]
	s_branch .LBB472_5
.LBB472_35:
	s_endpgm
	.section	.rodata,"a",@progbits
	.p2align	6, 0x0
	.amdhsa_kernel _ZL29rocblas_internal_gemmt_kernelIlLi16ELi32ELi8ELc84ELc84ELc85ELb0ELb0EdPKdPKS1_PKPdEviT_T9_T10_S7_lS9_S7_lS8_T11_S7_li
		.amdhsa_group_segment_fixed_size 4096
		.amdhsa_private_segment_fixed_size 0
		.amdhsa_kernarg_size 108
		.amdhsa_user_sgpr_count 2
		.amdhsa_user_sgpr_dispatch_ptr 0
		.amdhsa_user_sgpr_queue_ptr 0
		.amdhsa_user_sgpr_kernarg_segment_ptr 1
		.amdhsa_user_sgpr_dispatch_id 0
		.amdhsa_user_sgpr_private_segment_size 0
		.amdhsa_wavefront_size32 1
		.amdhsa_uses_dynamic_stack 0
		.amdhsa_enable_private_segment 0
		.amdhsa_system_sgpr_workgroup_id_x 1
		.amdhsa_system_sgpr_workgroup_id_y 1
		.amdhsa_system_sgpr_workgroup_id_z 1
		.amdhsa_system_sgpr_workgroup_info 0
		.amdhsa_system_vgpr_workitem_id 1
		.amdhsa_next_free_vgpr 53
		.amdhsa_next_free_sgpr 39
		.amdhsa_reserve_vcc 1
		.amdhsa_float_round_mode_32 0
		.amdhsa_float_round_mode_16_64 0
		.amdhsa_float_denorm_mode_32 3
		.amdhsa_float_denorm_mode_16_64 3
		.amdhsa_fp16_overflow 0
		.amdhsa_workgroup_processor_mode 1
		.amdhsa_memory_ordered 1
		.amdhsa_forward_progress 1
		.amdhsa_inst_pref_size 17
		.amdhsa_round_robin_scheduling 0
		.amdhsa_exception_fp_ieee_invalid_op 0
		.amdhsa_exception_fp_denorm_src 0
		.amdhsa_exception_fp_ieee_div_zero 0
		.amdhsa_exception_fp_ieee_overflow 0
		.amdhsa_exception_fp_ieee_underflow 0
		.amdhsa_exception_fp_ieee_inexact 0
		.amdhsa_exception_int_div_zero 0
	.end_amdhsa_kernel
	.section	.text._ZL29rocblas_internal_gemmt_kernelIlLi16ELi32ELi8ELc84ELc84ELc85ELb0ELb0EdPKdPKS1_PKPdEviT_T9_T10_S7_lS9_S7_lS8_T11_S7_li,"axG",@progbits,_ZL29rocblas_internal_gemmt_kernelIlLi16ELi32ELi8ELc84ELc84ELc85ELb0ELb0EdPKdPKS1_PKPdEviT_T9_T10_S7_lS9_S7_lS8_T11_S7_li,comdat
.Lfunc_end472:
	.size	_ZL29rocblas_internal_gemmt_kernelIlLi16ELi32ELi8ELc84ELc84ELc85ELb0ELb0EdPKdPKS1_PKPdEviT_T9_T10_S7_lS9_S7_lS8_T11_S7_li, .Lfunc_end472-_ZL29rocblas_internal_gemmt_kernelIlLi16ELi32ELi8ELc84ELc84ELc85ELb0ELb0EdPKdPKS1_PKPdEviT_T9_T10_S7_lS9_S7_lS8_T11_S7_li
                                        ; -- End function
	.set _ZL29rocblas_internal_gemmt_kernelIlLi16ELi32ELi8ELc84ELc84ELc85ELb0ELb0EdPKdPKS1_PKPdEviT_T9_T10_S7_lS9_S7_lS8_T11_S7_li.num_vgpr, 53
	.set _ZL29rocblas_internal_gemmt_kernelIlLi16ELi32ELi8ELc84ELc84ELc85ELb0ELb0EdPKdPKS1_PKPdEviT_T9_T10_S7_lS9_S7_lS8_T11_S7_li.num_agpr, 0
	.set _ZL29rocblas_internal_gemmt_kernelIlLi16ELi32ELi8ELc84ELc84ELc85ELb0ELb0EdPKdPKS1_PKPdEviT_T9_T10_S7_lS9_S7_lS8_T11_S7_li.numbered_sgpr, 39
	.set _ZL29rocblas_internal_gemmt_kernelIlLi16ELi32ELi8ELc84ELc84ELc85ELb0ELb0EdPKdPKS1_PKPdEviT_T9_T10_S7_lS9_S7_lS8_T11_S7_li.num_named_barrier, 0
	.set _ZL29rocblas_internal_gemmt_kernelIlLi16ELi32ELi8ELc84ELc84ELc85ELb0ELb0EdPKdPKS1_PKPdEviT_T9_T10_S7_lS9_S7_lS8_T11_S7_li.private_seg_size, 0
	.set _ZL29rocblas_internal_gemmt_kernelIlLi16ELi32ELi8ELc84ELc84ELc85ELb0ELb0EdPKdPKS1_PKPdEviT_T9_T10_S7_lS9_S7_lS8_T11_S7_li.uses_vcc, 1
	.set _ZL29rocblas_internal_gemmt_kernelIlLi16ELi32ELi8ELc84ELc84ELc85ELb0ELb0EdPKdPKS1_PKPdEviT_T9_T10_S7_lS9_S7_lS8_T11_S7_li.uses_flat_scratch, 0
	.set _ZL29rocblas_internal_gemmt_kernelIlLi16ELi32ELi8ELc84ELc84ELc85ELb0ELb0EdPKdPKS1_PKPdEviT_T9_T10_S7_lS9_S7_lS8_T11_S7_li.has_dyn_sized_stack, 0
	.set _ZL29rocblas_internal_gemmt_kernelIlLi16ELi32ELi8ELc84ELc84ELc85ELb0ELb0EdPKdPKS1_PKPdEviT_T9_T10_S7_lS9_S7_lS8_T11_S7_li.has_recursion, 0
	.set _ZL29rocblas_internal_gemmt_kernelIlLi16ELi32ELi8ELc84ELc84ELc85ELb0ELb0EdPKdPKS1_PKPdEviT_T9_T10_S7_lS9_S7_lS8_T11_S7_li.has_indirect_call, 0
	.section	.AMDGPU.csdata,"",@progbits
; Kernel info:
; codeLenInByte = 2136
; TotalNumSgprs: 41
; NumVgprs: 53
; ScratchSize: 0
; MemoryBound: 0
; FloatMode: 240
; IeeeMode: 1
; LDSByteSize: 4096 bytes/workgroup (compile time only)
; SGPRBlocks: 0
; VGPRBlocks: 6
; NumSGPRsForWavesPerEU: 41
; NumVGPRsForWavesPerEU: 53
; Occupancy: 16
; WaveLimiterHint : 1
; COMPUTE_PGM_RSRC2:SCRATCH_EN: 0
; COMPUTE_PGM_RSRC2:USER_SGPR: 2
; COMPUTE_PGM_RSRC2:TRAP_HANDLER: 0
; COMPUTE_PGM_RSRC2:TGID_X_EN: 1
; COMPUTE_PGM_RSRC2:TGID_Y_EN: 1
; COMPUTE_PGM_RSRC2:TGID_Z_EN: 1
; COMPUTE_PGM_RSRC2:TIDIG_COMP_CNT: 1
	.section	.text._ZL29rocblas_internal_gemmt_kernelIlLi16ELi32ELi8ELc84ELc67ELc85ELb0ELb0EdPKdPKS1_PKPdEviT_T9_T10_S7_lS9_S7_lS8_T11_S7_li,"axG",@progbits,_ZL29rocblas_internal_gemmt_kernelIlLi16ELi32ELi8ELc84ELc67ELc85ELb0ELb0EdPKdPKS1_PKPdEviT_T9_T10_S7_lS9_S7_lS8_T11_S7_li,comdat
	.globl	_ZL29rocblas_internal_gemmt_kernelIlLi16ELi32ELi8ELc84ELc67ELc85ELb0ELb0EdPKdPKS1_PKPdEviT_T9_T10_S7_lS9_S7_lS8_T11_S7_li ; -- Begin function _ZL29rocblas_internal_gemmt_kernelIlLi16ELi32ELi8ELc84ELc67ELc85ELb0ELb0EdPKdPKS1_PKPdEviT_T9_T10_S7_lS9_S7_lS8_T11_S7_li
	.p2align	8
	.type	_ZL29rocblas_internal_gemmt_kernelIlLi16ELi32ELi8ELc84ELc67ELc85ELb0ELb0EdPKdPKS1_PKPdEviT_T9_T10_S7_lS9_S7_lS8_T11_S7_li,@function
_ZL29rocblas_internal_gemmt_kernelIlLi16ELi32ELi8ELc84ELc67ELc85ELb0ELb0EdPKdPKS1_PKPdEviT_T9_T10_S7_lS9_S7_lS8_T11_S7_li: ; @_ZL29rocblas_internal_gemmt_kernelIlLi16ELi32ELi8ELc84ELc67ELc85ELb0ELb0EdPKdPKS1_PKPdEviT_T9_T10_S7_lS9_S7_lS8_T11_S7_li
; %bb.0:
	s_clause 0x1
	s_load_b256 s[24:31], s[0:1], 0x48
	s_load_b512 s[8:23], s[0:1], 0x8
	s_wait_kmcnt 0x0
	s_load_b64 s[6:7], s[24:25], 0x0
	s_load_b64 s[10:11], s[10:11], 0x0
	s_wait_kmcnt 0x0
	v_cmp_neq_f64_e64 s2, s[6:7], 1.0
	s_and_b32 vcc_lo, exec_lo, s2
	s_cbranch_vccnz .LBB473_2
; %bb.1:
	v_cmp_neq_f64_e64 s2, s[10:11], 0
	s_cmp_lg_u64 s[8:9], 0
	s_cselect_b32 s3, -1, 0
	s_delay_alu instid0(SALU_CYCLE_1)
	s_and_b32 s2, s3, s2
.LBB473_2:
	s_delay_alu instid0(SALU_CYCLE_1)
	s_and_not1_b32 vcc_lo, exec_lo, s2
	s_cbranch_vccnz .LBB473_35
; %bb.3:
	s_load_b32 s33, s[0:1], 0x68
	s_lshr_b32 s24, ttmp7, 16
	s_wait_kmcnt 0x0
	s_cmp_ge_u32 s24, s33
	s_cbranch_scc1 .LBB473_35
; %bb.4:
	v_bfe_u32 v5, v0, 10, 10
	s_load_b32 s3, s[0:1], 0x0
	s_lshl_b32 s0, ttmp7, 5
	v_and_b32_e32 v26, 7, v0
	s_and_b32 s0, s0, 0x1fffe0
	s_lshl_b32 s2, ttmp9, 5
	v_add_nc_u32_e32 v13, s0, v5
	v_cmp_neq_f64_e64 s37, s[10:11], 0
	v_cmp_neq_f64_e64 s34, s[6:7], 0
	s_ashr_i32 s1, s2, 31
	v_lshlrev_b32_e32 v3, 3, v26
	v_mad_co_u64_u32 v[8:9], null, s28, v13, 0
	v_and_b32_e32 v4, 0x3ff, v0
	v_add_nc_u32_e32 v15, 16, v13
	s_wait_alu 0xfffe
	s_mul_i32 s1, s14, s1
	v_cmp_gt_i64_e64 s38, s[8:9], 0
	v_lshl_add_u32 v31, v5, 6, 0x800
	v_lshl_add_u32 v0, v5, 4, v4
	s_mov_b32 s25, 0
	s_wait_kmcnt 0x0
	v_cmp_gt_i32_e32 vcc_lo, s3, v13
	s_delay_alu instid0(VALU_DEP_2) | instskip(SKIP_2) | instid1(VALU_DEP_3)
	v_and_b32_e32 v1, 31, v0
	v_lshrrev_b32_e32 v27, 5, v0
	v_lshrrev_b32_e32 v0, 3, v0
	v_or_b32_e32 v2, s2, v1
	v_lshlrev_b32_e32 v1, 3, v1
	s_delay_alu instid0(VALU_DEP_3)
	v_add_nc_u32_e32 v14, s0, v0
	v_lshl_or_b32 v0, v0, 6, v3
	v_mov_b32_e32 v3, 0
	v_mul_lo_u32 v10, s15, v2
	v_mad_co_u64_u32 v[6:7], null, s14, v2, 0
	v_lshl_or_b32 v28, v27, 8, v1
	v_mov_b32_e32 v1, v9
	v_cmp_gt_i32_e64 s0, s3, v2
	v_add_nc_u32_e32 v29, 0x800, v0
	v_add_nc_u32_e32 v0, s2, v4
	v_lshlrev_b32_e32 v30, 3, v4
	s_wait_alu 0xfffe
	v_add3_u32 v7, v7, s1, v10
	v_mad_co_u64_u32 v[10:11], null, s28, v15, 0
	v_mad_co_u64_u32 v[1:2], null, s29, v13, v[1:2]
	v_cmp_le_i32_e64 s2, v0, v13
	v_add_nc_u32_e32 v4, 16, v0
	v_cmp_le_i32_e64 s4, v0, v15
	v_lshlrev_b64_e32 v[6:7], 3, v[6:7]
	v_mov_b32_e32 v2, v11
	s_and_b32 s28, vcc_lo, s2
	v_mov_b32_e32 v9, v1
	v_cmp_gt_i32_e64 s1, s3, v14
	v_cmp_le_i32_e64 s2, v4, v13
	v_mad_co_u64_u32 v[11:12], null, s29, v15, v[2:3]
	v_cmp_gt_i32_e64 s3, s3, v15
	v_cmp_le_i32_e64 s5, v4, v15
	v_lshlrev_b64_e32 v[8:9], 3, v[8:9]
	v_ashrrev_i32_e32 v1, 31, v0
	v_ashrrev_i32_e32 v5, 31, v4
	v_lshlrev_b32_e32 v32, 3, v14
	v_lshlrev_b64_e32 v[10:11], 3, v[10:11]
	s_and_b32 s29, vcc_lo, s2
	s_and_b32 s35, s3, s4
	s_and_b32 s36, s3, s5
	;; [unrolled: 1-line block ×3, first 2 shown]
	s_lshl_b64 s[2:3], s[22:23], 3
	s_lshl_b64 s[4:5], s[16:17], 3
	s_lshl_b64 s[14:15], s[30:31], 3
	s_branch .LBB473_6
.LBB473_5:                              ;   in Loop: Header=BB473_6 Depth=1
	s_wait_alu 0xfffe
	s_or_b32 exec_lo, exec_lo, s16
	s_add_co_i32 s24, s24, 0x10000
	s_delay_alu instid0(SALU_CYCLE_1)
	s_cmp_lt_u32 s24, s33
	s_cbranch_scc0 .LBB473_35
.LBB473_6:                              ; =>This Loop Header: Depth=1
                                        ;     Child Loop BB473_9 Depth 2
	s_lshl_b64 s[16:17], s[24:25], 3
	v_mov_b32_e32 v20, 0
	s_wait_alu 0xfffe
	s_add_nc_u64 s[22:23], s[26:27], s[16:17]
	v_mov_b32_e32 v14, 0
	global_load_b64 v[16:17], v3, s[22:23]
	v_dual_mov_b32 v21, 0 :: v_dual_mov_b32 v18, 0
	v_dual_mov_b32 v15, 0 :: v_dual_mov_b32 v12, 0
	v_mov_b32_e32 v19, 0
	v_mov_b32_e32 v13, 0
	s_and_not1_b32 vcc_lo, exec_lo, s37
	s_wait_alu 0xfffe
	s_cbranch_vccnz .LBB473_15
; %bb.7:                                ;   in Loop: Header=BB473_6 Depth=1
	s_add_nc_u64 s[22:23], s[12:13], s[16:17]
	s_add_nc_u64 s[16:17], s[18:19], s[16:17]
	s_clause 0x1
	global_load_b64 v[22:23], v3, s[22:23]
	global_load_b64 v[24:25], v3, s[16:17]
	v_mov_b32_e32 v12, 0
	v_dual_mov_b32 v18, 0 :: v_dual_mov_b32 v13, 0
	v_dual_mov_b32 v14, 0 :: v_dual_mov_b32 v19, 0
	;; [unrolled: 1-line block ×3, first 2 shown]
	v_mov_b32_e32 v21, 0
	s_mov_b64 s[16:17], 0
	s_wait_loadcnt 0x1
	v_add_co_u32 v2, vcc_lo, v22, s4
	s_wait_alu 0xfffd
	v_add_co_ci_u32_e64 v22, null, s5, v23, vcc_lo
	s_wait_loadcnt 0x0
	v_add_co_u32 v23, vcc_lo, v24, s2
	s_wait_alu 0xfffd
	v_add_co_ci_u32_e64 v24, null, s3, v25, vcc_lo
	v_add_co_u32 v33, vcc_lo, v2, v6
	s_wait_alu 0xfffd
	v_add_co_ci_u32_e64 v34, null, v22, v7, vcc_lo
	;; [unrolled: 3-line block ×3, first 2 shown]
	s_branch .LBB473_9
.LBB473_8:                              ;   in Loop: Header=BB473_9 Depth=2
	s_or_b32 exec_lo, exec_lo, s22
	s_wait_loadcnt_dscnt 0x0
	ds_store_b64 v29, v[24:25]
	s_wait_dscnt 0x0
	s_barrier_signal -1
	s_barrier_wait -1
	global_inv scope:SCOPE_SE
	ds_load_b128 v[22:25], v31
	ds_load_2addr_b64 v[37:40], v30 offset1:16
	ds_load_b128 v[41:44], v31 offset:1024
	ds_load_b128 v[45:48], v31 offset:16
	;; [unrolled: 1-line block ×3, first 2 shown]
	s_add_nc_u64 s[16:17], s[16:17], 8
	s_wait_alu 0xfffe
	v_cmp_gt_i64_e64 s22, s[8:9], s[16:17]
	s_and_b32 vcc_lo, exec_lo, s22
	s_wait_dscnt 0x3
	v_fma_f64 v[20:21], v[37:38], v[22:23], v[20:21]
	v_fma_f64 v[18:19], v[39:40], v[22:23], v[18:19]
	s_wait_dscnt 0x2
	v_fma_f64 v[22:23], v[37:38], v[41:42], v[14:15]
	v_fma_f64 v[37:38], v[39:40], v[41:42], v[12:13]
	ds_load_2addr_b64 v[12:15], v30 offset0:32 offset1:48
	s_wait_dscnt 0x0
	v_fma_f64 v[20:21], v[12:13], v[24:25], v[20:21]
	v_fma_f64 v[18:19], v[14:15], v[24:25], v[18:19]
	v_fma_f64 v[22:23], v[12:13], v[43:44], v[22:23]
	v_fma_f64 v[24:25], v[14:15], v[43:44], v[37:38]
	ds_load_2addr_b64 v[12:15], v30 offset0:64 offset1:80
	s_wait_dscnt 0x0
	v_fma_f64 v[20:21], v[12:13], v[45:46], v[20:21]
	v_fma_f64 v[18:19], v[14:15], v[45:46], v[18:19]
	;; [unrolled: 6-line block ×3, first 2 shown]
	v_fma_f64 v[49:50], v[12:13], v[51:52], v[22:23]
	v_fma_f64 v[51:52], v[14:15], v[51:52], v[24:25]
	ds_load_b128 v[12:15], v31 offset:32
	ds_load_2addr_b64 v[18:21], v30 offset0:128 offset1:144
	ds_load_b128 v[22:25], v31 offset:1056
	ds_load_b128 v[37:40], v31 offset:48
	;; [unrolled: 1-line block ×3, first 2 shown]
	s_wait_dscnt 0x3
	v_fma_f64 v[45:46], v[18:19], v[12:13], v[45:46]
	v_fma_f64 v[12:13], v[20:21], v[12:13], v[47:48]
	s_wait_dscnt 0x2
	v_fma_f64 v[47:48], v[18:19], v[22:23], v[49:50]
	v_fma_f64 v[22:23], v[20:21], v[22:23], v[51:52]
	ds_load_2addr_b64 v[18:21], v30 offset0:160 offset1:176
	s_wait_dscnt 0x0
	v_fma_f64 v[45:46], v[18:19], v[14:15], v[45:46]
	v_fma_f64 v[49:50], v[20:21], v[14:15], v[12:13]
	;; [unrolled: 1-line block ×4, first 2 shown]
	ds_load_2addr_b64 v[12:15], v30 offset0:192 offset1:208
	ds_load_2addr_b64 v[22:25], v30 offset0:224 offset1:240
	s_wait_loadcnt_dscnt 0x0
	s_barrier_signal -1
	s_barrier_wait -1
	global_inv scope:SCOPE_SE
	v_fma_f64 v[45:46], v[12:13], v[37:38], v[45:46]
	v_fma_f64 v[37:38], v[14:15], v[37:38], v[49:50]
	v_fma_f64 v[12:13], v[12:13], v[41:42], v[18:19]
	v_fma_f64 v[41:42], v[14:15], v[41:42], v[20:21]
	s_delay_alu instid0(VALU_DEP_4) | instskip(NEXT) | instid1(VALU_DEP_4)
	v_fma_f64 v[20:21], v[22:23], v[39:40], v[45:46]
	v_fma_f64 v[18:19], v[24:25], v[39:40], v[37:38]
	s_delay_alu instid0(VALU_DEP_4) | instskip(NEXT) | instid1(VALU_DEP_4)
	v_fma_f64 v[14:15], v[22:23], v[43:44], v[12:13]
	v_fma_f64 v[12:13], v[24:25], v[43:44], v[41:42]
	s_wait_alu 0xfffe
	s_cbranch_vccz .LBB473_15
.LBB473_9:                              ;   Parent Loop BB473_6 Depth=1
                                        ; =>  This Inner Loop Header: Depth=2
	v_mov_b32_e32 v22, 0
	v_mov_b32_e32 v23, 0
	s_and_saveexec_b32 s22, s0
	s_cbranch_execz .LBB473_13
; %bb.10:                               ;   in Loop: Header=BB473_9 Depth=2
	v_mov_b32_e32 v22, 0
	s_wait_alu 0xfffe
	v_dual_mov_b32 v23, 0 :: v_dual_add_nc_u32 v2, s16, v27
	s_mov_b32 s23, exec_lo
	s_delay_alu instid0(VALU_DEP_1)
	v_cmpx_gt_u64_e64 s[8:9], v[2:3]
	s_cbranch_execz .LBB473_12
; %bb.11:                               ;   in Loop: Header=BB473_9 Depth=2
	v_lshlrev_b64_e32 v[22:23], 3, v[2:3]
	s_delay_alu instid0(VALU_DEP_1) | instskip(SKIP_1) | instid1(VALU_DEP_2)
	v_add_co_u32 v22, vcc_lo, v33, v22
	s_wait_alu 0xfffd
	v_add_co_ci_u32_e64 v23, null, v34, v23, vcc_lo
	flat_load_b64 v[22:23], v[22:23]
.LBB473_12:                             ;   in Loop: Header=BB473_9 Depth=2
	s_or_b32 exec_lo, exec_lo, s23
.LBB473_13:                             ;   in Loop: Header=BB473_9 Depth=2
	s_delay_alu instid0(SALU_CYCLE_1)
	s_or_b32 exec_lo, exec_lo, s22
	s_wait_alu 0xfffe
	v_add_nc_u32_e32 v2, s16, v26
	v_mov_b32_e32 v24, 0
	v_mov_b32_e32 v25, 0
	s_wait_loadcnt_dscnt 0x0
	ds_store_b64 v28, v[22:23]
	v_cmp_gt_u64_e32 vcc_lo, s[8:9], v[2:3]
	s_and_b32 s23, vcc_lo, s1
	s_delay_alu instid0(SALU_CYCLE_1)
	s_and_saveexec_b32 s22, s23
	s_cbranch_execz .LBB473_8
; %bb.14:                               ;   in Loop: Header=BB473_9 Depth=2
	v_mad_co_u64_u32 v[22:23], null, s20, v2, 0
	s_delay_alu instid0(VALU_DEP_1) | instskip(NEXT) | instid1(VALU_DEP_1)
	v_mad_co_u64_u32 v[23:24], null, s21, v2, v[23:24]
	v_lshlrev_b64_e32 v[22:23], 3, v[22:23]
	s_delay_alu instid0(VALU_DEP_1) | instskip(SKIP_1) | instid1(VALU_DEP_2)
	v_add_co_u32 v22, vcc_lo, v35, v22
	s_wait_alu 0xfffd
	v_add_co_ci_u32_e64 v23, null, v36, v23, vcc_lo
	flat_load_b64 v[24:25], v[22:23]
	s_branch .LBB473_8
.LBB473_15:                             ;   in Loop: Header=BB473_6 Depth=1
	s_wait_loadcnt 0x0
	s_wait_alu 0xfffe
	v_add_co_u32 v2, vcc_lo, v16, s14
	s_wait_alu 0xfffd
	v_add_co_ci_u32_e64 v22, null, s15, v17, vcc_lo
	s_delay_alu instid0(VALU_DEP_2) | instskip(SKIP_1) | instid1(VALU_DEP_2)
	v_add_co_u32 v23, vcc_lo, v2, v8
	s_wait_alu 0xfffd
	v_add_co_ci_u32_e64 v24, null, v22, v9, vcc_lo
	s_and_saveexec_b32 s16, s28
	s_cbranch_execz .LBB473_19
; %bb.16:                               ;   in Loop: Header=BB473_6 Depth=1
	v_mul_f64_e32 v[16:17], s[10:11], v[20:21]
	s_and_b32 vcc_lo, exec_lo, s34
	s_wait_alu 0xfffe
	s_cbranch_vccz .LBB473_30
; %bb.17:                               ;   in Loop: Header=BB473_6 Depth=1
	v_lshlrev_b64_e32 v[20:21], 3, v[0:1]
	s_delay_alu instid0(VALU_DEP_1) | instskip(SKIP_1) | instid1(VALU_DEP_2)
	v_add_co_u32 v20, vcc_lo, v23, v20
	s_wait_alu 0xfffd
	v_add_co_ci_u32_e64 v21, null, v24, v21, vcc_lo
	flat_load_b64 v[33:34], v[20:21]
	s_wait_loadcnt_dscnt 0x0
	v_fma_f64 v[33:34], s[6:7], v[33:34], v[16:17]
	flat_store_b64 v[20:21], v[33:34]
	s_cbranch_execnz .LBB473_19
.LBB473_18:                             ;   in Loop: Header=BB473_6 Depth=1
	v_lshlrev_b64_e32 v[20:21], 3, v[0:1]
	s_delay_alu instid0(VALU_DEP_1) | instskip(SKIP_1) | instid1(VALU_DEP_2)
	v_add_co_u32 v20, vcc_lo, v23, v20
	s_wait_alu 0xfffd
	v_add_co_ci_u32_e64 v21, null, v24, v21, vcc_lo
	flat_store_b64 v[20:21], v[16:17]
.LBB473_19:                             ;   in Loop: Header=BB473_6 Depth=1
	s_wait_alu 0xfffe
	s_or_b32 exec_lo, exec_lo, s16
	s_and_saveexec_b32 s16, s29
	s_cbranch_execz .LBB473_23
; %bb.20:                               ;   in Loop: Header=BB473_6 Depth=1
	v_mul_f64_e32 v[16:17], s[10:11], v[18:19]
	s_and_not1_b32 vcc_lo, exec_lo, s34
	s_wait_alu 0xfffe
	s_cbranch_vccnz .LBB473_31
; %bb.21:                               ;   in Loop: Header=BB473_6 Depth=1
	v_lshlrev_b64_e32 v[18:19], 3, v[4:5]
	s_delay_alu instid0(VALU_DEP_1) | instskip(SKIP_1) | instid1(VALU_DEP_2)
	v_add_co_u32 v18, vcc_lo, v23, v18
	s_wait_alu 0xfffd
	v_add_co_ci_u32_e64 v19, null, v24, v19, vcc_lo
	flat_load_b64 v[20:21], v[18:19]
	s_wait_loadcnt_dscnt 0x0
	v_fma_f64 v[20:21], s[6:7], v[20:21], v[16:17]
	flat_store_b64 v[18:19], v[20:21]
	s_cbranch_execnz .LBB473_23
.LBB473_22:                             ;   in Loop: Header=BB473_6 Depth=1
	v_lshlrev_b64_e32 v[18:19], 3, v[4:5]
	s_delay_alu instid0(VALU_DEP_1) | instskip(SKIP_1) | instid1(VALU_DEP_2)
	v_add_co_u32 v18, vcc_lo, v23, v18
	s_wait_alu 0xfffd
	v_add_co_ci_u32_e64 v19, null, v24, v19, vcc_lo
	flat_store_b64 v[18:19], v[16:17]
.LBB473_23:                             ;   in Loop: Header=BB473_6 Depth=1
	s_wait_alu 0xfffe
	s_or_b32 exec_lo, exec_lo, s16
	v_add_co_u32 v2, vcc_lo, v2, v10
	s_wait_alu 0xfffd
	v_add_co_ci_u32_e64 v18, null, v22, v11, vcc_lo
	s_and_saveexec_b32 s16, s35
	s_cbranch_execz .LBB473_27
; %bb.24:                               ;   in Loop: Header=BB473_6 Depth=1
	v_mul_f64_e32 v[14:15], s[10:11], v[14:15]
	v_lshlrev_b64_e32 v[16:17], 3, v[0:1]
	s_and_not1_b32 vcc_lo, exec_lo, s34
	s_wait_alu 0xfffe
	s_cbranch_vccnz .LBB473_32
; %bb.25:                               ;   in Loop: Header=BB473_6 Depth=1
	s_delay_alu instid0(VALU_DEP_1)
	v_add_co_u32 v19, vcc_lo, v2, v16
	s_wait_alu 0xfffd
	v_add_co_ci_u32_e64 v20, null, v18, v17, vcc_lo
	flat_load_b64 v[21:22], v[19:20]
	s_wait_loadcnt_dscnt 0x0
	v_fma_f64 v[21:22], s[6:7], v[21:22], v[14:15]
	flat_store_b64 v[19:20], v[21:22]
	s_cbranch_execnz .LBB473_27
.LBB473_26:                             ;   in Loop: Header=BB473_6 Depth=1
	s_delay_alu instid0(VALU_DEP_1)
	v_add_co_u32 v16, vcc_lo, v2, v16
	s_wait_alu 0xfffd
	v_add_co_ci_u32_e64 v17, null, v18, v17, vcc_lo
	flat_store_b64 v[16:17], v[14:15]
.LBB473_27:                             ;   in Loop: Header=BB473_6 Depth=1
	s_wait_alu 0xfffe
	s_or_b32 exec_lo, exec_lo, s16
	s_and_saveexec_b32 s16, s36
	s_cbranch_execz .LBB473_5
; %bb.28:                               ;   in Loop: Header=BB473_6 Depth=1
	v_mul_f64_e32 v[12:13], s[10:11], v[12:13]
	v_lshlrev_b64_e32 v[14:15], 3, v[4:5]
	s_and_not1_b32 vcc_lo, exec_lo, s34
	s_wait_alu 0xfffe
	s_cbranch_vccnz .LBB473_33
; %bb.29:                               ;   in Loop: Header=BB473_6 Depth=1
	s_delay_alu instid0(VALU_DEP_1)
	v_add_co_u32 v16, vcc_lo, v2, v14
	s_wait_alu 0xfffd
	v_add_co_ci_u32_e64 v17, null, v18, v15, vcc_lo
	flat_load_b64 v[19:20], v[16:17]
	s_wait_loadcnt_dscnt 0x0
	v_fma_f64 v[19:20], s[6:7], v[19:20], v[12:13]
	flat_store_b64 v[16:17], v[19:20]
	s_cbranch_execnz .LBB473_5
	s_branch .LBB473_34
.LBB473_30:                             ;   in Loop: Header=BB473_6 Depth=1
	s_branch .LBB473_18
.LBB473_31:                             ;   in Loop: Header=BB473_6 Depth=1
	s_branch .LBB473_22
.LBB473_32:                             ;   in Loop: Header=BB473_6 Depth=1
	s_branch .LBB473_26
.LBB473_33:                             ;   in Loop: Header=BB473_6 Depth=1
.LBB473_34:                             ;   in Loop: Header=BB473_6 Depth=1
	s_delay_alu instid0(VALU_DEP_1)
	v_add_co_u32 v14, vcc_lo, v2, v14
	s_wait_alu 0xfffd
	v_add_co_ci_u32_e64 v15, null, v18, v15, vcc_lo
	flat_store_b64 v[14:15], v[12:13]
	s_branch .LBB473_5
.LBB473_35:
	s_endpgm
	.section	.rodata,"a",@progbits
	.p2align	6, 0x0
	.amdhsa_kernel _ZL29rocblas_internal_gemmt_kernelIlLi16ELi32ELi8ELc84ELc67ELc85ELb0ELb0EdPKdPKS1_PKPdEviT_T9_T10_S7_lS9_S7_lS8_T11_S7_li
		.amdhsa_group_segment_fixed_size 4096
		.amdhsa_private_segment_fixed_size 0
		.amdhsa_kernarg_size 108
		.amdhsa_user_sgpr_count 2
		.amdhsa_user_sgpr_dispatch_ptr 0
		.amdhsa_user_sgpr_queue_ptr 0
		.amdhsa_user_sgpr_kernarg_segment_ptr 1
		.amdhsa_user_sgpr_dispatch_id 0
		.amdhsa_user_sgpr_private_segment_size 0
		.amdhsa_wavefront_size32 1
		.amdhsa_uses_dynamic_stack 0
		.amdhsa_enable_private_segment 0
		.amdhsa_system_sgpr_workgroup_id_x 1
		.amdhsa_system_sgpr_workgroup_id_y 1
		.amdhsa_system_sgpr_workgroup_id_z 1
		.amdhsa_system_sgpr_workgroup_info 0
		.amdhsa_system_vgpr_workitem_id 1
		.amdhsa_next_free_vgpr 53
		.amdhsa_next_free_sgpr 39
		.amdhsa_reserve_vcc 1
		.amdhsa_float_round_mode_32 0
		.amdhsa_float_round_mode_16_64 0
		.amdhsa_float_denorm_mode_32 3
		.amdhsa_float_denorm_mode_16_64 3
		.amdhsa_fp16_overflow 0
		.amdhsa_workgroup_processor_mode 1
		.amdhsa_memory_ordered 1
		.amdhsa_forward_progress 1
		.amdhsa_inst_pref_size 17
		.amdhsa_round_robin_scheduling 0
		.amdhsa_exception_fp_ieee_invalid_op 0
		.amdhsa_exception_fp_denorm_src 0
		.amdhsa_exception_fp_ieee_div_zero 0
		.amdhsa_exception_fp_ieee_overflow 0
		.amdhsa_exception_fp_ieee_underflow 0
		.amdhsa_exception_fp_ieee_inexact 0
		.amdhsa_exception_int_div_zero 0
	.end_amdhsa_kernel
	.section	.text._ZL29rocblas_internal_gemmt_kernelIlLi16ELi32ELi8ELc84ELc67ELc85ELb0ELb0EdPKdPKS1_PKPdEviT_T9_T10_S7_lS9_S7_lS8_T11_S7_li,"axG",@progbits,_ZL29rocblas_internal_gemmt_kernelIlLi16ELi32ELi8ELc84ELc67ELc85ELb0ELb0EdPKdPKS1_PKPdEviT_T9_T10_S7_lS9_S7_lS8_T11_S7_li,comdat
.Lfunc_end473:
	.size	_ZL29rocblas_internal_gemmt_kernelIlLi16ELi32ELi8ELc84ELc67ELc85ELb0ELb0EdPKdPKS1_PKPdEviT_T9_T10_S7_lS9_S7_lS8_T11_S7_li, .Lfunc_end473-_ZL29rocblas_internal_gemmt_kernelIlLi16ELi32ELi8ELc84ELc67ELc85ELb0ELb0EdPKdPKS1_PKPdEviT_T9_T10_S7_lS9_S7_lS8_T11_S7_li
                                        ; -- End function
	.set _ZL29rocblas_internal_gemmt_kernelIlLi16ELi32ELi8ELc84ELc67ELc85ELb0ELb0EdPKdPKS1_PKPdEviT_T9_T10_S7_lS9_S7_lS8_T11_S7_li.num_vgpr, 53
	.set _ZL29rocblas_internal_gemmt_kernelIlLi16ELi32ELi8ELc84ELc67ELc85ELb0ELb0EdPKdPKS1_PKPdEviT_T9_T10_S7_lS9_S7_lS8_T11_S7_li.num_agpr, 0
	.set _ZL29rocblas_internal_gemmt_kernelIlLi16ELi32ELi8ELc84ELc67ELc85ELb0ELb0EdPKdPKS1_PKPdEviT_T9_T10_S7_lS9_S7_lS8_T11_S7_li.numbered_sgpr, 39
	.set _ZL29rocblas_internal_gemmt_kernelIlLi16ELi32ELi8ELc84ELc67ELc85ELb0ELb0EdPKdPKS1_PKPdEviT_T9_T10_S7_lS9_S7_lS8_T11_S7_li.num_named_barrier, 0
	.set _ZL29rocblas_internal_gemmt_kernelIlLi16ELi32ELi8ELc84ELc67ELc85ELb0ELb0EdPKdPKS1_PKPdEviT_T9_T10_S7_lS9_S7_lS8_T11_S7_li.private_seg_size, 0
	.set _ZL29rocblas_internal_gemmt_kernelIlLi16ELi32ELi8ELc84ELc67ELc85ELb0ELb0EdPKdPKS1_PKPdEviT_T9_T10_S7_lS9_S7_lS8_T11_S7_li.uses_vcc, 1
	.set _ZL29rocblas_internal_gemmt_kernelIlLi16ELi32ELi8ELc84ELc67ELc85ELb0ELb0EdPKdPKS1_PKPdEviT_T9_T10_S7_lS9_S7_lS8_T11_S7_li.uses_flat_scratch, 0
	.set _ZL29rocblas_internal_gemmt_kernelIlLi16ELi32ELi8ELc84ELc67ELc85ELb0ELb0EdPKdPKS1_PKPdEviT_T9_T10_S7_lS9_S7_lS8_T11_S7_li.has_dyn_sized_stack, 0
	.set _ZL29rocblas_internal_gemmt_kernelIlLi16ELi32ELi8ELc84ELc67ELc85ELb0ELb0EdPKdPKS1_PKPdEviT_T9_T10_S7_lS9_S7_lS8_T11_S7_li.has_recursion, 0
	.set _ZL29rocblas_internal_gemmt_kernelIlLi16ELi32ELi8ELc84ELc67ELc85ELb0ELb0EdPKdPKS1_PKPdEviT_T9_T10_S7_lS9_S7_lS8_T11_S7_li.has_indirect_call, 0
	.section	.AMDGPU.csdata,"",@progbits
; Kernel info:
; codeLenInByte = 2136
; TotalNumSgprs: 41
; NumVgprs: 53
; ScratchSize: 0
; MemoryBound: 0
; FloatMode: 240
; IeeeMode: 1
; LDSByteSize: 4096 bytes/workgroup (compile time only)
; SGPRBlocks: 0
; VGPRBlocks: 6
; NumSGPRsForWavesPerEU: 41
; NumVGPRsForWavesPerEU: 53
; Occupancy: 16
; WaveLimiterHint : 1
; COMPUTE_PGM_RSRC2:SCRATCH_EN: 0
; COMPUTE_PGM_RSRC2:USER_SGPR: 2
; COMPUTE_PGM_RSRC2:TRAP_HANDLER: 0
; COMPUTE_PGM_RSRC2:TGID_X_EN: 1
; COMPUTE_PGM_RSRC2:TGID_Y_EN: 1
; COMPUTE_PGM_RSRC2:TGID_Z_EN: 1
; COMPUTE_PGM_RSRC2:TIDIG_COMP_CNT: 1
	.section	.text._ZL29rocblas_internal_gemmt_kernelIlLi16ELi32ELi8ELc67ELc78ELc85ELb0ELb0EdPKdPKS1_PKPdEviT_T9_T10_S7_lS9_S7_lS8_T11_S7_li,"axG",@progbits,_ZL29rocblas_internal_gemmt_kernelIlLi16ELi32ELi8ELc67ELc78ELc85ELb0ELb0EdPKdPKS1_PKPdEviT_T9_T10_S7_lS9_S7_lS8_T11_S7_li,comdat
	.globl	_ZL29rocblas_internal_gemmt_kernelIlLi16ELi32ELi8ELc67ELc78ELc85ELb0ELb0EdPKdPKS1_PKPdEviT_T9_T10_S7_lS9_S7_lS8_T11_S7_li ; -- Begin function _ZL29rocblas_internal_gemmt_kernelIlLi16ELi32ELi8ELc67ELc78ELc85ELb0ELb0EdPKdPKS1_PKPdEviT_T9_T10_S7_lS9_S7_lS8_T11_S7_li
	.p2align	8
	.type	_ZL29rocblas_internal_gemmt_kernelIlLi16ELi32ELi8ELc67ELc78ELc85ELb0ELb0EdPKdPKS1_PKPdEviT_T9_T10_S7_lS9_S7_lS8_T11_S7_li,@function
_ZL29rocblas_internal_gemmt_kernelIlLi16ELi32ELi8ELc67ELc78ELc85ELb0ELb0EdPKdPKS1_PKPdEviT_T9_T10_S7_lS9_S7_lS8_T11_S7_li: ; @_ZL29rocblas_internal_gemmt_kernelIlLi16ELi32ELi8ELc67ELc78ELc85ELb0ELb0EdPKdPKS1_PKPdEviT_T9_T10_S7_lS9_S7_lS8_T11_S7_li
; %bb.0:
	s_clause 0x1
	s_load_b256 s[24:31], s[0:1], 0x48
	s_load_b512 s[8:23], s[0:1], 0x8
	s_wait_kmcnt 0x0
	s_load_b64 s[6:7], s[24:25], 0x0
	s_load_b64 s[10:11], s[10:11], 0x0
	s_wait_kmcnt 0x0
	v_cmp_neq_f64_e64 s2, s[6:7], 1.0
	s_and_b32 vcc_lo, exec_lo, s2
	s_cbranch_vccnz .LBB474_2
; %bb.1:
	v_cmp_neq_f64_e64 s2, s[10:11], 0
	s_cmp_lg_u64 s[8:9], 0
	s_cselect_b32 s3, -1, 0
	s_delay_alu instid0(SALU_CYCLE_1)
	s_and_b32 s2, s3, s2
.LBB474_2:
	s_delay_alu instid0(SALU_CYCLE_1)
	s_and_not1_b32 vcc_lo, exec_lo, s2
	s_cbranch_vccnz .LBB474_35
; %bb.3:
	s_load_b32 s33, s[0:1], 0x68
	s_lshr_b32 s24, ttmp7, 16
	s_wait_kmcnt 0x0
	s_cmp_ge_u32 s24, s33
	s_cbranch_scc1 .LBB474_35
; %bb.4:
	v_bfe_u32 v14, v0, 10, 10
	s_load_b32 s3, s[0:1], 0x0
	s_lshl_b32 s0, ttmp7, 5
	v_and_b32_e32 v5, 0x3ff, v0
	s_and_b32 s0, s0, 0x1fffe0
	v_and_b32_e32 v28, 7, v0
	v_add_nc_u32_e32 v15, s0, v14
	s_lshl_b32 s2, ttmp9, 5
	v_lshl_add_u32 v0, v14, 4, v5
	v_cmp_neq_f64_e64 s35, s[10:11], 0
	s_ashr_i32 s1, s2, 31
	v_add_nc_u32_e32 v16, 16, v15
	s_wait_alu 0xfffe
	s_mul_i32 s1, s14, s1
	v_lshrrev_b32_e32 v1, 3, v0
	v_lshrrev_b32_e32 v29, 5, v0
	v_cmp_gt_i64_e64 s36, s[8:9], 0
	v_mad_co_u64_u32 v[12:13], null, s28, v16, 0
	v_and_b32_e32 v2, 31, v0
	v_add_nc_u32_e32 v4, s0, v1
	v_lshl_add_u32 v33, v14, 6, 0x800
	s_wait_kmcnt 0x0
	v_cmp_gt_i32_e32 vcc_lo, s3, v15
	s_mov_b32 s25, 0
	v_or_b32_e32 v10, s2, v2
	v_mad_co_u64_u32 v[8:9], null, s20, v4, 0
	v_lshlrev_b32_e32 v0, 3, v2
	v_cmp_neq_f64_e64 s20, s[6:7], 0
	s_delay_alu instid0(VALU_DEP_4)
	v_mul_lo_u32 v2, s15, v10
	v_mad_co_u64_u32 v[6:7], null, s14, v10, 0
	v_cmp_gt_i32_e64 s0, s3, v10
	v_mad_co_u64_u32 v[10:11], null, s28, v15, 0
	v_lshlrev_b32_e32 v3, 3, v28
	v_lshl_or_b32 v30, v29, 8, v0
	v_mov_b32_e32 v0, v9
	s_wait_alu 0xfffe
	v_add3_u32 v7, v7, s1, v2
	v_cmp_gt_i32_e64 s1, s3, v4
	v_lshl_or_b32 v1, v1, 6, v3
	v_lshlrev_b32_e32 v32, 3, v5
	s_lshl_b64 s[14:15], s[30:31], 3
	v_lshlrev_b64_e32 v[6:7], 3, v[6:7]
	s_delay_alu instid0(VALU_DEP_3) | instskip(SKIP_4) | instid1(VALU_DEP_2)
	v_add_nc_u32_e32 v31, 0x800, v1
	v_mad_co_u64_u32 v[1:2], null, s21, v4, v[0:1]
	v_add_nc_u32_e32 v0, s2, v5
	v_mov_b32_e32 v2, v11
	s_and_b32 s35, s35, s36
	v_cmp_le_i32_e64 s2, v0, v15
	s_delay_alu instid0(VALU_DEP_2) | instskip(SKIP_2) | instid1(VALU_DEP_4)
	v_mad_co_u64_u32 v[3:4], null, s29, v15, v[2:3]
	v_mov_b32_e32 v9, v1
	v_dual_mov_b32 v1, v13 :: v_dual_add_nc_u32 v2, 16, v0
	s_and_b32 s21, vcc_lo, s2
	s_delay_alu instid0(VALU_DEP_2) | instskip(NEXT) | instid1(VALU_DEP_4)
	v_lshlrev_b64_e32 v[8:9], 3, v[8:9]
	v_mov_b32_e32 v11, v3
	s_delay_alu instid0(VALU_DEP_3)
	v_mad_co_u64_u32 v[4:5], null, s29, v16, v[1:2]
	v_cmp_le_i32_e64 s2, v2, v15
	v_mov_b32_e32 v5, 0
	v_cmp_gt_i32_e64 s3, s3, v16
	v_cmp_le_i32_e64 s4, v0, v16
	v_cmp_le_i32_e64 s5, v2, v16
	v_lshlrev_b64_e32 v[10:11], 3, v[10:11]
	v_mov_b32_e32 v13, v4
	v_ashrrev_i32_e32 v1, 31, v0
	v_ashrrev_i32_e32 v3, 31, v2
	s_and_b32 s28, vcc_lo, s2
	s_and_b32 s29, s3, s4
	v_lshlrev_b64_e32 v[12:13], 3, v[12:13]
	s_and_b32 s34, s3, s5
	s_lshl_b64 s[2:3], s[22:23], 3
	s_lshl_b64 s[4:5], s[16:17], 3
	s_branch .LBB474_6
.LBB474_5:                              ;   in Loop: Header=BB474_6 Depth=1
	s_wait_alu 0xfffe
	s_or_b32 exec_lo, exec_lo, s16
	s_add_co_i32 s24, s24, 0x10000
	s_delay_alu instid0(SALU_CYCLE_1)
	s_cmp_lt_u32 s24, s33
	s_cbranch_scc0 .LBB474_35
.LBB474_6:                              ; =>This Loop Header: Depth=1
                                        ;     Child Loop BB474_9 Depth 2
	s_lshl_b64 s[16:17], s[24:25], 3
	v_mov_b32_e32 v22, 0
	s_wait_alu 0xfffe
	s_add_nc_u64 s[22:23], s[26:27], s[16:17]
	v_mov_b32_e32 v16, 0
	global_load_b64 v[18:19], v5, s[22:23]
	v_dual_mov_b32 v23, 0 :: v_dual_mov_b32 v20, 0
	v_dual_mov_b32 v17, 0 :: v_dual_mov_b32 v14, 0
	v_mov_b32_e32 v21, 0
	v_mov_b32_e32 v15, 0
	s_and_not1_b32 vcc_lo, exec_lo, s35
	s_wait_alu 0xfffe
	s_cbranch_vccnz .LBB474_15
; %bb.7:                                ;   in Loop: Header=BB474_6 Depth=1
	s_add_nc_u64 s[22:23], s[12:13], s[16:17]
	s_add_nc_u64 s[16:17], s[18:19], s[16:17]
	s_clause 0x1
	global_load_b64 v[24:25], v5, s[22:23]
	global_load_b64 v[26:27], v5, s[16:17]
	v_mov_b32_e32 v14, 0
	v_dual_mov_b32 v20, 0 :: v_dual_mov_b32 v15, 0
	v_dual_mov_b32 v16, 0 :: v_dual_mov_b32 v21, 0
	;; [unrolled: 1-line block ×3, first 2 shown]
	v_mov_b32_e32 v23, 0
	s_mov_b64 s[16:17], 0
	s_wait_loadcnt 0x1
	v_add_co_u32 v4, vcc_lo, v24, s4
	s_wait_alu 0xfffd
	v_add_co_ci_u32_e64 v24, null, s5, v25, vcc_lo
	s_wait_loadcnt 0x0
	v_add_co_u32 v25, vcc_lo, v26, s2
	s_wait_alu 0xfffd
	v_add_co_ci_u32_e64 v26, null, s3, v27, vcc_lo
	v_add_co_u32 v34, vcc_lo, v4, v6
	s_wait_alu 0xfffd
	v_add_co_ci_u32_e64 v35, null, v24, v7, vcc_lo
	v_add_co_u32 v36, vcc_lo, v25, v8
	s_wait_alu 0xfffd
	v_add_co_ci_u32_e64 v37, null, v26, v9, vcc_lo
	s_branch .LBB474_9
.LBB474_8:                              ;   in Loop: Header=BB474_9 Depth=2
	s_or_b32 exec_lo, exec_lo, s22
	s_wait_loadcnt_dscnt 0x0
	ds_store_b64 v31, v[26:27]
	s_wait_dscnt 0x0
	s_barrier_signal -1
	s_barrier_wait -1
	global_inv scope:SCOPE_SE
	ds_load_b128 v[24:27], v33
	ds_load_2addr_b64 v[38:41], v32 offset1:16
	ds_load_b128 v[42:45], v33 offset:1024
	ds_load_b128 v[46:49], v33 offset:16
	;; [unrolled: 1-line block ×3, first 2 shown]
	s_add_nc_u64 s[16:17], s[16:17], 8
	s_wait_alu 0xfffe
	v_cmp_gt_i64_e64 s22, s[8:9], s[16:17]
	s_and_b32 vcc_lo, exec_lo, s22
	s_wait_dscnt 0x3
	v_fma_f64 v[22:23], v[38:39], v[24:25], v[22:23]
	v_fma_f64 v[20:21], v[40:41], v[24:25], v[20:21]
	s_wait_dscnt 0x2
	v_fma_f64 v[24:25], v[38:39], v[42:43], v[16:17]
	v_fma_f64 v[38:39], v[40:41], v[42:43], v[14:15]
	ds_load_2addr_b64 v[14:17], v32 offset0:32 offset1:48
	s_wait_dscnt 0x0
	v_fma_f64 v[22:23], v[14:15], v[26:27], v[22:23]
	v_fma_f64 v[20:21], v[16:17], v[26:27], v[20:21]
	v_fma_f64 v[24:25], v[14:15], v[44:45], v[24:25]
	v_fma_f64 v[26:27], v[16:17], v[44:45], v[38:39]
	ds_load_2addr_b64 v[14:17], v32 offset0:64 offset1:80
	s_wait_dscnt 0x0
	v_fma_f64 v[22:23], v[14:15], v[46:47], v[22:23]
	v_fma_f64 v[20:21], v[16:17], v[46:47], v[20:21]
	;; [unrolled: 6-line block ×3, first 2 shown]
	v_fma_f64 v[50:51], v[14:15], v[52:53], v[24:25]
	v_fma_f64 v[52:53], v[16:17], v[52:53], v[26:27]
	ds_load_b128 v[14:17], v33 offset:32
	ds_load_2addr_b64 v[20:23], v32 offset0:128 offset1:144
	ds_load_b128 v[24:27], v33 offset:1056
	ds_load_b128 v[38:41], v33 offset:48
	;; [unrolled: 1-line block ×3, first 2 shown]
	s_wait_dscnt 0x3
	v_fma_f64 v[46:47], v[20:21], v[14:15], v[46:47]
	v_fma_f64 v[14:15], v[22:23], v[14:15], v[48:49]
	s_wait_dscnt 0x2
	v_fma_f64 v[48:49], v[20:21], v[24:25], v[50:51]
	v_fma_f64 v[24:25], v[22:23], v[24:25], v[52:53]
	ds_load_2addr_b64 v[20:23], v32 offset0:160 offset1:176
	s_wait_dscnt 0x0
	v_fma_f64 v[46:47], v[20:21], v[16:17], v[46:47]
	v_fma_f64 v[50:51], v[22:23], v[16:17], v[14:15]
	;; [unrolled: 1-line block ×4, first 2 shown]
	ds_load_2addr_b64 v[14:17], v32 offset0:192 offset1:208
	ds_load_2addr_b64 v[24:27], v32 offset0:224 offset1:240
	s_wait_loadcnt_dscnt 0x0
	s_barrier_signal -1
	s_barrier_wait -1
	global_inv scope:SCOPE_SE
	v_fma_f64 v[46:47], v[14:15], v[38:39], v[46:47]
	v_fma_f64 v[38:39], v[16:17], v[38:39], v[50:51]
	;; [unrolled: 1-line block ×4, first 2 shown]
	s_delay_alu instid0(VALU_DEP_4) | instskip(NEXT) | instid1(VALU_DEP_4)
	v_fma_f64 v[22:23], v[24:25], v[40:41], v[46:47]
	v_fma_f64 v[20:21], v[26:27], v[40:41], v[38:39]
	s_delay_alu instid0(VALU_DEP_4) | instskip(NEXT) | instid1(VALU_DEP_4)
	v_fma_f64 v[16:17], v[24:25], v[44:45], v[14:15]
	v_fma_f64 v[14:15], v[26:27], v[44:45], v[42:43]
	s_wait_alu 0xfffe
	s_cbranch_vccz .LBB474_15
.LBB474_9:                              ;   Parent Loop BB474_6 Depth=1
                                        ; =>  This Inner Loop Header: Depth=2
	v_mov_b32_e32 v24, 0
	v_mov_b32_e32 v25, 0
	s_and_saveexec_b32 s22, s0
	s_cbranch_execz .LBB474_13
; %bb.10:                               ;   in Loop: Header=BB474_9 Depth=2
	v_mov_b32_e32 v24, 0
	s_wait_alu 0xfffe
	v_dual_mov_b32 v25, 0 :: v_dual_add_nc_u32 v4, s16, v29
	s_mov_b32 s23, exec_lo
	s_delay_alu instid0(VALU_DEP_1)
	v_cmpx_gt_u64_e64 s[8:9], v[4:5]
	s_cbranch_execz .LBB474_12
; %bb.11:                               ;   in Loop: Header=BB474_9 Depth=2
	v_lshlrev_b64_e32 v[24:25], 3, v[4:5]
	s_delay_alu instid0(VALU_DEP_1) | instskip(SKIP_1) | instid1(VALU_DEP_2)
	v_add_co_u32 v24, vcc_lo, v34, v24
	s_wait_alu 0xfffd
	v_add_co_ci_u32_e64 v25, null, v35, v25, vcc_lo
	flat_load_b64 v[24:25], v[24:25]
.LBB474_12:                             ;   in Loop: Header=BB474_9 Depth=2
	s_or_b32 exec_lo, exec_lo, s23
.LBB474_13:                             ;   in Loop: Header=BB474_9 Depth=2
	s_delay_alu instid0(SALU_CYCLE_1)
	s_or_b32 exec_lo, exec_lo, s22
	s_wait_alu 0xfffe
	v_add_nc_u32_e32 v4, s16, v28
	v_mov_b32_e32 v26, 0
	v_mov_b32_e32 v27, 0
	s_wait_loadcnt_dscnt 0x0
	ds_store_b64 v30, v[24:25]
	v_cmp_gt_u64_e32 vcc_lo, s[8:9], v[4:5]
	s_and_b32 s23, vcc_lo, s1
	s_delay_alu instid0(SALU_CYCLE_1)
	s_and_saveexec_b32 s22, s23
	s_cbranch_execz .LBB474_8
; %bb.14:                               ;   in Loop: Header=BB474_9 Depth=2
	v_lshlrev_b64_e32 v[24:25], 3, v[4:5]
	s_delay_alu instid0(VALU_DEP_1) | instskip(SKIP_1) | instid1(VALU_DEP_2)
	v_add_co_u32 v24, vcc_lo, v36, v24
	s_wait_alu 0xfffd
	v_add_co_ci_u32_e64 v25, null, v37, v25, vcc_lo
	flat_load_b64 v[26:27], v[24:25]
	s_branch .LBB474_8
.LBB474_15:                             ;   in Loop: Header=BB474_6 Depth=1
	s_wait_loadcnt 0x0
	s_wait_alu 0xfffe
	v_add_co_u32 v4, vcc_lo, v18, s14
	s_wait_alu 0xfffd
	v_add_co_ci_u32_e64 v24, null, s15, v19, vcc_lo
	s_delay_alu instid0(VALU_DEP_2) | instskip(SKIP_1) | instid1(VALU_DEP_2)
	v_add_co_u32 v25, vcc_lo, v4, v10
	s_wait_alu 0xfffd
	v_add_co_ci_u32_e64 v26, null, v24, v11, vcc_lo
	s_and_saveexec_b32 s16, s21
	s_cbranch_execz .LBB474_19
; %bb.16:                               ;   in Loop: Header=BB474_6 Depth=1
	v_mul_f64_e32 v[18:19], s[10:11], v[22:23]
	s_and_b32 vcc_lo, exec_lo, s20
	s_wait_alu 0xfffe
	s_cbranch_vccz .LBB474_30
; %bb.17:                               ;   in Loop: Header=BB474_6 Depth=1
	v_lshlrev_b64_e32 v[22:23], 3, v[0:1]
	s_delay_alu instid0(VALU_DEP_1) | instskip(SKIP_1) | instid1(VALU_DEP_2)
	v_add_co_u32 v22, vcc_lo, v25, v22
	s_wait_alu 0xfffd
	v_add_co_ci_u32_e64 v23, null, v26, v23, vcc_lo
	flat_load_b64 v[34:35], v[22:23]
	s_wait_loadcnt_dscnt 0x0
	v_fma_f64 v[34:35], s[6:7], v[34:35], v[18:19]
	flat_store_b64 v[22:23], v[34:35]
	s_cbranch_execnz .LBB474_19
.LBB474_18:                             ;   in Loop: Header=BB474_6 Depth=1
	v_lshlrev_b64_e32 v[22:23], 3, v[0:1]
	s_delay_alu instid0(VALU_DEP_1) | instskip(SKIP_1) | instid1(VALU_DEP_2)
	v_add_co_u32 v22, vcc_lo, v25, v22
	s_wait_alu 0xfffd
	v_add_co_ci_u32_e64 v23, null, v26, v23, vcc_lo
	flat_store_b64 v[22:23], v[18:19]
.LBB474_19:                             ;   in Loop: Header=BB474_6 Depth=1
	s_wait_alu 0xfffe
	s_or_b32 exec_lo, exec_lo, s16
	s_and_saveexec_b32 s16, s28
	s_cbranch_execz .LBB474_23
; %bb.20:                               ;   in Loop: Header=BB474_6 Depth=1
	v_mul_f64_e32 v[18:19], s[10:11], v[20:21]
	s_and_not1_b32 vcc_lo, exec_lo, s20
	s_wait_alu 0xfffe
	s_cbranch_vccnz .LBB474_31
; %bb.21:                               ;   in Loop: Header=BB474_6 Depth=1
	v_lshlrev_b64_e32 v[20:21], 3, v[2:3]
	s_delay_alu instid0(VALU_DEP_1) | instskip(SKIP_1) | instid1(VALU_DEP_2)
	v_add_co_u32 v20, vcc_lo, v25, v20
	s_wait_alu 0xfffd
	v_add_co_ci_u32_e64 v21, null, v26, v21, vcc_lo
	flat_load_b64 v[22:23], v[20:21]
	s_wait_loadcnt_dscnt 0x0
	v_fma_f64 v[22:23], s[6:7], v[22:23], v[18:19]
	flat_store_b64 v[20:21], v[22:23]
	s_cbranch_execnz .LBB474_23
.LBB474_22:                             ;   in Loop: Header=BB474_6 Depth=1
	v_lshlrev_b64_e32 v[20:21], 3, v[2:3]
	s_delay_alu instid0(VALU_DEP_1) | instskip(SKIP_1) | instid1(VALU_DEP_2)
	v_add_co_u32 v20, vcc_lo, v25, v20
	s_wait_alu 0xfffd
	v_add_co_ci_u32_e64 v21, null, v26, v21, vcc_lo
	flat_store_b64 v[20:21], v[18:19]
.LBB474_23:                             ;   in Loop: Header=BB474_6 Depth=1
	s_wait_alu 0xfffe
	s_or_b32 exec_lo, exec_lo, s16
	v_add_co_u32 v4, vcc_lo, v4, v12
	s_wait_alu 0xfffd
	v_add_co_ci_u32_e64 v20, null, v24, v13, vcc_lo
	s_and_saveexec_b32 s16, s29
	s_cbranch_execz .LBB474_27
; %bb.24:                               ;   in Loop: Header=BB474_6 Depth=1
	v_mul_f64_e32 v[16:17], s[10:11], v[16:17]
	v_lshlrev_b64_e32 v[18:19], 3, v[0:1]
	s_and_not1_b32 vcc_lo, exec_lo, s20
	s_wait_alu 0xfffe
	s_cbranch_vccnz .LBB474_32
; %bb.25:                               ;   in Loop: Header=BB474_6 Depth=1
	s_delay_alu instid0(VALU_DEP_1)
	v_add_co_u32 v21, vcc_lo, v4, v18
	s_wait_alu 0xfffd
	v_add_co_ci_u32_e64 v22, null, v20, v19, vcc_lo
	flat_load_b64 v[23:24], v[21:22]
	s_wait_loadcnt_dscnt 0x0
	v_fma_f64 v[23:24], s[6:7], v[23:24], v[16:17]
	flat_store_b64 v[21:22], v[23:24]
	s_cbranch_execnz .LBB474_27
.LBB474_26:                             ;   in Loop: Header=BB474_6 Depth=1
	s_delay_alu instid0(VALU_DEP_1)
	v_add_co_u32 v18, vcc_lo, v4, v18
	s_wait_alu 0xfffd
	v_add_co_ci_u32_e64 v19, null, v20, v19, vcc_lo
	flat_store_b64 v[18:19], v[16:17]
.LBB474_27:                             ;   in Loop: Header=BB474_6 Depth=1
	s_wait_alu 0xfffe
	s_or_b32 exec_lo, exec_lo, s16
	s_and_saveexec_b32 s16, s34
	s_cbranch_execz .LBB474_5
; %bb.28:                               ;   in Loop: Header=BB474_6 Depth=1
	v_mul_f64_e32 v[14:15], s[10:11], v[14:15]
	v_lshlrev_b64_e32 v[16:17], 3, v[2:3]
	s_and_not1_b32 vcc_lo, exec_lo, s20
	s_wait_alu 0xfffe
	s_cbranch_vccnz .LBB474_33
; %bb.29:                               ;   in Loop: Header=BB474_6 Depth=1
	s_delay_alu instid0(VALU_DEP_1)
	v_add_co_u32 v18, vcc_lo, v4, v16
	s_wait_alu 0xfffd
	v_add_co_ci_u32_e64 v19, null, v20, v17, vcc_lo
	flat_load_b64 v[21:22], v[18:19]
	s_wait_loadcnt_dscnt 0x0
	v_fma_f64 v[21:22], s[6:7], v[21:22], v[14:15]
	flat_store_b64 v[18:19], v[21:22]
	s_cbranch_execnz .LBB474_5
	s_branch .LBB474_34
.LBB474_30:                             ;   in Loop: Header=BB474_6 Depth=1
	s_branch .LBB474_18
.LBB474_31:                             ;   in Loop: Header=BB474_6 Depth=1
	s_branch .LBB474_22
.LBB474_32:                             ;   in Loop: Header=BB474_6 Depth=1
	s_branch .LBB474_26
.LBB474_33:                             ;   in Loop: Header=BB474_6 Depth=1
.LBB474_34:                             ;   in Loop: Header=BB474_6 Depth=1
	s_delay_alu instid0(VALU_DEP_1)
	v_add_co_u32 v16, vcc_lo, v4, v16
	s_wait_alu 0xfffd
	v_add_co_ci_u32_e64 v17, null, v20, v17, vcc_lo
	flat_store_b64 v[16:17], v[14:15]
	s_branch .LBB474_5
.LBB474_35:
	s_endpgm
	.section	.rodata,"a",@progbits
	.p2align	6, 0x0
	.amdhsa_kernel _ZL29rocblas_internal_gemmt_kernelIlLi16ELi32ELi8ELc67ELc78ELc85ELb0ELb0EdPKdPKS1_PKPdEviT_T9_T10_S7_lS9_S7_lS8_T11_S7_li
		.amdhsa_group_segment_fixed_size 4096
		.amdhsa_private_segment_fixed_size 0
		.amdhsa_kernarg_size 108
		.amdhsa_user_sgpr_count 2
		.amdhsa_user_sgpr_dispatch_ptr 0
		.amdhsa_user_sgpr_queue_ptr 0
		.amdhsa_user_sgpr_kernarg_segment_ptr 1
		.amdhsa_user_sgpr_dispatch_id 0
		.amdhsa_user_sgpr_private_segment_size 0
		.amdhsa_wavefront_size32 1
		.amdhsa_uses_dynamic_stack 0
		.amdhsa_enable_private_segment 0
		.amdhsa_system_sgpr_workgroup_id_x 1
		.amdhsa_system_sgpr_workgroup_id_y 1
		.amdhsa_system_sgpr_workgroup_id_z 1
		.amdhsa_system_sgpr_workgroup_info 0
		.amdhsa_system_vgpr_workitem_id 1
		.amdhsa_next_free_vgpr 54
		.amdhsa_next_free_sgpr 37
		.amdhsa_reserve_vcc 1
		.amdhsa_float_round_mode_32 0
		.amdhsa_float_round_mode_16_64 0
		.amdhsa_float_denorm_mode_32 3
		.amdhsa_float_denorm_mode_16_64 3
		.amdhsa_fp16_overflow 0
		.amdhsa_workgroup_processor_mode 1
		.amdhsa_memory_ordered 1
		.amdhsa_forward_progress 1
		.amdhsa_inst_pref_size 17
		.amdhsa_round_robin_scheduling 0
		.amdhsa_exception_fp_ieee_invalid_op 0
		.amdhsa_exception_fp_denorm_src 0
		.amdhsa_exception_fp_ieee_div_zero 0
		.amdhsa_exception_fp_ieee_overflow 0
		.amdhsa_exception_fp_ieee_underflow 0
		.amdhsa_exception_fp_ieee_inexact 0
		.amdhsa_exception_int_div_zero 0
	.end_amdhsa_kernel
	.section	.text._ZL29rocblas_internal_gemmt_kernelIlLi16ELi32ELi8ELc67ELc78ELc85ELb0ELb0EdPKdPKS1_PKPdEviT_T9_T10_S7_lS9_S7_lS8_T11_S7_li,"axG",@progbits,_ZL29rocblas_internal_gemmt_kernelIlLi16ELi32ELi8ELc67ELc78ELc85ELb0ELb0EdPKdPKS1_PKPdEviT_T9_T10_S7_lS9_S7_lS8_T11_S7_li,comdat
.Lfunc_end474:
	.size	_ZL29rocblas_internal_gemmt_kernelIlLi16ELi32ELi8ELc67ELc78ELc85ELb0ELb0EdPKdPKS1_PKPdEviT_T9_T10_S7_lS9_S7_lS8_T11_S7_li, .Lfunc_end474-_ZL29rocblas_internal_gemmt_kernelIlLi16ELi32ELi8ELc67ELc78ELc85ELb0ELb0EdPKdPKS1_PKPdEviT_T9_T10_S7_lS9_S7_lS8_T11_S7_li
                                        ; -- End function
	.set _ZL29rocblas_internal_gemmt_kernelIlLi16ELi32ELi8ELc67ELc78ELc85ELb0ELb0EdPKdPKS1_PKPdEviT_T9_T10_S7_lS9_S7_lS8_T11_S7_li.num_vgpr, 54
	.set _ZL29rocblas_internal_gemmt_kernelIlLi16ELi32ELi8ELc67ELc78ELc85ELb0ELb0EdPKdPKS1_PKPdEviT_T9_T10_S7_lS9_S7_lS8_T11_S7_li.num_agpr, 0
	.set _ZL29rocblas_internal_gemmt_kernelIlLi16ELi32ELi8ELc67ELc78ELc85ELb0ELb0EdPKdPKS1_PKPdEviT_T9_T10_S7_lS9_S7_lS8_T11_S7_li.numbered_sgpr, 37
	.set _ZL29rocblas_internal_gemmt_kernelIlLi16ELi32ELi8ELc67ELc78ELc85ELb0ELb0EdPKdPKS1_PKPdEviT_T9_T10_S7_lS9_S7_lS8_T11_S7_li.num_named_barrier, 0
	.set _ZL29rocblas_internal_gemmt_kernelIlLi16ELi32ELi8ELc67ELc78ELc85ELb0ELb0EdPKdPKS1_PKPdEviT_T9_T10_S7_lS9_S7_lS8_T11_S7_li.private_seg_size, 0
	.set _ZL29rocblas_internal_gemmt_kernelIlLi16ELi32ELi8ELc67ELc78ELc85ELb0ELb0EdPKdPKS1_PKPdEviT_T9_T10_S7_lS9_S7_lS8_T11_S7_li.uses_vcc, 1
	.set _ZL29rocblas_internal_gemmt_kernelIlLi16ELi32ELi8ELc67ELc78ELc85ELb0ELb0EdPKdPKS1_PKPdEviT_T9_T10_S7_lS9_S7_lS8_T11_S7_li.uses_flat_scratch, 0
	.set _ZL29rocblas_internal_gemmt_kernelIlLi16ELi32ELi8ELc67ELc78ELc85ELb0ELb0EdPKdPKS1_PKPdEviT_T9_T10_S7_lS9_S7_lS8_T11_S7_li.has_dyn_sized_stack, 0
	.set _ZL29rocblas_internal_gemmt_kernelIlLi16ELi32ELi8ELc67ELc78ELc85ELb0ELb0EdPKdPKS1_PKPdEviT_T9_T10_S7_lS9_S7_lS8_T11_S7_li.has_recursion, 0
	.set _ZL29rocblas_internal_gemmt_kernelIlLi16ELi32ELi8ELc67ELc78ELc85ELb0ELb0EdPKdPKS1_PKPdEviT_T9_T10_S7_lS9_S7_lS8_T11_S7_li.has_indirect_call, 0
	.section	.AMDGPU.csdata,"",@progbits
; Kernel info:
; codeLenInByte = 2156
; TotalNumSgprs: 39
; NumVgprs: 54
; ScratchSize: 0
; MemoryBound: 0
; FloatMode: 240
; IeeeMode: 1
; LDSByteSize: 4096 bytes/workgroup (compile time only)
; SGPRBlocks: 0
; VGPRBlocks: 6
; NumSGPRsForWavesPerEU: 39
; NumVGPRsForWavesPerEU: 54
; Occupancy: 16
; WaveLimiterHint : 1
; COMPUTE_PGM_RSRC2:SCRATCH_EN: 0
; COMPUTE_PGM_RSRC2:USER_SGPR: 2
; COMPUTE_PGM_RSRC2:TRAP_HANDLER: 0
; COMPUTE_PGM_RSRC2:TGID_X_EN: 1
; COMPUTE_PGM_RSRC2:TGID_Y_EN: 1
; COMPUTE_PGM_RSRC2:TGID_Z_EN: 1
; COMPUTE_PGM_RSRC2:TIDIG_COMP_CNT: 1
	.section	.text._ZL29rocblas_internal_gemmt_kernelIlLi16ELi32ELi8ELc67ELc84ELc85ELb0ELb0EdPKdPKS1_PKPdEviT_T9_T10_S7_lS9_S7_lS8_T11_S7_li,"axG",@progbits,_ZL29rocblas_internal_gemmt_kernelIlLi16ELi32ELi8ELc67ELc84ELc85ELb0ELb0EdPKdPKS1_PKPdEviT_T9_T10_S7_lS9_S7_lS8_T11_S7_li,comdat
	.globl	_ZL29rocblas_internal_gemmt_kernelIlLi16ELi32ELi8ELc67ELc84ELc85ELb0ELb0EdPKdPKS1_PKPdEviT_T9_T10_S7_lS9_S7_lS8_T11_S7_li ; -- Begin function _ZL29rocblas_internal_gemmt_kernelIlLi16ELi32ELi8ELc67ELc84ELc85ELb0ELb0EdPKdPKS1_PKPdEviT_T9_T10_S7_lS9_S7_lS8_T11_S7_li
	.p2align	8
	.type	_ZL29rocblas_internal_gemmt_kernelIlLi16ELi32ELi8ELc67ELc84ELc85ELb0ELb0EdPKdPKS1_PKPdEviT_T9_T10_S7_lS9_S7_lS8_T11_S7_li,@function
_ZL29rocblas_internal_gemmt_kernelIlLi16ELi32ELi8ELc67ELc84ELc85ELb0ELb0EdPKdPKS1_PKPdEviT_T9_T10_S7_lS9_S7_lS8_T11_S7_li: ; @_ZL29rocblas_internal_gemmt_kernelIlLi16ELi32ELi8ELc67ELc84ELc85ELb0ELb0EdPKdPKS1_PKPdEviT_T9_T10_S7_lS9_S7_lS8_T11_S7_li
; %bb.0:
	s_clause 0x1
	s_load_b256 s[24:31], s[0:1], 0x48
	s_load_b512 s[8:23], s[0:1], 0x8
	s_wait_kmcnt 0x0
	s_load_b64 s[6:7], s[24:25], 0x0
	s_load_b64 s[10:11], s[10:11], 0x0
	s_wait_kmcnt 0x0
	v_cmp_neq_f64_e64 s2, s[6:7], 1.0
	s_and_b32 vcc_lo, exec_lo, s2
	s_cbranch_vccnz .LBB475_2
; %bb.1:
	v_cmp_neq_f64_e64 s2, s[10:11], 0
	s_cmp_lg_u64 s[8:9], 0
	s_cselect_b32 s3, -1, 0
	s_delay_alu instid0(SALU_CYCLE_1)
	s_and_b32 s2, s3, s2
.LBB475_2:
	s_delay_alu instid0(SALU_CYCLE_1)
	s_and_not1_b32 vcc_lo, exec_lo, s2
	s_cbranch_vccnz .LBB475_35
; %bb.3:
	s_load_b32 s33, s[0:1], 0x68
	s_lshr_b32 s24, ttmp7, 16
	s_wait_kmcnt 0x0
	s_cmp_ge_u32 s24, s33
	s_cbranch_scc1 .LBB475_35
; %bb.4:
	v_bfe_u32 v5, v0, 10, 10
	s_load_b32 s3, s[0:1], 0x0
	s_lshl_b32 s0, ttmp7, 5
	v_and_b32_e32 v26, 7, v0
	s_and_b32 s0, s0, 0x1fffe0
	s_lshl_b32 s2, ttmp9, 5
	v_add_nc_u32_e32 v13, s0, v5
	v_cmp_neq_f64_e64 s37, s[10:11], 0
	v_cmp_neq_f64_e64 s34, s[6:7], 0
	s_ashr_i32 s1, s2, 31
	v_lshlrev_b32_e32 v3, 3, v26
	v_mad_co_u64_u32 v[8:9], null, s28, v13, 0
	v_and_b32_e32 v4, 0x3ff, v0
	v_add_nc_u32_e32 v15, 16, v13
	s_wait_alu 0xfffe
	s_mul_i32 s1, s14, s1
	v_cmp_gt_i64_e64 s38, s[8:9], 0
	v_lshl_add_u32 v31, v5, 6, 0x800
	v_lshl_add_u32 v0, v5, 4, v4
	s_mov_b32 s25, 0
	s_wait_kmcnt 0x0
	v_cmp_gt_i32_e32 vcc_lo, s3, v13
	s_delay_alu instid0(VALU_DEP_2) | instskip(SKIP_2) | instid1(VALU_DEP_3)
	v_and_b32_e32 v1, 31, v0
	v_lshrrev_b32_e32 v27, 5, v0
	v_lshrrev_b32_e32 v0, 3, v0
	v_or_b32_e32 v2, s2, v1
	v_lshlrev_b32_e32 v1, 3, v1
	s_delay_alu instid0(VALU_DEP_3)
	v_add_nc_u32_e32 v14, s0, v0
	v_lshl_or_b32 v0, v0, 6, v3
	v_mov_b32_e32 v3, 0
	v_mul_lo_u32 v10, s15, v2
	v_mad_co_u64_u32 v[6:7], null, s14, v2, 0
	v_lshl_or_b32 v28, v27, 8, v1
	v_mov_b32_e32 v1, v9
	v_cmp_gt_i32_e64 s0, s3, v2
	v_add_nc_u32_e32 v29, 0x800, v0
	v_add_nc_u32_e32 v0, s2, v4
	v_lshlrev_b32_e32 v30, 3, v4
	s_wait_alu 0xfffe
	v_add3_u32 v7, v7, s1, v10
	v_mad_co_u64_u32 v[10:11], null, s28, v15, 0
	v_mad_co_u64_u32 v[1:2], null, s29, v13, v[1:2]
	v_cmp_le_i32_e64 s2, v0, v13
	v_add_nc_u32_e32 v4, 16, v0
	v_cmp_le_i32_e64 s4, v0, v15
	v_lshlrev_b64_e32 v[6:7], 3, v[6:7]
	v_mov_b32_e32 v2, v11
	s_and_b32 s28, vcc_lo, s2
	v_mov_b32_e32 v9, v1
	v_cmp_gt_i32_e64 s1, s3, v14
	v_cmp_le_i32_e64 s2, v4, v13
	v_mad_co_u64_u32 v[11:12], null, s29, v15, v[2:3]
	v_cmp_gt_i32_e64 s3, s3, v15
	v_cmp_le_i32_e64 s5, v4, v15
	v_lshlrev_b64_e32 v[8:9], 3, v[8:9]
	v_ashrrev_i32_e32 v1, 31, v0
	v_ashrrev_i32_e32 v5, 31, v4
	v_lshlrev_b32_e32 v32, 3, v14
	v_lshlrev_b64_e32 v[10:11], 3, v[10:11]
	s_and_b32 s29, vcc_lo, s2
	s_and_b32 s35, s3, s4
	s_and_b32 s36, s3, s5
	;; [unrolled: 1-line block ×3, first 2 shown]
	s_lshl_b64 s[2:3], s[22:23], 3
	s_lshl_b64 s[4:5], s[16:17], 3
	;; [unrolled: 1-line block ×3, first 2 shown]
	s_branch .LBB475_6
.LBB475_5:                              ;   in Loop: Header=BB475_6 Depth=1
	s_wait_alu 0xfffe
	s_or_b32 exec_lo, exec_lo, s16
	s_add_co_i32 s24, s24, 0x10000
	s_delay_alu instid0(SALU_CYCLE_1)
	s_cmp_lt_u32 s24, s33
	s_cbranch_scc0 .LBB475_35
.LBB475_6:                              ; =>This Loop Header: Depth=1
                                        ;     Child Loop BB475_9 Depth 2
	s_lshl_b64 s[16:17], s[24:25], 3
	v_mov_b32_e32 v20, 0
	s_wait_alu 0xfffe
	s_add_nc_u64 s[22:23], s[26:27], s[16:17]
	v_mov_b32_e32 v14, 0
	global_load_b64 v[16:17], v3, s[22:23]
	v_dual_mov_b32 v21, 0 :: v_dual_mov_b32 v18, 0
	v_dual_mov_b32 v15, 0 :: v_dual_mov_b32 v12, 0
	v_mov_b32_e32 v19, 0
	v_mov_b32_e32 v13, 0
	s_and_not1_b32 vcc_lo, exec_lo, s37
	s_wait_alu 0xfffe
	s_cbranch_vccnz .LBB475_15
; %bb.7:                                ;   in Loop: Header=BB475_6 Depth=1
	s_add_nc_u64 s[22:23], s[12:13], s[16:17]
	s_add_nc_u64 s[16:17], s[18:19], s[16:17]
	s_clause 0x1
	global_load_b64 v[22:23], v3, s[22:23]
	global_load_b64 v[24:25], v3, s[16:17]
	v_mov_b32_e32 v12, 0
	v_dual_mov_b32 v18, 0 :: v_dual_mov_b32 v13, 0
	v_dual_mov_b32 v14, 0 :: v_dual_mov_b32 v19, 0
	;; [unrolled: 1-line block ×3, first 2 shown]
	v_mov_b32_e32 v21, 0
	s_mov_b64 s[16:17], 0
	s_wait_loadcnt 0x1
	v_add_co_u32 v2, vcc_lo, v22, s4
	s_wait_alu 0xfffd
	v_add_co_ci_u32_e64 v22, null, s5, v23, vcc_lo
	s_wait_loadcnt 0x0
	v_add_co_u32 v23, vcc_lo, v24, s2
	s_wait_alu 0xfffd
	v_add_co_ci_u32_e64 v24, null, s3, v25, vcc_lo
	v_add_co_u32 v33, vcc_lo, v2, v6
	s_wait_alu 0xfffd
	v_add_co_ci_u32_e64 v34, null, v22, v7, vcc_lo
	;; [unrolled: 3-line block ×3, first 2 shown]
	s_branch .LBB475_9
.LBB475_8:                              ;   in Loop: Header=BB475_9 Depth=2
	s_or_b32 exec_lo, exec_lo, s22
	s_wait_loadcnt_dscnt 0x0
	ds_store_b64 v29, v[24:25]
	s_wait_dscnt 0x0
	s_barrier_signal -1
	s_barrier_wait -1
	global_inv scope:SCOPE_SE
	ds_load_b128 v[22:25], v31
	ds_load_2addr_b64 v[37:40], v30 offset1:16
	ds_load_b128 v[41:44], v31 offset:1024
	ds_load_b128 v[45:48], v31 offset:16
	;; [unrolled: 1-line block ×3, first 2 shown]
	s_add_nc_u64 s[16:17], s[16:17], 8
	s_wait_alu 0xfffe
	v_cmp_gt_i64_e64 s22, s[8:9], s[16:17]
	s_and_b32 vcc_lo, exec_lo, s22
	s_wait_dscnt 0x3
	v_fma_f64 v[20:21], v[37:38], v[22:23], v[20:21]
	v_fma_f64 v[18:19], v[39:40], v[22:23], v[18:19]
	s_wait_dscnt 0x2
	v_fma_f64 v[22:23], v[37:38], v[41:42], v[14:15]
	v_fma_f64 v[37:38], v[39:40], v[41:42], v[12:13]
	ds_load_2addr_b64 v[12:15], v30 offset0:32 offset1:48
	s_wait_dscnt 0x0
	v_fma_f64 v[20:21], v[12:13], v[24:25], v[20:21]
	v_fma_f64 v[18:19], v[14:15], v[24:25], v[18:19]
	v_fma_f64 v[22:23], v[12:13], v[43:44], v[22:23]
	v_fma_f64 v[24:25], v[14:15], v[43:44], v[37:38]
	ds_load_2addr_b64 v[12:15], v30 offset0:64 offset1:80
	s_wait_dscnt 0x0
	v_fma_f64 v[20:21], v[12:13], v[45:46], v[20:21]
	v_fma_f64 v[18:19], v[14:15], v[45:46], v[18:19]
	;; [unrolled: 6-line block ×3, first 2 shown]
	v_fma_f64 v[49:50], v[12:13], v[51:52], v[22:23]
	v_fma_f64 v[51:52], v[14:15], v[51:52], v[24:25]
	ds_load_b128 v[12:15], v31 offset:32
	ds_load_2addr_b64 v[18:21], v30 offset0:128 offset1:144
	ds_load_b128 v[22:25], v31 offset:1056
	ds_load_b128 v[37:40], v31 offset:48
	;; [unrolled: 1-line block ×3, first 2 shown]
	s_wait_dscnt 0x3
	v_fma_f64 v[45:46], v[18:19], v[12:13], v[45:46]
	v_fma_f64 v[12:13], v[20:21], v[12:13], v[47:48]
	s_wait_dscnt 0x2
	v_fma_f64 v[47:48], v[18:19], v[22:23], v[49:50]
	v_fma_f64 v[22:23], v[20:21], v[22:23], v[51:52]
	ds_load_2addr_b64 v[18:21], v30 offset0:160 offset1:176
	s_wait_dscnt 0x0
	v_fma_f64 v[45:46], v[18:19], v[14:15], v[45:46]
	v_fma_f64 v[49:50], v[20:21], v[14:15], v[12:13]
	;; [unrolled: 1-line block ×4, first 2 shown]
	ds_load_2addr_b64 v[12:15], v30 offset0:192 offset1:208
	ds_load_2addr_b64 v[22:25], v30 offset0:224 offset1:240
	s_wait_loadcnt_dscnt 0x0
	s_barrier_signal -1
	s_barrier_wait -1
	global_inv scope:SCOPE_SE
	v_fma_f64 v[45:46], v[12:13], v[37:38], v[45:46]
	v_fma_f64 v[37:38], v[14:15], v[37:38], v[49:50]
	v_fma_f64 v[12:13], v[12:13], v[41:42], v[18:19]
	v_fma_f64 v[41:42], v[14:15], v[41:42], v[20:21]
	s_delay_alu instid0(VALU_DEP_4) | instskip(NEXT) | instid1(VALU_DEP_4)
	v_fma_f64 v[20:21], v[22:23], v[39:40], v[45:46]
	v_fma_f64 v[18:19], v[24:25], v[39:40], v[37:38]
	s_delay_alu instid0(VALU_DEP_4) | instskip(NEXT) | instid1(VALU_DEP_4)
	v_fma_f64 v[14:15], v[22:23], v[43:44], v[12:13]
	v_fma_f64 v[12:13], v[24:25], v[43:44], v[41:42]
	s_wait_alu 0xfffe
	s_cbranch_vccz .LBB475_15
.LBB475_9:                              ;   Parent Loop BB475_6 Depth=1
                                        ; =>  This Inner Loop Header: Depth=2
	v_mov_b32_e32 v22, 0
	v_mov_b32_e32 v23, 0
	s_and_saveexec_b32 s22, s0
	s_cbranch_execz .LBB475_13
; %bb.10:                               ;   in Loop: Header=BB475_9 Depth=2
	v_mov_b32_e32 v22, 0
	s_wait_alu 0xfffe
	v_dual_mov_b32 v23, 0 :: v_dual_add_nc_u32 v2, s16, v27
	s_mov_b32 s23, exec_lo
	s_delay_alu instid0(VALU_DEP_1)
	v_cmpx_gt_u64_e64 s[8:9], v[2:3]
	s_cbranch_execz .LBB475_12
; %bb.11:                               ;   in Loop: Header=BB475_9 Depth=2
	v_lshlrev_b64_e32 v[22:23], 3, v[2:3]
	s_delay_alu instid0(VALU_DEP_1) | instskip(SKIP_1) | instid1(VALU_DEP_2)
	v_add_co_u32 v22, vcc_lo, v33, v22
	s_wait_alu 0xfffd
	v_add_co_ci_u32_e64 v23, null, v34, v23, vcc_lo
	flat_load_b64 v[22:23], v[22:23]
.LBB475_12:                             ;   in Loop: Header=BB475_9 Depth=2
	s_or_b32 exec_lo, exec_lo, s23
.LBB475_13:                             ;   in Loop: Header=BB475_9 Depth=2
	s_delay_alu instid0(SALU_CYCLE_1)
	s_or_b32 exec_lo, exec_lo, s22
	s_wait_alu 0xfffe
	v_add_nc_u32_e32 v2, s16, v26
	v_mov_b32_e32 v24, 0
	v_mov_b32_e32 v25, 0
	s_wait_loadcnt_dscnt 0x0
	ds_store_b64 v28, v[22:23]
	v_cmp_gt_u64_e32 vcc_lo, s[8:9], v[2:3]
	s_and_b32 s23, vcc_lo, s1
	s_delay_alu instid0(SALU_CYCLE_1)
	s_and_saveexec_b32 s22, s23
	s_cbranch_execz .LBB475_8
; %bb.14:                               ;   in Loop: Header=BB475_9 Depth=2
	v_mad_co_u64_u32 v[22:23], null, s20, v2, 0
	s_delay_alu instid0(VALU_DEP_1) | instskip(NEXT) | instid1(VALU_DEP_1)
	v_mad_co_u64_u32 v[23:24], null, s21, v2, v[23:24]
	v_lshlrev_b64_e32 v[22:23], 3, v[22:23]
	s_delay_alu instid0(VALU_DEP_1) | instskip(SKIP_1) | instid1(VALU_DEP_2)
	v_add_co_u32 v22, vcc_lo, v35, v22
	s_wait_alu 0xfffd
	v_add_co_ci_u32_e64 v23, null, v36, v23, vcc_lo
	flat_load_b64 v[24:25], v[22:23]
	s_branch .LBB475_8
.LBB475_15:                             ;   in Loop: Header=BB475_6 Depth=1
	s_wait_loadcnt 0x0
	s_wait_alu 0xfffe
	v_add_co_u32 v2, vcc_lo, v16, s14
	s_wait_alu 0xfffd
	v_add_co_ci_u32_e64 v22, null, s15, v17, vcc_lo
	s_delay_alu instid0(VALU_DEP_2) | instskip(SKIP_1) | instid1(VALU_DEP_2)
	v_add_co_u32 v23, vcc_lo, v2, v8
	s_wait_alu 0xfffd
	v_add_co_ci_u32_e64 v24, null, v22, v9, vcc_lo
	s_and_saveexec_b32 s16, s28
	s_cbranch_execz .LBB475_19
; %bb.16:                               ;   in Loop: Header=BB475_6 Depth=1
	v_mul_f64_e32 v[16:17], s[10:11], v[20:21]
	s_and_b32 vcc_lo, exec_lo, s34
	s_wait_alu 0xfffe
	s_cbranch_vccz .LBB475_30
; %bb.17:                               ;   in Loop: Header=BB475_6 Depth=1
	v_lshlrev_b64_e32 v[20:21], 3, v[0:1]
	s_delay_alu instid0(VALU_DEP_1) | instskip(SKIP_1) | instid1(VALU_DEP_2)
	v_add_co_u32 v20, vcc_lo, v23, v20
	s_wait_alu 0xfffd
	v_add_co_ci_u32_e64 v21, null, v24, v21, vcc_lo
	flat_load_b64 v[33:34], v[20:21]
	s_wait_loadcnt_dscnt 0x0
	v_fma_f64 v[33:34], s[6:7], v[33:34], v[16:17]
	flat_store_b64 v[20:21], v[33:34]
	s_cbranch_execnz .LBB475_19
.LBB475_18:                             ;   in Loop: Header=BB475_6 Depth=1
	v_lshlrev_b64_e32 v[20:21], 3, v[0:1]
	s_delay_alu instid0(VALU_DEP_1) | instskip(SKIP_1) | instid1(VALU_DEP_2)
	v_add_co_u32 v20, vcc_lo, v23, v20
	s_wait_alu 0xfffd
	v_add_co_ci_u32_e64 v21, null, v24, v21, vcc_lo
	flat_store_b64 v[20:21], v[16:17]
.LBB475_19:                             ;   in Loop: Header=BB475_6 Depth=1
	s_wait_alu 0xfffe
	s_or_b32 exec_lo, exec_lo, s16
	s_and_saveexec_b32 s16, s29
	s_cbranch_execz .LBB475_23
; %bb.20:                               ;   in Loop: Header=BB475_6 Depth=1
	v_mul_f64_e32 v[16:17], s[10:11], v[18:19]
	s_and_not1_b32 vcc_lo, exec_lo, s34
	s_wait_alu 0xfffe
	s_cbranch_vccnz .LBB475_31
; %bb.21:                               ;   in Loop: Header=BB475_6 Depth=1
	v_lshlrev_b64_e32 v[18:19], 3, v[4:5]
	s_delay_alu instid0(VALU_DEP_1) | instskip(SKIP_1) | instid1(VALU_DEP_2)
	v_add_co_u32 v18, vcc_lo, v23, v18
	s_wait_alu 0xfffd
	v_add_co_ci_u32_e64 v19, null, v24, v19, vcc_lo
	flat_load_b64 v[20:21], v[18:19]
	s_wait_loadcnt_dscnt 0x0
	v_fma_f64 v[20:21], s[6:7], v[20:21], v[16:17]
	flat_store_b64 v[18:19], v[20:21]
	s_cbranch_execnz .LBB475_23
.LBB475_22:                             ;   in Loop: Header=BB475_6 Depth=1
	v_lshlrev_b64_e32 v[18:19], 3, v[4:5]
	s_delay_alu instid0(VALU_DEP_1) | instskip(SKIP_1) | instid1(VALU_DEP_2)
	v_add_co_u32 v18, vcc_lo, v23, v18
	s_wait_alu 0xfffd
	v_add_co_ci_u32_e64 v19, null, v24, v19, vcc_lo
	flat_store_b64 v[18:19], v[16:17]
.LBB475_23:                             ;   in Loop: Header=BB475_6 Depth=1
	s_wait_alu 0xfffe
	s_or_b32 exec_lo, exec_lo, s16
	v_add_co_u32 v2, vcc_lo, v2, v10
	s_wait_alu 0xfffd
	v_add_co_ci_u32_e64 v18, null, v22, v11, vcc_lo
	s_and_saveexec_b32 s16, s35
	s_cbranch_execz .LBB475_27
; %bb.24:                               ;   in Loop: Header=BB475_6 Depth=1
	v_mul_f64_e32 v[14:15], s[10:11], v[14:15]
	v_lshlrev_b64_e32 v[16:17], 3, v[0:1]
	s_and_not1_b32 vcc_lo, exec_lo, s34
	s_wait_alu 0xfffe
	s_cbranch_vccnz .LBB475_32
; %bb.25:                               ;   in Loop: Header=BB475_6 Depth=1
	s_delay_alu instid0(VALU_DEP_1)
	v_add_co_u32 v19, vcc_lo, v2, v16
	s_wait_alu 0xfffd
	v_add_co_ci_u32_e64 v20, null, v18, v17, vcc_lo
	flat_load_b64 v[21:22], v[19:20]
	s_wait_loadcnt_dscnt 0x0
	v_fma_f64 v[21:22], s[6:7], v[21:22], v[14:15]
	flat_store_b64 v[19:20], v[21:22]
	s_cbranch_execnz .LBB475_27
.LBB475_26:                             ;   in Loop: Header=BB475_6 Depth=1
	s_delay_alu instid0(VALU_DEP_1)
	v_add_co_u32 v16, vcc_lo, v2, v16
	s_wait_alu 0xfffd
	v_add_co_ci_u32_e64 v17, null, v18, v17, vcc_lo
	flat_store_b64 v[16:17], v[14:15]
.LBB475_27:                             ;   in Loop: Header=BB475_6 Depth=1
	s_wait_alu 0xfffe
	s_or_b32 exec_lo, exec_lo, s16
	s_and_saveexec_b32 s16, s36
	s_cbranch_execz .LBB475_5
; %bb.28:                               ;   in Loop: Header=BB475_6 Depth=1
	v_mul_f64_e32 v[12:13], s[10:11], v[12:13]
	v_lshlrev_b64_e32 v[14:15], 3, v[4:5]
	s_and_not1_b32 vcc_lo, exec_lo, s34
	s_wait_alu 0xfffe
	s_cbranch_vccnz .LBB475_33
; %bb.29:                               ;   in Loop: Header=BB475_6 Depth=1
	s_delay_alu instid0(VALU_DEP_1)
	v_add_co_u32 v16, vcc_lo, v2, v14
	s_wait_alu 0xfffd
	v_add_co_ci_u32_e64 v17, null, v18, v15, vcc_lo
	flat_load_b64 v[19:20], v[16:17]
	s_wait_loadcnt_dscnt 0x0
	v_fma_f64 v[19:20], s[6:7], v[19:20], v[12:13]
	flat_store_b64 v[16:17], v[19:20]
	s_cbranch_execnz .LBB475_5
	s_branch .LBB475_34
.LBB475_30:                             ;   in Loop: Header=BB475_6 Depth=1
	s_branch .LBB475_18
.LBB475_31:                             ;   in Loop: Header=BB475_6 Depth=1
	s_branch .LBB475_22
.LBB475_32:                             ;   in Loop: Header=BB475_6 Depth=1
	s_branch .LBB475_26
.LBB475_33:                             ;   in Loop: Header=BB475_6 Depth=1
.LBB475_34:                             ;   in Loop: Header=BB475_6 Depth=1
	s_delay_alu instid0(VALU_DEP_1)
	v_add_co_u32 v14, vcc_lo, v2, v14
	s_wait_alu 0xfffd
	v_add_co_ci_u32_e64 v15, null, v18, v15, vcc_lo
	flat_store_b64 v[14:15], v[12:13]
	s_branch .LBB475_5
.LBB475_35:
	s_endpgm
	.section	.rodata,"a",@progbits
	.p2align	6, 0x0
	.amdhsa_kernel _ZL29rocblas_internal_gemmt_kernelIlLi16ELi32ELi8ELc67ELc84ELc85ELb0ELb0EdPKdPKS1_PKPdEviT_T9_T10_S7_lS9_S7_lS8_T11_S7_li
		.amdhsa_group_segment_fixed_size 4096
		.amdhsa_private_segment_fixed_size 0
		.amdhsa_kernarg_size 108
		.amdhsa_user_sgpr_count 2
		.amdhsa_user_sgpr_dispatch_ptr 0
		.amdhsa_user_sgpr_queue_ptr 0
		.amdhsa_user_sgpr_kernarg_segment_ptr 1
		.amdhsa_user_sgpr_dispatch_id 0
		.amdhsa_user_sgpr_private_segment_size 0
		.amdhsa_wavefront_size32 1
		.amdhsa_uses_dynamic_stack 0
		.amdhsa_enable_private_segment 0
		.amdhsa_system_sgpr_workgroup_id_x 1
		.amdhsa_system_sgpr_workgroup_id_y 1
		.amdhsa_system_sgpr_workgroup_id_z 1
		.amdhsa_system_sgpr_workgroup_info 0
		.amdhsa_system_vgpr_workitem_id 1
		.amdhsa_next_free_vgpr 53
		.amdhsa_next_free_sgpr 39
		.amdhsa_reserve_vcc 1
		.amdhsa_float_round_mode_32 0
		.amdhsa_float_round_mode_16_64 0
		.amdhsa_float_denorm_mode_32 3
		.amdhsa_float_denorm_mode_16_64 3
		.amdhsa_fp16_overflow 0
		.amdhsa_workgroup_processor_mode 1
		.amdhsa_memory_ordered 1
		.amdhsa_forward_progress 1
		.amdhsa_inst_pref_size 17
		.amdhsa_round_robin_scheduling 0
		.amdhsa_exception_fp_ieee_invalid_op 0
		.amdhsa_exception_fp_denorm_src 0
		.amdhsa_exception_fp_ieee_div_zero 0
		.amdhsa_exception_fp_ieee_overflow 0
		.amdhsa_exception_fp_ieee_underflow 0
		.amdhsa_exception_fp_ieee_inexact 0
		.amdhsa_exception_int_div_zero 0
	.end_amdhsa_kernel
	.section	.text._ZL29rocblas_internal_gemmt_kernelIlLi16ELi32ELi8ELc67ELc84ELc85ELb0ELb0EdPKdPKS1_PKPdEviT_T9_T10_S7_lS9_S7_lS8_T11_S7_li,"axG",@progbits,_ZL29rocblas_internal_gemmt_kernelIlLi16ELi32ELi8ELc67ELc84ELc85ELb0ELb0EdPKdPKS1_PKPdEviT_T9_T10_S7_lS9_S7_lS8_T11_S7_li,comdat
.Lfunc_end475:
	.size	_ZL29rocblas_internal_gemmt_kernelIlLi16ELi32ELi8ELc67ELc84ELc85ELb0ELb0EdPKdPKS1_PKPdEviT_T9_T10_S7_lS9_S7_lS8_T11_S7_li, .Lfunc_end475-_ZL29rocblas_internal_gemmt_kernelIlLi16ELi32ELi8ELc67ELc84ELc85ELb0ELb0EdPKdPKS1_PKPdEviT_T9_T10_S7_lS9_S7_lS8_T11_S7_li
                                        ; -- End function
	.set _ZL29rocblas_internal_gemmt_kernelIlLi16ELi32ELi8ELc67ELc84ELc85ELb0ELb0EdPKdPKS1_PKPdEviT_T9_T10_S7_lS9_S7_lS8_T11_S7_li.num_vgpr, 53
	.set _ZL29rocblas_internal_gemmt_kernelIlLi16ELi32ELi8ELc67ELc84ELc85ELb0ELb0EdPKdPKS1_PKPdEviT_T9_T10_S7_lS9_S7_lS8_T11_S7_li.num_agpr, 0
	.set _ZL29rocblas_internal_gemmt_kernelIlLi16ELi32ELi8ELc67ELc84ELc85ELb0ELb0EdPKdPKS1_PKPdEviT_T9_T10_S7_lS9_S7_lS8_T11_S7_li.numbered_sgpr, 39
	.set _ZL29rocblas_internal_gemmt_kernelIlLi16ELi32ELi8ELc67ELc84ELc85ELb0ELb0EdPKdPKS1_PKPdEviT_T9_T10_S7_lS9_S7_lS8_T11_S7_li.num_named_barrier, 0
	.set _ZL29rocblas_internal_gemmt_kernelIlLi16ELi32ELi8ELc67ELc84ELc85ELb0ELb0EdPKdPKS1_PKPdEviT_T9_T10_S7_lS9_S7_lS8_T11_S7_li.private_seg_size, 0
	.set _ZL29rocblas_internal_gemmt_kernelIlLi16ELi32ELi8ELc67ELc84ELc85ELb0ELb0EdPKdPKS1_PKPdEviT_T9_T10_S7_lS9_S7_lS8_T11_S7_li.uses_vcc, 1
	.set _ZL29rocblas_internal_gemmt_kernelIlLi16ELi32ELi8ELc67ELc84ELc85ELb0ELb0EdPKdPKS1_PKPdEviT_T9_T10_S7_lS9_S7_lS8_T11_S7_li.uses_flat_scratch, 0
	.set _ZL29rocblas_internal_gemmt_kernelIlLi16ELi32ELi8ELc67ELc84ELc85ELb0ELb0EdPKdPKS1_PKPdEviT_T9_T10_S7_lS9_S7_lS8_T11_S7_li.has_dyn_sized_stack, 0
	.set _ZL29rocblas_internal_gemmt_kernelIlLi16ELi32ELi8ELc67ELc84ELc85ELb0ELb0EdPKdPKS1_PKPdEviT_T9_T10_S7_lS9_S7_lS8_T11_S7_li.has_recursion, 0
	.set _ZL29rocblas_internal_gemmt_kernelIlLi16ELi32ELi8ELc67ELc84ELc85ELb0ELb0EdPKdPKS1_PKPdEviT_T9_T10_S7_lS9_S7_lS8_T11_S7_li.has_indirect_call, 0
	.section	.AMDGPU.csdata,"",@progbits
; Kernel info:
; codeLenInByte = 2136
; TotalNumSgprs: 41
; NumVgprs: 53
; ScratchSize: 0
; MemoryBound: 0
; FloatMode: 240
; IeeeMode: 1
; LDSByteSize: 4096 bytes/workgroup (compile time only)
; SGPRBlocks: 0
; VGPRBlocks: 6
; NumSGPRsForWavesPerEU: 41
; NumVGPRsForWavesPerEU: 53
; Occupancy: 16
; WaveLimiterHint : 1
; COMPUTE_PGM_RSRC2:SCRATCH_EN: 0
; COMPUTE_PGM_RSRC2:USER_SGPR: 2
; COMPUTE_PGM_RSRC2:TRAP_HANDLER: 0
; COMPUTE_PGM_RSRC2:TGID_X_EN: 1
; COMPUTE_PGM_RSRC2:TGID_Y_EN: 1
; COMPUTE_PGM_RSRC2:TGID_Z_EN: 1
; COMPUTE_PGM_RSRC2:TIDIG_COMP_CNT: 1
	.section	.text._ZL29rocblas_internal_gemmt_kernelIlLi16ELi32ELi8ELc67ELc67ELc85ELb0ELb0EdPKdPKS1_PKPdEviT_T9_T10_S7_lS9_S7_lS8_T11_S7_li,"axG",@progbits,_ZL29rocblas_internal_gemmt_kernelIlLi16ELi32ELi8ELc67ELc67ELc85ELb0ELb0EdPKdPKS1_PKPdEviT_T9_T10_S7_lS9_S7_lS8_T11_S7_li,comdat
	.globl	_ZL29rocblas_internal_gemmt_kernelIlLi16ELi32ELi8ELc67ELc67ELc85ELb0ELb0EdPKdPKS1_PKPdEviT_T9_T10_S7_lS9_S7_lS8_T11_S7_li ; -- Begin function _ZL29rocblas_internal_gemmt_kernelIlLi16ELi32ELi8ELc67ELc67ELc85ELb0ELb0EdPKdPKS1_PKPdEviT_T9_T10_S7_lS9_S7_lS8_T11_S7_li
	.p2align	8
	.type	_ZL29rocblas_internal_gemmt_kernelIlLi16ELi32ELi8ELc67ELc67ELc85ELb0ELb0EdPKdPKS1_PKPdEviT_T9_T10_S7_lS9_S7_lS8_T11_S7_li,@function
_ZL29rocblas_internal_gemmt_kernelIlLi16ELi32ELi8ELc67ELc67ELc85ELb0ELb0EdPKdPKS1_PKPdEviT_T9_T10_S7_lS9_S7_lS8_T11_S7_li: ; @_ZL29rocblas_internal_gemmt_kernelIlLi16ELi32ELi8ELc67ELc67ELc85ELb0ELb0EdPKdPKS1_PKPdEviT_T9_T10_S7_lS9_S7_lS8_T11_S7_li
; %bb.0:
	s_clause 0x1
	s_load_b256 s[24:31], s[0:1], 0x48
	s_load_b512 s[8:23], s[0:1], 0x8
	s_wait_kmcnt 0x0
	s_load_b64 s[6:7], s[24:25], 0x0
	s_load_b64 s[10:11], s[10:11], 0x0
	s_wait_kmcnt 0x0
	v_cmp_neq_f64_e64 s2, s[6:7], 1.0
	s_and_b32 vcc_lo, exec_lo, s2
	s_cbranch_vccnz .LBB476_2
; %bb.1:
	v_cmp_neq_f64_e64 s2, s[10:11], 0
	s_cmp_lg_u64 s[8:9], 0
	s_cselect_b32 s3, -1, 0
	s_delay_alu instid0(SALU_CYCLE_1)
	s_and_b32 s2, s3, s2
.LBB476_2:
	s_delay_alu instid0(SALU_CYCLE_1)
	s_and_not1_b32 vcc_lo, exec_lo, s2
	s_cbranch_vccnz .LBB476_35
; %bb.3:
	s_load_b32 s33, s[0:1], 0x68
	s_lshr_b32 s24, ttmp7, 16
	s_wait_kmcnt 0x0
	s_cmp_ge_u32 s24, s33
	s_cbranch_scc1 .LBB476_35
; %bb.4:
	v_bfe_u32 v5, v0, 10, 10
	s_load_b32 s3, s[0:1], 0x0
	s_lshl_b32 s0, ttmp7, 5
	v_and_b32_e32 v26, 7, v0
	s_and_b32 s0, s0, 0x1fffe0
	s_lshl_b32 s2, ttmp9, 5
	v_add_nc_u32_e32 v13, s0, v5
	v_cmp_neq_f64_e64 s37, s[10:11], 0
	v_cmp_neq_f64_e64 s34, s[6:7], 0
	s_ashr_i32 s1, s2, 31
	v_lshlrev_b32_e32 v3, 3, v26
	v_mad_co_u64_u32 v[8:9], null, s28, v13, 0
	v_and_b32_e32 v4, 0x3ff, v0
	v_add_nc_u32_e32 v15, 16, v13
	s_wait_alu 0xfffe
	s_mul_i32 s1, s14, s1
	v_cmp_gt_i64_e64 s38, s[8:9], 0
	v_lshl_add_u32 v31, v5, 6, 0x800
	v_lshl_add_u32 v0, v5, 4, v4
	s_mov_b32 s25, 0
	s_wait_kmcnt 0x0
	v_cmp_gt_i32_e32 vcc_lo, s3, v13
	s_delay_alu instid0(VALU_DEP_2) | instskip(SKIP_2) | instid1(VALU_DEP_3)
	v_and_b32_e32 v1, 31, v0
	v_lshrrev_b32_e32 v27, 5, v0
	v_lshrrev_b32_e32 v0, 3, v0
	v_or_b32_e32 v2, s2, v1
	v_lshlrev_b32_e32 v1, 3, v1
	s_delay_alu instid0(VALU_DEP_3)
	v_add_nc_u32_e32 v14, s0, v0
	v_lshl_or_b32 v0, v0, 6, v3
	v_mov_b32_e32 v3, 0
	v_mul_lo_u32 v10, s15, v2
	v_mad_co_u64_u32 v[6:7], null, s14, v2, 0
	v_lshl_or_b32 v28, v27, 8, v1
	v_mov_b32_e32 v1, v9
	v_cmp_gt_i32_e64 s0, s3, v2
	v_add_nc_u32_e32 v29, 0x800, v0
	v_add_nc_u32_e32 v0, s2, v4
	v_lshlrev_b32_e32 v30, 3, v4
	s_wait_alu 0xfffe
	v_add3_u32 v7, v7, s1, v10
	v_mad_co_u64_u32 v[10:11], null, s28, v15, 0
	v_mad_co_u64_u32 v[1:2], null, s29, v13, v[1:2]
	v_cmp_le_i32_e64 s2, v0, v13
	v_add_nc_u32_e32 v4, 16, v0
	v_cmp_le_i32_e64 s4, v0, v15
	v_lshlrev_b64_e32 v[6:7], 3, v[6:7]
	v_mov_b32_e32 v2, v11
	s_and_b32 s28, vcc_lo, s2
	v_mov_b32_e32 v9, v1
	v_cmp_gt_i32_e64 s1, s3, v14
	v_cmp_le_i32_e64 s2, v4, v13
	v_mad_co_u64_u32 v[11:12], null, s29, v15, v[2:3]
	v_cmp_gt_i32_e64 s3, s3, v15
	v_cmp_le_i32_e64 s5, v4, v15
	v_lshlrev_b64_e32 v[8:9], 3, v[8:9]
	v_ashrrev_i32_e32 v1, 31, v0
	v_ashrrev_i32_e32 v5, 31, v4
	v_lshlrev_b32_e32 v32, 3, v14
	v_lshlrev_b64_e32 v[10:11], 3, v[10:11]
	s_and_b32 s29, vcc_lo, s2
	s_and_b32 s35, s3, s4
	s_and_b32 s36, s3, s5
	;; [unrolled: 1-line block ×3, first 2 shown]
	s_lshl_b64 s[2:3], s[22:23], 3
	s_lshl_b64 s[4:5], s[16:17], 3
	;; [unrolled: 1-line block ×3, first 2 shown]
	s_branch .LBB476_6
.LBB476_5:                              ;   in Loop: Header=BB476_6 Depth=1
	s_wait_alu 0xfffe
	s_or_b32 exec_lo, exec_lo, s16
	s_add_co_i32 s24, s24, 0x10000
	s_delay_alu instid0(SALU_CYCLE_1)
	s_cmp_lt_u32 s24, s33
	s_cbranch_scc0 .LBB476_35
.LBB476_6:                              ; =>This Loop Header: Depth=1
                                        ;     Child Loop BB476_9 Depth 2
	s_lshl_b64 s[16:17], s[24:25], 3
	v_mov_b32_e32 v20, 0
	s_wait_alu 0xfffe
	s_add_nc_u64 s[22:23], s[26:27], s[16:17]
	v_mov_b32_e32 v14, 0
	global_load_b64 v[16:17], v3, s[22:23]
	v_dual_mov_b32 v21, 0 :: v_dual_mov_b32 v18, 0
	v_dual_mov_b32 v15, 0 :: v_dual_mov_b32 v12, 0
	v_mov_b32_e32 v19, 0
	v_mov_b32_e32 v13, 0
	s_and_not1_b32 vcc_lo, exec_lo, s37
	s_wait_alu 0xfffe
	s_cbranch_vccnz .LBB476_15
; %bb.7:                                ;   in Loop: Header=BB476_6 Depth=1
	s_add_nc_u64 s[22:23], s[12:13], s[16:17]
	s_add_nc_u64 s[16:17], s[18:19], s[16:17]
	s_clause 0x1
	global_load_b64 v[22:23], v3, s[22:23]
	global_load_b64 v[24:25], v3, s[16:17]
	v_mov_b32_e32 v12, 0
	v_dual_mov_b32 v18, 0 :: v_dual_mov_b32 v13, 0
	v_dual_mov_b32 v14, 0 :: v_dual_mov_b32 v19, 0
	;; [unrolled: 1-line block ×3, first 2 shown]
	v_mov_b32_e32 v21, 0
	s_mov_b64 s[16:17], 0
	s_wait_loadcnt 0x1
	v_add_co_u32 v2, vcc_lo, v22, s4
	s_wait_alu 0xfffd
	v_add_co_ci_u32_e64 v22, null, s5, v23, vcc_lo
	s_wait_loadcnt 0x0
	v_add_co_u32 v23, vcc_lo, v24, s2
	s_wait_alu 0xfffd
	v_add_co_ci_u32_e64 v24, null, s3, v25, vcc_lo
	v_add_co_u32 v33, vcc_lo, v2, v6
	s_wait_alu 0xfffd
	v_add_co_ci_u32_e64 v34, null, v22, v7, vcc_lo
	;; [unrolled: 3-line block ×3, first 2 shown]
	s_branch .LBB476_9
.LBB476_8:                              ;   in Loop: Header=BB476_9 Depth=2
	s_or_b32 exec_lo, exec_lo, s22
	s_wait_loadcnt_dscnt 0x0
	ds_store_b64 v29, v[24:25]
	s_wait_dscnt 0x0
	s_barrier_signal -1
	s_barrier_wait -1
	global_inv scope:SCOPE_SE
	ds_load_b128 v[22:25], v31
	ds_load_2addr_b64 v[37:40], v30 offset1:16
	ds_load_b128 v[41:44], v31 offset:1024
	ds_load_b128 v[45:48], v31 offset:16
	ds_load_b128 v[49:52], v31 offset:1040
	s_add_nc_u64 s[16:17], s[16:17], 8
	s_wait_alu 0xfffe
	v_cmp_gt_i64_e64 s22, s[8:9], s[16:17]
	s_and_b32 vcc_lo, exec_lo, s22
	s_wait_dscnt 0x3
	v_fma_f64 v[20:21], v[37:38], v[22:23], v[20:21]
	v_fma_f64 v[18:19], v[39:40], v[22:23], v[18:19]
	s_wait_dscnt 0x2
	v_fma_f64 v[22:23], v[37:38], v[41:42], v[14:15]
	v_fma_f64 v[37:38], v[39:40], v[41:42], v[12:13]
	ds_load_2addr_b64 v[12:15], v30 offset0:32 offset1:48
	s_wait_dscnt 0x0
	v_fma_f64 v[20:21], v[12:13], v[24:25], v[20:21]
	v_fma_f64 v[18:19], v[14:15], v[24:25], v[18:19]
	v_fma_f64 v[22:23], v[12:13], v[43:44], v[22:23]
	v_fma_f64 v[24:25], v[14:15], v[43:44], v[37:38]
	ds_load_2addr_b64 v[12:15], v30 offset0:64 offset1:80
	s_wait_dscnt 0x0
	v_fma_f64 v[20:21], v[12:13], v[45:46], v[20:21]
	v_fma_f64 v[18:19], v[14:15], v[45:46], v[18:19]
	;; [unrolled: 6-line block ×3, first 2 shown]
	v_fma_f64 v[49:50], v[12:13], v[51:52], v[22:23]
	v_fma_f64 v[51:52], v[14:15], v[51:52], v[24:25]
	ds_load_b128 v[12:15], v31 offset:32
	ds_load_2addr_b64 v[18:21], v30 offset0:128 offset1:144
	ds_load_b128 v[22:25], v31 offset:1056
	ds_load_b128 v[37:40], v31 offset:48
	;; [unrolled: 1-line block ×3, first 2 shown]
	s_wait_dscnt 0x3
	v_fma_f64 v[45:46], v[18:19], v[12:13], v[45:46]
	v_fma_f64 v[12:13], v[20:21], v[12:13], v[47:48]
	s_wait_dscnt 0x2
	v_fma_f64 v[47:48], v[18:19], v[22:23], v[49:50]
	v_fma_f64 v[22:23], v[20:21], v[22:23], v[51:52]
	ds_load_2addr_b64 v[18:21], v30 offset0:160 offset1:176
	s_wait_dscnt 0x0
	v_fma_f64 v[45:46], v[18:19], v[14:15], v[45:46]
	v_fma_f64 v[49:50], v[20:21], v[14:15], v[12:13]
	;; [unrolled: 1-line block ×4, first 2 shown]
	ds_load_2addr_b64 v[12:15], v30 offset0:192 offset1:208
	ds_load_2addr_b64 v[22:25], v30 offset0:224 offset1:240
	s_wait_loadcnt_dscnt 0x0
	s_barrier_signal -1
	s_barrier_wait -1
	global_inv scope:SCOPE_SE
	v_fma_f64 v[45:46], v[12:13], v[37:38], v[45:46]
	v_fma_f64 v[37:38], v[14:15], v[37:38], v[49:50]
	v_fma_f64 v[12:13], v[12:13], v[41:42], v[18:19]
	v_fma_f64 v[41:42], v[14:15], v[41:42], v[20:21]
	s_delay_alu instid0(VALU_DEP_4) | instskip(NEXT) | instid1(VALU_DEP_4)
	v_fma_f64 v[20:21], v[22:23], v[39:40], v[45:46]
	v_fma_f64 v[18:19], v[24:25], v[39:40], v[37:38]
	s_delay_alu instid0(VALU_DEP_4) | instskip(NEXT) | instid1(VALU_DEP_4)
	v_fma_f64 v[14:15], v[22:23], v[43:44], v[12:13]
	v_fma_f64 v[12:13], v[24:25], v[43:44], v[41:42]
	s_wait_alu 0xfffe
	s_cbranch_vccz .LBB476_15
.LBB476_9:                              ;   Parent Loop BB476_6 Depth=1
                                        ; =>  This Inner Loop Header: Depth=2
	v_mov_b32_e32 v22, 0
	v_mov_b32_e32 v23, 0
	s_and_saveexec_b32 s22, s0
	s_cbranch_execz .LBB476_13
; %bb.10:                               ;   in Loop: Header=BB476_9 Depth=2
	v_mov_b32_e32 v22, 0
	s_wait_alu 0xfffe
	v_dual_mov_b32 v23, 0 :: v_dual_add_nc_u32 v2, s16, v27
	s_mov_b32 s23, exec_lo
	s_delay_alu instid0(VALU_DEP_1)
	v_cmpx_gt_u64_e64 s[8:9], v[2:3]
	s_cbranch_execz .LBB476_12
; %bb.11:                               ;   in Loop: Header=BB476_9 Depth=2
	v_lshlrev_b64_e32 v[22:23], 3, v[2:3]
	s_delay_alu instid0(VALU_DEP_1) | instskip(SKIP_1) | instid1(VALU_DEP_2)
	v_add_co_u32 v22, vcc_lo, v33, v22
	s_wait_alu 0xfffd
	v_add_co_ci_u32_e64 v23, null, v34, v23, vcc_lo
	flat_load_b64 v[22:23], v[22:23]
.LBB476_12:                             ;   in Loop: Header=BB476_9 Depth=2
	s_or_b32 exec_lo, exec_lo, s23
.LBB476_13:                             ;   in Loop: Header=BB476_9 Depth=2
	s_delay_alu instid0(SALU_CYCLE_1)
	s_or_b32 exec_lo, exec_lo, s22
	s_wait_alu 0xfffe
	v_add_nc_u32_e32 v2, s16, v26
	v_mov_b32_e32 v24, 0
	v_mov_b32_e32 v25, 0
	s_wait_loadcnt_dscnt 0x0
	ds_store_b64 v28, v[22:23]
	v_cmp_gt_u64_e32 vcc_lo, s[8:9], v[2:3]
	s_and_b32 s23, vcc_lo, s1
	s_delay_alu instid0(SALU_CYCLE_1)
	s_and_saveexec_b32 s22, s23
	s_cbranch_execz .LBB476_8
; %bb.14:                               ;   in Loop: Header=BB476_9 Depth=2
	v_mad_co_u64_u32 v[22:23], null, s20, v2, 0
	s_delay_alu instid0(VALU_DEP_1) | instskip(NEXT) | instid1(VALU_DEP_1)
	v_mad_co_u64_u32 v[23:24], null, s21, v2, v[23:24]
	v_lshlrev_b64_e32 v[22:23], 3, v[22:23]
	s_delay_alu instid0(VALU_DEP_1) | instskip(SKIP_1) | instid1(VALU_DEP_2)
	v_add_co_u32 v22, vcc_lo, v35, v22
	s_wait_alu 0xfffd
	v_add_co_ci_u32_e64 v23, null, v36, v23, vcc_lo
	flat_load_b64 v[24:25], v[22:23]
	s_branch .LBB476_8
.LBB476_15:                             ;   in Loop: Header=BB476_6 Depth=1
	s_wait_loadcnt 0x0
	s_wait_alu 0xfffe
	v_add_co_u32 v2, vcc_lo, v16, s14
	s_wait_alu 0xfffd
	v_add_co_ci_u32_e64 v22, null, s15, v17, vcc_lo
	s_delay_alu instid0(VALU_DEP_2) | instskip(SKIP_1) | instid1(VALU_DEP_2)
	v_add_co_u32 v23, vcc_lo, v2, v8
	s_wait_alu 0xfffd
	v_add_co_ci_u32_e64 v24, null, v22, v9, vcc_lo
	s_and_saveexec_b32 s16, s28
	s_cbranch_execz .LBB476_19
; %bb.16:                               ;   in Loop: Header=BB476_6 Depth=1
	v_mul_f64_e32 v[16:17], s[10:11], v[20:21]
	s_and_b32 vcc_lo, exec_lo, s34
	s_wait_alu 0xfffe
	s_cbranch_vccz .LBB476_30
; %bb.17:                               ;   in Loop: Header=BB476_6 Depth=1
	v_lshlrev_b64_e32 v[20:21], 3, v[0:1]
	s_delay_alu instid0(VALU_DEP_1) | instskip(SKIP_1) | instid1(VALU_DEP_2)
	v_add_co_u32 v20, vcc_lo, v23, v20
	s_wait_alu 0xfffd
	v_add_co_ci_u32_e64 v21, null, v24, v21, vcc_lo
	flat_load_b64 v[33:34], v[20:21]
	s_wait_loadcnt_dscnt 0x0
	v_fma_f64 v[33:34], s[6:7], v[33:34], v[16:17]
	flat_store_b64 v[20:21], v[33:34]
	s_cbranch_execnz .LBB476_19
.LBB476_18:                             ;   in Loop: Header=BB476_6 Depth=1
	v_lshlrev_b64_e32 v[20:21], 3, v[0:1]
	s_delay_alu instid0(VALU_DEP_1) | instskip(SKIP_1) | instid1(VALU_DEP_2)
	v_add_co_u32 v20, vcc_lo, v23, v20
	s_wait_alu 0xfffd
	v_add_co_ci_u32_e64 v21, null, v24, v21, vcc_lo
	flat_store_b64 v[20:21], v[16:17]
.LBB476_19:                             ;   in Loop: Header=BB476_6 Depth=1
	s_wait_alu 0xfffe
	s_or_b32 exec_lo, exec_lo, s16
	s_and_saveexec_b32 s16, s29
	s_cbranch_execz .LBB476_23
; %bb.20:                               ;   in Loop: Header=BB476_6 Depth=1
	v_mul_f64_e32 v[16:17], s[10:11], v[18:19]
	s_and_not1_b32 vcc_lo, exec_lo, s34
	s_wait_alu 0xfffe
	s_cbranch_vccnz .LBB476_31
; %bb.21:                               ;   in Loop: Header=BB476_6 Depth=1
	v_lshlrev_b64_e32 v[18:19], 3, v[4:5]
	s_delay_alu instid0(VALU_DEP_1) | instskip(SKIP_1) | instid1(VALU_DEP_2)
	v_add_co_u32 v18, vcc_lo, v23, v18
	s_wait_alu 0xfffd
	v_add_co_ci_u32_e64 v19, null, v24, v19, vcc_lo
	flat_load_b64 v[20:21], v[18:19]
	s_wait_loadcnt_dscnt 0x0
	v_fma_f64 v[20:21], s[6:7], v[20:21], v[16:17]
	flat_store_b64 v[18:19], v[20:21]
	s_cbranch_execnz .LBB476_23
.LBB476_22:                             ;   in Loop: Header=BB476_6 Depth=1
	v_lshlrev_b64_e32 v[18:19], 3, v[4:5]
	s_delay_alu instid0(VALU_DEP_1) | instskip(SKIP_1) | instid1(VALU_DEP_2)
	v_add_co_u32 v18, vcc_lo, v23, v18
	s_wait_alu 0xfffd
	v_add_co_ci_u32_e64 v19, null, v24, v19, vcc_lo
	flat_store_b64 v[18:19], v[16:17]
.LBB476_23:                             ;   in Loop: Header=BB476_6 Depth=1
	s_wait_alu 0xfffe
	s_or_b32 exec_lo, exec_lo, s16
	v_add_co_u32 v2, vcc_lo, v2, v10
	s_wait_alu 0xfffd
	v_add_co_ci_u32_e64 v18, null, v22, v11, vcc_lo
	s_and_saveexec_b32 s16, s35
	s_cbranch_execz .LBB476_27
; %bb.24:                               ;   in Loop: Header=BB476_6 Depth=1
	v_mul_f64_e32 v[14:15], s[10:11], v[14:15]
	v_lshlrev_b64_e32 v[16:17], 3, v[0:1]
	s_and_not1_b32 vcc_lo, exec_lo, s34
	s_wait_alu 0xfffe
	s_cbranch_vccnz .LBB476_32
; %bb.25:                               ;   in Loop: Header=BB476_6 Depth=1
	s_delay_alu instid0(VALU_DEP_1)
	v_add_co_u32 v19, vcc_lo, v2, v16
	s_wait_alu 0xfffd
	v_add_co_ci_u32_e64 v20, null, v18, v17, vcc_lo
	flat_load_b64 v[21:22], v[19:20]
	s_wait_loadcnt_dscnt 0x0
	v_fma_f64 v[21:22], s[6:7], v[21:22], v[14:15]
	flat_store_b64 v[19:20], v[21:22]
	s_cbranch_execnz .LBB476_27
.LBB476_26:                             ;   in Loop: Header=BB476_6 Depth=1
	s_delay_alu instid0(VALU_DEP_1)
	v_add_co_u32 v16, vcc_lo, v2, v16
	s_wait_alu 0xfffd
	v_add_co_ci_u32_e64 v17, null, v18, v17, vcc_lo
	flat_store_b64 v[16:17], v[14:15]
.LBB476_27:                             ;   in Loop: Header=BB476_6 Depth=1
	s_wait_alu 0xfffe
	s_or_b32 exec_lo, exec_lo, s16
	s_and_saveexec_b32 s16, s36
	s_cbranch_execz .LBB476_5
; %bb.28:                               ;   in Loop: Header=BB476_6 Depth=1
	v_mul_f64_e32 v[12:13], s[10:11], v[12:13]
	v_lshlrev_b64_e32 v[14:15], 3, v[4:5]
	s_and_not1_b32 vcc_lo, exec_lo, s34
	s_wait_alu 0xfffe
	s_cbranch_vccnz .LBB476_33
; %bb.29:                               ;   in Loop: Header=BB476_6 Depth=1
	s_delay_alu instid0(VALU_DEP_1)
	v_add_co_u32 v16, vcc_lo, v2, v14
	s_wait_alu 0xfffd
	v_add_co_ci_u32_e64 v17, null, v18, v15, vcc_lo
	flat_load_b64 v[19:20], v[16:17]
	s_wait_loadcnt_dscnt 0x0
	v_fma_f64 v[19:20], s[6:7], v[19:20], v[12:13]
	flat_store_b64 v[16:17], v[19:20]
	s_cbranch_execnz .LBB476_5
	s_branch .LBB476_34
.LBB476_30:                             ;   in Loop: Header=BB476_6 Depth=1
	s_branch .LBB476_18
.LBB476_31:                             ;   in Loop: Header=BB476_6 Depth=1
	s_branch .LBB476_22
.LBB476_32:                             ;   in Loop: Header=BB476_6 Depth=1
	s_branch .LBB476_26
.LBB476_33:                             ;   in Loop: Header=BB476_6 Depth=1
.LBB476_34:                             ;   in Loop: Header=BB476_6 Depth=1
	s_delay_alu instid0(VALU_DEP_1)
	v_add_co_u32 v14, vcc_lo, v2, v14
	s_wait_alu 0xfffd
	v_add_co_ci_u32_e64 v15, null, v18, v15, vcc_lo
	flat_store_b64 v[14:15], v[12:13]
	s_branch .LBB476_5
.LBB476_35:
	s_endpgm
	.section	.rodata,"a",@progbits
	.p2align	6, 0x0
	.amdhsa_kernel _ZL29rocblas_internal_gemmt_kernelIlLi16ELi32ELi8ELc67ELc67ELc85ELb0ELb0EdPKdPKS1_PKPdEviT_T9_T10_S7_lS9_S7_lS8_T11_S7_li
		.amdhsa_group_segment_fixed_size 4096
		.amdhsa_private_segment_fixed_size 0
		.amdhsa_kernarg_size 108
		.amdhsa_user_sgpr_count 2
		.amdhsa_user_sgpr_dispatch_ptr 0
		.amdhsa_user_sgpr_queue_ptr 0
		.amdhsa_user_sgpr_kernarg_segment_ptr 1
		.amdhsa_user_sgpr_dispatch_id 0
		.amdhsa_user_sgpr_private_segment_size 0
		.amdhsa_wavefront_size32 1
		.amdhsa_uses_dynamic_stack 0
		.amdhsa_enable_private_segment 0
		.amdhsa_system_sgpr_workgroup_id_x 1
		.amdhsa_system_sgpr_workgroup_id_y 1
		.amdhsa_system_sgpr_workgroup_id_z 1
		.amdhsa_system_sgpr_workgroup_info 0
		.amdhsa_system_vgpr_workitem_id 1
		.amdhsa_next_free_vgpr 53
		.amdhsa_next_free_sgpr 39
		.amdhsa_reserve_vcc 1
		.amdhsa_float_round_mode_32 0
		.amdhsa_float_round_mode_16_64 0
		.amdhsa_float_denorm_mode_32 3
		.amdhsa_float_denorm_mode_16_64 3
		.amdhsa_fp16_overflow 0
		.amdhsa_workgroup_processor_mode 1
		.amdhsa_memory_ordered 1
		.amdhsa_forward_progress 1
		.amdhsa_inst_pref_size 17
		.amdhsa_round_robin_scheduling 0
		.amdhsa_exception_fp_ieee_invalid_op 0
		.amdhsa_exception_fp_denorm_src 0
		.amdhsa_exception_fp_ieee_div_zero 0
		.amdhsa_exception_fp_ieee_overflow 0
		.amdhsa_exception_fp_ieee_underflow 0
		.amdhsa_exception_fp_ieee_inexact 0
		.amdhsa_exception_int_div_zero 0
	.end_amdhsa_kernel
	.section	.text._ZL29rocblas_internal_gemmt_kernelIlLi16ELi32ELi8ELc67ELc67ELc85ELb0ELb0EdPKdPKS1_PKPdEviT_T9_T10_S7_lS9_S7_lS8_T11_S7_li,"axG",@progbits,_ZL29rocblas_internal_gemmt_kernelIlLi16ELi32ELi8ELc67ELc67ELc85ELb0ELb0EdPKdPKS1_PKPdEviT_T9_T10_S7_lS9_S7_lS8_T11_S7_li,comdat
.Lfunc_end476:
	.size	_ZL29rocblas_internal_gemmt_kernelIlLi16ELi32ELi8ELc67ELc67ELc85ELb0ELb0EdPKdPKS1_PKPdEviT_T9_T10_S7_lS9_S7_lS8_T11_S7_li, .Lfunc_end476-_ZL29rocblas_internal_gemmt_kernelIlLi16ELi32ELi8ELc67ELc67ELc85ELb0ELb0EdPKdPKS1_PKPdEviT_T9_T10_S7_lS9_S7_lS8_T11_S7_li
                                        ; -- End function
	.set _ZL29rocblas_internal_gemmt_kernelIlLi16ELi32ELi8ELc67ELc67ELc85ELb0ELb0EdPKdPKS1_PKPdEviT_T9_T10_S7_lS9_S7_lS8_T11_S7_li.num_vgpr, 53
	.set _ZL29rocblas_internal_gemmt_kernelIlLi16ELi32ELi8ELc67ELc67ELc85ELb0ELb0EdPKdPKS1_PKPdEviT_T9_T10_S7_lS9_S7_lS8_T11_S7_li.num_agpr, 0
	.set _ZL29rocblas_internal_gemmt_kernelIlLi16ELi32ELi8ELc67ELc67ELc85ELb0ELb0EdPKdPKS1_PKPdEviT_T9_T10_S7_lS9_S7_lS8_T11_S7_li.numbered_sgpr, 39
	.set _ZL29rocblas_internal_gemmt_kernelIlLi16ELi32ELi8ELc67ELc67ELc85ELb0ELb0EdPKdPKS1_PKPdEviT_T9_T10_S7_lS9_S7_lS8_T11_S7_li.num_named_barrier, 0
	.set _ZL29rocblas_internal_gemmt_kernelIlLi16ELi32ELi8ELc67ELc67ELc85ELb0ELb0EdPKdPKS1_PKPdEviT_T9_T10_S7_lS9_S7_lS8_T11_S7_li.private_seg_size, 0
	.set _ZL29rocblas_internal_gemmt_kernelIlLi16ELi32ELi8ELc67ELc67ELc85ELb0ELb0EdPKdPKS1_PKPdEviT_T9_T10_S7_lS9_S7_lS8_T11_S7_li.uses_vcc, 1
	.set _ZL29rocblas_internal_gemmt_kernelIlLi16ELi32ELi8ELc67ELc67ELc85ELb0ELb0EdPKdPKS1_PKPdEviT_T9_T10_S7_lS9_S7_lS8_T11_S7_li.uses_flat_scratch, 0
	.set _ZL29rocblas_internal_gemmt_kernelIlLi16ELi32ELi8ELc67ELc67ELc85ELb0ELb0EdPKdPKS1_PKPdEviT_T9_T10_S7_lS9_S7_lS8_T11_S7_li.has_dyn_sized_stack, 0
	.set _ZL29rocblas_internal_gemmt_kernelIlLi16ELi32ELi8ELc67ELc67ELc85ELb0ELb0EdPKdPKS1_PKPdEviT_T9_T10_S7_lS9_S7_lS8_T11_S7_li.has_recursion, 0
	.set _ZL29rocblas_internal_gemmt_kernelIlLi16ELi32ELi8ELc67ELc67ELc85ELb0ELb0EdPKdPKS1_PKPdEviT_T9_T10_S7_lS9_S7_lS8_T11_S7_li.has_indirect_call, 0
	.section	.AMDGPU.csdata,"",@progbits
; Kernel info:
; codeLenInByte = 2136
; TotalNumSgprs: 41
; NumVgprs: 53
; ScratchSize: 0
; MemoryBound: 0
; FloatMode: 240
; IeeeMode: 1
; LDSByteSize: 4096 bytes/workgroup (compile time only)
; SGPRBlocks: 0
; VGPRBlocks: 6
; NumSGPRsForWavesPerEU: 41
; NumVGPRsForWavesPerEU: 53
; Occupancy: 16
; WaveLimiterHint : 1
; COMPUTE_PGM_RSRC2:SCRATCH_EN: 0
; COMPUTE_PGM_RSRC2:USER_SGPR: 2
; COMPUTE_PGM_RSRC2:TRAP_HANDLER: 0
; COMPUTE_PGM_RSRC2:TGID_X_EN: 1
; COMPUTE_PGM_RSRC2:TGID_Y_EN: 1
; COMPUTE_PGM_RSRC2:TGID_Z_EN: 1
; COMPUTE_PGM_RSRC2:TIDIG_COMP_CNT: 1
	.section	.text._ZL29rocblas_internal_gemmt_kernelIlLi16ELi32ELi8ELc78ELc78ELc76ELb0ELb0EdPKdPKS1_PKPdEviT_T9_T10_S7_lS9_S7_lS8_T11_S7_li,"axG",@progbits,_ZL29rocblas_internal_gemmt_kernelIlLi16ELi32ELi8ELc78ELc78ELc76ELb0ELb0EdPKdPKS1_PKPdEviT_T9_T10_S7_lS9_S7_lS8_T11_S7_li,comdat
	.globl	_ZL29rocblas_internal_gemmt_kernelIlLi16ELi32ELi8ELc78ELc78ELc76ELb0ELb0EdPKdPKS1_PKPdEviT_T9_T10_S7_lS9_S7_lS8_T11_S7_li ; -- Begin function _ZL29rocblas_internal_gemmt_kernelIlLi16ELi32ELi8ELc78ELc78ELc76ELb0ELb0EdPKdPKS1_PKPdEviT_T9_T10_S7_lS9_S7_lS8_T11_S7_li
	.p2align	8
	.type	_ZL29rocblas_internal_gemmt_kernelIlLi16ELi32ELi8ELc78ELc78ELc76ELb0ELb0EdPKdPKS1_PKPdEviT_T9_T10_S7_lS9_S7_lS8_T11_S7_li,@function
_ZL29rocblas_internal_gemmt_kernelIlLi16ELi32ELi8ELc78ELc78ELc76ELb0ELb0EdPKdPKS1_PKPdEviT_T9_T10_S7_lS9_S7_lS8_T11_S7_li: ; @_ZL29rocblas_internal_gemmt_kernelIlLi16ELi32ELi8ELc78ELc78ELc76ELb0ELb0EdPKdPKS1_PKPdEviT_T9_T10_S7_lS9_S7_lS8_T11_S7_li
; %bb.0:
	s_clause 0x1
	s_load_b256 s[24:31], s[0:1], 0x48
	s_load_b512 s[8:23], s[0:1], 0x8
	s_wait_kmcnt 0x0
	s_load_b64 s[6:7], s[24:25], 0x0
	s_load_b64 s[10:11], s[10:11], 0x0
	s_wait_kmcnt 0x0
	v_cmp_neq_f64_e64 s2, s[6:7], 1.0
	s_and_b32 vcc_lo, exec_lo, s2
	s_cbranch_vccnz .LBB477_2
; %bb.1:
	v_cmp_neq_f64_e64 s2, s[10:11], 0
	s_cmp_lg_u64 s[8:9], 0
	s_cselect_b32 s3, -1, 0
	s_delay_alu instid0(SALU_CYCLE_1)
	s_and_b32 s2, s3, s2
.LBB477_2:
	s_delay_alu instid0(SALU_CYCLE_1)
	s_and_not1_b32 vcc_lo, exec_lo, s2
	s_cbranch_vccnz .LBB477_35
; %bb.3:
	s_load_b32 s33, s[0:1], 0x68
	s_lshr_b32 s24, ttmp7, 16
	s_wait_kmcnt 0x0
	s_cmp_ge_u32 s24, s33
	s_cbranch_scc1 .LBB477_35
; %bb.4:
	v_bfe_u32 v2, v0, 10, 10
	s_load_b32 s4, s[0:1], 0x0
	s_lshl_b32 s1, ttmp7, 5
	s_lshl_b32 s0, ttmp9, 5
	s_and_b32 s1, s1, 0x1fffe0
	v_lshl_add_u32 v30, v2, 6, 0x800
	v_add_nc_u32_e32 v15, s1, v2
	v_cmp_neq_f64_e64 s37, s[10:11], 0
	v_cmp_neq_f64_e64 s34, s[6:7], 0
	v_cmp_gt_i64_e64 s38, s[8:9], 0
	s_mov_b32 s25, 0
	v_mad_co_u64_u32 v[10:11], null, s28, v15, 0
	v_and_b32_e32 v1, 0x3ff, v0
	v_add_nc_u32_e32 v16, 16, v15
	s_delay_alu instid0(VALU_DEP_2) | instskip(NEXT) | instid1(VALU_DEP_2)
	v_lshl_add_u32 v3, v2, 4, v1
	v_mad_co_u64_u32 v[12:13], null, s28, v16, 0
	s_delay_alu instid0(VALU_DEP_2) | instskip(SKIP_2) | instid1(VALU_DEP_3)
	v_lshrrev_b32_e32 v4, 3, v3
	v_and_b32_e32 v2, 31, v3
	v_lshrrev_b32_e32 v31, 5, v3
	v_add_nc_u32_e32 v14, s1, v4
	s_delay_alu instid0(VALU_DEP_3) | instskip(SKIP_2) | instid1(VALU_DEP_4)
	v_or_b32_e32 v6, s0, v2
	v_dual_mov_b32 v2, v11 :: v_dual_lshlrev_b32 v7, 3, v2
	v_lshlrev_b32_e32 v29, 3, v1
	v_mad_co_u64_u32 v[8:9], null, s20, v14, 0
	v_and_b32_e32 v28, 7, v0
	v_add_nc_u32_e32 v0, s0, v1
	v_lshl_or_b32 v32, v31, 8, v7
	v_ashrrev_i32_e32 v7, 31, v6
	s_wait_kmcnt 0x0
	v_cmp_gt_i32_e64 s0, s4, v6
	v_mov_b32_e32 v1, v9
	v_lshlrev_b32_e32 v5, 3, v28
	v_lshlrev_b64_e32 v[6:7], 3, v[6:7]
	s_and_b32 s37, s37, s38
	s_delay_alu instid0(VALU_DEP_2) | instskip(SKIP_1) | instid1(VALU_DEP_2)
	v_lshl_or_b32 v5, v4, 6, v5
	v_mad_co_u64_u32 v[3:4], null, s21, v14, v[1:2]
	v_add_nc_u32_e32 v33, 0x800, v5
	s_delay_alu instid0(VALU_DEP_2) | instskip(SKIP_2) | instid1(VALU_DEP_2)
	v_mad_co_u64_u32 v[1:2], null, s29, v15, v[2:3]
	v_mov_b32_e32 v9, v3
	v_cmp_gt_i32_e64 s1, s4, v14
	v_lshlrev_b64_e32 v[8:9], 3, v[8:9]
	s_delay_alu instid0(VALU_DEP_4) | instskip(SKIP_3) | instid1(VALU_DEP_4)
	v_mov_b32_e32 v11, v1
	v_dual_mov_b32 v1, v13 :: v_dual_add_nc_u32 v2, 16, v0
	v_cmp_le_i32_e32 vcc_lo, v15, v0
	v_cmp_gt_i32_e64 s2, s4, v0
	v_lshlrev_b64_e32 v[10:11], 3, v[10:11]
	s_delay_alu instid0(VALU_DEP_4)
	v_mad_co_u64_u32 v[4:5], null, s29, v16, v[1:2]
	s_and_b32 s28, vcc_lo, s2
	v_mov_b32_e32 v5, 0
	v_cmp_le_i32_e64 s3, v15, v2
	v_cmp_gt_i32_e64 s4, s4, v2
	v_ashrrev_i32_e32 v1, 31, v0
	v_ashrrev_i32_e32 v3, 31, v2
	v_mov_b32_e32 v13, v4
	v_cmp_le_i32_e32 vcc_lo, v16, v0
	v_cmp_le_i32_e64 s5, v16, v2
	s_and_b32 s29, s3, s4
	v_lshlrev_b64_e32 v[12:13], 3, v[12:13]
	s_and_b32 s35, vcc_lo, s2
	s_and_b32 s36, s5, s4
	s_lshl_b64 s[2:3], s[22:23], 3
	s_lshl_b64 s[4:5], s[16:17], 3
	;; [unrolled: 1-line block ×3, first 2 shown]
	s_branch .LBB477_6
.LBB477_5:                              ;   in Loop: Header=BB477_6 Depth=1
	s_wait_alu 0xfffe
	s_or_b32 exec_lo, exec_lo, s20
	s_add_co_i32 s24, s24, 0x10000
	s_delay_alu instid0(SALU_CYCLE_1)
	s_cmp_lt_u32 s24, s33
	s_cbranch_scc0 .LBB477_35
.LBB477_6:                              ; =>This Loop Header: Depth=1
                                        ;     Child Loop BB477_9 Depth 2
	s_lshl_b64 s[20:21], s[24:25], 3
	v_mov_b32_e32 v22, 0
	s_wait_alu 0xfffe
	s_add_nc_u64 s[22:23], s[26:27], s[20:21]
	v_mov_b32_e32 v16, 0
	global_load_b64 v[18:19], v5, s[22:23]
	v_dual_mov_b32 v23, 0 :: v_dual_mov_b32 v20, 0
	v_dual_mov_b32 v17, 0 :: v_dual_mov_b32 v14, 0
	v_mov_b32_e32 v21, 0
	v_mov_b32_e32 v15, 0
	s_and_not1_b32 vcc_lo, exec_lo, s37
	s_wait_alu 0xfffe
	s_cbranch_vccnz .LBB477_15
; %bb.7:                                ;   in Loop: Header=BB477_6 Depth=1
	s_add_nc_u64 s[22:23], s[12:13], s[20:21]
	s_add_nc_u64 s[20:21], s[18:19], s[20:21]
	s_clause 0x1
	global_load_b64 v[24:25], v5, s[22:23]
	global_load_b64 v[26:27], v5, s[20:21]
	v_mov_b32_e32 v14, 0
	v_dual_mov_b32 v20, 0 :: v_dual_mov_b32 v15, 0
	v_dual_mov_b32 v16, 0 :: v_dual_mov_b32 v21, 0
	;; [unrolled: 1-line block ×3, first 2 shown]
	v_mov_b32_e32 v23, 0
	s_mov_b64 s[20:21], 0
	s_wait_loadcnt 0x1
	v_add_co_u32 v4, vcc_lo, v24, s4
	s_wait_alu 0xfffd
	v_add_co_ci_u32_e64 v24, null, s5, v25, vcc_lo
	s_wait_loadcnt 0x0
	v_add_co_u32 v25, vcc_lo, v26, s2
	s_wait_alu 0xfffd
	v_add_co_ci_u32_e64 v26, null, s3, v27, vcc_lo
	v_add_co_u32 v34, vcc_lo, v4, v6
	s_wait_alu 0xfffd
	v_add_co_ci_u32_e64 v35, null, v24, v7, vcc_lo
	;; [unrolled: 3-line block ×3, first 2 shown]
	s_branch .LBB477_9
.LBB477_8:                              ;   in Loop: Header=BB477_9 Depth=2
	s_or_b32 exec_lo, exec_lo, s22
	s_wait_loadcnt_dscnt 0x0
	ds_store_b64 v33, v[26:27]
	s_wait_dscnt 0x0
	s_barrier_signal -1
	s_barrier_wait -1
	global_inv scope:SCOPE_SE
	ds_load_b128 v[24:27], v30
	ds_load_2addr_b64 v[38:41], v29 offset1:16
	ds_load_b128 v[42:45], v30 offset:1024
	ds_load_b128 v[46:49], v30 offset:16
	;; [unrolled: 1-line block ×3, first 2 shown]
	s_add_nc_u64 s[20:21], s[20:21], 8
	s_wait_alu 0xfffe
	v_cmp_gt_i64_e64 s22, s[8:9], s[20:21]
	s_and_b32 vcc_lo, exec_lo, s22
	s_wait_dscnt 0x3
	v_fma_f64 v[22:23], v[38:39], v[24:25], v[22:23]
	v_fma_f64 v[20:21], v[40:41], v[24:25], v[20:21]
	s_wait_dscnt 0x2
	v_fma_f64 v[24:25], v[38:39], v[42:43], v[16:17]
	v_fma_f64 v[38:39], v[40:41], v[42:43], v[14:15]
	ds_load_2addr_b64 v[14:17], v29 offset0:32 offset1:48
	s_wait_dscnt 0x0
	v_fma_f64 v[22:23], v[14:15], v[26:27], v[22:23]
	v_fma_f64 v[20:21], v[16:17], v[26:27], v[20:21]
	v_fma_f64 v[24:25], v[14:15], v[44:45], v[24:25]
	v_fma_f64 v[26:27], v[16:17], v[44:45], v[38:39]
	ds_load_2addr_b64 v[14:17], v29 offset0:64 offset1:80
	s_wait_dscnt 0x0
	v_fma_f64 v[22:23], v[14:15], v[46:47], v[22:23]
	v_fma_f64 v[20:21], v[16:17], v[46:47], v[20:21]
	;; [unrolled: 6-line block ×3, first 2 shown]
	v_fma_f64 v[50:51], v[14:15], v[52:53], v[24:25]
	v_fma_f64 v[52:53], v[16:17], v[52:53], v[26:27]
	ds_load_b128 v[14:17], v30 offset:32
	ds_load_2addr_b64 v[20:23], v29 offset0:128 offset1:144
	ds_load_b128 v[24:27], v30 offset:1056
	ds_load_b128 v[38:41], v30 offset:48
	;; [unrolled: 1-line block ×3, first 2 shown]
	s_wait_dscnt 0x3
	v_fma_f64 v[46:47], v[20:21], v[14:15], v[46:47]
	v_fma_f64 v[14:15], v[22:23], v[14:15], v[48:49]
	s_wait_dscnt 0x2
	v_fma_f64 v[48:49], v[20:21], v[24:25], v[50:51]
	v_fma_f64 v[24:25], v[22:23], v[24:25], v[52:53]
	ds_load_2addr_b64 v[20:23], v29 offset0:160 offset1:176
	s_wait_dscnt 0x0
	v_fma_f64 v[46:47], v[20:21], v[16:17], v[46:47]
	v_fma_f64 v[50:51], v[22:23], v[16:17], v[14:15]
	v_fma_f64 v[20:21], v[20:21], v[26:27], v[48:49]
	v_fma_f64 v[22:23], v[22:23], v[26:27], v[24:25]
	ds_load_2addr_b64 v[14:17], v29 offset0:192 offset1:208
	ds_load_2addr_b64 v[24:27], v29 offset0:224 offset1:240
	s_wait_loadcnt_dscnt 0x0
	s_barrier_signal -1
	s_barrier_wait -1
	global_inv scope:SCOPE_SE
	v_fma_f64 v[46:47], v[14:15], v[38:39], v[46:47]
	v_fma_f64 v[38:39], v[16:17], v[38:39], v[50:51]
	;; [unrolled: 1-line block ×4, first 2 shown]
	s_delay_alu instid0(VALU_DEP_4) | instskip(NEXT) | instid1(VALU_DEP_4)
	v_fma_f64 v[22:23], v[24:25], v[40:41], v[46:47]
	v_fma_f64 v[20:21], v[26:27], v[40:41], v[38:39]
	s_delay_alu instid0(VALU_DEP_4) | instskip(NEXT) | instid1(VALU_DEP_4)
	v_fma_f64 v[16:17], v[24:25], v[44:45], v[14:15]
	v_fma_f64 v[14:15], v[26:27], v[44:45], v[42:43]
	s_wait_alu 0xfffe
	s_cbranch_vccz .LBB477_15
.LBB477_9:                              ;   Parent Loop BB477_6 Depth=1
                                        ; =>  This Inner Loop Header: Depth=2
	v_mov_b32_e32 v24, 0
	v_mov_b32_e32 v25, 0
	s_and_saveexec_b32 s22, s0
	s_cbranch_execz .LBB477_13
; %bb.10:                               ;   in Loop: Header=BB477_9 Depth=2
	v_mov_b32_e32 v24, 0
	s_wait_alu 0xfffe
	v_dual_mov_b32 v25, 0 :: v_dual_add_nc_u32 v4, s20, v31
	s_mov_b32 s23, exec_lo
	s_delay_alu instid0(VALU_DEP_1)
	v_cmpx_gt_u64_e64 s[8:9], v[4:5]
	s_cbranch_execz .LBB477_12
; %bb.11:                               ;   in Loop: Header=BB477_9 Depth=2
	v_mad_co_u64_u32 v[24:25], null, s14, v4, 0
	s_delay_alu instid0(VALU_DEP_1) | instskip(NEXT) | instid1(VALU_DEP_1)
	v_mad_co_u64_u32 v[25:26], null, s15, v4, v[25:26]
	v_lshlrev_b64_e32 v[24:25], 3, v[24:25]
	s_delay_alu instid0(VALU_DEP_1) | instskip(SKIP_1) | instid1(VALU_DEP_2)
	v_add_co_u32 v24, vcc_lo, v34, v24
	s_wait_alu 0xfffd
	v_add_co_ci_u32_e64 v25, null, v35, v25, vcc_lo
	flat_load_b64 v[24:25], v[24:25]
.LBB477_12:                             ;   in Loop: Header=BB477_9 Depth=2
	s_or_b32 exec_lo, exec_lo, s23
.LBB477_13:                             ;   in Loop: Header=BB477_9 Depth=2
	s_delay_alu instid0(SALU_CYCLE_1)
	s_or_b32 exec_lo, exec_lo, s22
	s_wait_alu 0xfffe
	v_add_nc_u32_e32 v4, s20, v28
	v_mov_b32_e32 v26, 0
	v_mov_b32_e32 v27, 0
	s_wait_loadcnt_dscnt 0x0
	ds_store_b64 v32, v[24:25]
	v_cmp_gt_u64_e32 vcc_lo, s[8:9], v[4:5]
	s_and_b32 s23, vcc_lo, s1
	s_delay_alu instid0(SALU_CYCLE_1)
	s_and_saveexec_b32 s22, s23
	s_cbranch_execz .LBB477_8
; %bb.14:                               ;   in Loop: Header=BB477_9 Depth=2
	v_lshlrev_b64_e32 v[24:25], 3, v[4:5]
	s_delay_alu instid0(VALU_DEP_1) | instskip(SKIP_1) | instid1(VALU_DEP_2)
	v_add_co_u32 v24, vcc_lo, v36, v24
	s_wait_alu 0xfffd
	v_add_co_ci_u32_e64 v25, null, v37, v25, vcc_lo
	flat_load_b64 v[26:27], v[24:25]
	s_branch .LBB477_8
.LBB477_15:                             ;   in Loop: Header=BB477_6 Depth=1
	s_wait_loadcnt 0x0
	v_add_co_u32 v4, vcc_lo, v18, s16
	s_wait_alu 0xfffd
	v_add_co_ci_u32_e64 v24, null, s17, v19, vcc_lo
	s_delay_alu instid0(VALU_DEP_2) | instskip(SKIP_1) | instid1(VALU_DEP_2)
	v_add_co_u32 v25, vcc_lo, v4, v10
	s_wait_alu 0xfffd
	v_add_co_ci_u32_e64 v26, null, v24, v11, vcc_lo
	s_and_saveexec_b32 s20, s28
	s_cbranch_execz .LBB477_19
; %bb.16:                               ;   in Loop: Header=BB477_6 Depth=1
	v_mul_f64_e32 v[18:19], s[10:11], v[22:23]
	s_and_b32 vcc_lo, exec_lo, s34
	s_wait_alu 0xfffe
	s_cbranch_vccz .LBB477_30
; %bb.17:                               ;   in Loop: Header=BB477_6 Depth=1
	v_lshlrev_b64_e32 v[22:23], 3, v[0:1]
	s_delay_alu instid0(VALU_DEP_1) | instskip(SKIP_1) | instid1(VALU_DEP_2)
	v_add_co_u32 v22, vcc_lo, v25, v22
	s_wait_alu 0xfffd
	v_add_co_ci_u32_e64 v23, null, v26, v23, vcc_lo
	flat_load_b64 v[34:35], v[22:23]
	s_wait_loadcnt_dscnt 0x0
	v_fma_f64 v[34:35], s[6:7], v[34:35], v[18:19]
	flat_store_b64 v[22:23], v[34:35]
	s_cbranch_execnz .LBB477_19
.LBB477_18:                             ;   in Loop: Header=BB477_6 Depth=1
	v_lshlrev_b64_e32 v[22:23], 3, v[0:1]
	s_delay_alu instid0(VALU_DEP_1) | instskip(SKIP_1) | instid1(VALU_DEP_2)
	v_add_co_u32 v22, vcc_lo, v25, v22
	s_wait_alu 0xfffd
	v_add_co_ci_u32_e64 v23, null, v26, v23, vcc_lo
	flat_store_b64 v[22:23], v[18:19]
.LBB477_19:                             ;   in Loop: Header=BB477_6 Depth=1
	s_wait_alu 0xfffe
	s_or_b32 exec_lo, exec_lo, s20
	s_and_saveexec_b32 s20, s29
	s_cbranch_execz .LBB477_23
; %bb.20:                               ;   in Loop: Header=BB477_6 Depth=1
	v_mul_f64_e32 v[18:19], s[10:11], v[20:21]
	s_and_not1_b32 vcc_lo, exec_lo, s34
	s_wait_alu 0xfffe
	s_cbranch_vccnz .LBB477_31
; %bb.21:                               ;   in Loop: Header=BB477_6 Depth=1
	v_lshlrev_b64_e32 v[20:21], 3, v[2:3]
	s_delay_alu instid0(VALU_DEP_1) | instskip(SKIP_1) | instid1(VALU_DEP_2)
	v_add_co_u32 v20, vcc_lo, v25, v20
	s_wait_alu 0xfffd
	v_add_co_ci_u32_e64 v21, null, v26, v21, vcc_lo
	flat_load_b64 v[22:23], v[20:21]
	s_wait_loadcnt_dscnt 0x0
	v_fma_f64 v[22:23], s[6:7], v[22:23], v[18:19]
	flat_store_b64 v[20:21], v[22:23]
	s_cbranch_execnz .LBB477_23
.LBB477_22:                             ;   in Loop: Header=BB477_6 Depth=1
	v_lshlrev_b64_e32 v[20:21], 3, v[2:3]
	s_delay_alu instid0(VALU_DEP_1) | instskip(SKIP_1) | instid1(VALU_DEP_2)
	v_add_co_u32 v20, vcc_lo, v25, v20
	s_wait_alu 0xfffd
	v_add_co_ci_u32_e64 v21, null, v26, v21, vcc_lo
	flat_store_b64 v[20:21], v[18:19]
.LBB477_23:                             ;   in Loop: Header=BB477_6 Depth=1
	s_wait_alu 0xfffe
	s_or_b32 exec_lo, exec_lo, s20
	v_add_co_u32 v4, vcc_lo, v4, v12
	s_wait_alu 0xfffd
	v_add_co_ci_u32_e64 v20, null, v24, v13, vcc_lo
	s_and_saveexec_b32 s20, s35
	s_cbranch_execz .LBB477_27
; %bb.24:                               ;   in Loop: Header=BB477_6 Depth=1
	v_mul_f64_e32 v[16:17], s[10:11], v[16:17]
	v_lshlrev_b64_e32 v[18:19], 3, v[0:1]
	s_and_not1_b32 vcc_lo, exec_lo, s34
	s_wait_alu 0xfffe
	s_cbranch_vccnz .LBB477_32
; %bb.25:                               ;   in Loop: Header=BB477_6 Depth=1
	s_delay_alu instid0(VALU_DEP_1)
	v_add_co_u32 v21, vcc_lo, v4, v18
	s_wait_alu 0xfffd
	v_add_co_ci_u32_e64 v22, null, v20, v19, vcc_lo
	flat_load_b64 v[23:24], v[21:22]
	s_wait_loadcnt_dscnt 0x0
	v_fma_f64 v[23:24], s[6:7], v[23:24], v[16:17]
	flat_store_b64 v[21:22], v[23:24]
	s_cbranch_execnz .LBB477_27
.LBB477_26:                             ;   in Loop: Header=BB477_6 Depth=1
	s_delay_alu instid0(VALU_DEP_1)
	v_add_co_u32 v18, vcc_lo, v4, v18
	s_wait_alu 0xfffd
	v_add_co_ci_u32_e64 v19, null, v20, v19, vcc_lo
	flat_store_b64 v[18:19], v[16:17]
.LBB477_27:                             ;   in Loop: Header=BB477_6 Depth=1
	s_wait_alu 0xfffe
	s_or_b32 exec_lo, exec_lo, s20
	s_and_saveexec_b32 s20, s36
	s_cbranch_execz .LBB477_5
; %bb.28:                               ;   in Loop: Header=BB477_6 Depth=1
	v_mul_f64_e32 v[14:15], s[10:11], v[14:15]
	v_lshlrev_b64_e32 v[16:17], 3, v[2:3]
	s_and_not1_b32 vcc_lo, exec_lo, s34
	s_wait_alu 0xfffe
	s_cbranch_vccnz .LBB477_33
; %bb.29:                               ;   in Loop: Header=BB477_6 Depth=1
	s_delay_alu instid0(VALU_DEP_1)
	v_add_co_u32 v18, vcc_lo, v4, v16
	s_wait_alu 0xfffd
	v_add_co_ci_u32_e64 v19, null, v20, v17, vcc_lo
	flat_load_b64 v[21:22], v[18:19]
	s_wait_loadcnt_dscnt 0x0
	v_fma_f64 v[21:22], s[6:7], v[21:22], v[14:15]
	flat_store_b64 v[18:19], v[21:22]
	s_cbranch_execnz .LBB477_5
	s_branch .LBB477_34
.LBB477_30:                             ;   in Loop: Header=BB477_6 Depth=1
	s_branch .LBB477_18
.LBB477_31:                             ;   in Loop: Header=BB477_6 Depth=1
	s_branch .LBB477_22
.LBB477_32:                             ;   in Loop: Header=BB477_6 Depth=1
	s_branch .LBB477_26
.LBB477_33:                             ;   in Loop: Header=BB477_6 Depth=1
.LBB477_34:                             ;   in Loop: Header=BB477_6 Depth=1
	s_delay_alu instid0(VALU_DEP_1)
	v_add_co_u32 v16, vcc_lo, v4, v16
	s_wait_alu 0xfffd
	v_add_co_ci_u32_e64 v17, null, v20, v17, vcc_lo
	flat_store_b64 v[16:17], v[14:15]
	s_branch .LBB477_5
.LBB477_35:
	s_endpgm
	.section	.rodata,"a",@progbits
	.p2align	6, 0x0
	.amdhsa_kernel _ZL29rocblas_internal_gemmt_kernelIlLi16ELi32ELi8ELc78ELc78ELc76ELb0ELb0EdPKdPKS1_PKPdEviT_T9_T10_S7_lS9_S7_lS8_T11_S7_li
		.amdhsa_group_segment_fixed_size 4096
		.amdhsa_private_segment_fixed_size 0
		.amdhsa_kernarg_size 108
		.amdhsa_user_sgpr_count 2
		.amdhsa_user_sgpr_dispatch_ptr 0
		.amdhsa_user_sgpr_queue_ptr 0
		.amdhsa_user_sgpr_kernarg_segment_ptr 1
		.amdhsa_user_sgpr_dispatch_id 0
		.amdhsa_user_sgpr_private_segment_size 0
		.amdhsa_wavefront_size32 1
		.amdhsa_uses_dynamic_stack 0
		.amdhsa_enable_private_segment 0
		.amdhsa_system_sgpr_workgroup_id_x 1
		.amdhsa_system_sgpr_workgroup_id_y 1
		.amdhsa_system_sgpr_workgroup_id_z 1
		.amdhsa_system_sgpr_workgroup_info 0
		.amdhsa_system_vgpr_workitem_id 1
		.amdhsa_next_free_vgpr 54
		.amdhsa_next_free_sgpr 39
		.amdhsa_reserve_vcc 1
		.amdhsa_float_round_mode_32 0
		.amdhsa_float_round_mode_16_64 0
		.amdhsa_float_denorm_mode_32 3
		.amdhsa_float_denorm_mode_16_64 3
		.amdhsa_fp16_overflow 0
		.amdhsa_workgroup_processor_mode 1
		.amdhsa_memory_ordered 1
		.amdhsa_forward_progress 1
		.amdhsa_inst_pref_size 17
		.amdhsa_round_robin_scheduling 0
		.amdhsa_exception_fp_ieee_invalid_op 0
		.amdhsa_exception_fp_denorm_src 0
		.amdhsa_exception_fp_ieee_div_zero 0
		.amdhsa_exception_fp_ieee_overflow 0
		.amdhsa_exception_fp_ieee_underflow 0
		.amdhsa_exception_fp_ieee_inexact 0
		.amdhsa_exception_int_div_zero 0
	.end_amdhsa_kernel
	.section	.text._ZL29rocblas_internal_gemmt_kernelIlLi16ELi32ELi8ELc78ELc78ELc76ELb0ELb0EdPKdPKS1_PKPdEviT_T9_T10_S7_lS9_S7_lS8_T11_S7_li,"axG",@progbits,_ZL29rocblas_internal_gemmt_kernelIlLi16ELi32ELi8ELc78ELc78ELc76ELb0ELb0EdPKdPKS1_PKPdEviT_T9_T10_S7_lS9_S7_lS8_T11_S7_li,comdat
.Lfunc_end477:
	.size	_ZL29rocblas_internal_gemmt_kernelIlLi16ELi32ELi8ELc78ELc78ELc76ELb0ELb0EdPKdPKS1_PKPdEviT_T9_T10_S7_lS9_S7_lS8_T11_S7_li, .Lfunc_end477-_ZL29rocblas_internal_gemmt_kernelIlLi16ELi32ELi8ELc78ELc78ELc76ELb0ELb0EdPKdPKS1_PKPdEviT_T9_T10_S7_lS9_S7_lS8_T11_S7_li
                                        ; -- End function
	.set _ZL29rocblas_internal_gemmt_kernelIlLi16ELi32ELi8ELc78ELc78ELc76ELb0ELb0EdPKdPKS1_PKPdEviT_T9_T10_S7_lS9_S7_lS8_T11_S7_li.num_vgpr, 54
	.set _ZL29rocblas_internal_gemmt_kernelIlLi16ELi32ELi8ELc78ELc78ELc76ELb0ELb0EdPKdPKS1_PKPdEviT_T9_T10_S7_lS9_S7_lS8_T11_S7_li.num_agpr, 0
	.set _ZL29rocblas_internal_gemmt_kernelIlLi16ELi32ELi8ELc78ELc78ELc76ELb0ELb0EdPKdPKS1_PKPdEviT_T9_T10_S7_lS9_S7_lS8_T11_S7_li.numbered_sgpr, 39
	.set _ZL29rocblas_internal_gemmt_kernelIlLi16ELi32ELi8ELc78ELc78ELc76ELb0ELb0EdPKdPKS1_PKPdEviT_T9_T10_S7_lS9_S7_lS8_T11_S7_li.num_named_barrier, 0
	.set _ZL29rocblas_internal_gemmt_kernelIlLi16ELi32ELi8ELc78ELc78ELc76ELb0ELb0EdPKdPKS1_PKPdEviT_T9_T10_S7_lS9_S7_lS8_T11_S7_li.private_seg_size, 0
	.set _ZL29rocblas_internal_gemmt_kernelIlLi16ELi32ELi8ELc78ELc78ELc76ELb0ELb0EdPKdPKS1_PKPdEviT_T9_T10_S7_lS9_S7_lS8_T11_S7_li.uses_vcc, 1
	.set _ZL29rocblas_internal_gemmt_kernelIlLi16ELi32ELi8ELc78ELc78ELc76ELb0ELb0EdPKdPKS1_PKPdEviT_T9_T10_S7_lS9_S7_lS8_T11_S7_li.uses_flat_scratch, 0
	.set _ZL29rocblas_internal_gemmt_kernelIlLi16ELi32ELi8ELc78ELc78ELc76ELb0ELb0EdPKdPKS1_PKPdEviT_T9_T10_S7_lS9_S7_lS8_T11_S7_li.has_dyn_sized_stack, 0
	.set _ZL29rocblas_internal_gemmt_kernelIlLi16ELi32ELi8ELc78ELc78ELc76ELb0ELb0EdPKdPKS1_PKPdEviT_T9_T10_S7_lS9_S7_lS8_T11_S7_li.has_recursion, 0
	.set _ZL29rocblas_internal_gemmt_kernelIlLi16ELi32ELi8ELc78ELc78ELc76ELb0ELb0EdPKdPKS1_PKPdEviT_T9_T10_S7_lS9_S7_lS8_T11_S7_li.has_indirect_call, 0
	.section	.AMDGPU.csdata,"",@progbits
; Kernel info:
; codeLenInByte = 2140
; TotalNumSgprs: 41
; NumVgprs: 54
; ScratchSize: 0
; MemoryBound: 0
; FloatMode: 240
; IeeeMode: 1
; LDSByteSize: 4096 bytes/workgroup (compile time only)
; SGPRBlocks: 0
; VGPRBlocks: 6
; NumSGPRsForWavesPerEU: 41
; NumVGPRsForWavesPerEU: 54
; Occupancy: 16
; WaveLimiterHint : 1
; COMPUTE_PGM_RSRC2:SCRATCH_EN: 0
; COMPUTE_PGM_RSRC2:USER_SGPR: 2
; COMPUTE_PGM_RSRC2:TRAP_HANDLER: 0
; COMPUTE_PGM_RSRC2:TGID_X_EN: 1
; COMPUTE_PGM_RSRC2:TGID_Y_EN: 1
; COMPUTE_PGM_RSRC2:TGID_Z_EN: 1
; COMPUTE_PGM_RSRC2:TIDIG_COMP_CNT: 1
	.section	.text._ZL29rocblas_internal_gemmt_kernelIlLi16ELi32ELi8ELc78ELc84ELc76ELb0ELb0EdPKdPKS1_PKPdEviT_T9_T10_S7_lS9_S7_lS8_T11_S7_li,"axG",@progbits,_ZL29rocblas_internal_gemmt_kernelIlLi16ELi32ELi8ELc78ELc84ELc76ELb0ELb0EdPKdPKS1_PKPdEviT_T9_T10_S7_lS9_S7_lS8_T11_S7_li,comdat
	.globl	_ZL29rocblas_internal_gemmt_kernelIlLi16ELi32ELi8ELc78ELc84ELc76ELb0ELb0EdPKdPKS1_PKPdEviT_T9_T10_S7_lS9_S7_lS8_T11_S7_li ; -- Begin function _ZL29rocblas_internal_gemmt_kernelIlLi16ELi32ELi8ELc78ELc84ELc76ELb0ELb0EdPKdPKS1_PKPdEviT_T9_T10_S7_lS9_S7_lS8_T11_S7_li
	.p2align	8
	.type	_ZL29rocblas_internal_gemmt_kernelIlLi16ELi32ELi8ELc78ELc84ELc76ELb0ELb0EdPKdPKS1_PKPdEviT_T9_T10_S7_lS9_S7_lS8_T11_S7_li,@function
_ZL29rocblas_internal_gemmt_kernelIlLi16ELi32ELi8ELc78ELc84ELc76ELb0ELb0EdPKdPKS1_PKPdEviT_T9_T10_S7_lS9_S7_lS8_T11_S7_li: ; @_ZL29rocblas_internal_gemmt_kernelIlLi16ELi32ELi8ELc78ELc84ELc76ELb0ELb0EdPKdPKS1_PKPdEviT_T9_T10_S7_lS9_S7_lS8_T11_S7_li
; %bb.0:
	s_clause 0x1
	s_load_b256 s[24:31], s[0:1], 0x48
	s_load_b512 s[8:23], s[0:1], 0x8
	s_wait_kmcnt 0x0
	s_load_b64 s[6:7], s[24:25], 0x0
	s_load_b64 s[10:11], s[10:11], 0x0
	s_wait_kmcnt 0x0
	v_cmp_neq_f64_e64 s2, s[6:7], 1.0
	s_and_b32 vcc_lo, exec_lo, s2
	s_cbranch_vccnz .LBB478_2
; %bb.1:
	v_cmp_neq_f64_e64 s2, s[10:11], 0
	s_cmp_lg_u64 s[8:9], 0
	s_cselect_b32 s3, -1, 0
	s_delay_alu instid0(SALU_CYCLE_1)
	s_and_b32 s2, s3, s2
.LBB478_2:
	s_delay_alu instid0(SALU_CYCLE_1)
	s_and_not1_b32 vcc_lo, exec_lo, s2
	s_cbranch_vccnz .LBB478_35
; %bb.3:
	s_load_b32 s33, s[0:1], 0x68
	s_lshr_b32 s24, ttmp7, 16
	s_wait_kmcnt 0x0
	s_cmp_ge_u32 s24, s33
	s_cbranch_scc1 .LBB478_35
; %bb.4:
	v_and_b32_e32 v4, 0x3ff, v0
	v_bfe_u32 v5, v0, 10, 10
	s_load_b32 s4, s[0:1], 0x0
	s_lshl_b32 s0, ttmp7, 5
	v_and_b32_e32 v26, 7, v0
	s_and_b32 s0, s0, 0x1fffe0
	v_lshl_add_u32 v0, v5, 4, v4
	v_add_nc_u32_e32 v12, s0, v5
	v_cmp_neq_f64_e64 s37, s[10:11], 0
	v_cmp_neq_f64_e64 s34, s[6:7], 0
	s_lshl_b32 s2, ttmp9, 5
	v_lshrrev_b32_e32 v27, 5, v0
	v_mad_co_u64_u32 v[8:9], null, s28, v12, 0
	v_and_b32_e32 v1, 31, v0
	v_lshrrev_b32_e32 v2, 3, v0
	v_add_nc_u32_e32 v14, 16, v12
	v_cmp_gt_i64_e64 s38, s[8:9], 0
	v_lshl_add_u32 v31, v5, 6, 0x800
	v_lshlrev_b32_e32 v0, 3, v1
	v_add_nc_u32_e32 v13, s0, v2
	v_mad_co_u64_u32 v[10:11], null, s28, v14, 0
	s_mov_b32 s25, 0
	v_lshl_or_b32 v28, v27, 8, v0
	v_mov_b32_e32 v0, v9
	v_or_b32_e32 v6, s2, v1
	v_lshlrev_b32_e32 v1, 3, v26
	s_wait_kmcnt 0x0
	v_cmp_gt_i32_e64 s1, s4, v13
	v_lshlrev_b32_e32 v32, 3, v13
	v_ashrrev_i32_e32 v7, 31, v6
	v_lshl_or_b32 v3, v2, 6, v1
	v_mad_co_u64_u32 v[1:2], null, s29, v12, v[0:1]
	v_cmp_gt_i32_e64 s0, s4, v6
	s_delay_alu instid0(VALU_DEP_4) | instskip(NEXT) | instid1(VALU_DEP_4)
	v_lshlrev_b64_e32 v[6:7], 3, v[6:7]
	v_add_nc_u32_e32 v29, 0x800, v3
	v_dual_mov_b32 v3, 0 :: v_dual_add_nc_u32 v0, s2, v4
	v_dual_mov_b32 v9, v1 :: v_dual_lshlrev_b32 v30, 3, v4
	s_delay_alu instid0(VALU_DEP_2) | instskip(SKIP_2) | instid1(VALU_DEP_4)
	v_dual_mov_b32 v1, v11 :: v_dual_add_nc_u32 v4, 16, v0
	v_cmp_le_i32_e32 vcc_lo, v12, v0
	v_cmp_gt_i32_e64 s2, s4, v0
	v_lshlrev_b64_e32 v[8:9], 3, v[8:9]
	s_and_b32 s37, s37, s38
	v_cmp_le_i32_e64 s3, v12, v4
	v_mad_co_u64_u32 v[11:12], null, s29, v14, v[1:2]
	v_cmp_gt_i32_e64 s4, s4, v4
	s_and_b32 s28, vcc_lo, s2
	v_cmp_le_i32_e32 vcc_lo, v14, v0
	v_cmp_le_i32_e64 s5, v14, v4
	v_ashrrev_i32_e32 v1, 31, v0
	v_ashrrev_i32_e32 v5, 31, v4
	v_lshlrev_b64_e32 v[10:11], 3, v[10:11]
	s_and_b32 s29, s3, s4
	s_and_b32 s35, vcc_lo, s2
	s_and_b32 s36, s5, s4
	s_lshl_b64 s[2:3], s[22:23], 3
	s_lshl_b64 s[4:5], s[16:17], 3
	s_lshl_b64 s[16:17], s[30:31], 3
	s_branch .LBB478_6
.LBB478_5:                              ;   in Loop: Header=BB478_6 Depth=1
	s_wait_alu 0xfffe
	s_or_b32 exec_lo, exec_lo, s22
	s_add_co_i32 s24, s24, 0x10000
	s_delay_alu instid0(SALU_CYCLE_1)
	s_cmp_lt_u32 s24, s33
	s_cbranch_scc0 .LBB478_35
.LBB478_6:                              ; =>This Loop Header: Depth=1
                                        ;     Child Loop BB478_9 Depth 2
	s_lshl_b64 s[22:23], s[24:25], 3
	v_mov_b32_e32 v20, 0
	s_wait_alu 0xfffe
	s_add_nc_u64 s[30:31], s[26:27], s[22:23]
	v_mov_b32_e32 v14, 0
	global_load_b64 v[16:17], v3, s[30:31]
	v_dual_mov_b32 v21, 0 :: v_dual_mov_b32 v18, 0
	v_dual_mov_b32 v15, 0 :: v_dual_mov_b32 v12, 0
	v_mov_b32_e32 v19, 0
	v_mov_b32_e32 v13, 0
	s_and_not1_b32 vcc_lo, exec_lo, s37
	s_wait_alu 0xfffe
	s_cbranch_vccnz .LBB478_15
; %bb.7:                                ;   in Loop: Header=BB478_6 Depth=1
	s_add_nc_u64 s[30:31], s[12:13], s[22:23]
	s_add_nc_u64 s[22:23], s[18:19], s[22:23]
	s_clause 0x1
	global_load_b64 v[22:23], v3, s[30:31]
	global_load_b64 v[24:25], v3, s[22:23]
	v_mov_b32_e32 v12, 0
	v_dual_mov_b32 v18, 0 :: v_dual_mov_b32 v13, 0
	v_dual_mov_b32 v14, 0 :: v_dual_mov_b32 v19, 0
	;; [unrolled: 1-line block ×3, first 2 shown]
	v_mov_b32_e32 v21, 0
	s_mov_b64 s[22:23], 0
	s_wait_loadcnt 0x1
	v_add_co_u32 v2, vcc_lo, v22, s4
	s_wait_alu 0xfffd
	v_add_co_ci_u32_e64 v22, null, s5, v23, vcc_lo
	s_wait_loadcnt 0x0
	v_add_co_u32 v23, vcc_lo, v24, s2
	s_wait_alu 0xfffd
	v_add_co_ci_u32_e64 v24, null, s3, v25, vcc_lo
	v_add_co_u32 v33, vcc_lo, v2, v6
	s_wait_alu 0xfffd
	v_add_co_ci_u32_e64 v34, null, v22, v7, vcc_lo
	;; [unrolled: 3-line block ×3, first 2 shown]
	s_branch .LBB478_9
.LBB478_8:                              ;   in Loop: Header=BB478_9 Depth=2
	s_or_b32 exec_lo, exec_lo, s30
	s_wait_loadcnt_dscnt 0x0
	ds_store_b64 v29, v[24:25]
	s_wait_dscnt 0x0
	s_barrier_signal -1
	s_barrier_wait -1
	global_inv scope:SCOPE_SE
	ds_load_b128 v[22:25], v31
	ds_load_2addr_b64 v[37:40], v30 offset1:16
	ds_load_b128 v[41:44], v31 offset:1024
	ds_load_b128 v[45:48], v31 offset:16
	;; [unrolled: 1-line block ×3, first 2 shown]
	s_add_nc_u64 s[22:23], s[22:23], 8
	s_wait_alu 0xfffe
	v_cmp_gt_i64_e64 s30, s[8:9], s[22:23]
	s_and_b32 vcc_lo, exec_lo, s30
	s_wait_dscnt 0x3
	v_fma_f64 v[20:21], v[37:38], v[22:23], v[20:21]
	v_fma_f64 v[18:19], v[39:40], v[22:23], v[18:19]
	s_wait_dscnt 0x2
	v_fma_f64 v[22:23], v[37:38], v[41:42], v[14:15]
	v_fma_f64 v[37:38], v[39:40], v[41:42], v[12:13]
	ds_load_2addr_b64 v[12:15], v30 offset0:32 offset1:48
	s_wait_dscnt 0x0
	v_fma_f64 v[20:21], v[12:13], v[24:25], v[20:21]
	v_fma_f64 v[18:19], v[14:15], v[24:25], v[18:19]
	v_fma_f64 v[22:23], v[12:13], v[43:44], v[22:23]
	v_fma_f64 v[24:25], v[14:15], v[43:44], v[37:38]
	ds_load_2addr_b64 v[12:15], v30 offset0:64 offset1:80
	s_wait_dscnt 0x0
	v_fma_f64 v[20:21], v[12:13], v[45:46], v[20:21]
	v_fma_f64 v[18:19], v[14:15], v[45:46], v[18:19]
	;; [unrolled: 6-line block ×3, first 2 shown]
	v_fma_f64 v[49:50], v[12:13], v[51:52], v[22:23]
	v_fma_f64 v[51:52], v[14:15], v[51:52], v[24:25]
	ds_load_b128 v[12:15], v31 offset:32
	ds_load_2addr_b64 v[18:21], v30 offset0:128 offset1:144
	ds_load_b128 v[22:25], v31 offset:1056
	ds_load_b128 v[37:40], v31 offset:48
	;; [unrolled: 1-line block ×3, first 2 shown]
	s_wait_dscnt 0x3
	v_fma_f64 v[45:46], v[18:19], v[12:13], v[45:46]
	v_fma_f64 v[12:13], v[20:21], v[12:13], v[47:48]
	s_wait_dscnt 0x2
	v_fma_f64 v[47:48], v[18:19], v[22:23], v[49:50]
	v_fma_f64 v[22:23], v[20:21], v[22:23], v[51:52]
	ds_load_2addr_b64 v[18:21], v30 offset0:160 offset1:176
	s_wait_dscnt 0x0
	v_fma_f64 v[45:46], v[18:19], v[14:15], v[45:46]
	v_fma_f64 v[49:50], v[20:21], v[14:15], v[12:13]
	;; [unrolled: 1-line block ×4, first 2 shown]
	ds_load_2addr_b64 v[12:15], v30 offset0:192 offset1:208
	ds_load_2addr_b64 v[22:25], v30 offset0:224 offset1:240
	s_wait_loadcnt_dscnt 0x0
	s_barrier_signal -1
	s_barrier_wait -1
	global_inv scope:SCOPE_SE
	v_fma_f64 v[45:46], v[12:13], v[37:38], v[45:46]
	v_fma_f64 v[37:38], v[14:15], v[37:38], v[49:50]
	;; [unrolled: 1-line block ×4, first 2 shown]
	s_delay_alu instid0(VALU_DEP_4) | instskip(NEXT) | instid1(VALU_DEP_4)
	v_fma_f64 v[20:21], v[22:23], v[39:40], v[45:46]
	v_fma_f64 v[18:19], v[24:25], v[39:40], v[37:38]
	s_delay_alu instid0(VALU_DEP_4) | instskip(NEXT) | instid1(VALU_DEP_4)
	v_fma_f64 v[14:15], v[22:23], v[43:44], v[12:13]
	v_fma_f64 v[12:13], v[24:25], v[43:44], v[41:42]
	s_wait_alu 0xfffe
	s_cbranch_vccz .LBB478_15
.LBB478_9:                              ;   Parent Loop BB478_6 Depth=1
                                        ; =>  This Inner Loop Header: Depth=2
	v_mov_b32_e32 v22, 0
	v_mov_b32_e32 v23, 0
	s_and_saveexec_b32 s30, s0
	s_cbranch_execz .LBB478_13
; %bb.10:                               ;   in Loop: Header=BB478_9 Depth=2
	v_mov_b32_e32 v22, 0
	s_wait_alu 0xfffe
	v_dual_mov_b32 v23, 0 :: v_dual_add_nc_u32 v2, s22, v27
	s_mov_b32 s31, exec_lo
	s_delay_alu instid0(VALU_DEP_1)
	v_cmpx_gt_u64_e64 s[8:9], v[2:3]
	s_cbranch_execz .LBB478_12
; %bb.11:                               ;   in Loop: Header=BB478_9 Depth=2
	v_mad_co_u64_u32 v[22:23], null, s14, v2, 0
	s_delay_alu instid0(VALU_DEP_1) | instskip(NEXT) | instid1(VALU_DEP_1)
	v_mad_co_u64_u32 v[23:24], null, s15, v2, v[23:24]
	v_lshlrev_b64_e32 v[22:23], 3, v[22:23]
	s_delay_alu instid0(VALU_DEP_1) | instskip(SKIP_1) | instid1(VALU_DEP_2)
	v_add_co_u32 v22, vcc_lo, v33, v22
	s_wait_alu 0xfffd
	v_add_co_ci_u32_e64 v23, null, v34, v23, vcc_lo
	flat_load_b64 v[22:23], v[22:23]
.LBB478_12:                             ;   in Loop: Header=BB478_9 Depth=2
	s_or_b32 exec_lo, exec_lo, s31
.LBB478_13:                             ;   in Loop: Header=BB478_9 Depth=2
	s_delay_alu instid0(SALU_CYCLE_1)
	s_or_b32 exec_lo, exec_lo, s30
	s_wait_alu 0xfffe
	v_add_nc_u32_e32 v2, s22, v26
	v_mov_b32_e32 v24, 0
	v_mov_b32_e32 v25, 0
	s_wait_loadcnt_dscnt 0x0
	ds_store_b64 v28, v[22:23]
	v_cmp_gt_u64_e32 vcc_lo, s[8:9], v[2:3]
	s_and_b32 s31, vcc_lo, s1
	s_delay_alu instid0(SALU_CYCLE_1)
	s_and_saveexec_b32 s30, s31
	s_cbranch_execz .LBB478_8
; %bb.14:                               ;   in Loop: Header=BB478_9 Depth=2
	v_mad_co_u64_u32 v[22:23], null, s20, v2, 0
	s_delay_alu instid0(VALU_DEP_1) | instskip(NEXT) | instid1(VALU_DEP_1)
	v_mad_co_u64_u32 v[23:24], null, s21, v2, v[23:24]
	v_lshlrev_b64_e32 v[22:23], 3, v[22:23]
	s_delay_alu instid0(VALU_DEP_1) | instskip(SKIP_1) | instid1(VALU_DEP_2)
	v_add_co_u32 v22, vcc_lo, v35, v22
	s_wait_alu 0xfffd
	v_add_co_ci_u32_e64 v23, null, v36, v23, vcc_lo
	flat_load_b64 v[24:25], v[22:23]
	s_branch .LBB478_8
.LBB478_15:                             ;   in Loop: Header=BB478_6 Depth=1
	s_wait_loadcnt 0x0
	v_add_co_u32 v2, vcc_lo, v16, s16
	s_wait_alu 0xfffd
	v_add_co_ci_u32_e64 v22, null, s17, v17, vcc_lo
	s_delay_alu instid0(VALU_DEP_2) | instskip(SKIP_1) | instid1(VALU_DEP_2)
	v_add_co_u32 v23, vcc_lo, v2, v8
	s_wait_alu 0xfffd
	v_add_co_ci_u32_e64 v24, null, v22, v9, vcc_lo
	s_wait_alu 0xfffe
	s_and_saveexec_b32 s22, s28
	s_cbranch_execz .LBB478_19
; %bb.16:                               ;   in Loop: Header=BB478_6 Depth=1
	v_mul_f64_e32 v[16:17], s[10:11], v[20:21]
	s_and_b32 vcc_lo, exec_lo, s34
	s_wait_alu 0xfffe
	s_cbranch_vccz .LBB478_30
; %bb.17:                               ;   in Loop: Header=BB478_6 Depth=1
	v_lshlrev_b64_e32 v[20:21], 3, v[0:1]
	s_delay_alu instid0(VALU_DEP_1) | instskip(SKIP_1) | instid1(VALU_DEP_2)
	v_add_co_u32 v20, vcc_lo, v23, v20
	s_wait_alu 0xfffd
	v_add_co_ci_u32_e64 v21, null, v24, v21, vcc_lo
	flat_load_b64 v[33:34], v[20:21]
	s_wait_loadcnt_dscnt 0x0
	v_fma_f64 v[33:34], s[6:7], v[33:34], v[16:17]
	flat_store_b64 v[20:21], v[33:34]
	s_cbranch_execnz .LBB478_19
.LBB478_18:                             ;   in Loop: Header=BB478_6 Depth=1
	v_lshlrev_b64_e32 v[20:21], 3, v[0:1]
	s_delay_alu instid0(VALU_DEP_1) | instskip(SKIP_1) | instid1(VALU_DEP_2)
	v_add_co_u32 v20, vcc_lo, v23, v20
	s_wait_alu 0xfffd
	v_add_co_ci_u32_e64 v21, null, v24, v21, vcc_lo
	flat_store_b64 v[20:21], v[16:17]
.LBB478_19:                             ;   in Loop: Header=BB478_6 Depth=1
	s_wait_alu 0xfffe
	s_or_b32 exec_lo, exec_lo, s22
	s_and_saveexec_b32 s22, s29
	s_cbranch_execz .LBB478_23
; %bb.20:                               ;   in Loop: Header=BB478_6 Depth=1
	v_mul_f64_e32 v[16:17], s[10:11], v[18:19]
	s_and_not1_b32 vcc_lo, exec_lo, s34
	s_wait_alu 0xfffe
	s_cbranch_vccnz .LBB478_31
; %bb.21:                               ;   in Loop: Header=BB478_6 Depth=1
	v_lshlrev_b64_e32 v[18:19], 3, v[4:5]
	s_delay_alu instid0(VALU_DEP_1) | instskip(SKIP_1) | instid1(VALU_DEP_2)
	v_add_co_u32 v18, vcc_lo, v23, v18
	s_wait_alu 0xfffd
	v_add_co_ci_u32_e64 v19, null, v24, v19, vcc_lo
	flat_load_b64 v[20:21], v[18:19]
	s_wait_loadcnt_dscnt 0x0
	v_fma_f64 v[20:21], s[6:7], v[20:21], v[16:17]
	flat_store_b64 v[18:19], v[20:21]
	s_cbranch_execnz .LBB478_23
.LBB478_22:                             ;   in Loop: Header=BB478_6 Depth=1
	v_lshlrev_b64_e32 v[18:19], 3, v[4:5]
	s_delay_alu instid0(VALU_DEP_1) | instskip(SKIP_1) | instid1(VALU_DEP_2)
	v_add_co_u32 v18, vcc_lo, v23, v18
	s_wait_alu 0xfffd
	v_add_co_ci_u32_e64 v19, null, v24, v19, vcc_lo
	flat_store_b64 v[18:19], v[16:17]
.LBB478_23:                             ;   in Loop: Header=BB478_6 Depth=1
	s_wait_alu 0xfffe
	s_or_b32 exec_lo, exec_lo, s22
	v_add_co_u32 v2, vcc_lo, v2, v10
	s_wait_alu 0xfffd
	v_add_co_ci_u32_e64 v18, null, v22, v11, vcc_lo
	s_and_saveexec_b32 s22, s35
	s_cbranch_execz .LBB478_27
; %bb.24:                               ;   in Loop: Header=BB478_6 Depth=1
	v_mul_f64_e32 v[14:15], s[10:11], v[14:15]
	v_lshlrev_b64_e32 v[16:17], 3, v[0:1]
	s_and_not1_b32 vcc_lo, exec_lo, s34
	s_wait_alu 0xfffe
	s_cbranch_vccnz .LBB478_32
; %bb.25:                               ;   in Loop: Header=BB478_6 Depth=1
	s_delay_alu instid0(VALU_DEP_1)
	v_add_co_u32 v19, vcc_lo, v2, v16
	s_wait_alu 0xfffd
	v_add_co_ci_u32_e64 v20, null, v18, v17, vcc_lo
	flat_load_b64 v[21:22], v[19:20]
	s_wait_loadcnt_dscnt 0x0
	v_fma_f64 v[21:22], s[6:7], v[21:22], v[14:15]
	flat_store_b64 v[19:20], v[21:22]
	s_cbranch_execnz .LBB478_27
.LBB478_26:                             ;   in Loop: Header=BB478_6 Depth=1
	s_delay_alu instid0(VALU_DEP_1)
	v_add_co_u32 v16, vcc_lo, v2, v16
	s_wait_alu 0xfffd
	v_add_co_ci_u32_e64 v17, null, v18, v17, vcc_lo
	flat_store_b64 v[16:17], v[14:15]
.LBB478_27:                             ;   in Loop: Header=BB478_6 Depth=1
	s_wait_alu 0xfffe
	s_or_b32 exec_lo, exec_lo, s22
	s_and_saveexec_b32 s22, s36
	s_cbranch_execz .LBB478_5
; %bb.28:                               ;   in Loop: Header=BB478_6 Depth=1
	v_mul_f64_e32 v[12:13], s[10:11], v[12:13]
	v_lshlrev_b64_e32 v[14:15], 3, v[4:5]
	s_and_not1_b32 vcc_lo, exec_lo, s34
	s_wait_alu 0xfffe
	s_cbranch_vccnz .LBB478_33
; %bb.29:                               ;   in Loop: Header=BB478_6 Depth=1
	s_delay_alu instid0(VALU_DEP_1)
	v_add_co_u32 v16, vcc_lo, v2, v14
	s_wait_alu 0xfffd
	v_add_co_ci_u32_e64 v17, null, v18, v15, vcc_lo
	flat_load_b64 v[19:20], v[16:17]
	s_wait_loadcnt_dscnt 0x0
	v_fma_f64 v[19:20], s[6:7], v[19:20], v[12:13]
	flat_store_b64 v[16:17], v[19:20]
	s_cbranch_execnz .LBB478_5
	s_branch .LBB478_34
.LBB478_30:                             ;   in Loop: Header=BB478_6 Depth=1
	s_branch .LBB478_18
.LBB478_31:                             ;   in Loop: Header=BB478_6 Depth=1
	s_branch .LBB478_22
.LBB478_32:                             ;   in Loop: Header=BB478_6 Depth=1
	s_branch .LBB478_26
.LBB478_33:                             ;   in Loop: Header=BB478_6 Depth=1
.LBB478_34:                             ;   in Loop: Header=BB478_6 Depth=1
	s_delay_alu instid0(VALU_DEP_1)
	v_add_co_u32 v14, vcc_lo, v2, v14
	s_wait_alu 0xfffd
	v_add_co_ci_u32_e64 v15, null, v18, v15, vcc_lo
	flat_store_b64 v[14:15], v[12:13]
	s_branch .LBB478_5
.LBB478_35:
	s_endpgm
	.section	.rodata,"a",@progbits
	.p2align	6, 0x0
	.amdhsa_kernel _ZL29rocblas_internal_gemmt_kernelIlLi16ELi32ELi8ELc78ELc84ELc76ELb0ELb0EdPKdPKS1_PKPdEviT_T9_T10_S7_lS9_S7_lS8_T11_S7_li
		.amdhsa_group_segment_fixed_size 4096
		.amdhsa_private_segment_fixed_size 0
		.amdhsa_kernarg_size 108
		.amdhsa_user_sgpr_count 2
		.amdhsa_user_sgpr_dispatch_ptr 0
		.amdhsa_user_sgpr_queue_ptr 0
		.amdhsa_user_sgpr_kernarg_segment_ptr 1
		.amdhsa_user_sgpr_dispatch_id 0
		.amdhsa_user_sgpr_private_segment_size 0
		.amdhsa_wavefront_size32 1
		.amdhsa_uses_dynamic_stack 0
		.amdhsa_enable_private_segment 0
		.amdhsa_system_sgpr_workgroup_id_x 1
		.amdhsa_system_sgpr_workgroup_id_y 1
		.amdhsa_system_sgpr_workgroup_id_z 1
		.amdhsa_system_sgpr_workgroup_info 0
		.amdhsa_system_vgpr_workitem_id 1
		.amdhsa_next_free_vgpr 53
		.amdhsa_next_free_sgpr 39
		.amdhsa_reserve_vcc 1
		.amdhsa_float_round_mode_32 0
		.amdhsa_float_round_mode_16_64 0
		.amdhsa_float_denorm_mode_32 3
		.amdhsa_float_denorm_mode_16_64 3
		.amdhsa_fp16_overflow 0
		.amdhsa_workgroup_processor_mode 1
		.amdhsa_memory_ordered 1
		.amdhsa_forward_progress 1
		.amdhsa_inst_pref_size 17
		.amdhsa_round_robin_scheduling 0
		.amdhsa_exception_fp_ieee_invalid_op 0
		.amdhsa_exception_fp_denorm_src 0
		.amdhsa_exception_fp_ieee_div_zero 0
		.amdhsa_exception_fp_ieee_overflow 0
		.amdhsa_exception_fp_ieee_underflow 0
		.amdhsa_exception_fp_ieee_inexact 0
		.amdhsa_exception_int_div_zero 0
	.end_amdhsa_kernel
	.section	.text._ZL29rocblas_internal_gemmt_kernelIlLi16ELi32ELi8ELc78ELc84ELc76ELb0ELb0EdPKdPKS1_PKPdEviT_T9_T10_S7_lS9_S7_lS8_T11_S7_li,"axG",@progbits,_ZL29rocblas_internal_gemmt_kernelIlLi16ELi32ELi8ELc78ELc84ELc76ELb0ELb0EdPKdPKS1_PKPdEviT_T9_T10_S7_lS9_S7_lS8_T11_S7_li,comdat
.Lfunc_end478:
	.size	_ZL29rocblas_internal_gemmt_kernelIlLi16ELi32ELi8ELc78ELc84ELc76ELb0ELb0EdPKdPKS1_PKPdEviT_T9_T10_S7_lS9_S7_lS8_T11_S7_li, .Lfunc_end478-_ZL29rocblas_internal_gemmt_kernelIlLi16ELi32ELi8ELc78ELc84ELc76ELb0ELb0EdPKdPKS1_PKPdEviT_T9_T10_S7_lS9_S7_lS8_T11_S7_li
                                        ; -- End function
	.set _ZL29rocblas_internal_gemmt_kernelIlLi16ELi32ELi8ELc78ELc84ELc76ELb0ELb0EdPKdPKS1_PKPdEviT_T9_T10_S7_lS9_S7_lS8_T11_S7_li.num_vgpr, 53
	.set _ZL29rocblas_internal_gemmt_kernelIlLi16ELi32ELi8ELc78ELc84ELc76ELb0ELb0EdPKdPKS1_PKPdEviT_T9_T10_S7_lS9_S7_lS8_T11_S7_li.num_agpr, 0
	.set _ZL29rocblas_internal_gemmt_kernelIlLi16ELi32ELi8ELc78ELc84ELc76ELb0ELb0EdPKdPKS1_PKPdEviT_T9_T10_S7_lS9_S7_lS8_T11_S7_li.numbered_sgpr, 39
	.set _ZL29rocblas_internal_gemmt_kernelIlLi16ELi32ELi8ELc78ELc84ELc76ELb0ELb0EdPKdPKS1_PKPdEviT_T9_T10_S7_lS9_S7_lS8_T11_S7_li.num_named_barrier, 0
	.set _ZL29rocblas_internal_gemmt_kernelIlLi16ELi32ELi8ELc78ELc84ELc76ELb0ELb0EdPKdPKS1_PKPdEviT_T9_T10_S7_lS9_S7_lS8_T11_S7_li.private_seg_size, 0
	.set _ZL29rocblas_internal_gemmt_kernelIlLi16ELi32ELi8ELc78ELc84ELc76ELb0ELb0EdPKdPKS1_PKPdEviT_T9_T10_S7_lS9_S7_lS8_T11_S7_li.uses_vcc, 1
	.set _ZL29rocblas_internal_gemmt_kernelIlLi16ELi32ELi8ELc78ELc84ELc76ELb0ELb0EdPKdPKS1_PKPdEviT_T9_T10_S7_lS9_S7_lS8_T11_S7_li.uses_flat_scratch, 0
	.set _ZL29rocblas_internal_gemmt_kernelIlLi16ELi32ELi8ELc78ELc84ELc76ELb0ELb0EdPKdPKS1_PKPdEviT_T9_T10_S7_lS9_S7_lS8_T11_S7_li.has_dyn_sized_stack, 0
	.set _ZL29rocblas_internal_gemmt_kernelIlLi16ELi32ELi8ELc78ELc84ELc76ELb0ELb0EdPKdPKS1_PKPdEviT_T9_T10_S7_lS9_S7_lS8_T11_S7_li.has_recursion, 0
	.set _ZL29rocblas_internal_gemmt_kernelIlLi16ELi32ELi8ELc78ELc84ELc76ELb0ELb0EdPKdPKS1_PKPdEviT_T9_T10_S7_lS9_S7_lS8_T11_S7_li.has_indirect_call, 0
	.section	.AMDGPU.csdata,"",@progbits
; Kernel info:
; codeLenInByte = 2116
; TotalNumSgprs: 41
; NumVgprs: 53
; ScratchSize: 0
; MemoryBound: 0
; FloatMode: 240
; IeeeMode: 1
; LDSByteSize: 4096 bytes/workgroup (compile time only)
; SGPRBlocks: 0
; VGPRBlocks: 6
; NumSGPRsForWavesPerEU: 41
; NumVGPRsForWavesPerEU: 53
; Occupancy: 16
; WaveLimiterHint : 1
; COMPUTE_PGM_RSRC2:SCRATCH_EN: 0
; COMPUTE_PGM_RSRC2:USER_SGPR: 2
; COMPUTE_PGM_RSRC2:TRAP_HANDLER: 0
; COMPUTE_PGM_RSRC2:TGID_X_EN: 1
; COMPUTE_PGM_RSRC2:TGID_Y_EN: 1
; COMPUTE_PGM_RSRC2:TGID_Z_EN: 1
; COMPUTE_PGM_RSRC2:TIDIG_COMP_CNT: 1
	.section	.text._ZL29rocblas_internal_gemmt_kernelIlLi16ELi32ELi8ELc78ELc67ELc76ELb0ELb0EdPKdPKS1_PKPdEviT_T9_T10_S7_lS9_S7_lS8_T11_S7_li,"axG",@progbits,_ZL29rocblas_internal_gemmt_kernelIlLi16ELi32ELi8ELc78ELc67ELc76ELb0ELb0EdPKdPKS1_PKPdEviT_T9_T10_S7_lS9_S7_lS8_T11_S7_li,comdat
	.globl	_ZL29rocblas_internal_gemmt_kernelIlLi16ELi32ELi8ELc78ELc67ELc76ELb0ELb0EdPKdPKS1_PKPdEviT_T9_T10_S7_lS9_S7_lS8_T11_S7_li ; -- Begin function _ZL29rocblas_internal_gemmt_kernelIlLi16ELi32ELi8ELc78ELc67ELc76ELb0ELb0EdPKdPKS1_PKPdEviT_T9_T10_S7_lS9_S7_lS8_T11_S7_li
	.p2align	8
	.type	_ZL29rocblas_internal_gemmt_kernelIlLi16ELi32ELi8ELc78ELc67ELc76ELb0ELb0EdPKdPKS1_PKPdEviT_T9_T10_S7_lS9_S7_lS8_T11_S7_li,@function
_ZL29rocblas_internal_gemmt_kernelIlLi16ELi32ELi8ELc78ELc67ELc76ELb0ELb0EdPKdPKS1_PKPdEviT_T9_T10_S7_lS9_S7_lS8_T11_S7_li: ; @_ZL29rocblas_internal_gemmt_kernelIlLi16ELi32ELi8ELc78ELc67ELc76ELb0ELb0EdPKdPKS1_PKPdEviT_T9_T10_S7_lS9_S7_lS8_T11_S7_li
; %bb.0:
	s_clause 0x1
	s_load_b256 s[24:31], s[0:1], 0x48
	s_load_b512 s[8:23], s[0:1], 0x8
	s_wait_kmcnt 0x0
	s_load_b64 s[6:7], s[24:25], 0x0
	s_load_b64 s[10:11], s[10:11], 0x0
	s_wait_kmcnt 0x0
	v_cmp_neq_f64_e64 s2, s[6:7], 1.0
	s_and_b32 vcc_lo, exec_lo, s2
	s_cbranch_vccnz .LBB479_2
; %bb.1:
	v_cmp_neq_f64_e64 s2, s[10:11], 0
	s_cmp_lg_u64 s[8:9], 0
	s_cselect_b32 s3, -1, 0
	s_delay_alu instid0(SALU_CYCLE_1)
	s_and_b32 s2, s3, s2
.LBB479_2:
	s_delay_alu instid0(SALU_CYCLE_1)
	s_and_not1_b32 vcc_lo, exec_lo, s2
	s_cbranch_vccnz .LBB479_35
; %bb.3:
	s_load_b32 s33, s[0:1], 0x68
	s_lshr_b32 s24, ttmp7, 16
	s_wait_kmcnt 0x0
	s_cmp_ge_u32 s24, s33
	s_cbranch_scc1 .LBB479_35
; %bb.4:
	v_and_b32_e32 v4, 0x3ff, v0
	v_bfe_u32 v5, v0, 10, 10
	s_load_b32 s4, s[0:1], 0x0
	s_lshl_b32 s0, ttmp7, 5
	v_and_b32_e32 v26, 7, v0
	s_and_b32 s0, s0, 0x1fffe0
	v_lshl_add_u32 v0, v5, 4, v4
	v_add_nc_u32_e32 v12, s0, v5
	v_cmp_neq_f64_e64 s37, s[10:11], 0
	v_cmp_neq_f64_e64 s34, s[6:7], 0
	s_lshl_b32 s2, ttmp9, 5
	v_lshrrev_b32_e32 v27, 5, v0
	v_mad_co_u64_u32 v[8:9], null, s28, v12, 0
	v_and_b32_e32 v1, 31, v0
	v_lshrrev_b32_e32 v2, 3, v0
	v_add_nc_u32_e32 v14, 16, v12
	v_cmp_gt_i64_e64 s38, s[8:9], 0
	v_lshl_add_u32 v31, v5, 6, 0x800
	v_lshlrev_b32_e32 v0, 3, v1
	v_add_nc_u32_e32 v13, s0, v2
	v_mad_co_u64_u32 v[10:11], null, s28, v14, 0
	s_mov_b32 s25, 0
	v_lshl_or_b32 v28, v27, 8, v0
	v_mov_b32_e32 v0, v9
	v_or_b32_e32 v6, s2, v1
	v_lshlrev_b32_e32 v1, 3, v26
	s_wait_kmcnt 0x0
	v_cmp_gt_i32_e64 s1, s4, v13
	v_lshlrev_b32_e32 v32, 3, v13
	v_ashrrev_i32_e32 v7, 31, v6
	v_lshl_or_b32 v3, v2, 6, v1
	v_mad_co_u64_u32 v[1:2], null, s29, v12, v[0:1]
	v_cmp_gt_i32_e64 s0, s4, v6
	s_delay_alu instid0(VALU_DEP_4) | instskip(NEXT) | instid1(VALU_DEP_4)
	v_lshlrev_b64_e32 v[6:7], 3, v[6:7]
	v_add_nc_u32_e32 v29, 0x800, v3
	v_dual_mov_b32 v3, 0 :: v_dual_add_nc_u32 v0, s2, v4
	v_dual_mov_b32 v9, v1 :: v_dual_lshlrev_b32 v30, 3, v4
	s_delay_alu instid0(VALU_DEP_2) | instskip(SKIP_2) | instid1(VALU_DEP_4)
	v_dual_mov_b32 v1, v11 :: v_dual_add_nc_u32 v4, 16, v0
	v_cmp_le_i32_e32 vcc_lo, v12, v0
	v_cmp_gt_i32_e64 s2, s4, v0
	v_lshlrev_b64_e32 v[8:9], 3, v[8:9]
	s_and_b32 s37, s37, s38
	v_cmp_le_i32_e64 s3, v12, v4
	v_mad_co_u64_u32 v[11:12], null, s29, v14, v[1:2]
	v_cmp_gt_i32_e64 s4, s4, v4
	s_and_b32 s28, vcc_lo, s2
	v_cmp_le_i32_e32 vcc_lo, v14, v0
	v_cmp_le_i32_e64 s5, v14, v4
	v_ashrrev_i32_e32 v1, 31, v0
	v_ashrrev_i32_e32 v5, 31, v4
	v_lshlrev_b64_e32 v[10:11], 3, v[10:11]
	s_and_b32 s29, s3, s4
	s_and_b32 s35, vcc_lo, s2
	s_and_b32 s36, s5, s4
	s_lshl_b64 s[2:3], s[22:23], 3
	s_lshl_b64 s[4:5], s[16:17], 3
	;; [unrolled: 1-line block ×3, first 2 shown]
	s_branch .LBB479_6
.LBB479_5:                              ;   in Loop: Header=BB479_6 Depth=1
	s_wait_alu 0xfffe
	s_or_b32 exec_lo, exec_lo, s22
	s_add_co_i32 s24, s24, 0x10000
	s_delay_alu instid0(SALU_CYCLE_1)
	s_cmp_lt_u32 s24, s33
	s_cbranch_scc0 .LBB479_35
.LBB479_6:                              ; =>This Loop Header: Depth=1
                                        ;     Child Loop BB479_9 Depth 2
	s_lshl_b64 s[22:23], s[24:25], 3
	v_mov_b32_e32 v20, 0
	s_wait_alu 0xfffe
	s_add_nc_u64 s[30:31], s[26:27], s[22:23]
	v_mov_b32_e32 v14, 0
	global_load_b64 v[16:17], v3, s[30:31]
	v_dual_mov_b32 v21, 0 :: v_dual_mov_b32 v18, 0
	v_dual_mov_b32 v15, 0 :: v_dual_mov_b32 v12, 0
	v_mov_b32_e32 v19, 0
	v_mov_b32_e32 v13, 0
	s_and_not1_b32 vcc_lo, exec_lo, s37
	s_wait_alu 0xfffe
	s_cbranch_vccnz .LBB479_15
; %bb.7:                                ;   in Loop: Header=BB479_6 Depth=1
	s_add_nc_u64 s[30:31], s[12:13], s[22:23]
	s_add_nc_u64 s[22:23], s[18:19], s[22:23]
	s_clause 0x1
	global_load_b64 v[22:23], v3, s[30:31]
	global_load_b64 v[24:25], v3, s[22:23]
	v_mov_b32_e32 v12, 0
	v_dual_mov_b32 v18, 0 :: v_dual_mov_b32 v13, 0
	v_dual_mov_b32 v14, 0 :: v_dual_mov_b32 v19, 0
	;; [unrolled: 1-line block ×3, first 2 shown]
	v_mov_b32_e32 v21, 0
	s_mov_b64 s[22:23], 0
	s_wait_loadcnt 0x1
	v_add_co_u32 v2, vcc_lo, v22, s4
	s_wait_alu 0xfffd
	v_add_co_ci_u32_e64 v22, null, s5, v23, vcc_lo
	s_wait_loadcnt 0x0
	v_add_co_u32 v23, vcc_lo, v24, s2
	s_wait_alu 0xfffd
	v_add_co_ci_u32_e64 v24, null, s3, v25, vcc_lo
	v_add_co_u32 v33, vcc_lo, v2, v6
	s_wait_alu 0xfffd
	v_add_co_ci_u32_e64 v34, null, v22, v7, vcc_lo
	;; [unrolled: 3-line block ×3, first 2 shown]
	s_branch .LBB479_9
.LBB479_8:                              ;   in Loop: Header=BB479_9 Depth=2
	s_or_b32 exec_lo, exec_lo, s30
	s_wait_loadcnt_dscnt 0x0
	ds_store_b64 v29, v[24:25]
	s_wait_dscnt 0x0
	s_barrier_signal -1
	s_barrier_wait -1
	global_inv scope:SCOPE_SE
	ds_load_b128 v[22:25], v31
	ds_load_2addr_b64 v[37:40], v30 offset1:16
	ds_load_b128 v[41:44], v31 offset:1024
	ds_load_b128 v[45:48], v31 offset:16
	ds_load_b128 v[49:52], v31 offset:1040
	s_add_nc_u64 s[22:23], s[22:23], 8
	s_wait_alu 0xfffe
	v_cmp_gt_i64_e64 s30, s[8:9], s[22:23]
	s_and_b32 vcc_lo, exec_lo, s30
	s_wait_dscnt 0x3
	v_fma_f64 v[20:21], v[37:38], v[22:23], v[20:21]
	v_fma_f64 v[18:19], v[39:40], v[22:23], v[18:19]
	s_wait_dscnt 0x2
	v_fma_f64 v[22:23], v[37:38], v[41:42], v[14:15]
	v_fma_f64 v[37:38], v[39:40], v[41:42], v[12:13]
	ds_load_2addr_b64 v[12:15], v30 offset0:32 offset1:48
	s_wait_dscnt 0x0
	v_fma_f64 v[20:21], v[12:13], v[24:25], v[20:21]
	v_fma_f64 v[18:19], v[14:15], v[24:25], v[18:19]
	v_fma_f64 v[22:23], v[12:13], v[43:44], v[22:23]
	v_fma_f64 v[24:25], v[14:15], v[43:44], v[37:38]
	ds_load_2addr_b64 v[12:15], v30 offset0:64 offset1:80
	s_wait_dscnt 0x0
	v_fma_f64 v[20:21], v[12:13], v[45:46], v[20:21]
	v_fma_f64 v[18:19], v[14:15], v[45:46], v[18:19]
	;; [unrolled: 6-line block ×3, first 2 shown]
	v_fma_f64 v[49:50], v[12:13], v[51:52], v[22:23]
	v_fma_f64 v[51:52], v[14:15], v[51:52], v[24:25]
	ds_load_b128 v[12:15], v31 offset:32
	ds_load_2addr_b64 v[18:21], v30 offset0:128 offset1:144
	ds_load_b128 v[22:25], v31 offset:1056
	ds_load_b128 v[37:40], v31 offset:48
	;; [unrolled: 1-line block ×3, first 2 shown]
	s_wait_dscnt 0x3
	v_fma_f64 v[45:46], v[18:19], v[12:13], v[45:46]
	v_fma_f64 v[12:13], v[20:21], v[12:13], v[47:48]
	s_wait_dscnt 0x2
	v_fma_f64 v[47:48], v[18:19], v[22:23], v[49:50]
	v_fma_f64 v[22:23], v[20:21], v[22:23], v[51:52]
	ds_load_2addr_b64 v[18:21], v30 offset0:160 offset1:176
	s_wait_dscnt 0x0
	v_fma_f64 v[45:46], v[18:19], v[14:15], v[45:46]
	v_fma_f64 v[49:50], v[20:21], v[14:15], v[12:13]
	;; [unrolled: 1-line block ×4, first 2 shown]
	ds_load_2addr_b64 v[12:15], v30 offset0:192 offset1:208
	ds_load_2addr_b64 v[22:25], v30 offset0:224 offset1:240
	s_wait_loadcnt_dscnt 0x0
	s_barrier_signal -1
	s_barrier_wait -1
	global_inv scope:SCOPE_SE
	v_fma_f64 v[45:46], v[12:13], v[37:38], v[45:46]
	v_fma_f64 v[37:38], v[14:15], v[37:38], v[49:50]
	;; [unrolled: 1-line block ×4, first 2 shown]
	s_delay_alu instid0(VALU_DEP_4) | instskip(NEXT) | instid1(VALU_DEP_4)
	v_fma_f64 v[20:21], v[22:23], v[39:40], v[45:46]
	v_fma_f64 v[18:19], v[24:25], v[39:40], v[37:38]
	s_delay_alu instid0(VALU_DEP_4) | instskip(NEXT) | instid1(VALU_DEP_4)
	v_fma_f64 v[14:15], v[22:23], v[43:44], v[12:13]
	v_fma_f64 v[12:13], v[24:25], v[43:44], v[41:42]
	s_wait_alu 0xfffe
	s_cbranch_vccz .LBB479_15
.LBB479_9:                              ;   Parent Loop BB479_6 Depth=1
                                        ; =>  This Inner Loop Header: Depth=2
	v_mov_b32_e32 v22, 0
	v_mov_b32_e32 v23, 0
	s_and_saveexec_b32 s30, s0
	s_cbranch_execz .LBB479_13
; %bb.10:                               ;   in Loop: Header=BB479_9 Depth=2
	v_mov_b32_e32 v22, 0
	s_wait_alu 0xfffe
	v_dual_mov_b32 v23, 0 :: v_dual_add_nc_u32 v2, s22, v27
	s_mov_b32 s31, exec_lo
	s_delay_alu instid0(VALU_DEP_1)
	v_cmpx_gt_u64_e64 s[8:9], v[2:3]
	s_cbranch_execz .LBB479_12
; %bb.11:                               ;   in Loop: Header=BB479_9 Depth=2
	v_mad_co_u64_u32 v[22:23], null, s14, v2, 0
	s_delay_alu instid0(VALU_DEP_1) | instskip(NEXT) | instid1(VALU_DEP_1)
	v_mad_co_u64_u32 v[23:24], null, s15, v2, v[23:24]
	v_lshlrev_b64_e32 v[22:23], 3, v[22:23]
	s_delay_alu instid0(VALU_DEP_1) | instskip(SKIP_1) | instid1(VALU_DEP_2)
	v_add_co_u32 v22, vcc_lo, v33, v22
	s_wait_alu 0xfffd
	v_add_co_ci_u32_e64 v23, null, v34, v23, vcc_lo
	flat_load_b64 v[22:23], v[22:23]
.LBB479_12:                             ;   in Loop: Header=BB479_9 Depth=2
	s_or_b32 exec_lo, exec_lo, s31
.LBB479_13:                             ;   in Loop: Header=BB479_9 Depth=2
	s_delay_alu instid0(SALU_CYCLE_1)
	s_or_b32 exec_lo, exec_lo, s30
	s_wait_alu 0xfffe
	v_add_nc_u32_e32 v2, s22, v26
	v_mov_b32_e32 v24, 0
	v_mov_b32_e32 v25, 0
	s_wait_loadcnt_dscnt 0x0
	ds_store_b64 v28, v[22:23]
	v_cmp_gt_u64_e32 vcc_lo, s[8:9], v[2:3]
	s_and_b32 s31, vcc_lo, s1
	s_delay_alu instid0(SALU_CYCLE_1)
	s_and_saveexec_b32 s30, s31
	s_cbranch_execz .LBB479_8
; %bb.14:                               ;   in Loop: Header=BB479_9 Depth=2
	v_mad_co_u64_u32 v[22:23], null, s20, v2, 0
	s_delay_alu instid0(VALU_DEP_1) | instskip(NEXT) | instid1(VALU_DEP_1)
	v_mad_co_u64_u32 v[23:24], null, s21, v2, v[23:24]
	v_lshlrev_b64_e32 v[22:23], 3, v[22:23]
	s_delay_alu instid0(VALU_DEP_1) | instskip(SKIP_1) | instid1(VALU_DEP_2)
	v_add_co_u32 v22, vcc_lo, v35, v22
	s_wait_alu 0xfffd
	v_add_co_ci_u32_e64 v23, null, v36, v23, vcc_lo
	flat_load_b64 v[24:25], v[22:23]
	s_branch .LBB479_8
.LBB479_15:                             ;   in Loop: Header=BB479_6 Depth=1
	s_wait_loadcnt 0x0
	v_add_co_u32 v2, vcc_lo, v16, s16
	s_wait_alu 0xfffd
	v_add_co_ci_u32_e64 v22, null, s17, v17, vcc_lo
	s_delay_alu instid0(VALU_DEP_2) | instskip(SKIP_1) | instid1(VALU_DEP_2)
	v_add_co_u32 v23, vcc_lo, v2, v8
	s_wait_alu 0xfffd
	v_add_co_ci_u32_e64 v24, null, v22, v9, vcc_lo
	s_wait_alu 0xfffe
	s_and_saveexec_b32 s22, s28
	s_cbranch_execz .LBB479_19
; %bb.16:                               ;   in Loop: Header=BB479_6 Depth=1
	v_mul_f64_e32 v[16:17], s[10:11], v[20:21]
	s_and_b32 vcc_lo, exec_lo, s34
	s_wait_alu 0xfffe
	s_cbranch_vccz .LBB479_30
; %bb.17:                               ;   in Loop: Header=BB479_6 Depth=1
	v_lshlrev_b64_e32 v[20:21], 3, v[0:1]
	s_delay_alu instid0(VALU_DEP_1) | instskip(SKIP_1) | instid1(VALU_DEP_2)
	v_add_co_u32 v20, vcc_lo, v23, v20
	s_wait_alu 0xfffd
	v_add_co_ci_u32_e64 v21, null, v24, v21, vcc_lo
	flat_load_b64 v[33:34], v[20:21]
	s_wait_loadcnt_dscnt 0x0
	v_fma_f64 v[33:34], s[6:7], v[33:34], v[16:17]
	flat_store_b64 v[20:21], v[33:34]
	s_cbranch_execnz .LBB479_19
.LBB479_18:                             ;   in Loop: Header=BB479_6 Depth=1
	v_lshlrev_b64_e32 v[20:21], 3, v[0:1]
	s_delay_alu instid0(VALU_DEP_1) | instskip(SKIP_1) | instid1(VALU_DEP_2)
	v_add_co_u32 v20, vcc_lo, v23, v20
	s_wait_alu 0xfffd
	v_add_co_ci_u32_e64 v21, null, v24, v21, vcc_lo
	flat_store_b64 v[20:21], v[16:17]
.LBB479_19:                             ;   in Loop: Header=BB479_6 Depth=1
	s_wait_alu 0xfffe
	s_or_b32 exec_lo, exec_lo, s22
	s_and_saveexec_b32 s22, s29
	s_cbranch_execz .LBB479_23
; %bb.20:                               ;   in Loop: Header=BB479_6 Depth=1
	v_mul_f64_e32 v[16:17], s[10:11], v[18:19]
	s_and_not1_b32 vcc_lo, exec_lo, s34
	s_wait_alu 0xfffe
	s_cbranch_vccnz .LBB479_31
; %bb.21:                               ;   in Loop: Header=BB479_6 Depth=1
	v_lshlrev_b64_e32 v[18:19], 3, v[4:5]
	s_delay_alu instid0(VALU_DEP_1) | instskip(SKIP_1) | instid1(VALU_DEP_2)
	v_add_co_u32 v18, vcc_lo, v23, v18
	s_wait_alu 0xfffd
	v_add_co_ci_u32_e64 v19, null, v24, v19, vcc_lo
	flat_load_b64 v[20:21], v[18:19]
	s_wait_loadcnt_dscnt 0x0
	v_fma_f64 v[20:21], s[6:7], v[20:21], v[16:17]
	flat_store_b64 v[18:19], v[20:21]
	s_cbranch_execnz .LBB479_23
.LBB479_22:                             ;   in Loop: Header=BB479_6 Depth=1
	v_lshlrev_b64_e32 v[18:19], 3, v[4:5]
	s_delay_alu instid0(VALU_DEP_1) | instskip(SKIP_1) | instid1(VALU_DEP_2)
	v_add_co_u32 v18, vcc_lo, v23, v18
	s_wait_alu 0xfffd
	v_add_co_ci_u32_e64 v19, null, v24, v19, vcc_lo
	flat_store_b64 v[18:19], v[16:17]
.LBB479_23:                             ;   in Loop: Header=BB479_6 Depth=1
	s_wait_alu 0xfffe
	s_or_b32 exec_lo, exec_lo, s22
	v_add_co_u32 v2, vcc_lo, v2, v10
	s_wait_alu 0xfffd
	v_add_co_ci_u32_e64 v18, null, v22, v11, vcc_lo
	s_and_saveexec_b32 s22, s35
	s_cbranch_execz .LBB479_27
; %bb.24:                               ;   in Loop: Header=BB479_6 Depth=1
	v_mul_f64_e32 v[14:15], s[10:11], v[14:15]
	v_lshlrev_b64_e32 v[16:17], 3, v[0:1]
	s_and_not1_b32 vcc_lo, exec_lo, s34
	s_wait_alu 0xfffe
	s_cbranch_vccnz .LBB479_32
; %bb.25:                               ;   in Loop: Header=BB479_6 Depth=1
	s_delay_alu instid0(VALU_DEP_1)
	v_add_co_u32 v19, vcc_lo, v2, v16
	s_wait_alu 0xfffd
	v_add_co_ci_u32_e64 v20, null, v18, v17, vcc_lo
	flat_load_b64 v[21:22], v[19:20]
	s_wait_loadcnt_dscnt 0x0
	v_fma_f64 v[21:22], s[6:7], v[21:22], v[14:15]
	flat_store_b64 v[19:20], v[21:22]
	s_cbranch_execnz .LBB479_27
.LBB479_26:                             ;   in Loop: Header=BB479_6 Depth=1
	s_delay_alu instid0(VALU_DEP_1)
	v_add_co_u32 v16, vcc_lo, v2, v16
	s_wait_alu 0xfffd
	v_add_co_ci_u32_e64 v17, null, v18, v17, vcc_lo
	flat_store_b64 v[16:17], v[14:15]
.LBB479_27:                             ;   in Loop: Header=BB479_6 Depth=1
	s_wait_alu 0xfffe
	s_or_b32 exec_lo, exec_lo, s22
	s_and_saveexec_b32 s22, s36
	s_cbranch_execz .LBB479_5
; %bb.28:                               ;   in Loop: Header=BB479_6 Depth=1
	v_mul_f64_e32 v[12:13], s[10:11], v[12:13]
	v_lshlrev_b64_e32 v[14:15], 3, v[4:5]
	s_and_not1_b32 vcc_lo, exec_lo, s34
	s_wait_alu 0xfffe
	s_cbranch_vccnz .LBB479_33
; %bb.29:                               ;   in Loop: Header=BB479_6 Depth=1
	s_delay_alu instid0(VALU_DEP_1)
	v_add_co_u32 v16, vcc_lo, v2, v14
	s_wait_alu 0xfffd
	v_add_co_ci_u32_e64 v17, null, v18, v15, vcc_lo
	flat_load_b64 v[19:20], v[16:17]
	s_wait_loadcnt_dscnt 0x0
	v_fma_f64 v[19:20], s[6:7], v[19:20], v[12:13]
	flat_store_b64 v[16:17], v[19:20]
	s_cbranch_execnz .LBB479_5
	s_branch .LBB479_34
.LBB479_30:                             ;   in Loop: Header=BB479_6 Depth=1
	s_branch .LBB479_18
.LBB479_31:                             ;   in Loop: Header=BB479_6 Depth=1
	s_branch .LBB479_22
.LBB479_32:                             ;   in Loop: Header=BB479_6 Depth=1
	s_branch .LBB479_26
.LBB479_33:                             ;   in Loop: Header=BB479_6 Depth=1
.LBB479_34:                             ;   in Loop: Header=BB479_6 Depth=1
	s_delay_alu instid0(VALU_DEP_1)
	v_add_co_u32 v14, vcc_lo, v2, v14
	s_wait_alu 0xfffd
	v_add_co_ci_u32_e64 v15, null, v18, v15, vcc_lo
	flat_store_b64 v[14:15], v[12:13]
	s_branch .LBB479_5
.LBB479_35:
	s_endpgm
	.section	.rodata,"a",@progbits
	.p2align	6, 0x0
	.amdhsa_kernel _ZL29rocblas_internal_gemmt_kernelIlLi16ELi32ELi8ELc78ELc67ELc76ELb0ELb0EdPKdPKS1_PKPdEviT_T9_T10_S7_lS9_S7_lS8_T11_S7_li
		.amdhsa_group_segment_fixed_size 4096
		.amdhsa_private_segment_fixed_size 0
		.amdhsa_kernarg_size 108
		.amdhsa_user_sgpr_count 2
		.amdhsa_user_sgpr_dispatch_ptr 0
		.amdhsa_user_sgpr_queue_ptr 0
		.amdhsa_user_sgpr_kernarg_segment_ptr 1
		.amdhsa_user_sgpr_dispatch_id 0
		.amdhsa_user_sgpr_private_segment_size 0
		.amdhsa_wavefront_size32 1
		.amdhsa_uses_dynamic_stack 0
		.amdhsa_enable_private_segment 0
		.amdhsa_system_sgpr_workgroup_id_x 1
		.amdhsa_system_sgpr_workgroup_id_y 1
		.amdhsa_system_sgpr_workgroup_id_z 1
		.amdhsa_system_sgpr_workgroup_info 0
		.amdhsa_system_vgpr_workitem_id 1
		.amdhsa_next_free_vgpr 53
		.amdhsa_next_free_sgpr 39
		.amdhsa_reserve_vcc 1
		.amdhsa_float_round_mode_32 0
		.amdhsa_float_round_mode_16_64 0
		.amdhsa_float_denorm_mode_32 3
		.amdhsa_float_denorm_mode_16_64 3
		.amdhsa_fp16_overflow 0
		.amdhsa_workgroup_processor_mode 1
		.amdhsa_memory_ordered 1
		.amdhsa_forward_progress 1
		.amdhsa_inst_pref_size 17
		.amdhsa_round_robin_scheduling 0
		.amdhsa_exception_fp_ieee_invalid_op 0
		.amdhsa_exception_fp_denorm_src 0
		.amdhsa_exception_fp_ieee_div_zero 0
		.amdhsa_exception_fp_ieee_overflow 0
		.amdhsa_exception_fp_ieee_underflow 0
		.amdhsa_exception_fp_ieee_inexact 0
		.amdhsa_exception_int_div_zero 0
	.end_amdhsa_kernel
	.section	.text._ZL29rocblas_internal_gemmt_kernelIlLi16ELi32ELi8ELc78ELc67ELc76ELb0ELb0EdPKdPKS1_PKPdEviT_T9_T10_S7_lS9_S7_lS8_T11_S7_li,"axG",@progbits,_ZL29rocblas_internal_gemmt_kernelIlLi16ELi32ELi8ELc78ELc67ELc76ELb0ELb0EdPKdPKS1_PKPdEviT_T9_T10_S7_lS9_S7_lS8_T11_S7_li,comdat
.Lfunc_end479:
	.size	_ZL29rocblas_internal_gemmt_kernelIlLi16ELi32ELi8ELc78ELc67ELc76ELb0ELb0EdPKdPKS1_PKPdEviT_T9_T10_S7_lS9_S7_lS8_T11_S7_li, .Lfunc_end479-_ZL29rocblas_internal_gemmt_kernelIlLi16ELi32ELi8ELc78ELc67ELc76ELb0ELb0EdPKdPKS1_PKPdEviT_T9_T10_S7_lS9_S7_lS8_T11_S7_li
                                        ; -- End function
	.set _ZL29rocblas_internal_gemmt_kernelIlLi16ELi32ELi8ELc78ELc67ELc76ELb0ELb0EdPKdPKS1_PKPdEviT_T9_T10_S7_lS9_S7_lS8_T11_S7_li.num_vgpr, 53
	.set _ZL29rocblas_internal_gemmt_kernelIlLi16ELi32ELi8ELc78ELc67ELc76ELb0ELb0EdPKdPKS1_PKPdEviT_T9_T10_S7_lS9_S7_lS8_T11_S7_li.num_agpr, 0
	.set _ZL29rocblas_internal_gemmt_kernelIlLi16ELi32ELi8ELc78ELc67ELc76ELb0ELb0EdPKdPKS1_PKPdEviT_T9_T10_S7_lS9_S7_lS8_T11_S7_li.numbered_sgpr, 39
	.set _ZL29rocblas_internal_gemmt_kernelIlLi16ELi32ELi8ELc78ELc67ELc76ELb0ELb0EdPKdPKS1_PKPdEviT_T9_T10_S7_lS9_S7_lS8_T11_S7_li.num_named_barrier, 0
	.set _ZL29rocblas_internal_gemmt_kernelIlLi16ELi32ELi8ELc78ELc67ELc76ELb0ELb0EdPKdPKS1_PKPdEviT_T9_T10_S7_lS9_S7_lS8_T11_S7_li.private_seg_size, 0
	.set _ZL29rocblas_internal_gemmt_kernelIlLi16ELi32ELi8ELc78ELc67ELc76ELb0ELb0EdPKdPKS1_PKPdEviT_T9_T10_S7_lS9_S7_lS8_T11_S7_li.uses_vcc, 1
	.set _ZL29rocblas_internal_gemmt_kernelIlLi16ELi32ELi8ELc78ELc67ELc76ELb0ELb0EdPKdPKS1_PKPdEviT_T9_T10_S7_lS9_S7_lS8_T11_S7_li.uses_flat_scratch, 0
	.set _ZL29rocblas_internal_gemmt_kernelIlLi16ELi32ELi8ELc78ELc67ELc76ELb0ELb0EdPKdPKS1_PKPdEviT_T9_T10_S7_lS9_S7_lS8_T11_S7_li.has_dyn_sized_stack, 0
	.set _ZL29rocblas_internal_gemmt_kernelIlLi16ELi32ELi8ELc78ELc67ELc76ELb0ELb0EdPKdPKS1_PKPdEviT_T9_T10_S7_lS9_S7_lS8_T11_S7_li.has_recursion, 0
	.set _ZL29rocblas_internal_gemmt_kernelIlLi16ELi32ELi8ELc78ELc67ELc76ELb0ELb0EdPKdPKS1_PKPdEviT_T9_T10_S7_lS9_S7_lS8_T11_S7_li.has_indirect_call, 0
	.section	.AMDGPU.csdata,"",@progbits
; Kernel info:
; codeLenInByte = 2116
; TotalNumSgprs: 41
; NumVgprs: 53
; ScratchSize: 0
; MemoryBound: 0
; FloatMode: 240
; IeeeMode: 1
; LDSByteSize: 4096 bytes/workgroup (compile time only)
; SGPRBlocks: 0
; VGPRBlocks: 6
; NumSGPRsForWavesPerEU: 41
; NumVGPRsForWavesPerEU: 53
; Occupancy: 16
; WaveLimiterHint : 1
; COMPUTE_PGM_RSRC2:SCRATCH_EN: 0
; COMPUTE_PGM_RSRC2:USER_SGPR: 2
; COMPUTE_PGM_RSRC2:TRAP_HANDLER: 0
; COMPUTE_PGM_RSRC2:TGID_X_EN: 1
; COMPUTE_PGM_RSRC2:TGID_Y_EN: 1
; COMPUTE_PGM_RSRC2:TGID_Z_EN: 1
; COMPUTE_PGM_RSRC2:TIDIG_COMP_CNT: 1
	.section	.text._ZL29rocblas_internal_gemmt_kernelIlLi16ELi32ELi8ELc84ELc78ELc76ELb0ELb0EdPKdPKS1_PKPdEviT_T9_T10_S7_lS9_S7_lS8_T11_S7_li,"axG",@progbits,_ZL29rocblas_internal_gemmt_kernelIlLi16ELi32ELi8ELc84ELc78ELc76ELb0ELb0EdPKdPKS1_PKPdEviT_T9_T10_S7_lS9_S7_lS8_T11_S7_li,comdat
	.globl	_ZL29rocblas_internal_gemmt_kernelIlLi16ELi32ELi8ELc84ELc78ELc76ELb0ELb0EdPKdPKS1_PKPdEviT_T9_T10_S7_lS9_S7_lS8_T11_S7_li ; -- Begin function _ZL29rocblas_internal_gemmt_kernelIlLi16ELi32ELi8ELc84ELc78ELc76ELb0ELb0EdPKdPKS1_PKPdEviT_T9_T10_S7_lS9_S7_lS8_T11_S7_li
	.p2align	8
	.type	_ZL29rocblas_internal_gemmt_kernelIlLi16ELi32ELi8ELc84ELc78ELc76ELb0ELb0EdPKdPKS1_PKPdEviT_T9_T10_S7_lS9_S7_lS8_T11_S7_li,@function
_ZL29rocblas_internal_gemmt_kernelIlLi16ELi32ELi8ELc84ELc78ELc76ELb0ELb0EdPKdPKS1_PKPdEviT_T9_T10_S7_lS9_S7_lS8_T11_S7_li: ; @_ZL29rocblas_internal_gemmt_kernelIlLi16ELi32ELi8ELc84ELc78ELc76ELb0ELb0EdPKdPKS1_PKPdEviT_T9_T10_S7_lS9_S7_lS8_T11_S7_li
; %bb.0:
	s_clause 0x1
	s_load_b256 s[24:31], s[0:1], 0x48
	s_load_b512 s[8:23], s[0:1], 0x8
	s_wait_kmcnt 0x0
	s_load_b64 s[6:7], s[24:25], 0x0
	s_load_b64 s[10:11], s[10:11], 0x0
	s_wait_kmcnt 0x0
	v_cmp_neq_f64_e64 s2, s[6:7], 1.0
	s_and_b32 vcc_lo, exec_lo, s2
	s_cbranch_vccnz .LBB480_2
; %bb.1:
	v_cmp_neq_f64_e64 s2, s[10:11], 0
	s_cmp_lg_u64 s[8:9], 0
	s_cselect_b32 s3, -1, 0
	s_delay_alu instid0(SALU_CYCLE_1)
	s_and_b32 s2, s3, s2
.LBB480_2:
	s_delay_alu instid0(SALU_CYCLE_1)
	s_and_not1_b32 vcc_lo, exec_lo, s2
	s_cbranch_vccnz .LBB480_35
; %bb.3:
	s_load_b32 s33, s[0:1], 0x68
	s_lshr_b32 s24, ttmp7, 16
	s_wait_kmcnt 0x0
	s_cmp_ge_u32 s24, s33
	s_cbranch_scc1 .LBB480_35
; %bb.4:
	v_and_b32_e32 v5, 0x3ff, v0
	v_bfe_u32 v14, v0, 10, 10
	s_load_b32 s4, s[0:1], 0x0
	s_lshl_b32 s0, ttmp7, 5
	s_lshl_b32 s2, ttmp9, 5
	s_and_b32 s0, s0, 0x1fffe0
	v_lshl_add_u32 v1, v14, 4, v5
	v_add_nc_u32_e32 v15, s0, v14
	s_ashr_i32 s1, s2, 31
	v_cmp_neq_f64_e64 s35, s[10:11], 0
	s_wait_alu 0xfffe
	s_mul_i32 s1, s14, s1
	v_lshrrev_b32_e32 v2, 3, v1
	v_mad_co_u64_u32 v[10:11], null, s28, v15, 0
	v_and_b32_e32 v28, 7, v0
	v_and_b32_e32 v0, 31, v1
	s_delay_alu instid0(VALU_DEP_4)
	v_add_nc_u32_e32 v4, s0, v2
	v_add_nc_u32_e32 v16, 16, v15
	v_lshrrev_b32_e32 v29, 5, v1
	v_cmp_gt_i64_e64 s36, s[8:9], 0
	v_or_b32_e32 v3, s2, v0
	v_mad_co_u64_u32 v[8:9], null, s20, v4, 0
	v_mad_co_u64_u32 v[12:13], null, s28, v16, 0
	s_delay_alu instid0(VALU_DEP_3)
	v_mul_lo_u32 v1, s15, v3
	v_mad_co_u64_u32 v[6:7], null, s14, v3, 0
	v_lshlrev_b32_e32 v0, 3, v0
	v_cmp_neq_f64_e64 s20, s[6:7], 0
	s_wait_kmcnt 0x0
	v_cmp_gt_i32_e64 s0, s4, v3
	v_lshl_add_u32 v33, v14, 6, 0x800
	s_mov_b32 s25, 0
	v_lshl_or_b32 v30, v29, 8, v0
	s_wait_alu 0xfffe
	v_add3_u32 v7, v7, s1, v1
	v_dual_mov_b32 v0, v9 :: v_dual_mov_b32 v1, v11
	v_lshlrev_b32_e32 v3, 3, v28
	v_cmp_gt_i32_e64 s1, s4, v4
	v_lshlrev_b32_e32 v32, 3, v5
	v_lshlrev_b64_e32 v[6:7], 3, v[6:7]
	s_lshl_b64 s[14:15], s[30:31], 3
	v_lshl_or_b32 v9, v2, 6, v3
	v_mad_co_u64_u32 v[2:3], null, s21, v4, v[0:1]
	v_add_nc_u32_e32 v0, s2, v5
	s_delay_alu instid0(VALU_DEP_3) | instskip(SKIP_1) | instid1(VALU_DEP_3)
	v_add_nc_u32_e32 v31, 0x800, v9
	s_and_b32 s35, s35, s36
	v_mad_co_u64_u32 v[3:4], null, s29, v15, v[1:2]
	s_delay_alu instid0(VALU_DEP_3) | instskip(SKIP_1) | instid1(VALU_DEP_2)
	v_dual_mov_b32 v9, v2 :: v_dual_add_nc_u32 v2, 16, v0
	v_mov_b32_e32 v1, v13
	v_lshlrev_b64_e32 v[8:9], 3, v[8:9]
	s_delay_alu instid0(VALU_DEP_4) | instskip(NEXT) | instid1(VALU_DEP_3)
	v_mov_b32_e32 v11, v3
	v_mad_co_u64_u32 v[4:5], null, s29, v16, v[1:2]
	v_mov_b32_e32 v5, 0
	v_cmp_le_i32_e32 vcc_lo, v15, v0
	v_cmp_gt_i32_e64 s2, s4, v0
	v_cmp_le_i32_e64 s3, v15, v2
	v_cmp_gt_i32_e64 s4, s4, v2
	v_lshlrev_b64_e32 v[10:11], 3, v[10:11]
	v_mov_b32_e32 v13, v4
	s_and_b32 s21, vcc_lo, s2
	v_cmp_le_i32_e32 vcc_lo, v16, v0
	v_cmp_le_i32_e64 s5, v16, v2
	v_ashrrev_i32_e32 v1, 31, v0
	v_lshlrev_b64_e32 v[12:13], 3, v[12:13]
	v_ashrrev_i32_e32 v3, 31, v2
	s_and_b32 s28, s3, s4
	s_and_b32 s29, vcc_lo, s2
	s_and_b32 s34, s5, s4
	s_lshl_b64 s[2:3], s[22:23], 3
	s_lshl_b64 s[4:5], s[16:17], 3
	s_branch .LBB480_6
.LBB480_5:                              ;   in Loop: Header=BB480_6 Depth=1
	s_wait_alu 0xfffe
	s_or_b32 exec_lo, exec_lo, s16
	s_add_co_i32 s24, s24, 0x10000
	s_delay_alu instid0(SALU_CYCLE_1)
	s_cmp_lt_u32 s24, s33
	s_cbranch_scc0 .LBB480_35
.LBB480_6:                              ; =>This Loop Header: Depth=1
                                        ;     Child Loop BB480_9 Depth 2
	s_lshl_b64 s[16:17], s[24:25], 3
	v_mov_b32_e32 v22, 0
	s_wait_alu 0xfffe
	s_add_nc_u64 s[22:23], s[26:27], s[16:17]
	v_mov_b32_e32 v16, 0
	global_load_b64 v[18:19], v5, s[22:23]
	v_dual_mov_b32 v23, 0 :: v_dual_mov_b32 v20, 0
	v_dual_mov_b32 v17, 0 :: v_dual_mov_b32 v14, 0
	v_mov_b32_e32 v21, 0
	v_mov_b32_e32 v15, 0
	s_and_not1_b32 vcc_lo, exec_lo, s35
	s_wait_alu 0xfffe
	s_cbranch_vccnz .LBB480_15
; %bb.7:                                ;   in Loop: Header=BB480_6 Depth=1
	s_add_nc_u64 s[22:23], s[12:13], s[16:17]
	s_add_nc_u64 s[16:17], s[18:19], s[16:17]
	s_clause 0x1
	global_load_b64 v[24:25], v5, s[22:23]
	global_load_b64 v[26:27], v5, s[16:17]
	v_mov_b32_e32 v14, 0
	v_dual_mov_b32 v20, 0 :: v_dual_mov_b32 v15, 0
	v_dual_mov_b32 v16, 0 :: v_dual_mov_b32 v21, 0
	;; [unrolled: 1-line block ×3, first 2 shown]
	v_mov_b32_e32 v23, 0
	s_mov_b64 s[16:17], 0
	s_wait_loadcnt 0x1
	v_add_co_u32 v4, vcc_lo, v24, s4
	s_wait_alu 0xfffd
	v_add_co_ci_u32_e64 v24, null, s5, v25, vcc_lo
	s_wait_loadcnt 0x0
	v_add_co_u32 v25, vcc_lo, v26, s2
	s_wait_alu 0xfffd
	v_add_co_ci_u32_e64 v26, null, s3, v27, vcc_lo
	v_add_co_u32 v34, vcc_lo, v4, v6
	s_wait_alu 0xfffd
	v_add_co_ci_u32_e64 v35, null, v24, v7, vcc_lo
	;; [unrolled: 3-line block ×3, first 2 shown]
	s_branch .LBB480_9
.LBB480_8:                              ;   in Loop: Header=BB480_9 Depth=2
	s_or_b32 exec_lo, exec_lo, s22
	s_wait_loadcnt_dscnt 0x0
	ds_store_b64 v31, v[26:27]
	s_wait_dscnt 0x0
	s_barrier_signal -1
	s_barrier_wait -1
	global_inv scope:SCOPE_SE
	ds_load_b128 v[24:27], v33
	ds_load_2addr_b64 v[38:41], v32 offset1:16
	ds_load_b128 v[42:45], v33 offset:1024
	ds_load_b128 v[46:49], v33 offset:16
	;; [unrolled: 1-line block ×3, first 2 shown]
	s_add_nc_u64 s[16:17], s[16:17], 8
	s_wait_alu 0xfffe
	v_cmp_gt_i64_e64 s22, s[8:9], s[16:17]
	s_and_b32 vcc_lo, exec_lo, s22
	s_wait_dscnt 0x3
	v_fma_f64 v[22:23], v[38:39], v[24:25], v[22:23]
	v_fma_f64 v[20:21], v[40:41], v[24:25], v[20:21]
	s_wait_dscnt 0x2
	v_fma_f64 v[24:25], v[38:39], v[42:43], v[16:17]
	v_fma_f64 v[38:39], v[40:41], v[42:43], v[14:15]
	ds_load_2addr_b64 v[14:17], v32 offset0:32 offset1:48
	s_wait_dscnt 0x0
	v_fma_f64 v[22:23], v[14:15], v[26:27], v[22:23]
	v_fma_f64 v[20:21], v[16:17], v[26:27], v[20:21]
	v_fma_f64 v[24:25], v[14:15], v[44:45], v[24:25]
	v_fma_f64 v[26:27], v[16:17], v[44:45], v[38:39]
	ds_load_2addr_b64 v[14:17], v32 offset0:64 offset1:80
	s_wait_dscnt 0x0
	v_fma_f64 v[22:23], v[14:15], v[46:47], v[22:23]
	v_fma_f64 v[20:21], v[16:17], v[46:47], v[20:21]
	;; [unrolled: 6-line block ×3, first 2 shown]
	v_fma_f64 v[50:51], v[14:15], v[52:53], v[24:25]
	v_fma_f64 v[52:53], v[16:17], v[52:53], v[26:27]
	ds_load_b128 v[14:17], v33 offset:32
	ds_load_2addr_b64 v[20:23], v32 offset0:128 offset1:144
	ds_load_b128 v[24:27], v33 offset:1056
	ds_load_b128 v[38:41], v33 offset:48
	;; [unrolled: 1-line block ×3, first 2 shown]
	s_wait_dscnt 0x3
	v_fma_f64 v[46:47], v[20:21], v[14:15], v[46:47]
	v_fma_f64 v[14:15], v[22:23], v[14:15], v[48:49]
	s_wait_dscnt 0x2
	v_fma_f64 v[48:49], v[20:21], v[24:25], v[50:51]
	v_fma_f64 v[24:25], v[22:23], v[24:25], v[52:53]
	ds_load_2addr_b64 v[20:23], v32 offset0:160 offset1:176
	s_wait_dscnt 0x0
	v_fma_f64 v[46:47], v[20:21], v[16:17], v[46:47]
	v_fma_f64 v[50:51], v[22:23], v[16:17], v[14:15]
	;; [unrolled: 1-line block ×4, first 2 shown]
	ds_load_2addr_b64 v[14:17], v32 offset0:192 offset1:208
	ds_load_2addr_b64 v[24:27], v32 offset0:224 offset1:240
	s_wait_loadcnt_dscnt 0x0
	s_barrier_signal -1
	s_barrier_wait -1
	global_inv scope:SCOPE_SE
	v_fma_f64 v[46:47], v[14:15], v[38:39], v[46:47]
	v_fma_f64 v[38:39], v[16:17], v[38:39], v[50:51]
	;; [unrolled: 1-line block ×4, first 2 shown]
	s_delay_alu instid0(VALU_DEP_4) | instskip(NEXT) | instid1(VALU_DEP_4)
	v_fma_f64 v[22:23], v[24:25], v[40:41], v[46:47]
	v_fma_f64 v[20:21], v[26:27], v[40:41], v[38:39]
	s_delay_alu instid0(VALU_DEP_4) | instskip(NEXT) | instid1(VALU_DEP_4)
	v_fma_f64 v[16:17], v[24:25], v[44:45], v[14:15]
	v_fma_f64 v[14:15], v[26:27], v[44:45], v[42:43]
	s_wait_alu 0xfffe
	s_cbranch_vccz .LBB480_15
.LBB480_9:                              ;   Parent Loop BB480_6 Depth=1
                                        ; =>  This Inner Loop Header: Depth=2
	v_mov_b32_e32 v24, 0
	v_mov_b32_e32 v25, 0
	s_and_saveexec_b32 s22, s0
	s_cbranch_execz .LBB480_13
; %bb.10:                               ;   in Loop: Header=BB480_9 Depth=2
	v_mov_b32_e32 v24, 0
	s_wait_alu 0xfffe
	v_dual_mov_b32 v25, 0 :: v_dual_add_nc_u32 v4, s16, v29
	s_mov_b32 s23, exec_lo
	s_delay_alu instid0(VALU_DEP_1)
	v_cmpx_gt_u64_e64 s[8:9], v[4:5]
	s_cbranch_execz .LBB480_12
; %bb.11:                               ;   in Loop: Header=BB480_9 Depth=2
	v_lshlrev_b64_e32 v[24:25], 3, v[4:5]
	s_delay_alu instid0(VALU_DEP_1) | instskip(SKIP_1) | instid1(VALU_DEP_2)
	v_add_co_u32 v24, vcc_lo, v34, v24
	s_wait_alu 0xfffd
	v_add_co_ci_u32_e64 v25, null, v35, v25, vcc_lo
	flat_load_b64 v[24:25], v[24:25]
.LBB480_12:                             ;   in Loop: Header=BB480_9 Depth=2
	s_or_b32 exec_lo, exec_lo, s23
.LBB480_13:                             ;   in Loop: Header=BB480_9 Depth=2
	s_delay_alu instid0(SALU_CYCLE_1)
	s_or_b32 exec_lo, exec_lo, s22
	s_wait_alu 0xfffe
	v_add_nc_u32_e32 v4, s16, v28
	v_mov_b32_e32 v26, 0
	v_mov_b32_e32 v27, 0
	s_wait_loadcnt_dscnt 0x0
	ds_store_b64 v30, v[24:25]
	v_cmp_gt_u64_e32 vcc_lo, s[8:9], v[4:5]
	s_and_b32 s23, vcc_lo, s1
	s_delay_alu instid0(SALU_CYCLE_1)
	s_and_saveexec_b32 s22, s23
	s_cbranch_execz .LBB480_8
; %bb.14:                               ;   in Loop: Header=BB480_9 Depth=2
	v_lshlrev_b64_e32 v[24:25], 3, v[4:5]
	s_delay_alu instid0(VALU_DEP_1) | instskip(SKIP_1) | instid1(VALU_DEP_2)
	v_add_co_u32 v24, vcc_lo, v36, v24
	s_wait_alu 0xfffd
	v_add_co_ci_u32_e64 v25, null, v37, v25, vcc_lo
	flat_load_b64 v[26:27], v[24:25]
	s_branch .LBB480_8
.LBB480_15:                             ;   in Loop: Header=BB480_6 Depth=1
	s_wait_loadcnt 0x0
	s_wait_alu 0xfffe
	v_add_co_u32 v4, vcc_lo, v18, s14
	s_wait_alu 0xfffd
	v_add_co_ci_u32_e64 v24, null, s15, v19, vcc_lo
	s_delay_alu instid0(VALU_DEP_2) | instskip(SKIP_1) | instid1(VALU_DEP_2)
	v_add_co_u32 v25, vcc_lo, v4, v10
	s_wait_alu 0xfffd
	v_add_co_ci_u32_e64 v26, null, v24, v11, vcc_lo
	s_and_saveexec_b32 s16, s21
	s_cbranch_execz .LBB480_19
; %bb.16:                               ;   in Loop: Header=BB480_6 Depth=1
	v_mul_f64_e32 v[18:19], s[10:11], v[22:23]
	s_and_b32 vcc_lo, exec_lo, s20
	s_wait_alu 0xfffe
	s_cbranch_vccz .LBB480_30
; %bb.17:                               ;   in Loop: Header=BB480_6 Depth=1
	v_lshlrev_b64_e32 v[22:23], 3, v[0:1]
	s_delay_alu instid0(VALU_DEP_1) | instskip(SKIP_1) | instid1(VALU_DEP_2)
	v_add_co_u32 v22, vcc_lo, v25, v22
	s_wait_alu 0xfffd
	v_add_co_ci_u32_e64 v23, null, v26, v23, vcc_lo
	flat_load_b64 v[34:35], v[22:23]
	s_wait_loadcnt_dscnt 0x0
	v_fma_f64 v[34:35], s[6:7], v[34:35], v[18:19]
	flat_store_b64 v[22:23], v[34:35]
	s_cbranch_execnz .LBB480_19
.LBB480_18:                             ;   in Loop: Header=BB480_6 Depth=1
	v_lshlrev_b64_e32 v[22:23], 3, v[0:1]
	s_delay_alu instid0(VALU_DEP_1) | instskip(SKIP_1) | instid1(VALU_DEP_2)
	v_add_co_u32 v22, vcc_lo, v25, v22
	s_wait_alu 0xfffd
	v_add_co_ci_u32_e64 v23, null, v26, v23, vcc_lo
	flat_store_b64 v[22:23], v[18:19]
.LBB480_19:                             ;   in Loop: Header=BB480_6 Depth=1
	s_wait_alu 0xfffe
	s_or_b32 exec_lo, exec_lo, s16
	s_and_saveexec_b32 s16, s28
	s_cbranch_execz .LBB480_23
; %bb.20:                               ;   in Loop: Header=BB480_6 Depth=1
	v_mul_f64_e32 v[18:19], s[10:11], v[20:21]
	s_and_not1_b32 vcc_lo, exec_lo, s20
	s_wait_alu 0xfffe
	s_cbranch_vccnz .LBB480_31
; %bb.21:                               ;   in Loop: Header=BB480_6 Depth=1
	v_lshlrev_b64_e32 v[20:21], 3, v[2:3]
	s_delay_alu instid0(VALU_DEP_1) | instskip(SKIP_1) | instid1(VALU_DEP_2)
	v_add_co_u32 v20, vcc_lo, v25, v20
	s_wait_alu 0xfffd
	v_add_co_ci_u32_e64 v21, null, v26, v21, vcc_lo
	flat_load_b64 v[22:23], v[20:21]
	s_wait_loadcnt_dscnt 0x0
	v_fma_f64 v[22:23], s[6:7], v[22:23], v[18:19]
	flat_store_b64 v[20:21], v[22:23]
	s_cbranch_execnz .LBB480_23
.LBB480_22:                             ;   in Loop: Header=BB480_6 Depth=1
	v_lshlrev_b64_e32 v[20:21], 3, v[2:3]
	s_delay_alu instid0(VALU_DEP_1) | instskip(SKIP_1) | instid1(VALU_DEP_2)
	v_add_co_u32 v20, vcc_lo, v25, v20
	s_wait_alu 0xfffd
	v_add_co_ci_u32_e64 v21, null, v26, v21, vcc_lo
	flat_store_b64 v[20:21], v[18:19]
.LBB480_23:                             ;   in Loop: Header=BB480_6 Depth=1
	s_wait_alu 0xfffe
	s_or_b32 exec_lo, exec_lo, s16
	v_add_co_u32 v4, vcc_lo, v4, v12
	s_wait_alu 0xfffd
	v_add_co_ci_u32_e64 v20, null, v24, v13, vcc_lo
	s_and_saveexec_b32 s16, s29
	s_cbranch_execz .LBB480_27
; %bb.24:                               ;   in Loop: Header=BB480_6 Depth=1
	v_mul_f64_e32 v[16:17], s[10:11], v[16:17]
	v_lshlrev_b64_e32 v[18:19], 3, v[0:1]
	s_and_not1_b32 vcc_lo, exec_lo, s20
	s_wait_alu 0xfffe
	s_cbranch_vccnz .LBB480_32
; %bb.25:                               ;   in Loop: Header=BB480_6 Depth=1
	s_delay_alu instid0(VALU_DEP_1)
	v_add_co_u32 v21, vcc_lo, v4, v18
	s_wait_alu 0xfffd
	v_add_co_ci_u32_e64 v22, null, v20, v19, vcc_lo
	flat_load_b64 v[23:24], v[21:22]
	s_wait_loadcnt_dscnt 0x0
	v_fma_f64 v[23:24], s[6:7], v[23:24], v[16:17]
	flat_store_b64 v[21:22], v[23:24]
	s_cbranch_execnz .LBB480_27
.LBB480_26:                             ;   in Loop: Header=BB480_6 Depth=1
	s_delay_alu instid0(VALU_DEP_1)
	v_add_co_u32 v18, vcc_lo, v4, v18
	s_wait_alu 0xfffd
	v_add_co_ci_u32_e64 v19, null, v20, v19, vcc_lo
	flat_store_b64 v[18:19], v[16:17]
.LBB480_27:                             ;   in Loop: Header=BB480_6 Depth=1
	s_wait_alu 0xfffe
	s_or_b32 exec_lo, exec_lo, s16
	s_and_saveexec_b32 s16, s34
	s_cbranch_execz .LBB480_5
; %bb.28:                               ;   in Loop: Header=BB480_6 Depth=1
	v_mul_f64_e32 v[14:15], s[10:11], v[14:15]
	v_lshlrev_b64_e32 v[16:17], 3, v[2:3]
	s_and_not1_b32 vcc_lo, exec_lo, s20
	s_wait_alu 0xfffe
	s_cbranch_vccnz .LBB480_33
; %bb.29:                               ;   in Loop: Header=BB480_6 Depth=1
	s_delay_alu instid0(VALU_DEP_1)
	v_add_co_u32 v18, vcc_lo, v4, v16
	s_wait_alu 0xfffd
	v_add_co_ci_u32_e64 v19, null, v20, v17, vcc_lo
	flat_load_b64 v[21:22], v[18:19]
	s_wait_loadcnt_dscnt 0x0
	v_fma_f64 v[21:22], s[6:7], v[21:22], v[14:15]
	flat_store_b64 v[18:19], v[21:22]
	s_cbranch_execnz .LBB480_5
	s_branch .LBB480_34
.LBB480_30:                             ;   in Loop: Header=BB480_6 Depth=1
	s_branch .LBB480_18
.LBB480_31:                             ;   in Loop: Header=BB480_6 Depth=1
	s_branch .LBB480_22
.LBB480_32:                             ;   in Loop: Header=BB480_6 Depth=1
	s_branch .LBB480_26
.LBB480_33:                             ;   in Loop: Header=BB480_6 Depth=1
.LBB480_34:                             ;   in Loop: Header=BB480_6 Depth=1
	s_delay_alu instid0(VALU_DEP_1)
	v_add_co_u32 v16, vcc_lo, v4, v16
	s_wait_alu 0xfffd
	v_add_co_ci_u32_e64 v17, null, v20, v17, vcc_lo
	flat_store_b64 v[16:17], v[14:15]
	s_branch .LBB480_5
.LBB480_35:
	s_endpgm
	.section	.rodata,"a",@progbits
	.p2align	6, 0x0
	.amdhsa_kernel _ZL29rocblas_internal_gemmt_kernelIlLi16ELi32ELi8ELc84ELc78ELc76ELb0ELb0EdPKdPKS1_PKPdEviT_T9_T10_S7_lS9_S7_lS8_T11_S7_li
		.amdhsa_group_segment_fixed_size 4096
		.amdhsa_private_segment_fixed_size 0
		.amdhsa_kernarg_size 108
		.amdhsa_user_sgpr_count 2
		.amdhsa_user_sgpr_dispatch_ptr 0
		.amdhsa_user_sgpr_queue_ptr 0
		.amdhsa_user_sgpr_kernarg_segment_ptr 1
		.amdhsa_user_sgpr_dispatch_id 0
		.amdhsa_user_sgpr_private_segment_size 0
		.amdhsa_wavefront_size32 1
		.amdhsa_uses_dynamic_stack 0
		.amdhsa_enable_private_segment 0
		.amdhsa_system_sgpr_workgroup_id_x 1
		.amdhsa_system_sgpr_workgroup_id_y 1
		.amdhsa_system_sgpr_workgroup_id_z 1
		.amdhsa_system_sgpr_workgroup_info 0
		.amdhsa_system_vgpr_workitem_id 1
		.amdhsa_next_free_vgpr 54
		.amdhsa_next_free_sgpr 37
		.amdhsa_reserve_vcc 1
		.amdhsa_float_round_mode_32 0
		.amdhsa_float_round_mode_16_64 0
		.amdhsa_float_denorm_mode_32 3
		.amdhsa_float_denorm_mode_16_64 3
		.amdhsa_fp16_overflow 0
		.amdhsa_workgroup_processor_mode 1
		.amdhsa_memory_ordered 1
		.amdhsa_forward_progress 1
		.amdhsa_inst_pref_size 17
		.amdhsa_round_robin_scheduling 0
		.amdhsa_exception_fp_ieee_invalid_op 0
		.amdhsa_exception_fp_denorm_src 0
		.amdhsa_exception_fp_ieee_div_zero 0
		.amdhsa_exception_fp_ieee_overflow 0
		.amdhsa_exception_fp_ieee_underflow 0
		.amdhsa_exception_fp_ieee_inexact 0
		.amdhsa_exception_int_div_zero 0
	.end_amdhsa_kernel
	.section	.text._ZL29rocblas_internal_gemmt_kernelIlLi16ELi32ELi8ELc84ELc78ELc76ELb0ELb0EdPKdPKS1_PKPdEviT_T9_T10_S7_lS9_S7_lS8_T11_S7_li,"axG",@progbits,_ZL29rocblas_internal_gemmt_kernelIlLi16ELi32ELi8ELc84ELc78ELc76ELb0ELb0EdPKdPKS1_PKPdEviT_T9_T10_S7_lS9_S7_lS8_T11_S7_li,comdat
.Lfunc_end480:
	.size	_ZL29rocblas_internal_gemmt_kernelIlLi16ELi32ELi8ELc84ELc78ELc76ELb0ELb0EdPKdPKS1_PKPdEviT_T9_T10_S7_lS9_S7_lS8_T11_S7_li, .Lfunc_end480-_ZL29rocblas_internal_gemmt_kernelIlLi16ELi32ELi8ELc84ELc78ELc76ELb0ELb0EdPKdPKS1_PKPdEviT_T9_T10_S7_lS9_S7_lS8_T11_S7_li
                                        ; -- End function
	.set _ZL29rocblas_internal_gemmt_kernelIlLi16ELi32ELi8ELc84ELc78ELc76ELb0ELb0EdPKdPKS1_PKPdEviT_T9_T10_S7_lS9_S7_lS8_T11_S7_li.num_vgpr, 54
	.set _ZL29rocblas_internal_gemmt_kernelIlLi16ELi32ELi8ELc84ELc78ELc76ELb0ELb0EdPKdPKS1_PKPdEviT_T9_T10_S7_lS9_S7_lS8_T11_S7_li.num_agpr, 0
	.set _ZL29rocblas_internal_gemmt_kernelIlLi16ELi32ELi8ELc84ELc78ELc76ELb0ELb0EdPKdPKS1_PKPdEviT_T9_T10_S7_lS9_S7_lS8_T11_S7_li.numbered_sgpr, 37
	.set _ZL29rocblas_internal_gemmt_kernelIlLi16ELi32ELi8ELc84ELc78ELc76ELb0ELb0EdPKdPKS1_PKPdEviT_T9_T10_S7_lS9_S7_lS8_T11_S7_li.num_named_barrier, 0
	.set _ZL29rocblas_internal_gemmt_kernelIlLi16ELi32ELi8ELc84ELc78ELc76ELb0ELb0EdPKdPKS1_PKPdEviT_T9_T10_S7_lS9_S7_lS8_T11_S7_li.private_seg_size, 0
	.set _ZL29rocblas_internal_gemmt_kernelIlLi16ELi32ELi8ELc84ELc78ELc76ELb0ELb0EdPKdPKS1_PKPdEviT_T9_T10_S7_lS9_S7_lS8_T11_S7_li.uses_vcc, 1
	.set _ZL29rocblas_internal_gemmt_kernelIlLi16ELi32ELi8ELc84ELc78ELc76ELb0ELb0EdPKdPKS1_PKPdEviT_T9_T10_S7_lS9_S7_lS8_T11_S7_li.uses_flat_scratch, 0
	.set _ZL29rocblas_internal_gemmt_kernelIlLi16ELi32ELi8ELc84ELc78ELc76ELb0ELb0EdPKdPKS1_PKPdEviT_T9_T10_S7_lS9_S7_lS8_T11_S7_li.has_dyn_sized_stack, 0
	.set _ZL29rocblas_internal_gemmt_kernelIlLi16ELi32ELi8ELc84ELc78ELc76ELb0ELb0EdPKdPKS1_PKPdEviT_T9_T10_S7_lS9_S7_lS8_T11_S7_li.has_recursion, 0
	.set _ZL29rocblas_internal_gemmt_kernelIlLi16ELi32ELi8ELc84ELc78ELc76ELb0ELb0EdPKdPKS1_PKPdEviT_T9_T10_S7_lS9_S7_lS8_T11_S7_li.has_indirect_call, 0
	.section	.AMDGPU.csdata,"",@progbits
; Kernel info:
; codeLenInByte = 2152
; TotalNumSgprs: 39
; NumVgprs: 54
; ScratchSize: 0
; MemoryBound: 0
; FloatMode: 240
; IeeeMode: 1
; LDSByteSize: 4096 bytes/workgroup (compile time only)
; SGPRBlocks: 0
; VGPRBlocks: 6
; NumSGPRsForWavesPerEU: 39
; NumVGPRsForWavesPerEU: 54
; Occupancy: 16
; WaveLimiterHint : 1
; COMPUTE_PGM_RSRC2:SCRATCH_EN: 0
; COMPUTE_PGM_RSRC2:USER_SGPR: 2
; COMPUTE_PGM_RSRC2:TRAP_HANDLER: 0
; COMPUTE_PGM_RSRC2:TGID_X_EN: 1
; COMPUTE_PGM_RSRC2:TGID_Y_EN: 1
; COMPUTE_PGM_RSRC2:TGID_Z_EN: 1
; COMPUTE_PGM_RSRC2:TIDIG_COMP_CNT: 1
	.section	.text._ZL29rocblas_internal_gemmt_kernelIlLi16ELi32ELi8ELc84ELc84ELc76ELb0ELb0EdPKdPKS1_PKPdEviT_T9_T10_S7_lS9_S7_lS8_T11_S7_li,"axG",@progbits,_ZL29rocblas_internal_gemmt_kernelIlLi16ELi32ELi8ELc84ELc84ELc76ELb0ELb0EdPKdPKS1_PKPdEviT_T9_T10_S7_lS9_S7_lS8_T11_S7_li,comdat
	.globl	_ZL29rocblas_internal_gemmt_kernelIlLi16ELi32ELi8ELc84ELc84ELc76ELb0ELb0EdPKdPKS1_PKPdEviT_T9_T10_S7_lS9_S7_lS8_T11_S7_li ; -- Begin function _ZL29rocblas_internal_gemmt_kernelIlLi16ELi32ELi8ELc84ELc84ELc76ELb0ELb0EdPKdPKS1_PKPdEviT_T9_T10_S7_lS9_S7_lS8_T11_S7_li
	.p2align	8
	.type	_ZL29rocblas_internal_gemmt_kernelIlLi16ELi32ELi8ELc84ELc84ELc76ELb0ELb0EdPKdPKS1_PKPdEviT_T9_T10_S7_lS9_S7_lS8_T11_S7_li,@function
_ZL29rocblas_internal_gemmt_kernelIlLi16ELi32ELi8ELc84ELc84ELc76ELb0ELb0EdPKdPKS1_PKPdEviT_T9_T10_S7_lS9_S7_lS8_T11_S7_li: ; @_ZL29rocblas_internal_gemmt_kernelIlLi16ELi32ELi8ELc84ELc84ELc76ELb0ELb0EdPKdPKS1_PKPdEviT_T9_T10_S7_lS9_S7_lS8_T11_S7_li
; %bb.0:
	s_clause 0x1
	s_load_b256 s[24:31], s[0:1], 0x48
	s_load_b512 s[8:23], s[0:1], 0x8
	s_wait_kmcnt 0x0
	s_load_b64 s[6:7], s[24:25], 0x0
	s_load_b64 s[10:11], s[10:11], 0x0
	s_wait_kmcnt 0x0
	v_cmp_neq_f64_e64 s2, s[6:7], 1.0
	s_and_b32 vcc_lo, exec_lo, s2
	s_cbranch_vccnz .LBB481_2
; %bb.1:
	v_cmp_neq_f64_e64 s2, s[10:11], 0
	s_cmp_lg_u64 s[8:9], 0
	s_cselect_b32 s3, -1, 0
	s_delay_alu instid0(SALU_CYCLE_1)
	s_and_b32 s2, s3, s2
.LBB481_2:
	s_delay_alu instid0(SALU_CYCLE_1)
	s_and_not1_b32 vcc_lo, exec_lo, s2
	s_cbranch_vccnz .LBB481_35
; %bb.3:
	s_load_b32 s33, s[0:1], 0x68
	s_lshr_b32 s24, ttmp7, 16
	s_wait_kmcnt 0x0
	s_cmp_ge_u32 s24, s33
	s_cbranch_scc1 .LBB481_35
; %bb.4:
	v_and_b32_e32 v4, 0x3ff, v0
	v_bfe_u32 v5, v0, 10, 10
	s_load_b32 s4, s[0:1], 0x0
	s_lshl_b32 s0, ttmp7, 5
	v_and_b32_e32 v26, 7, v0
	s_and_b32 s0, s0, 0x1fffe0
	v_lshl_add_u32 v0, v5, 4, v4
	v_add_nc_u32_e32 v12, s0, v5
	s_lshl_b32 s2, ttmp9, 5
	v_cmp_neq_f64_e64 s37, s[10:11], 0
	s_ashr_i32 s1, s2, 31
	v_lshrrev_b32_e32 v27, 5, v0
	v_mad_co_u64_u32 v[8:9], null, s28, v12, 0
	v_and_b32_e32 v1, 31, v0
	v_lshrrev_b32_e32 v3, 3, v0
	s_wait_alu 0xfffe
	s_mul_i32 s3, s14, s1
	v_cmp_neq_f64_e64 s34, s[6:7], 0
	v_add_nc_u32_e32 v14, 16, v12
	v_or_b32_e32 v2, s2, v1
	v_add_nc_u32_e32 v13, s0, v3
	v_cmp_gt_i64_e64 s38, s[8:9], 0
	v_lshl_add_u32 v31, v5, 6, 0x800
	s_mov_b32 s25, 0
	v_mul_lo_u32 v0, s15, v2
	v_mad_co_u64_u32 v[6:7], null, s14, v2, 0
	s_wait_kmcnt 0x0
	v_cmp_gt_i32_e64 s0, s4, v2
	v_cmp_gt_i32_e64 s1, s4, v13
	v_lshlrev_b32_e32 v32, 3, v13
	s_lshl_b64 s[14:15], s[30:31], 3
	v_add3_u32 v7, v7, s3, v0
	v_dual_mov_b32 v0, v9 :: v_dual_lshlrev_b32 v1, 3, v1
	s_delay_alu instid0(VALU_DEP_2) | instskip(NEXT) | instid1(VALU_DEP_2)
	v_lshlrev_b64_e32 v[6:7], 3, v[6:7]
	v_lshl_or_b32 v28, v27, 8, v1
	s_delay_alu instid0(VALU_DEP_3) | instskip(SKIP_2) | instid1(VALU_DEP_1)
	v_mad_co_u64_u32 v[1:2], null, s29, v12, v[0:1]
	s_and_b32 s37, s37, s38
	v_dual_mov_b32 v9, v1 :: v_dual_lshlrev_b32 v10, 3, v26
	v_lshlrev_b64_e32 v[8:9], 3, v[8:9]
	s_delay_alu instid0(VALU_DEP_2) | instskip(SKIP_1) | instid1(VALU_DEP_2)
	v_lshl_or_b32 v3, v3, 6, v10
	v_mad_co_u64_u32 v[10:11], null, s28, v14, 0
	v_add_nc_u32_e32 v29, 0x800, v3
	v_dual_mov_b32 v3, 0 :: v_dual_add_nc_u32 v0, s2, v4
	s_delay_alu instid0(VALU_DEP_3) | instskip(NEXT) | instid1(VALU_DEP_2)
	v_dual_mov_b32 v1, v11 :: v_dual_lshlrev_b32 v30, 3, v4
	v_add_nc_u32_e32 v4, 16, v0
	v_cmp_le_i32_e32 vcc_lo, v12, v0
	v_cmp_gt_i32_e64 s2, s4, v0
	s_delay_alu instid0(VALU_DEP_3)
	v_cmp_le_i32_e64 s3, v12, v4
	v_mad_co_u64_u32 v[11:12], null, s29, v14, v[1:2]
	v_cmp_gt_i32_e64 s4, s4, v4
	s_and_b32 s28, vcc_lo, s2
	v_cmp_le_i32_e32 vcc_lo, v14, v0
	v_cmp_le_i32_e64 s5, v14, v4
	v_ashrrev_i32_e32 v1, 31, v0
	v_ashrrev_i32_e32 v5, 31, v4
	v_lshlrev_b64_e32 v[10:11], 3, v[10:11]
	s_and_b32 s29, s3, s4
	s_and_b32 s35, vcc_lo, s2
	s_and_b32 s36, s5, s4
	s_lshl_b64 s[2:3], s[22:23], 3
	s_lshl_b64 s[4:5], s[16:17], 3
	s_branch .LBB481_6
.LBB481_5:                              ;   in Loop: Header=BB481_6 Depth=1
	s_wait_alu 0xfffe
	s_or_b32 exec_lo, exec_lo, s16
	s_add_co_i32 s24, s24, 0x10000
	s_delay_alu instid0(SALU_CYCLE_1)
	s_cmp_lt_u32 s24, s33
	s_cbranch_scc0 .LBB481_35
.LBB481_6:                              ; =>This Loop Header: Depth=1
                                        ;     Child Loop BB481_9 Depth 2
	s_lshl_b64 s[16:17], s[24:25], 3
	v_mov_b32_e32 v20, 0
	s_wait_alu 0xfffe
	s_add_nc_u64 s[22:23], s[26:27], s[16:17]
	v_mov_b32_e32 v14, 0
	global_load_b64 v[16:17], v3, s[22:23]
	v_dual_mov_b32 v21, 0 :: v_dual_mov_b32 v18, 0
	v_dual_mov_b32 v15, 0 :: v_dual_mov_b32 v12, 0
	v_mov_b32_e32 v19, 0
	v_mov_b32_e32 v13, 0
	s_and_not1_b32 vcc_lo, exec_lo, s37
	s_wait_alu 0xfffe
	s_cbranch_vccnz .LBB481_15
; %bb.7:                                ;   in Loop: Header=BB481_6 Depth=1
	s_add_nc_u64 s[22:23], s[12:13], s[16:17]
	s_add_nc_u64 s[16:17], s[18:19], s[16:17]
	s_clause 0x1
	global_load_b64 v[22:23], v3, s[22:23]
	global_load_b64 v[24:25], v3, s[16:17]
	v_mov_b32_e32 v12, 0
	v_dual_mov_b32 v18, 0 :: v_dual_mov_b32 v13, 0
	v_dual_mov_b32 v14, 0 :: v_dual_mov_b32 v19, 0
	;; [unrolled: 1-line block ×3, first 2 shown]
	v_mov_b32_e32 v21, 0
	s_mov_b64 s[16:17], 0
	s_wait_loadcnt 0x1
	v_add_co_u32 v2, vcc_lo, v22, s4
	s_wait_alu 0xfffd
	v_add_co_ci_u32_e64 v22, null, s5, v23, vcc_lo
	s_wait_loadcnt 0x0
	v_add_co_u32 v23, vcc_lo, v24, s2
	s_wait_alu 0xfffd
	v_add_co_ci_u32_e64 v24, null, s3, v25, vcc_lo
	v_add_co_u32 v33, vcc_lo, v2, v6
	s_wait_alu 0xfffd
	v_add_co_ci_u32_e64 v34, null, v22, v7, vcc_lo
	;; [unrolled: 3-line block ×3, first 2 shown]
	s_branch .LBB481_9
.LBB481_8:                              ;   in Loop: Header=BB481_9 Depth=2
	s_or_b32 exec_lo, exec_lo, s22
	s_wait_loadcnt_dscnt 0x0
	ds_store_b64 v29, v[24:25]
	s_wait_dscnt 0x0
	s_barrier_signal -1
	s_barrier_wait -1
	global_inv scope:SCOPE_SE
	ds_load_b128 v[22:25], v31
	ds_load_2addr_b64 v[37:40], v30 offset1:16
	ds_load_b128 v[41:44], v31 offset:1024
	ds_load_b128 v[45:48], v31 offset:16
	;; [unrolled: 1-line block ×3, first 2 shown]
	s_add_nc_u64 s[16:17], s[16:17], 8
	s_wait_alu 0xfffe
	v_cmp_gt_i64_e64 s22, s[8:9], s[16:17]
	s_and_b32 vcc_lo, exec_lo, s22
	s_wait_dscnt 0x3
	v_fma_f64 v[20:21], v[37:38], v[22:23], v[20:21]
	v_fma_f64 v[18:19], v[39:40], v[22:23], v[18:19]
	s_wait_dscnt 0x2
	v_fma_f64 v[22:23], v[37:38], v[41:42], v[14:15]
	v_fma_f64 v[37:38], v[39:40], v[41:42], v[12:13]
	ds_load_2addr_b64 v[12:15], v30 offset0:32 offset1:48
	s_wait_dscnt 0x0
	v_fma_f64 v[20:21], v[12:13], v[24:25], v[20:21]
	v_fma_f64 v[18:19], v[14:15], v[24:25], v[18:19]
	v_fma_f64 v[22:23], v[12:13], v[43:44], v[22:23]
	v_fma_f64 v[24:25], v[14:15], v[43:44], v[37:38]
	ds_load_2addr_b64 v[12:15], v30 offset0:64 offset1:80
	s_wait_dscnt 0x0
	v_fma_f64 v[20:21], v[12:13], v[45:46], v[20:21]
	v_fma_f64 v[18:19], v[14:15], v[45:46], v[18:19]
	;; [unrolled: 6-line block ×3, first 2 shown]
	v_fma_f64 v[49:50], v[12:13], v[51:52], v[22:23]
	v_fma_f64 v[51:52], v[14:15], v[51:52], v[24:25]
	ds_load_b128 v[12:15], v31 offset:32
	ds_load_2addr_b64 v[18:21], v30 offset0:128 offset1:144
	ds_load_b128 v[22:25], v31 offset:1056
	ds_load_b128 v[37:40], v31 offset:48
	;; [unrolled: 1-line block ×3, first 2 shown]
	s_wait_dscnt 0x3
	v_fma_f64 v[45:46], v[18:19], v[12:13], v[45:46]
	v_fma_f64 v[12:13], v[20:21], v[12:13], v[47:48]
	s_wait_dscnt 0x2
	v_fma_f64 v[47:48], v[18:19], v[22:23], v[49:50]
	v_fma_f64 v[22:23], v[20:21], v[22:23], v[51:52]
	ds_load_2addr_b64 v[18:21], v30 offset0:160 offset1:176
	s_wait_dscnt 0x0
	v_fma_f64 v[45:46], v[18:19], v[14:15], v[45:46]
	v_fma_f64 v[49:50], v[20:21], v[14:15], v[12:13]
	v_fma_f64 v[18:19], v[18:19], v[24:25], v[47:48]
	v_fma_f64 v[20:21], v[20:21], v[24:25], v[22:23]
	ds_load_2addr_b64 v[12:15], v30 offset0:192 offset1:208
	ds_load_2addr_b64 v[22:25], v30 offset0:224 offset1:240
	s_wait_loadcnt_dscnt 0x0
	s_barrier_signal -1
	s_barrier_wait -1
	global_inv scope:SCOPE_SE
	v_fma_f64 v[45:46], v[12:13], v[37:38], v[45:46]
	v_fma_f64 v[37:38], v[14:15], v[37:38], v[49:50]
	;; [unrolled: 1-line block ×4, first 2 shown]
	s_delay_alu instid0(VALU_DEP_4) | instskip(NEXT) | instid1(VALU_DEP_4)
	v_fma_f64 v[20:21], v[22:23], v[39:40], v[45:46]
	v_fma_f64 v[18:19], v[24:25], v[39:40], v[37:38]
	s_delay_alu instid0(VALU_DEP_4) | instskip(NEXT) | instid1(VALU_DEP_4)
	v_fma_f64 v[14:15], v[22:23], v[43:44], v[12:13]
	v_fma_f64 v[12:13], v[24:25], v[43:44], v[41:42]
	s_wait_alu 0xfffe
	s_cbranch_vccz .LBB481_15
.LBB481_9:                              ;   Parent Loop BB481_6 Depth=1
                                        ; =>  This Inner Loop Header: Depth=2
	v_mov_b32_e32 v22, 0
	v_mov_b32_e32 v23, 0
	s_and_saveexec_b32 s22, s0
	s_cbranch_execz .LBB481_13
; %bb.10:                               ;   in Loop: Header=BB481_9 Depth=2
	v_mov_b32_e32 v22, 0
	s_wait_alu 0xfffe
	v_dual_mov_b32 v23, 0 :: v_dual_add_nc_u32 v2, s16, v27
	s_mov_b32 s23, exec_lo
	s_delay_alu instid0(VALU_DEP_1)
	v_cmpx_gt_u64_e64 s[8:9], v[2:3]
	s_cbranch_execz .LBB481_12
; %bb.11:                               ;   in Loop: Header=BB481_9 Depth=2
	v_lshlrev_b64_e32 v[22:23], 3, v[2:3]
	s_delay_alu instid0(VALU_DEP_1) | instskip(SKIP_1) | instid1(VALU_DEP_2)
	v_add_co_u32 v22, vcc_lo, v33, v22
	s_wait_alu 0xfffd
	v_add_co_ci_u32_e64 v23, null, v34, v23, vcc_lo
	flat_load_b64 v[22:23], v[22:23]
.LBB481_12:                             ;   in Loop: Header=BB481_9 Depth=2
	s_or_b32 exec_lo, exec_lo, s23
.LBB481_13:                             ;   in Loop: Header=BB481_9 Depth=2
	s_delay_alu instid0(SALU_CYCLE_1)
	s_or_b32 exec_lo, exec_lo, s22
	s_wait_alu 0xfffe
	v_add_nc_u32_e32 v2, s16, v26
	v_mov_b32_e32 v24, 0
	v_mov_b32_e32 v25, 0
	s_wait_loadcnt_dscnt 0x0
	ds_store_b64 v28, v[22:23]
	v_cmp_gt_u64_e32 vcc_lo, s[8:9], v[2:3]
	s_and_b32 s23, vcc_lo, s1
	s_delay_alu instid0(SALU_CYCLE_1)
	s_and_saveexec_b32 s22, s23
	s_cbranch_execz .LBB481_8
; %bb.14:                               ;   in Loop: Header=BB481_9 Depth=2
	v_mad_co_u64_u32 v[22:23], null, s20, v2, 0
	s_delay_alu instid0(VALU_DEP_1) | instskip(NEXT) | instid1(VALU_DEP_1)
	v_mad_co_u64_u32 v[23:24], null, s21, v2, v[23:24]
	v_lshlrev_b64_e32 v[22:23], 3, v[22:23]
	s_delay_alu instid0(VALU_DEP_1) | instskip(SKIP_1) | instid1(VALU_DEP_2)
	v_add_co_u32 v22, vcc_lo, v35, v22
	s_wait_alu 0xfffd
	v_add_co_ci_u32_e64 v23, null, v36, v23, vcc_lo
	flat_load_b64 v[24:25], v[22:23]
	s_branch .LBB481_8
.LBB481_15:                             ;   in Loop: Header=BB481_6 Depth=1
	s_wait_loadcnt 0x0
	s_wait_alu 0xfffe
	v_add_co_u32 v2, vcc_lo, v16, s14
	s_wait_alu 0xfffd
	v_add_co_ci_u32_e64 v22, null, s15, v17, vcc_lo
	s_delay_alu instid0(VALU_DEP_2) | instskip(SKIP_1) | instid1(VALU_DEP_2)
	v_add_co_u32 v23, vcc_lo, v2, v8
	s_wait_alu 0xfffd
	v_add_co_ci_u32_e64 v24, null, v22, v9, vcc_lo
	s_and_saveexec_b32 s16, s28
	s_cbranch_execz .LBB481_19
; %bb.16:                               ;   in Loop: Header=BB481_6 Depth=1
	v_mul_f64_e32 v[16:17], s[10:11], v[20:21]
	s_and_b32 vcc_lo, exec_lo, s34
	s_wait_alu 0xfffe
	s_cbranch_vccz .LBB481_30
; %bb.17:                               ;   in Loop: Header=BB481_6 Depth=1
	v_lshlrev_b64_e32 v[20:21], 3, v[0:1]
	s_delay_alu instid0(VALU_DEP_1) | instskip(SKIP_1) | instid1(VALU_DEP_2)
	v_add_co_u32 v20, vcc_lo, v23, v20
	s_wait_alu 0xfffd
	v_add_co_ci_u32_e64 v21, null, v24, v21, vcc_lo
	flat_load_b64 v[33:34], v[20:21]
	s_wait_loadcnt_dscnt 0x0
	v_fma_f64 v[33:34], s[6:7], v[33:34], v[16:17]
	flat_store_b64 v[20:21], v[33:34]
	s_cbranch_execnz .LBB481_19
.LBB481_18:                             ;   in Loop: Header=BB481_6 Depth=1
	v_lshlrev_b64_e32 v[20:21], 3, v[0:1]
	s_delay_alu instid0(VALU_DEP_1) | instskip(SKIP_1) | instid1(VALU_DEP_2)
	v_add_co_u32 v20, vcc_lo, v23, v20
	s_wait_alu 0xfffd
	v_add_co_ci_u32_e64 v21, null, v24, v21, vcc_lo
	flat_store_b64 v[20:21], v[16:17]
.LBB481_19:                             ;   in Loop: Header=BB481_6 Depth=1
	s_wait_alu 0xfffe
	s_or_b32 exec_lo, exec_lo, s16
	s_and_saveexec_b32 s16, s29
	s_cbranch_execz .LBB481_23
; %bb.20:                               ;   in Loop: Header=BB481_6 Depth=1
	v_mul_f64_e32 v[16:17], s[10:11], v[18:19]
	s_and_not1_b32 vcc_lo, exec_lo, s34
	s_wait_alu 0xfffe
	s_cbranch_vccnz .LBB481_31
; %bb.21:                               ;   in Loop: Header=BB481_6 Depth=1
	v_lshlrev_b64_e32 v[18:19], 3, v[4:5]
	s_delay_alu instid0(VALU_DEP_1) | instskip(SKIP_1) | instid1(VALU_DEP_2)
	v_add_co_u32 v18, vcc_lo, v23, v18
	s_wait_alu 0xfffd
	v_add_co_ci_u32_e64 v19, null, v24, v19, vcc_lo
	flat_load_b64 v[20:21], v[18:19]
	s_wait_loadcnt_dscnt 0x0
	v_fma_f64 v[20:21], s[6:7], v[20:21], v[16:17]
	flat_store_b64 v[18:19], v[20:21]
	s_cbranch_execnz .LBB481_23
.LBB481_22:                             ;   in Loop: Header=BB481_6 Depth=1
	v_lshlrev_b64_e32 v[18:19], 3, v[4:5]
	s_delay_alu instid0(VALU_DEP_1) | instskip(SKIP_1) | instid1(VALU_DEP_2)
	v_add_co_u32 v18, vcc_lo, v23, v18
	s_wait_alu 0xfffd
	v_add_co_ci_u32_e64 v19, null, v24, v19, vcc_lo
	flat_store_b64 v[18:19], v[16:17]
.LBB481_23:                             ;   in Loop: Header=BB481_6 Depth=1
	s_wait_alu 0xfffe
	s_or_b32 exec_lo, exec_lo, s16
	v_add_co_u32 v2, vcc_lo, v2, v10
	s_wait_alu 0xfffd
	v_add_co_ci_u32_e64 v18, null, v22, v11, vcc_lo
	s_and_saveexec_b32 s16, s35
	s_cbranch_execz .LBB481_27
; %bb.24:                               ;   in Loop: Header=BB481_6 Depth=1
	v_mul_f64_e32 v[14:15], s[10:11], v[14:15]
	v_lshlrev_b64_e32 v[16:17], 3, v[0:1]
	s_and_not1_b32 vcc_lo, exec_lo, s34
	s_wait_alu 0xfffe
	s_cbranch_vccnz .LBB481_32
; %bb.25:                               ;   in Loop: Header=BB481_6 Depth=1
	s_delay_alu instid0(VALU_DEP_1)
	v_add_co_u32 v19, vcc_lo, v2, v16
	s_wait_alu 0xfffd
	v_add_co_ci_u32_e64 v20, null, v18, v17, vcc_lo
	flat_load_b64 v[21:22], v[19:20]
	s_wait_loadcnt_dscnt 0x0
	v_fma_f64 v[21:22], s[6:7], v[21:22], v[14:15]
	flat_store_b64 v[19:20], v[21:22]
	s_cbranch_execnz .LBB481_27
.LBB481_26:                             ;   in Loop: Header=BB481_6 Depth=1
	s_delay_alu instid0(VALU_DEP_1)
	v_add_co_u32 v16, vcc_lo, v2, v16
	s_wait_alu 0xfffd
	v_add_co_ci_u32_e64 v17, null, v18, v17, vcc_lo
	flat_store_b64 v[16:17], v[14:15]
.LBB481_27:                             ;   in Loop: Header=BB481_6 Depth=1
	s_wait_alu 0xfffe
	s_or_b32 exec_lo, exec_lo, s16
	s_and_saveexec_b32 s16, s36
	s_cbranch_execz .LBB481_5
; %bb.28:                               ;   in Loop: Header=BB481_6 Depth=1
	v_mul_f64_e32 v[12:13], s[10:11], v[12:13]
	v_lshlrev_b64_e32 v[14:15], 3, v[4:5]
	s_and_not1_b32 vcc_lo, exec_lo, s34
	s_wait_alu 0xfffe
	s_cbranch_vccnz .LBB481_33
; %bb.29:                               ;   in Loop: Header=BB481_6 Depth=1
	s_delay_alu instid0(VALU_DEP_1)
	v_add_co_u32 v16, vcc_lo, v2, v14
	s_wait_alu 0xfffd
	v_add_co_ci_u32_e64 v17, null, v18, v15, vcc_lo
	flat_load_b64 v[19:20], v[16:17]
	s_wait_loadcnt_dscnt 0x0
	v_fma_f64 v[19:20], s[6:7], v[19:20], v[12:13]
	flat_store_b64 v[16:17], v[19:20]
	s_cbranch_execnz .LBB481_5
	s_branch .LBB481_34
.LBB481_30:                             ;   in Loop: Header=BB481_6 Depth=1
	s_branch .LBB481_18
.LBB481_31:                             ;   in Loop: Header=BB481_6 Depth=1
	s_branch .LBB481_22
.LBB481_32:                             ;   in Loop: Header=BB481_6 Depth=1
	s_branch .LBB481_26
.LBB481_33:                             ;   in Loop: Header=BB481_6 Depth=1
.LBB481_34:                             ;   in Loop: Header=BB481_6 Depth=1
	s_delay_alu instid0(VALU_DEP_1)
	v_add_co_u32 v14, vcc_lo, v2, v14
	s_wait_alu 0xfffd
	v_add_co_ci_u32_e64 v15, null, v18, v15, vcc_lo
	flat_store_b64 v[14:15], v[12:13]
	s_branch .LBB481_5
.LBB481_35:
	s_endpgm
	.section	.rodata,"a",@progbits
	.p2align	6, 0x0
	.amdhsa_kernel _ZL29rocblas_internal_gemmt_kernelIlLi16ELi32ELi8ELc84ELc84ELc76ELb0ELb0EdPKdPKS1_PKPdEviT_T9_T10_S7_lS9_S7_lS8_T11_S7_li
		.amdhsa_group_segment_fixed_size 4096
		.amdhsa_private_segment_fixed_size 0
		.amdhsa_kernarg_size 108
		.amdhsa_user_sgpr_count 2
		.amdhsa_user_sgpr_dispatch_ptr 0
		.amdhsa_user_sgpr_queue_ptr 0
		.amdhsa_user_sgpr_kernarg_segment_ptr 1
		.amdhsa_user_sgpr_dispatch_id 0
		.amdhsa_user_sgpr_private_segment_size 0
		.amdhsa_wavefront_size32 1
		.amdhsa_uses_dynamic_stack 0
		.amdhsa_enable_private_segment 0
		.amdhsa_system_sgpr_workgroup_id_x 1
		.amdhsa_system_sgpr_workgroup_id_y 1
		.amdhsa_system_sgpr_workgroup_id_z 1
		.amdhsa_system_sgpr_workgroup_info 0
		.amdhsa_system_vgpr_workitem_id 1
		.amdhsa_next_free_vgpr 53
		.amdhsa_next_free_sgpr 39
		.amdhsa_reserve_vcc 1
		.amdhsa_float_round_mode_32 0
		.amdhsa_float_round_mode_16_64 0
		.amdhsa_float_denorm_mode_32 3
		.amdhsa_float_denorm_mode_16_64 3
		.amdhsa_fp16_overflow 0
		.amdhsa_workgroup_processor_mode 1
		.amdhsa_memory_ordered 1
		.amdhsa_forward_progress 1
		.amdhsa_inst_pref_size 17
		.amdhsa_round_robin_scheduling 0
		.amdhsa_exception_fp_ieee_invalid_op 0
		.amdhsa_exception_fp_denorm_src 0
		.amdhsa_exception_fp_ieee_div_zero 0
		.amdhsa_exception_fp_ieee_overflow 0
		.amdhsa_exception_fp_ieee_underflow 0
		.amdhsa_exception_fp_ieee_inexact 0
		.amdhsa_exception_int_div_zero 0
	.end_amdhsa_kernel
	.section	.text._ZL29rocblas_internal_gemmt_kernelIlLi16ELi32ELi8ELc84ELc84ELc76ELb0ELb0EdPKdPKS1_PKPdEviT_T9_T10_S7_lS9_S7_lS8_T11_S7_li,"axG",@progbits,_ZL29rocblas_internal_gemmt_kernelIlLi16ELi32ELi8ELc84ELc84ELc76ELb0ELb0EdPKdPKS1_PKPdEviT_T9_T10_S7_lS9_S7_lS8_T11_S7_li,comdat
.Lfunc_end481:
	.size	_ZL29rocblas_internal_gemmt_kernelIlLi16ELi32ELi8ELc84ELc84ELc76ELb0ELb0EdPKdPKS1_PKPdEviT_T9_T10_S7_lS9_S7_lS8_T11_S7_li, .Lfunc_end481-_ZL29rocblas_internal_gemmt_kernelIlLi16ELi32ELi8ELc84ELc84ELc76ELb0ELb0EdPKdPKS1_PKPdEviT_T9_T10_S7_lS9_S7_lS8_T11_S7_li
                                        ; -- End function
	.set _ZL29rocblas_internal_gemmt_kernelIlLi16ELi32ELi8ELc84ELc84ELc76ELb0ELb0EdPKdPKS1_PKPdEviT_T9_T10_S7_lS9_S7_lS8_T11_S7_li.num_vgpr, 53
	.set _ZL29rocblas_internal_gemmt_kernelIlLi16ELi32ELi8ELc84ELc84ELc76ELb0ELb0EdPKdPKS1_PKPdEviT_T9_T10_S7_lS9_S7_lS8_T11_S7_li.num_agpr, 0
	.set _ZL29rocblas_internal_gemmt_kernelIlLi16ELi32ELi8ELc84ELc84ELc76ELb0ELb0EdPKdPKS1_PKPdEviT_T9_T10_S7_lS9_S7_lS8_T11_S7_li.numbered_sgpr, 39
	.set _ZL29rocblas_internal_gemmt_kernelIlLi16ELi32ELi8ELc84ELc84ELc76ELb0ELb0EdPKdPKS1_PKPdEviT_T9_T10_S7_lS9_S7_lS8_T11_S7_li.num_named_barrier, 0
	.set _ZL29rocblas_internal_gemmt_kernelIlLi16ELi32ELi8ELc84ELc84ELc76ELb0ELb0EdPKdPKS1_PKPdEviT_T9_T10_S7_lS9_S7_lS8_T11_S7_li.private_seg_size, 0
	.set _ZL29rocblas_internal_gemmt_kernelIlLi16ELi32ELi8ELc84ELc84ELc76ELb0ELb0EdPKdPKS1_PKPdEviT_T9_T10_S7_lS9_S7_lS8_T11_S7_li.uses_vcc, 1
	.set _ZL29rocblas_internal_gemmt_kernelIlLi16ELi32ELi8ELc84ELc84ELc76ELb0ELb0EdPKdPKS1_PKPdEviT_T9_T10_S7_lS9_S7_lS8_T11_S7_li.uses_flat_scratch, 0
	.set _ZL29rocblas_internal_gemmt_kernelIlLi16ELi32ELi8ELc84ELc84ELc76ELb0ELb0EdPKdPKS1_PKPdEviT_T9_T10_S7_lS9_S7_lS8_T11_S7_li.has_dyn_sized_stack, 0
	.set _ZL29rocblas_internal_gemmt_kernelIlLi16ELi32ELi8ELc84ELc84ELc76ELb0ELb0EdPKdPKS1_PKPdEviT_T9_T10_S7_lS9_S7_lS8_T11_S7_li.has_recursion, 0
	.set _ZL29rocblas_internal_gemmt_kernelIlLi16ELi32ELi8ELc84ELc84ELc76ELb0ELb0EdPKdPKS1_PKPdEviT_T9_T10_S7_lS9_S7_lS8_T11_S7_li.has_indirect_call, 0
	.section	.AMDGPU.csdata,"",@progbits
; Kernel info:
; codeLenInByte = 2140
; TotalNumSgprs: 41
; NumVgprs: 53
; ScratchSize: 0
; MemoryBound: 0
; FloatMode: 240
; IeeeMode: 1
; LDSByteSize: 4096 bytes/workgroup (compile time only)
; SGPRBlocks: 0
; VGPRBlocks: 6
; NumSGPRsForWavesPerEU: 41
; NumVGPRsForWavesPerEU: 53
; Occupancy: 16
; WaveLimiterHint : 1
; COMPUTE_PGM_RSRC2:SCRATCH_EN: 0
; COMPUTE_PGM_RSRC2:USER_SGPR: 2
; COMPUTE_PGM_RSRC2:TRAP_HANDLER: 0
; COMPUTE_PGM_RSRC2:TGID_X_EN: 1
; COMPUTE_PGM_RSRC2:TGID_Y_EN: 1
; COMPUTE_PGM_RSRC2:TGID_Z_EN: 1
; COMPUTE_PGM_RSRC2:TIDIG_COMP_CNT: 1
	.section	.text._ZL29rocblas_internal_gemmt_kernelIlLi16ELi32ELi8ELc84ELc67ELc76ELb0ELb0EdPKdPKS1_PKPdEviT_T9_T10_S7_lS9_S7_lS8_T11_S7_li,"axG",@progbits,_ZL29rocblas_internal_gemmt_kernelIlLi16ELi32ELi8ELc84ELc67ELc76ELb0ELb0EdPKdPKS1_PKPdEviT_T9_T10_S7_lS9_S7_lS8_T11_S7_li,comdat
	.globl	_ZL29rocblas_internal_gemmt_kernelIlLi16ELi32ELi8ELc84ELc67ELc76ELb0ELb0EdPKdPKS1_PKPdEviT_T9_T10_S7_lS9_S7_lS8_T11_S7_li ; -- Begin function _ZL29rocblas_internal_gemmt_kernelIlLi16ELi32ELi8ELc84ELc67ELc76ELb0ELb0EdPKdPKS1_PKPdEviT_T9_T10_S7_lS9_S7_lS8_T11_S7_li
	.p2align	8
	.type	_ZL29rocblas_internal_gemmt_kernelIlLi16ELi32ELi8ELc84ELc67ELc76ELb0ELb0EdPKdPKS1_PKPdEviT_T9_T10_S7_lS9_S7_lS8_T11_S7_li,@function
_ZL29rocblas_internal_gemmt_kernelIlLi16ELi32ELi8ELc84ELc67ELc76ELb0ELb0EdPKdPKS1_PKPdEviT_T9_T10_S7_lS9_S7_lS8_T11_S7_li: ; @_ZL29rocblas_internal_gemmt_kernelIlLi16ELi32ELi8ELc84ELc67ELc76ELb0ELb0EdPKdPKS1_PKPdEviT_T9_T10_S7_lS9_S7_lS8_T11_S7_li
; %bb.0:
	s_clause 0x1
	s_load_b256 s[24:31], s[0:1], 0x48
	s_load_b512 s[8:23], s[0:1], 0x8
	s_wait_kmcnt 0x0
	s_load_b64 s[6:7], s[24:25], 0x0
	s_load_b64 s[10:11], s[10:11], 0x0
	s_wait_kmcnt 0x0
	v_cmp_neq_f64_e64 s2, s[6:7], 1.0
	s_and_b32 vcc_lo, exec_lo, s2
	s_cbranch_vccnz .LBB482_2
; %bb.1:
	v_cmp_neq_f64_e64 s2, s[10:11], 0
	s_cmp_lg_u64 s[8:9], 0
	s_cselect_b32 s3, -1, 0
	s_delay_alu instid0(SALU_CYCLE_1)
	s_and_b32 s2, s3, s2
.LBB482_2:
	s_delay_alu instid0(SALU_CYCLE_1)
	s_and_not1_b32 vcc_lo, exec_lo, s2
	s_cbranch_vccnz .LBB482_35
; %bb.3:
	s_load_b32 s33, s[0:1], 0x68
	s_lshr_b32 s24, ttmp7, 16
	s_wait_kmcnt 0x0
	s_cmp_ge_u32 s24, s33
	s_cbranch_scc1 .LBB482_35
; %bb.4:
	v_and_b32_e32 v4, 0x3ff, v0
	v_bfe_u32 v5, v0, 10, 10
	s_load_b32 s4, s[0:1], 0x0
	s_lshl_b32 s0, ttmp7, 5
	v_and_b32_e32 v26, 7, v0
	s_and_b32 s0, s0, 0x1fffe0
	v_lshl_add_u32 v0, v5, 4, v4
	v_add_nc_u32_e32 v12, s0, v5
	s_lshl_b32 s2, ttmp9, 5
	v_cmp_neq_f64_e64 s37, s[10:11], 0
	s_ashr_i32 s1, s2, 31
	v_lshrrev_b32_e32 v27, 5, v0
	v_mad_co_u64_u32 v[8:9], null, s28, v12, 0
	v_and_b32_e32 v1, 31, v0
	v_lshrrev_b32_e32 v3, 3, v0
	s_wait_alu 0xfffe
	s_mul_i32 s3, s14, s1
	v_cmp_neq_f64_e64 s34, s[6:7], 0
	v_add_nc_u32_e32 v14, 16, v12
	v_or_b32_e32 v2, s2, v1
	v_add_nc_u32_e32 v13, s0, v3
	v_cmp_gt_i64_e64 s38, s[8:9], 0
	v_lshl_add_u32 v31, v5, 6, 0x800
	s_mov_b32 s25, 0
	v_mul_lo_u32 v0, s15, v2
	v_mad_co_u64_u32 v[6:7], null, s14, v2, 0
	s_wait_kmcnt 0x0
	v_cmp_gt_i32_e64 s0, s4, v2
	v_cmp_gt_i32_e64 s1, s4, v13
	v_lshlrev_b32_e32 v32, 3, v13
	s_lshl_b64 s[14:15], s[30:31], 3
	v_add3_u32 v7, v7, s3, v0
	v_dual_mov_b32 v0, v9 :: v_dual_lshlrev_b32 v1, 3, v1
	s_delay_alu instid0(VALU_DEP_2) | instskip(NEXT) | instid1(VALU_DEP_2)
	v_lshlrev_b64_e32 v[6:7], 3, v[6:7]
	v_lshl_or_b32 v28, v27, 8, v1
	s_delay_alu instid0(VALU_DEP_3) | instskip(SKIP_2) | instid1(VALU_DEP_1)
	v_mad_co_u64_u32 v[1:2], null, s29, v12, v[0:1]
	s_and_b32 s37, s37, s38
	v_dual_mov_b32 v9, v1 :: v_dual_lshlrev_b32 v10, 3, v26
	v_lshlrev_b64_e32 v[8:9], 3, v[8:9]
	s_delay_alu instid0(VALU_DEP_2) | instskip(SKIP_1) | instid1(VALU_DEP_2)
	v_lshl_or_b32 v3, v3, 6, v10
	v_mad_co_u64_u32 v[10:11], null, s28, v14, 0
	v_add_nc_u32_e32 v29, 0x800, v3
	v_dual_mov_b32 v3, 0 :: v_dual_add_nc_u32 v0, s2, v4
	s_delay_alu instid0(VALU_DEP_3) | instskip(NEXT) | instid1(VALU_DEP_2)
	v_dual_mov_b32 v1, v11 :: v_dual_lshlrev_b32 v30, 3, v4
	v_add_nc_u32_e32 v4, 16, v0
	v_cmp_le_i32_e32 vcc_lo, v12, v0
	v_cmp_gt_i32_e64 s2, s4, v0
	s_delay_alu instid0(VALU_DEP_3)
	v_cmp_le_i32_e64 s3, v12, v4
	v_mad_co_u64_u32 v[11:12], null, s29, v14, v[1:2]
	v_cmp_gt_i32_e64 s4, s4, v4
	s_and_b32 s28, vcc_lo, s2
	v_cmp_le_i32_e32 vcc_lo, v14, v0
	v_cmp_le_i32_e64 s5, v14, v4
	v_ashrrev_i32_e32 v1, 31, v0
	v_ashrrev_i32_e32 v5, 31, v4
	v_lshlrev_b64_e32 v[10:11], 3, v[10:11]
	s_and_b32 s29, s3, s4
	s_and_b32 s35, vcc_lo, s2
	s_and_b32 s36, s5, s4
	s_lshl_b64 s[2:3], s[22:23], 3
	s_lshl_b64 s[4:5], s[16:17], 3
	s_branch .LBB482_6
.LBB482_5:                              ;   in Loop: Header=BB482_6 Depth=1
	s_wait_alu 0xfffe
	s_or_b32 exec_lo, exec_lo, s16
	s_add_co_i32 s24, s24, 0x10000
	s_delay_alu instid0(SALU_CYCLE_1)
	s_cmp_lt_u32 s24, s33
	s_cbranch_scc0 .LBB482_35
.LBB482_6:                              ; =>This Loop Header: Depth=1
                                        ;     Child Loop BB482_9 Depth 2
	s_lshl_b64 s[16:17], s[24:25], 3
	v_mov_b32_e32 v20, 0
	s_wait_alu 0xfffe
	s_add_nc_u64 s[22:23], s[26:27], s[16:17]
	v_mov_b32_e32 v14, 0
	global_load_b64 v[16:17], v3, s[22:23]
	v_dual_mov_b32 v21, 0 :: v_dual_mov_b32 v18, 0
	v_dual_mov_b32 v15, 0 :: v_dual_mov_b32 v12, 0
	v_mov_b32_e32 v19, 0
	v_mov_b32_e32 v13, 0
	s_and_not1_b32 vcc_lo, exec_lo, s37
	s_wait_alu 0xfffe
	s_cbranch_vccnz .LBB482_15
; %bb.7:                                ;   in Loop: Header=BB482_6 Depth=1
	s_add_nc_u64 s[22:23], s[12:13], s[16:17]
	s_add_nc_u64 s[16:17], s[18:19], s[16:17]
	s_clause 0x1
	global_load_b64 v[22:23], v3, s[22:23]
	global_load_b64 v[24:25], v3, s[16:17]
	v_mov_b32_e32 v12, 0
	v_dual_mov_b32 v18, 0 :: v_dual_mov_b32 v13, 0
	v_dual_mov_b32 v14, 0 :: v_dual_mov_b32 v19, 0
	;; [unrolled: 1-line block ×3, first 2 shown]
	v_mov_b32_e32 v21, 0
	s_mov_b64 s[16:17], 0
	s_wait_loadcnt 0x1
	v_add_co_u32 v2, vcc_lo, v22, s4
	s_wait_alu 0xfffd
	v_add_co_ci_u32_e64 v22, null, s5, v23, vcc_lo
	s_wait_loadcnt 0x0
	v_add_co_u32 v23, vcc_lo, v24, s2
	s_wait_alu 0xfffd
	v_add_co_ci_u32_e64 v24, null, s3, v25, vcc_lo
	v_add_co_u32 v33, vcc_lo, v2, v6
	s_wait_alu 0xfffd
	v_add_co_ci_u32_e64 v34, null, v22, v7, vcc_lo
	;; [unrolled: 3-line block ×3, first 2 shown]
	s_branch .LBB482_9
.LBB482_8:                              ;   in Loop: Header=BB482_9 Depth=2
	s_or_b32 exec_lo, exec_lo, s22
	s_wait_loadcnt_dscnt 0x0
	ds_store_b64 v29, v[24:25]
	s_wait_dscnt 0x0
	s_barrier_signal -1
	s_barrier_wait -1
	global_inv scope:SCOPE_SE
	ds_load_b128 v[22:25], v31
	ds_load_2addr_b64 v[37:40], v30 offset1:16
	ds_load_b128 v[41:44], v31 offset:1024
	ds_load_b128 v[45:48], v31 offset:16
	;; [unrolled: 1-line block ×3, first 2 shown]
	s_add_nc_u64 s[16:17], s[16:17], 8
	s_wait_alu 0xfffe
	v_cmp_gt_i64_e64 s22, s[8:9], s[16:17]
	s_and_b32 vcc_lo, exec_lo, s22
	s_wait_dscnt 0x3
	v_fma_f64 v[20:21], v[37:38], v[22:23], v[20:21]
	v_fma_f64 v[18:19], v[39:40], v[22:23], v[18:19]
	s_wait_dscnt 0x2
	v_fma_f64 v[22:23], v[37:38], v[41:42], v[14:15]
	v_fma_f64 v[37:38], v[39:40], v[41:42], v[12:13]
	ds_load_2addr_b64 v[12:15], v30 offset0:32 offset1:48
	s_wait_dscnt 0x0
	v_fma_f64 v[20:21], v[12:13], v[24:25], v[20:21]
	v_fma_f64 v[18:19], v[14:15], v[24:25], v[18:19]
	v_fma_f64 v[22:23], v[12:13], v[43:44], v[22:23]
	v_fma_f64 v[24:25], v[14:15], v[43:44], v[37:38]
	ds_load_2addr_b64 v[12:15], v30 offset0:64 offset1:80
	s_wait_dscnt 0x0
	v_fma_f64 v[20:21], v[12:13], v[45:46], v[20:21]
	v_fma_f64 v[18:19], v[14:15], v[45:46], v[18:19]
	;; [unrolled: 6-line block ×3, first 2 shown]
	v_fma_f64 v[49:50], v[12:13], v[51:52], v[22:23]
	v_fma_f64 v[51:52], v[14:15], v[51:52], v[24:25]
	ds_load_b128 v[12:15], v31 offset:32
	ds_load_2addr_b64 v[18:21], v30 offset0:128 offset1:144
	ds_load_b128 v[22:25], v31 offset:1056
	ds_load_b128 v[37:40], v31 offset:48
	;; [unrolled: 1-line block ×3, first 2 shown]
	s_wait_dscnt 0x3
	v_fma_f64 v[45:46], v[18:19], v[12:13], v[45:46]
	v_fma_f64 v[12:13], v[20:21], v[12:13], v[47:48]
	s_wait_dscnt 0x2
	v_fma_f64 v[47:48], v[18:19], v[22:23], v[49:50]
	v_fma_f64 v[22:23], v[20:21], v[22:23], v[51:52]
	ds_load_2addr_b64 v[18:21], v30 offset0:160 offset1:176
	s_wait_dscnt 0x0
	v_fma_f64 v[45:46], v[18:19], v[14:15], v[45:46]
	v_fma_f64 v[49:50], v[20:21], v[14:15], v[12:13]
	;; [unrolled: 1-line block ×4, first 2 shown]
	ds_load_2addr_b64 v[12:15], v30 offset0:192 offset1:208
	ds_load_2addr_b64 v[22:25], v30 offset0:224 offset1:240
	s_wait_loadcnt_dscnt 0x0
	s_barrier_signal -1
	s_barrier_wait -1
	global_inv scope:SCOPE_SE
	v_fma_f64 v[45:46], v[12:13], v[37:38], v[45:46]
	v_fma_f64 v[37:38], v[14:15], v[37:38], v[49:50]
	;; [unrolled: 1-line block ×4, first 2 shown]
	s_delay_alu instid0(VALU_DEP_4) | instskip(NEXT) | instid1(VALU_DEP_4)
	v_fma_f64 v[20:21], v[22:23], v[39:40], v[45:46]
	v_fma_f64 v[18:19], v[24:25], v[39:40], v[37:38]
	s_delay_alu instid0(VALU_DEP_4) | instskip(NEXT) | instid1(VALU_DEP_4)
	v_fma_f64 v[14:15], v[22:23], v[43:44], v[12:13]
	v_fma_f64 v[12:13], v[24:25], v[43:44], v[41:42]
	s_wait_alu 0xfffe
	s_cbranch_vccz .LBB482_15
.LBB482_9:                              ;   Parent Loop BB482_6 Depth=1
                                        ; =>  This Inner Loop Header: Depth=2
	v_mov_b32_e32 v22, 0
	v_mov_b32_e32 v23, 0
	s_and_saveexec_b32 s22, s0
	s_cbranch_execz .LBB482_13
; %bb.10:                               ;   in Loop: Header=BB482_9 Depth=2
	v_mov_b32_e32 v22, 0
	s_wait_alu 0xfffe
	v_dual_mov_b32 v23, 0 :: v_dual_add_nc_u32 v2, s16, v27
	s_mov_b32 s23, exec_lo
	s_delay_alu instid0(VALU_DEP_1)
	v_cmpx_gt_u64_e64 s[8:9], v[2:3]
	s_cbranch_execz .LBB482_12
; %bb.11:                               ;   in Loop: Header=BB482_9 Depth=2
	v_lshlrev_b64_e32 v[22:23], 3, v[2:3]
	s_delay_alu instid0(VALU_DEP_1) | instskip(SKIP_1) | instid1(VALU_DEP_2)
	v_add_co_u32 v22, vcc_lo, v33, v22
	s_wait_alu 0xfffd
	v_add_co_ci_u32_e64 v23, null, v34, v23, vcc_lo
	flat_load_b64 v[22:23], v[22:23]
.LBB482_12:                             ;   in Loop: Header=BB482_9 Depth=2
	s_or_b32 exec_lo, exec_lo, s23
.LBB482_13:                             ;   in Loop: Header=BB482_9 Depth=2
	s_delay_alu instid0(SALU_CYCLE_1)
	s_or_b32 exec_lo, exec_lo, s22
	s_wait_alu 0xfffe
	v_add_nc_u32_e32 v2, s16, v26
	v_mov_b32_e32 v24, 0
	v_mov_b32_e32 v25, 0
	s_wait_loadcnt_dscnt 0x0
	ds_store_b64 v28, v[22:23]
	v_cmp_gt_u64_e32 vcc_lo, s[8:9], v[2:3]
	s_and_b32 s23, vcc_lo, s1
	s_delay_alu instid0(SALU_CYCLE_1)
	s_and_saveexec_b32 s22, s23
	s_cbranch_execz .LBB482_8
; %bb.14:                               ;   in Loop: Header=BB482_9 Depth=2
	v_mad_co_u64_u32 v[22:23], null, s20, v2, 0
	s_delay_alu instid0(VALU_DEP_1) | instskip(NEXT) | instid1(VALU_DEP_1)
	v_mad_co_u64_u32 v[23:24], null, s21, v2, v[23:24]
	v_lshlrev_b64_e32 v[22:23], 3, v[22:23]
	s_delay_alu instid0(VALU_DEP_1) | instskip(SKIP_1) | instid1(VALU_DEP_2)
	v_add_co_u32 v22, vcc_lo, v35, v22
	s_wait_alu 0xfffd
	v_add_co_ci_u32_e64 v23, null, v36, v23, vcc_lo
	flat_load_b64 v[24:25], v[22:23]
	s_branch .LBB482_8
.LBB482_15:                             ;   in Loop: Header=BB482_6 Depth=1
	s_wait_loadcnt 0x0
	s_wait_alu 0xfffe
	v_add_co_u32 v2, vcc_lo, v16, s14
	s_wait_alu 0xfffd
	v_add_co_ci_u32_e64 v22, null, s15, v17, vcc_lo
	s_delay_alu instid0(VALU_DEP_2) | instskip(SKIP_1) | instid1(VALU_DEP_2)
	v_add_co_u32 v23, vcc_lo, v2, v8
	s_wait_alu 0xfffd
	v_add_co_ci_u32_e64 v24, null, v22, v9, vcc_lo
	s_and_saveexec_b32 s16, s28
	s_cbranch_execz .LBB482_19
; %bb.16:                               ;   in Loop: Header=BB482_6 Depth=1
	v_mul_f64_e32 v[16:17], s[10:11], v[20:21]
	s_and_b32 vcc_lo, exec_lo, s34
	s_wait_alu 0xfffe
	s_cbranch_vccz .LBB482_30
; %bb.17:                               ;   in Loop: Header=BB482_6 Depth=1
	v_lshlrev_b64_e32 v[20:21], 3, v[0:1]
	s_delay_alu instid0(VALU_DEP_1) | instskip(SKIP_1) | instid1(VALU_DEP_2)
	v_add_co_u32 v20, vcc_lo, v23, v20
	s_wait_alu 0xfffd
	v_add_co_ci_u32_e64 v21, null, v24, v21, vcc_lo
	flat_load_b64 v[33:34], v[20:21]
	s_wait_loadcnt_dscnt 0x0
	v_fma_f64 v[33:34], s[6:7], v[33:34], v[16:17]
	flat_store_b64 v[20:21], v[33:34]
	s_cbranch_execnz .LBB482_19
.LBB482_18:                             ;   in Loop: Header=BB482_6 Depth=1
	v_lshlrev_b64_e32 v[20:21], 3, v[0:1]
	s_delay_alu instid0(VALU_DEP_1) | instskip(SKIP_1) | instid1(VALU_DEP_2)
	v_add_co_u32 v20, vcc_lo, v23, v20
	s_wait_alu 0xfffd
	v_add_co_ci_u32_e64 v21, null, v24, v21, vcc_lo
	flat_store_b64 v[20:21], v[16:17]
.LBB482_19:                             ;   in Loop: Header=BB482_6 Depth=1
	s_wait_alu 0xfffe
	s_or_b32 exec_lo, exec_lo, s16
	s_and_saveexec_b32 s16, s29
	s_cbranch_execz .LBB482_23
; %bb.20:                               ;   in Loop: Header=BB482_6 Depth=1
	v_mul_f64_e32 v[16:17], s[10:11], v[18:19]
	s_and_not1_b32 vcc_lo, exec_lo, s34
	s_wait_alu 0xfffe
	s_cbranch_vccnz .LBB482_31
; %bb.21:                               ;   in Loop: Header=BB482_6 Depth=1
	v_lshlrev_b64_e32 v[18:19], 3, v[4:5]
	s_delay_alu instid0(VALU_DEP_1) | instskip(SKIP_1) | instid1(VALU_DEP_2)
	v_add_co_u32 v18, vcc_lo, v23, v18
	s_wait_alu 0xfffd
	v_add_co_ci_u32_e64 v19, null, v24, v19, vcc_lo
	flat_load_b64 v[20:21], v[18:19]
	s_wait_loadcnt_dscnt 0x0
	v_fma_f64 v[20:21], s[6:7], v[20:21], v[16:17]
	flat_store_b64 v[18:19], v[20:21]
	s_cbranch_execnz .LBB482_23
.LBB482_22:                             ;   in Loop: Header=BB482_6 Depth=1
	v_lshlrev_b64_e32 v[18:19], 3, v[4:5]
	s_delay_alu instid0(VALU_DEP_1) | instskip(SKIP_1) | instid1(VALU_DEP_2)
	v_add_co_u32 v18, vcc_lo, v23, v18
	s_wait_alu 0xfffd
	v_add_co_ci_u32_e64 v19, null, v24, v19, vcc_lo
	flat_store_b64 v[18:19], v[16:17]
.LBB482_23:                             ;   in Loop: Header=BB482_6 Depth=1
	s_wait_alu 0xfffe
	s_or_b32 exec_lo, exec_lo, s16
	v_add_co_u32 v2, vcc_lo, v2, v10
	s_wait_alu 0xfffd
	v_add_co_ci_u32_e64 v18, null, v22, v11, vcc_lo
	s_and_saveexec_b32 s16, s35
	s_cbranch_execz .LBB482_27
; %bb.24:                               ;   in Loop: Header=BB482_6 Depth=1
	v_mul_f64_e32 v[14:15], s[10:11], v[14:15]
	v_lshlrev_b64_e32 v[16:17], 3, v[0:1]
	s_and_not1_b32 vcc_lo, exec_lo, s34
	s_wait_alu 0xfffe
	s_cbranch_vccnz .LBB482_32
; %bb.25:                               ;   in Loop: Header=BB482_6 Depth=1
	s_delay_alu instid0(VALU_DEP_1)
	v_add_co_u32 v19, vcc_lo, v2, v16
	s_wait_alu 0xfffd
	v_add_co_ci_u32_e64 v20, null, v18, v17, vcc_lo
	flat_load_b64 v[21:22], v[19:20]
	s_wait_loadcnt_dscnt 0x0
	v_fma_f64 v[21:22], s[6:7], v[21:22], v[14:15]
	flat_store_b64 v[19:20], v[21:22]
	s_cbranch_execnz .LBB482_27
.LBB482_26:                             ;   in Loop: Header=BB482_6 Depth=1
	s_delay_alu instid0(VALU_DEP_1)
	v_add_co_u32 v16, vcc_lo, v2, v16
	s_wait_alu 0xfffd
	v_add_co_ci_u32_e64 v17, null, v18, v17, vcc_lo
	flat_store_b64 v[16:17], v[14:15]
.LBB482_27:                             ;   in Loop: Header=BB482_6 Depth=1
	s_wait_alu 0xfffe
	s_or_b32 exec_lo, exec_lo, s16
	s_and_saveexec_b32 s16, s36
	s_cbranch_execz .LBB482_5
; %bb.28:                               ;   in Loop: Header=BB482_6 Depth=1
	v_mul_f64_e32 v[12:13], s[10:11], v[12:13]
	v_lshlrev_b64_e32 v[14:15], 3, v[4:5]
	s_and_not1_b32 vcc_lo, exec_lo, s34
	s_wait_alu 0xfffe
	s_cbranch_vccnz .LBB482_33
; %bb.29:                               ;   in Loop: Header=BB482_6 Depth=1
	s_delay_alu instid0(VALU_DEP_1)
	v_add_co_u32 v16, vcc_lo, v2, v14
	s_wait_alu 0xfffd
	v_add_co_ci_u32_e64 v17, null, v18, v15, vcc_lo
	flat_load_b64 v[19:20], v[16:17]
	s_wait_loadcnt_dscnt 0x0
	v_fma_f64 v[19:20], s[6:7], v[19:20], v[12:13]
	flat_store_b64 v[16:17], v[19:20]
	s_cbranch_execnz .LBB482_5
	s_branch .LBB482_34
.LBB482_30:                             ;   in Loop: Header=BB482_6 Depth=1
	s_branch .LBB482_18
.LBB482_31:                             ;   in Loop: Header=BB482_6 Depth=1
	s_branch .LBB482_22
.LBB482_32:                             ;   in Loop: Header=BB482_6 Depth=1
	s_branch .LBB482_26
.LBB482_33:                             ;   in Loop: Header=BB482_6 Depth=1
.LBB482_34:                             ;   in Loop: Header=BB482_6 Depth=1
	s_delay_alu instid0(VALU_DEP_1)
	v_add_co_u32 v14, vcc_lo, v2, v14
	s_wait_alu 0xfffd
	v_add_co_ci_u32_e64 v15, null, v18, v15, vcc_lo
	flat_store_b64 v[14:15], v[12:13]
	s_branch .LBB482_5
.LBB482_35:
	s_endpgm
	.section	.rodata,"a",@progbits
	.p2align	6, 0x0
	.amdhsa_kernel _ZL29rocblas_internal_gemmt_kernelIlLi16ELi32ELi8ELc84ELc67ELc76ELb0ELb0EdPKdPKS1_PKPdEviT_T9_T10_S7_lS9_S7_lS8_T11_S7_li
		.amdhsa_group_segment_fixed_size 4096
		.amdhsa_private_segment_fixed_size 0
		.amdhsa_kernarg_size 108
		.amdhsa_user_sgpr_count 2
		.amdhsa_user_sgpr_dispatch_ptr 0
		.amdhsa_user_sgpr_queue_ptr 0
		.amdhsa_user_sgpr_kernarg_segment_ptr 1
		.amdhsa_user_sgpr_dispatch_id 0
		.amdhsa_user_sgpr_private_segment_size 0
		.amdhsa_wavefront_size32 1
		.amdhsa_uses_dynamic_stack 0
		.amdhsa_enable_private_segment 0
		.amdhsa_system_sgpr_workgroup_id_x 1
		.amdhsa_system_sgpr_workgroup_id_y 1
		.amdhsa_system_sgpr_workgroup_id_z 1
		.amdhsa_system_sgpr_workgroup_info 0
		.amdhsa_system_vgpr_workitem_id 1
		.amdhsa_next_free_vgpr 53
		.amdhsa_next_free_sgpr 39
		.amdhsa_reserve_vcc 1
		.amdhsa_float_round_mode_32 0
		.amdhsa_float_round_mode_16_64 0
		.amdhsa_float_denorm_mode_32 3
		.amdhsa_float_denorm_mode_16_64 3
		.amdhsa_fp16_overflow 0
		.amdhsa_workgroup_processor_mode 1
		.amdhsa_memory_ordered 1
		.amdhsa_forward_progress 1
		.amdhsa_inst_pref_size 17
		.amdhsa_round_robin_scheduling 0
		.amdhsa_exception_fp_ieee_invalid_op 0
		.amdhsa_exception_fp_denorm_src 0
		.amdhsa_exception_fp_ieee_div_zero 0
		.amdhsa_exception_fp_ieee_overflow 0
		.amdhsa_exception_fp_ieee_underflow 0
		.amdhsa_exception_fp_ieee_inexact 0
		.amdhsa_exception_int_div_zero 0
	.end_amdhsa_kernel
	.section	.text._ZL29rocblas_internal_gemmt_kernelIlLi16ELi32ELi8ELc84ELc67ELc76ELb0ELb0EdPKdPKS1_PKPdEviT_T9_T10_S7_lS9_S7_lS8_T11_S7_li,"axG",@progbits,_ZL29rocblas_internal_gemmt_kernelIlLi16ELi32ELi8ELc84ELc67ELc76ELb0ELb0EdPKdPKS1_PKPdEviT_T9_T10_S7_lS9_S7_lS8_T11_S7_li,comdat
.Lfunc_end482:
	.size	_ZL29rocblas_internal_gemmt_kernelIlLi16ELi32ELi8ELc84ELc67ELc76ELb0ELb0EdPKdPKS1_PKPdEviT_T9_T10_S7_lS9_S7_lS8_T11_S7_li, .Lfunc_end482-_ZL29rocblas_internal_gemmt_kernelIlLi16ELi32ELi8ELc84ELc67ELc76ELb0ELb0EdPKdPKS1_PKPdEviT_T9_T10_S7_lS9_S7_lS8_T11_S7_li
                                        ; -- End function
	.set _ZL29rocblas_internal_gemmt_kernelIlLi16ELi32ELi8ELc84ELc67ELc76ELb0ELb0EdPKdPKS1_PKPdEviT_T9_T10_S7_lS9_S7_lS8_T11_S7_li.num_vgpr, 53
	.set _ZL29rocblas_internal_gemmt_kernelIlLi16ELi32ELi8ELc84ELc67ELc76ELb0ELb0EdPKdPKS1_PKPdEviT_T9_T10_S7_lS9_S7_lS8_T11_S7_li.num_agpr, 0
	.set _ZL29rocblas_internal_gemmt_kernelIlLi16ELi32ELi8ELc84ELc67ELc76ELb0ELb0EdPKdPKS1_PKPdEviT_T9_T10_S7_lS9_S7_lS8_T11_S7_li.numbered_sgpr, 39
	.set _ZL29rocblas_internal_gemmt_kernelIlLi16ELi32ELi8ELc84ELc67ELc76ELb0ELb0EdPKdPKS1_PKPdEviT_T9_T10_S7_lS9_S7_lS8_T11_S7_li.num_named_barrier, 0
	.set _ZL29rocblas_internal_gemmt_kernelIlLi16ELi32ELi8ELc84ELc67ELc76ELb0ELb0EdPKdPKS1_PKPdEviT_T9_T10_S7_lS9_S7_lS8_T11_S7_li.private_seg_size, 0
	.set _ZL29rocblas_internal_gemmt_kernelIlLi16ELi32ELi8ELc84ELc67ELc76ELb0ELb0EdPKdPKS1_PKPdEviT_T9_T10_S7_lS9_S7_lS8_T11_S7_li.uses_vcc, 1
	.set _ZL29rocblas_internal_gemmt_kernelIlLi16ELi32ELi8ELc84ELc67ELc76ELb0ELb0EdPKdPKS1_PKPdEviT_T9_T10_S7_lS9_S7_lS8_T11_S7_li.uses_flat_scratch, 0
	.set _ZL29rocblas_internal_gemmt_kernelIlLi16ELi32ELi8ELc84ELc67ELc76ELb0ELb0EdPKdPKS1_PKPdEviT_T9_T10_S7_lS9_S7_lS8_T11_S7_li.has_dyn_sized_stack, 0
	.set _ZL29rocblas_internal_gemmt_kernelIlLi16ELi32ELi8ELc84ELc67ELc76ELb0ELb0EdPKdPKS1_PKPdEviT_T9_T10_S7_lS9_S7_lS8_T11_S7_li.has_recursion, 0
	.set _ZL29rocblas_internal_gemmt_kernelIlLi16ELi32ELi8ELc84ELc67ELc76ELb0ELb0EdPKdPKS1_PKPdEviT_T9_T10_S7_lS9_S7_lS8_T11_S7_li.has_indirect_call, 0
	.section	.AMDGPU.csdata,"",@progbits
; Kernel info:
; codeLenInByte = 2140
; TotalNumSgprs: 41
; NumVgprs: 53
; ScratchSize: 0
; MemoryBound: 0
; FloatMode: 240
; IeeeMode: 1
; LDSByteSize: 4096 bytes/workgroup (compile time only)
; SGPRBlocks: 0
; VGPRBlocks: 6
; NumSGPRsForWavesPerEU: 41
; NumVGPRsForWavesPerEU: 53
; Occupancy: 16
; WaveLimiterHint : 1
; COMPUTE_PGM_RSRC2:SCRATCH_EN: 0
; COMPUTE_PGM_RSRC2:USER_SGPR: 2
; COMPUTE_PGM_RSRC2:TRAP_HANDLER: 0
; COMPUTE_PGM_RSRC2:TGID_X_EN: 1
; COMPUTE_PGM_RSRC2:TGID_Y_EN: 1
; COMPUTE_PGM_RSRC2:TGID_Z_EN: 1
; COMPUTE_PGM_RSRC2:TIDIG_COMP_CNT: 1
	.section	.text._ZL29rocblas_internal_gemmt_kernelIlLi16ELi32ELi8ELc67ELc78ELc76ELb0ELb0EdPKdPKS1_PKPdEviT_T9_T10_S7_lS9_S7_lS8_T11_S7_li,"axG",@progbits,_ZL29rocblas_internal_gemmt_kernelIlLi16ELi32ELi8ELc67ELc78ELc76ELb0ELb0EdPKdPKS1_PKPdEviT_T9_T10_S7_lS9_S7_lS8_T11_S7_li,comdat
	.globl	_ZL29rocblas_internal_gemmt_kernelIlLi16ELi32ELi8ELc67ELc78ELc76ELb0ELb0EdPKdPKS1_PKPdEviT_T9_T10_S7_lS9_S7_lS8_T11_S7_li ; -- Begin function _ZL29rocblas_internal_gemmt_kernelIlLi16ELi32ELi8ELc67ELc78ELc76ELb0ELb0EdPKdPKS1_PKPdEviT_T9_T10_S7_lS9_S7_lS8_T11_S7_li
	.p2align	8
	.type	_ZL29rocblas_internal_gemmt_kernelIlLi16ELi32ELi8ELc67ELc78ELc76ELb0ELb0EdPKdPKS1_PKPdEviT_T9_T10_S7_lS9_S7_lS8_T11_S7_li,@function
_ZL29rocblas_internal_gemmt_kernelIlLi16ELi32ELi8ELc67ELc78ELc76ELb0ELb0EdPKdPKS1_PKPdEviT_T9_T10_S7_lS9_S7_lS8_T11_S7_li: ; @_ZL29rocblas_internal_gemmt_kernelIlLi16ELi32ELi8ELc67ELc78ELc76ELb0ELb0EdPKdPKS1_PKPdEviT_T9_T10_S7_lS9_S7_lS8_T11_S7_li
; %bb.0:
	s_clause 0x1
	s_load_b256 s[24:31], s[0:1], 0x48
	s_load_b512 s[8:23], s[0:1], 0x8
	s_wait_kmcnt 0x0
	s_load_b64 s[6:7], s[24:25], 0x0
	s_load_b64 s[10:11], s[10:11], 0x0
	s_wait_kmcnt 0x0
	v_cmp_neq_f64_e64 s2, s[6:7], 1.0
	s_and_b32 vcc_lo, exec_lo, s2
	s_cbranch_vccnz .LBB483_2
; %bb.1:
	v_cmp_neq_f64_e64 s2, s[10:11], 0
	s_cmp_lg_u64 s[8:9], 0
	s_cselect_b32 s3, -1, 0
	s_delay_alu instid0(SALU_CYCLE_1)
	s_and_b32 s2, s3, s2
.LBB483_2:
	s_delay_alu instid0(SALU_CYCLE_1)
	s_and_not1_b32 vcc_lo, exec_lo, s2
	s_cbranch_vccnz .LBB483_35
; %bb.3:
	s_load_b32 s33, s[0:1], 0x68
	s_lshr_b32 s24, ttmp7, 16
	s_wait_kmcnt 0x0
	s_cmp_ge_u32 s24, s33
	s_cbranch_scc1 .LBB483_35
; %bb.4:
	v_and_b32_e32 v5, 0x3ff, v0
	v_bfe_u32 v14, v0, 10, 10
	s_load_b32 s4, s[0:1], 0x0
	s_lshl_b32 s0, ttmp7, 5
	s_lshl_b32 s2, ttmp9, 5
	s_and_b32 s0, s0, 0x1fffe0
	v_lshl_add_u32 v1, v14, 4, v5
	v_add_nc_u32_e32 v15, s0, v14
	s_ashr_i32 s1, s2, 31
	v_cmp_neq_f64_e64 s35, s[10:11], 0
	s_wait_alu 0xfffe
	s_mul_i32 s1, s14, s1
	v_lshrrev_b32_e32 v2, 3, v1
	v_mad_co_u64_u32 v[10:11], null, s28, v15, 0
	v_and_b32_e32 v28, 7, v0
	v_and_b32_e32 v0, 31, v1
	s_delay_alu instid0(VALU_DEP_4)
	v_add_nc_u32_e32 v4, s0, v2
	v_add_nc_u32_e32 v16, 16, v15
	v_lshrrev_b32_e32 v29, 5, v1
	v_cmp_gt_i64_e64 s36, s[8:9], 0
	v_or_b32_e32 v3, s2, v0
	v_mad_co_u64_u32 v[8:9], null, s20, v4, 0
	v_mad_co_u64_u32 v[12:13], null, s28, v16, 0
	s_delay_alu instid0(VALU_DEP_3)
	v_mul_lo_u32 v1, s15, v3
	v_mad_co_u64_u32 v[6:7], null, s14, v3, 0
	v_lshlrev_b32_e32 v0, 3, v0
	v_cmp_neq_f64_e64 s20, s[6:7], 0
	s_wait_kmcnt 0x0
	v_cmp_gt_i32_e64 s0, s4, v3
	v_lshl_add_u32 v33, v14, 6, 0x800
	s_mov_b32 s25, 0
	v_lshl_or_b32 v30, v29, 8, v0
	s_wait_alu 0xfffe
	v_add3_u32 v7, v7, s1, v1
	v_dual_mov_b32 v0, v9 :: v_dual_mov_b32 v1, v11
	v_lshlrev_b32_e32 v3, 3, v28
	v_cmp_gt_i32_e64 s1, s4, v4
	v_lshlrev_b32_e32 v32, 3, v5
	v_lshlrev_b64_e32 v[6:7], 3, v[6:7]
	s_lshl_b64 s[14:15], s[30:31], 3
	v_lshl_or_b32 v9, v2, 6, v3
	v_mad_co_u64_u32 v[2:3], null, s21, v4, v[0:1]
	v_add_nc_u32_e32 v0, s2, v5
	s_delay_alu instid0(VALU_DEP_3) | instskip(SKIP_1) | instid1(VALU_DEP_3)
	v_add_nc_u32_e32 v31, 0x800, v9
	s_and_b32 s35, s35, s36
	v_mad_co_u64_u32 v[3:4], null, s29, v15, v[1:2]
	s_delay_alu instid0(VALU_DEP_3) | instskip(SKIP_1) | instid1(VALU_DEP_2)
	v_dual_mov_b32 v9, v2 :: v_dual_add_nc_u32 v2, 16, v0
	v_mov_b32_e32 v1, v13
	v_lshlrev_b64_e32 v[8:9], 3, v[8:9]
	s_delay_alu instid0(VALU_DEP_4) | instskip(NEXT) | instid1(VALU_DEP_3)
	v_mov_b32_e32 v11, v3
	v_mad_co_u64_u32 v[4:5], null, s29, v16, v[1:2]
	v_mov_b32_e32 v5, 0
	v_cmp_le_i32_e32 vcc_lo, v15, v0
	v_cmp_gt_i32_e64 s2, s4, v0
	v_cmp_le_i32_e64 s3, v15, v2
	v_cmp_gt_i32_e64 s4, s4, v2
	v_lshlrev_b64_e32 v[10:11], 3, v[10:11]
	v_mov_b32_e32 v13, v4
	s_and_b32 s21, vcc_lo, s2
	v_cmp_le_i32_e32 vcc_lo, v16, v0
	v_cmp_le_i32_e64 s5, v16, v2
	v_ashrrev_i32_e32 v1, 31, v0
	v_lshlrev_b64_e32 v[12:13], 3, v[12:13]
	v_ashrrev_i32_e32 v3, 31, v2
	s_and_b32 s28, s3, s4
	s_and_b32 s29, vcc_lo, s2
	s_and_b32 s34, s5, s4
	s_lshl_b64 s[2:3], s[22:23], 3
	s_lshl_b64 s[4:5], s[16:17], 3
	s_branch .LBB483_6
.LBB483_5:                              ;   in Loop: Header=BB483_6 Depth=1
	s_wait_alu 0xfffe
	s_or_b32 exec_lo, exec_lo, s16
	s_add_co_i32 s24, s24, 0x10000
	s_delay_alu instid0(SALU_CYCLE_1)
	s_cmp_lt_u32 s24, s33
	s_cbranch_scc0 .LBB483_35
.LBB483_6:                              ; =>This Loop Header: Depth=1
                                        ;     Child Loop BB483_9 Depth 2
	s_lshl_b64 s[16:17], s[24:25], 3
	v_mov_b32_e32 v22, 0
	s_wait_alu 0xfffe
	s_add_nc_u64 s[22:23], s[26:27], s[16:17]
	v_mov_b32_e32 v16, 0
	global_load_b64 v[18:19], v5, s[22:23]
	v_dual_mov_b32 v23, 0 :: v_dual_mov_b32 v20, 0
	v_dual_mov_b32 v17, 0 :: v_dual_mov_b32 v14, 0
	v_mov_b32_e32 v21, 0
	v_mov_b32_e32 v15, 0
	s_and_not1_b32 vcc_lo, exec_lo, s35
	s_wait_alu 0xfffe
	s_cbranch_vccnz .LBB483_15
; %bb.7:                                ;   in Loop: Header=BB483_6 Depth=1
	s_add_nc_u64 s[22:23], s[12:13], s[16:17]
	s_add_nc_u64 s[16:17], s[18:19], s[16:17]
	s_clause 0x1
	global_load_b64 v[24:25], v5, s[22:23]
	global_load_b64 v[26:27], v5, s[16:17]
	v_mov_b32_e32 v14, 0
	v_dual_mov_b32 v20, 0 :: v_dual_mov_b32 v15, 0
	v_dual_mov_b32 v16, 0 :: v_dual_mov_b32 v21, 0
	;; [unrolled: 1-line block ×3, first 2 shown]
	v_mov_b32_e32 v23, 0
	s_mov_b64 s[16:17], 0
	s_wait_loadcnt 0x1
	v_add_co_u32 v4, vcc_lo, v24, s4
	s_wait_alu 0xfffd
	v_add_co_ci_u32_e64 v24, null, s5, v25, vcc_lo
	s_wait_loadcnt 0x0
	v_add_co_u32 v25, vcc_lo, v26, s2
	s_wait_alu 0xfffd
	v_add_co_ci_u32_e64 v26, null, s3, v27, vcc_lo
	v_add_co_u32 v34, vcc_lo, v4, v6
	s_wait_alu 0xfffd
	v_add_co_ci_u32_e64 v35, null, v24, v7, vcc_lo
	;; [unrolled: 3-line block ×3, first 2 shown]
	s_branch .LBB483_9
.LBB483_8:                              ;   in Loop: Header=BB483_9 Depth=2
	s_or_b32 exec_lo, exec_lo, s22
	s_wait_loadcnt_dscnt 0x0
	ds_store_b64 v31, v[26:27]
	s_wait_dscnt 0x0
	s_barrier_signal -1
	s_barrier_wait -1
	global_inv scope:SCOPE_SE
	ds_load_b128 v[24:27], v33
	ds_load_2addr_b64 v[38:41], v32 offset1:16
	ds_load_b128 v[42:45], v33 offset:1024
	ds_load_b128 v[46:49], v33 offset:16
	;; [unrolled: 1-line block ×3, first 2 shown]
	s_add_nc_u64 s[16:17], s[16:17], 8
	s_wait_alu 0xfffe
	v_cmp_gt_i64_e64 s22, s[8:9], s[16:17]
	s_and_b32 vcc_lo, exec_lo, s22
	s_wait_dscnt 0x3
	v_fma_f64 v[22:23], v[38:39], v[24:25], v[22:23]
	v_fma_f64 v[20:21], v[40:41], v[24:25], v[20:21]
	s_wait_dscnt 0x2
	v_fma_f64 v[24:25], v[38:39], v[42:43], v[16:17]
	v_fma_f64 v[38:39], v[40:41], v[42:43], v[14:15]
	ds_load_2addr_b64 v[14:17], v32 offset0:32 offset1:48
	s_wait_dscnt 0x0
	v_fma_f64 v[22:23], v[14:15], v[26:27], v[22:23]
	v_fma_f64 v[20:21], v[16:17], v[26:27], v[20:21]
	v_fma_f64 v[24:25], v[14:15], v[44:45], v[24:25]
	v_fma_f64 v[26:27], v[16:17], v[44:45], v[38:39]
	ds_load_2addr_b64 v[14:17], v32 offset0:64 offset1:80
	s_wait_dscnt 0x0
	v_fma_f64 v[22:23], v[14:15], v[46:47], v[22:23]
	v_fma_f64 v[20:21], v[16:17], v[46:47], v[20:21]
	;; [unrolled: 6-line block ×3, first 2 shown]
	v_fma_f64 v[50:51], v[14:15], v[52:53], v[24:25]
	v_fma_f64 v[52:53], v[16:17], v[52:53], v[26:27]
	ds_load_b128 v[14:17], v33 offset:32
	ds_load_2addr_b64 v[20:23], v32 offset0:128 offset1:144
	ds_load_b128 v[24:27], v33 offset:1056
	ds_load_b128 v[38:41], v33 offset:48
	;; [unrolled: 1-line block ×3, first 2 shown]
	s_wait_dscnt 0x3
	v_fma_f64 v[46:47], v[20:21], v[14:15], v[46:47]
	v_fma_f64 v[14:15], v[22:23], v[14:15], v[48:49]
	s_wait_dscnt 0x2
	v_fma_f64 v[48:49], v[20:21], v[24:25], v[50:51]
	v_fma_f64 v[24:25], v[22:23], v[24:25], v[52:53]
	ds_load_2addr_b64 v[20:23], v32 offset0:160 offset1:176
	s_wait_dscnt 0x0
	v_fma_f64 v[46:47], v[20:21], v[16:17], v[46:47]
	v_fma_f64 v[50:51], v[22:23], v[16:17], v[14:15]
	;; [unrolled: 1-line block ×4, first 2 shown]
	ds_load_2addr_b64 v[14:17], v32 offset0:192 offset1:208
	ds_load_2addr_b64 v[24:27], v32 offset0:224 offset1:240
	s_wait_loadcnt_dscnt 0x0
	s_barrier_signal -1
	s_barrier_wait -1
	global_inv scope:SCOPE_SE
	v_fma_f64 v[46:47], v[14:15], v[38:39], v[46:47]
	v_fma_f64 v[38:39], v[16:17], v[38:39], v[50:51]
	;; [unrolled: 1-line block ×4, first 2 shown]
	s_delay_alu instid0(VALU_DEP_4) | instskip(NEXT) | instid1(VALU_DEP_4)
	v_fma_f64 v[22:23], v[24:25], v[40:41], v[46:47]
	v_fma_f64 v[20:21], v[26:27], v[40:41], v[38:39]
	s_delay_alu instid0(VALU_DEP_4) | instskip(NEXT) | instid1(VALU_DEP_4)
	v_fma_f64 v[16:17], v[24:25], v[44:45], v[14:15]
	v_fma_f64 v[14:15], v[26:27], v[44:45], v[42:43]
	s_wait_alu 0xfffe
	s_cbranch_vccz .LBB483_15
.LBB483_9:                              ;   Parent Loop BB483_6 Depth=1
                                        ; =>  This Inner Loop Header: Depth=2
	v_mov_b32_e32 v24, 0
	v_mov_b32_e32 v25, 0
	s_and_saveexec_b32 s22, s0
	s_cbranch_execz .LBB483_13
; %bb.10:                               ;   in Loop: Header=BB483_9 Depth=2
	v_mov_b32_e32 v24, 0
	s_wait_alu 0xfffe
	v_dual_mov_b32 v25, 0 :: v_dual_add_nc_u32 v4, s16, v29
	s_mov_b32 s23, exec_lo
	s_delay_alu instid0(VALU_DEP_1)
	v_cmpx_gt_u64_e64 s[8:9], v[4:5]
	s_cbranch_execz .LBB483_12
; %bb.11:                               ;   in Loop: Header=BB483_9 Depth=2
	v_lshlrev_b64_e32 v[24:25], 3, v[4:5]
	s_delay_alu instid0(VALU_DEP_1) | instskip(SKIP_1) | instid1(VALU_DEP_2)
	v_add_co_u32 v24, vcc_lo, v34, v24
	s_wait_alu 0xfffd
	v_add_co_ci_u32_e64 v25, null, v35, v25, vcc_lo
	flat_load_b64 v[24:25], v[24:25]
.LBB483_12:                             ;   in Loop: Header=BB483_9 Depth=2
	s_or_b32 exec_lo, exec_lo, s23
.LBB483_13:                             ;   in Loop: Header=BB483_9 Depth=2
	s_delay_alu instid0(SALU_CYCLE_1)
	s_or_b32 exec_lo, exec_lo, s22
	s_wait_alu 0xfffe
	v_add_nc_u32_e32 v4, s16, v28
	v_mov_b32_e32 v26, 0
	v_mov_b32_e32 v27, 0
	s_wait_loadcnt_dscnt 0x0
	ds_store_b64 v30, v[24:25]
	v_cmp_gt_u64_e32 vcc_lo, s[8:9], v[4:5]
	s_and_b32 s23, vcc_lo, s1
	s_delay_alu instid0(SALU_CYCLE_1)
	s_and_saveexec_b32 s22, s23
	s_cbranch_execz .LBB483_8
; %bb.14:                               ;   in Loop: Header=BB483_9 Depth=2
	v_lshlrev_b64_e32 v[24:25], 3, v[4:5]
	s_delay_alu instid0(VALU_DEP_1) | instskip(SKIP_1) | instid1(VALU_DEP_2)
	v_add_co_u32 v24, vcc_lo, v36, v24
	s_wait_alu 0xfffd
	v_add_co_ci_u32_e64 v25, null, v37, v25, vcc_lo
	flat_load_b64 v[26:27], v[24:25]
	s_branch .LBB483_8
.LBB483_15:                             ;   in Loop: Header=BB483_6 Depth=1
	s_wait_loadcnt 0x0
	s_wait_alu 0xfffe
	v_add_co_u32 v4, vcc_lo, v18, s14
	s_wait_alu 0xfffd
	v_add_co_ci_u32_e64 v24, null, s15, v19, vcc_lo
	s_delay_alu instid0(VALU_DEP_2) | instskip(SKIP_1) | instid1(VALU_DEP_2)
	v_add_co_u32 v25, vcc_lo, v4, v10
	s_wait_alu 0xfffd
	v_add_co_ci_u32_e64 v26, null, v24, v11, vcc_lo
	s_and_saveexec_b32 s16, s21
	s_cbranch_execz .LBB483_19
; %bb.16:                               ;   in Loop: Header=BB483_6 Depth=1
	v_mul_f64_e32 v[18:19], s[10:11], v[22:23]
	s_and_b32 vcc_lo, exec_lo, s20
	s_wait_alu 0xfffe
	s_cbranch_vccz .LBB483_30
; %bb.17:                               ;   in Loop: Header=BB483_6 Depth=1
	v_lshlrev_b64_e32 v[22:23], 3, v[0:1]
	s_delay_alu instid0(VALU_DEP_1) | instskip(SKIP_1) | instid1(VALU_DEP_2)
	v_add_co_u32 v22, vcc_lo, v25, v22
	s_wait_alu 0xfffd
	v_add_co_ci_u32_e64 v23, null, v26, v23, vcc_lo
	flat_load_b64 v[34:35], v[22:23]
	s_wait_loadcnt_dscnt 0x0
	v_fma_f64 v[34:35], s[6:7], v[34:35], v[18:19]
	flat_store_b64 v[22:23], v[34:35]
	s_cbranch_execnz .LBB483_19
.LBB483_18:                             ;   in Loop: Header=BB483_6 Depth=1
	v_lshlrev_b64_e32 v[22:23], 3, v[0:1]
	s_delay_alu instid0(VALU_DEP_1) | instskip(SKIP_1) | instid1(VALU_DEP_2)
	v_add_co_u32 v22, vcc_lo, v25, v22
	s_wait_alu 0xfffd
	v_add_co_ci_u32_e64 v23, null, v26, v23, vcc_lo
	flat_store_b64 v[22:23], v[18:19]
.LBB483_19:                             ;   in Loop: Header=BB483_6 Depth=1
	s_wait_alu 0xfffe
	s_or_b32 exec_lo, exec_lo, s16
	s_and_saveexec_b32 s16, s28
	s_cbranch_execz .LBB483_23
; %bb.20:                               ;   in Loop: Header=BB483_6 Depth=1
	v_mul_f64_e32 v[18:19], s[10:11], v[20:21]
	s_and_not1_b32 vcc_lo, exec_lo, s20
	s_wait_alu 0xfffe
	s_cbranch_vccnz .LBB483_31
; %bb.21:                               ;   in Loop: Header=BB483_6 Depth=1
	v_lshlrev_b64_e32 v[20:21], 3, v[2:3]
	s_delay_alu instid0(VALU_DEP_1) | instskip(SKIP_1) | instid1(VALU_DEP_2)
	v_add_co_u32 v20, vcc_lo, v25, v20
	s_wait_alu 0xfffd
	v_add_co_ci_u32_e64 v21, null, v26, v21, vcc_lo
	flat_load_b64 v[22:23], v[20:21]
	s_wait_loadcnt_dscnt 0x0
	v_fma_f64 v[22:23], s[6:7], v[22:23], v[18:19]
	flat_store_b64 v[20:21], v[22:23]
	s_cbranch_execnz .LBB483_23
.LBB483_22:                             ;   in Loop: Header=BB483_6 Depth=1
	v_lshlrev_b64_e32 v[20:21], 3, v[2:3]
	s_delay_alu instid0(VALU_DEP_1) | instskip(SKIP_1) | instid1(VALU_DEP_2)
	v_add_co_u32 v20, vcc_lo, v25, v20
	s_wait_alu 0xfffd
	v_add_co_ci_u32_e64 v21, null, v26, v21, vcc_lo
	flat_store_b64 v[20:21], v[18:19]
.LBB483_23:                             ;   in Loop: Header=BB483_6 Depth=1
	s_wait_alu 0xfffe
	s_or_b32 exec_lo, exec_lo, s16
	v_add_co_u32 v4, vcc_lo, v4, v12
	s_wait_alu 0xfffd
	v_add_co_ci_u32_e64 v20, null, v24, v13, vcc_lo
	s_and_saveexec_b32 s16, s29
	s_cbranch_execz .LBB483_27
; %bb.24:                               ;   in Loop: Header=BB483_6 Depth=1
	v_mul_f64_e32 v[16:17], s[10:11], v[16:17]
	v_lshlrev_b64_e32 v[18:19], 3, v[0:1]
	s_and_not1_b32 vcc_lo, exec_lo, s20
	s_wait_alu 0xfffe
	s_cbranch_vccnz .LBB483_32
; %bb.25:                               ;   in Loop: Header=BB483_6 Depth=1
	s_delay_alu instid0(VALU_DEP_1)
	v_add_co_u32 v21, vcc_lo, v4, v18
	s_wait_alu 0xfffd
	v_add_co_ci_u32_e64 v22, null, v20, v19, vcc_lo
	flat_load_b64 v[23:24], v[21:22]
	s_wait_loadcnt_dscnt 0x0
	v_fma_f64 v[23:24], s[6:7], v[23:24], v[16:17]
	flat_store_b64 v[21:22], v[23:24]
	s_cbranch_execnz .LBB483_27
.LBB483_26:                             ;   in Loop: Header=BB483_6 Depth=1
	s_delay_alu instid0(VALU_DEP_1)
	v_add_co_u32 v18, vcc_lo, v4, v18
	s_wait_alu 0xfffd
	v_add_co_ci_u32_e64 v19, null, v20, v19, vcc_lo
	flat_store_b64 v[18:19], v[16:17]
.LBB483_27:                             ;   in Loop: Header=BB483_6 Depth=1
	s_wait_alu 0xfffe
	s_or_b32 exec_lo, exec_lo, s16
	s_and_saveexec_b32 s16, s34
	s_cbranch_execz .LBB483_5
; %bb.28:                               ;   in Loop: Header=BB483_6 Depth=1
	v_mul_f64_e32 v[14:15], s[10:11], v[14:15]
	v_lshlrev_b64_e32 v[16:17], 3, v[2:3]
	s_and_not1_b32 vcc_lo, exec_lo, s20
	s_wait_alu 0xfffe
	s_cbranch_vccnz .LBB483_33
; %bb.29:                               ;   in Loop: Header=BB483_6 Depth=1
	s_delay_alu instid0(VALU_DEP_1)
	v_add_co_u32 v18, vcc_lo, v4, v16
	s_wait_alu 0xfffd
	v_add_co_ci_u32_e64 v19, null, v20, v17, vcc_lo
	flat_load_b64 v[21:22], v[18:19]
	s_wait_loadcnt_dscnt 0x0
	v_fma_f64 v[21:22], s[6:7], v[21:22], v[14:15]
	flat_store_b64 v[18:19], v[21:22]
	s_cbranch_execnz .LBB483_5
	s_branch .LBB483_34
.LBB483_30:                             ;   in Loop: Header=BB483_6 Depth=1
	s_branch .LBB483_18
.LBB483_31:                             ;   in Loop: Header=BB483_6 Depth=1
	s_branch .LBB483_22
.LBB483_32:                             ;   in Loop: Header=BB483_6 Depth=1
	s_branch .LBB483_26
.LBB483_33:                             ;   in Loop: Header=BB483_6 Depth=1
.LBB483_34:                             ;   in Loop: Header=BB483_6 Depth=1
	s_delay_alu instid0(VALU_DEP_1)
	v_add_co_u32 v16, vcc_lo, v4, v16
	s_wait_alu 0xfffd
	v_add_co_ci_u32_e64 v17, null, v20, v17, vcc_lo
	flat_store_b64 v[16:17], v[14:15]
	s_branch .LBB483_5
.LBB483_35:
	s_endpgm
	.section	.rodata,"a",@progbits
	.p2align	6, 0x0
	.amdhsa_kernel _ZL29rocblas_internal_gemmt_kernelIlLi16ELi32ELi8ELc67ELc78ELc76ELb0ELb0EdPKdPKS1_PKPdEviT_T9_T10_S7_lS9_S7_lS8_T11_S7_li
		.amdhsa_group_segment_fixed_size 4096
		.amdhsa_private_segment_fixed_size 0
		.amdhsa_kernarg_size 108
		.amdhsa_user_sgpr_count 2
		.amdhsa_user_sgpr_dispatch_ptr 0
		.amdhsa_user_sgpr_queue_ptr 0
		.amdhsa_user_sgpr_kernarg_segment_ptr 1
		.amdhsa_user_sgpr_dispatch_id 0
		.amdhsa_user_sgpr_private_segment_size 0
		.amdhsa_wavefront_size32 1
		.amdhsa_uses_dynamic_stack 0
		.amdhsa_enable_private_segment 0
		.amdhsa_system_sgpr_workgroup_id_x 1
		.amdhsa_system_sgpr_workgroup_id_y 1
		.amdhsa_system_sgpr_workgroup_id_z 1
		.amdhsa_system_sgpr_workgroup_info 0
		.amdhsa_system_vgpr_workitem_id 1
		.amdhsa_next_free_vgpr 54
		.amdhsa_next_free_sgpr 37
		.amdhsa_reserve_vcc 1
		.amdhsa_float_round_mode_32 0
		.amdhsa_float_round_mode_16_64 0
		.amdhsa_float_denorm_mode_32 3
		.amdhsa_float_denorm_mode_16_64 3
		.amdhsa_fp16_overflow 0
		.amdhsa_workgroup_processor_mode 1
		.amdhsa_memory_ordered 1
		.amdhsa_forward_progress 1
		.amdhsa_inst_pref_size 17
		.amdhsa_round_robin_scheduling 0
		.amdhsa_exception_fp_ieee_invalid_op 0
		.amdhsa_exception_fp_denorm_src 0
		.amdhsa_exception_fp_ieee_div_zero 0
		.amdhsa_exception_fp_ieee_overflow 0
		.amdhsa_exception_fp_ieee_underflow 0
		.amdhsa_exception_fp_ieee_inexact 0
		.amdhsa_exception_int_div_zero 0
	.end_amdhsa_kernel
	.section	.text._ZL29rocblas_internal_gemmt_kernelIlLi16ELi32ELi8ELc67ELc78ELc76ELb0ELb0EdPKdPKS1_PKPdEviT_T9_T10_S7_lS9_S7_lS8_T11_S7_li,"axG",@progbits,_ZL29rocblas_internal_gemmt_kernelIlLi16ELi32ELi8ELc67ELc78ELc76ELb0ELb0EdPKdPKS1_PKPdEviT_T9_T10_S7_lS9_S7_lS8_T11_S7_li,comdat
.Lfunc_end483:
	.size	_ZL29rocblas_internal_gemmt_kernelIlLi16ELi32ELi8ELc67ELc78ELc76ELb0ELb0EdPKdPKS1_PKPdEviT_T9_T10_S7_lS9_S7_lS8_T11_S7_li, .Lfunc_end483-_ZL29rocblas_internal_gemmt_kernelIlLi16ELi32ELi8ELc67ELc78ELc76ELb0ELb0EdPKdPKS1_PKPdEviT_T9_T10_S7_lS9_S7_lS8_T11_S7_li
                                        ; -- End function
	.set _ZL29rocblas_internal_gemmt_kernelIlLi16ELi32ELi8ELc67ELc78ELc76ELb0ELb0EdPKdPKS1_PKPdEviT_T9_T10_S7_lS9_S7_lS8_T11_S7_li.num_vgpr, 54
	.set _ZL29rocblas_internal_gemmt_kernelIlLi16ELi32ELi8ELc67ELc78ELc76ELb0ELb0EdPKdPKS1_PKPdEviT_T9_T10_S7_lS9_S7_lS8_T11_S7_li.num_agpr, 0
	.set _ZL29rocblas_internal_gemmt_kernelIlLi16ELi32ELi8ELc67ELc78ELc76ELb0ELb0EdPKdPKS1_PKPdEviT_T9_T10_S7_lS9_S7_lS8_T11_S7_li.numbered_sgpr, 37
	.set _ZL29rocblas_internal_gemmt_kernelIlLi16ELi32ELi8ELc67ELc78ELc76ELb0ELb0EdPKdPKS1_PKPdEviT_T9_T10_S7_lS9_S7_lS8_T11_S7_li.num_named_barrier, 0
	.set _ZL29rocblas_internal_gemmt_kernelIlLi16ELi32ELi8ELc67ELc78ELc76ELb0ELb0EdPKdPKS1_PKPdEviT_T9_T10_S7_lS9_S7_lS8_T11_S7_li.private_seg_size, 0
	.set _ZL29rocblas_internal_gemmt_kernelIlLi16ELi32ELi8ELc67ELc78ELc76ELb0ELb0EdPKdPKS1_PKPdEviT_T9_T10_S7_lS9_S7_lS8_T11_S7_li.uses_vcc, 1
	.set _ZL29rocblas_internal_gemmt_kernelIlLi16ELi32ELi8ELc67ELc78ELc76ELb0ELb0EdPKdPKS1_PKPdEviT_T9_T10_S7_lS9_S7_lS8_T11_S7_li.uses_flat_scratch, 0
	.set _ZL29rocblas_internal_gemmt_kernelIlLi16ELi32ELi8ELc67ELc78ELc76ELb0ELb0EdPKdPKS1_PKPdEviT_T9_T10_S7_lS9_S7_lS8_T11_S7_li.has_dyn_sized_stack, 0
	.set _ZL29rocblas_internal_gemmt_kernelIlLi16ELi32ELi8ELc67ELc78ELc76ELb0ELb0EdPKdPKS1_PKPdEviT_T9_T10_S7_lS9_S7_lS8_T11_S7_li.has_recursion, 0
	.set _ZL29rocblas_internal_gemmt_kernelIlLi16ELi32ELi8ELc67ELc78ELc76ELb0ELb0EdPKdPKS1_PKPdEviT_T9_T10_S7_lS9_S7_lS8_T11_S7_li.has_indirect_call, 0
	.section	.AMDGPU.csdata,"",@progbits
; Kernel info:
; codeLenInByte = 2152
; TotalNumSgprs: 39
; NumVgprs: 54
; ScratchSize: 0
; MemoryBound: 0
; FloatMode: 240
; IeeeMode: 1
; LDSByteSize: 4096 bytes/workgroup (compile time only)
; SGPRBlocks: 0
; VGPRBlocks: 6
; NumSGPRsForWavesPerEU: 39
; NumVGPRsForWavesPerEU: 54
; Occupancy: 16
; WaveLimiterHint : 1
; COMPUTE_PGM_RSRC2:SCRATCH_EN: 0
; COMPUTE_PGM_RSRC2:USER_SGPR: 2
; COMPUTE_PGM_RSRC2:TRAP_HANDLER: 0
; COMPUTE_PGM_RSRC2:TGID_X_EN: 1
; COMPUTE_PGM_RSRC2:TGID_Y_EN: 1
; COMPUTE_PGM_RSRC2:TGID_Z_EN: 1
; COMPUTE_PGM_RSRC2:TIDIG_COMP_CNT: 1
	.section	.text._ZL29rocblas_internal_gemmt_kernelIlLi16ELi32ELi8ELc67ELc84ELc76ELb0ELb0EdPKdPKS1_PKPdEviT_T9_T10_S7_lS9_S7_lS8_T11_S7_li,"axG",@progbits,_ZL29rocblas_internal_gemmt_kernelIlLi16ELi32ELi8ELc67ELc84ELc76ELb0ELb0EdPKdPKS1_PKPdEviT_T9_T10_S7_lS9_S7_lS8_T11_S7_li,comdat
	.globl	_ZL29rocblas_internal_gemmt_kernelIlLi16ELi32ELi8ELc67ELc84ELc76ELb0ELb0EdPKdPKS1_PKPdEviT_T9_T10_S7_lS9_S7_lS8_T11_S7_li ; -- Begin function _ZL29rocblas_internal_gemmt_kernelIlLi16ELi32ELi8ELc67ELc84ELc76ELb0ELb0EdPKdPKS1_PKPdEviT_T9_T10_S7_lS9_S7_lS8_T11_S7_li
	.p2align	8
	.type	_ZL29rocblas_internal_gemmt_kernelIlLi16ELi32ELi8ELc67ELc84ELc76ELb0ELb0EdPKdPKS1_PKPdEviT_T9_T10_S7_lS9_S7_lS8_T11_S7_li,@function
_ZL29rocblas_internal_gemmt_kernelIlLi16ELi32ELi8ELc67ELc84ELc76ELb0ELb0EdPKdPKS1_PKPdEviT_T9_T10_S7_lS9_S7_lS8_T11_S7_li: ; @_ZL29rocblas_internal_gemmt_kernelIlLi16ELi32ELi8ELc67ELc84ELc76ELb0ELb0EdPKdPKS1_PKPdEviT_T9_T10_S7_lS9_S7_lS8_T11_S7_li
; %bb.0:
	s_clause 0x1
	s_load_b256 s[24:31], s[0:1], 0x48
	s_load_b512 s[8:23], s[0:1], 0x8
	s_wait_kmcnt 0x0
	s_load_b64 s[6:7], s[24:25], 0x0
	s_load_b64 s[10:11], s[10:11], 0x0
	s_wait_kmcnt 0x0
	v_cmp_neq_f64_e64 s2, s[6:7], 1.0
	s_and_b32 vcc_lo, exec_lo, s2
	s_cbranch_vccnz .LBB484_2
; %bb.1:
	v_cmp_neq_f64_e64 s2, s[10:11], 0
	s_cmp_lg_u64 s[8:9], 0
	s_cselect_b32 s3, -1, 0
	s_delay_alu instid0(SALU_CYCLE_1)
	s_and_b32 s2, s3, s2
.LBB484_2:
	s_delay_alu instid0(SALU_CYCLE_1)
	s_and_not1_b32 vcc_lo, exec_lo, s2
	s_cbranch_vccnz .LBB484_35
; %bb.3:
	s_load_b32 s33, s[0:1], 0x68
	s_lshr_b32 s24, ttmp7, 16
	s_wait_kmcnt 0x0
	s_cmp_ge_u32 s24, s33
	s_cbranch_scc1 .LBB484_35
; %bb.4:
	v_and_b32_e32 v4, 0x3ff, v0
	v_bfe_u32 v5, v0, 10, 10
	s_load_b32 s4, s[0:1], 0x0
	s_lshl_b32 s0, ttmp7, 5
	v_and_b32_e32 v26, 7, v0
	s_and_b32 s0, s0, 0x1fffe0
	v_lshl_add_u32 v0, v5, 4, v4
	v_add_nc_u32_e32 v12, s0, v5
	s_lshl_b32 s2, ttmp9, 5
	v_cmp_neq_f64_e64 s37, s[10:11], 0
	s_ashr_i32 s1, s2, 31
	v_lshrrev_b32_e32 v27, 5, v0
	v_mad_co_u64_u32 v[8:9], null, s28, v12, 0
	v_and_b32_e32 v1, 31, v0
	v_lshrrev_b32_e32 v3, 3, v0
	s_wait_alu 0xfffe
	s_mul_i32 s3, s14, s1
	v_cmp_neq_f64_e64 s34, s[6:7], 0
	v_add_nc_u32_e32 v14, 16, v12
	v_or_b32_e32 v2, s2, v1
	v_add_nc_u32_e32 v13, s0, v3
	v_cmp_gt_i64_e64 s38, s[8:9], 0
	v_lshl_add_u32 v31, v5, 6, 0x800
	s_mov_b32 s25, 0
	v_mul_lo_u32 v0, s15, v2
	v_mad_co_u64_u32 v[6:7], null, s14, v2, 0
	s_wait_kmcnt 0x0
	v_cmp_gt_i32_e64 s0, s4, v2
	v_cmp_gt_i32_e64 s1, s4, v13
	v_lshlrev_b32_e32 v32, 3, v13
	s_lshl_b64 s[14:15], s[30:31], 3
	v_add3_u32 v7, v7, s3, v0
	v_dual_mov_b32 v0, v9 :: v_dual_lshlrev_b32 v1, 3, v1
	s_delay_alu instid0(VALU_DEP_2) | instskip(NEXT) | instid1(VALU_DEP_2)
	v_lshlrev_b64_e32 v[6:7], 3, v[6:7]
	v_lshl_or_b32 v28, v27, 8, v1
	s_delay_alu instid0(VALU_DEP_3) | instskip(SKIP_2) | instid1(VALU_DEP_1)
	v_mad_co_u64_u32 v[1:2], null, s29, v12, v[0:1]
	s_and_b32 s37, s37, s38
	v_dual_mov_b32 v9, v1 :: v_dual_lshlrev_b32 v10, 3, v26
	v_lshlrev_b64_e32 v[8:9], 3, v[8:9]
	s_delay_alu instid0(VALU_DEP_2) | instskip(SKIP_1) | instid1(VALU_DEP_2)
	v_lshl_or_b32 v3, v3, 6, v10
	v_mad_co_u64_u32 v[10:11], null, s28, v14, 0
	v_add_nc_u32_e32 v29, 0x800, v3
	v_dual_mov_b32 v3, 0 :: v_dual_add_nc_u32 v0, s2, v4
	s_delay_alu instid0(VALU_DEP_3) | instskip(NEXT) | instid1(VALU_DEP_2)
	v_dual_mov_b32 v1, v11 :: v_dual_lshlrev_b32 v30, 3, v4
	v_add_nc_u32_e32 v4, 16, v0
	v_cmp_le_i32_e32 vcc_lo, v12, v0
	v_cmp_gt_i32_e64 s2, s4, v0
	s_delay_alu instid0(VALU_DEP_3)
	v_cmp_le_i32_e64 s3, v12, v4
	v_mad_co_u64_u32 v[11:12], null, s29, v14, v[1:2]
	v_cmp_gt_i32_e64 s4, s4, v4
	s_and_b32 s28, vcc_lo, s2
	v_cmp_le_i32_e32 vcc_lo, v14, v0
	v_cmp_le_i32_e64 s5, v14, v4
	v_ashrrev_i32_e32 v1, 31, v0
	v_ashrrev_i32_e32 v5, 31, v4
	v_lshlrev_b64_e32 v[10:11], 3, v[10:11]
	s_and_b32 s29, s3, s4
	s_and_b32 s35, vcc_lo, s2
	s_and_b32 s36, s5, s4
	s_lshl_b64 s[2:3], s[22:23], 3
	s_lshl_b64 s[4:5], s[16:17], 3
	s_branch .LBB484_6
.LBB484_5:                              ;   in Loop: Header=BB484_6 Depth=1
	s_wait_alu 0xfffe
	s_or_b32 exec_lo, exec_lo, s16
	s_add_co_i32 s24, s24, 0x10000
	s_delay_alu instid0(SALU_CYCLE_1)
	s_cmp_lt_u32 s24, s33
	s_cbranch_scc0 .LBB484_35
.LBB484_6:                              ; =>This Loop Header: Depth=1
                                        ;     Child Loop BB484_9 Depth 2
	s_lshl_b64 s[16:17], s[24:25], 3
	v_mov_b32_e32 v20, 0
	s_wait_alu 0xfffe
	s_add_nc_u64 s[22:23], s[26:27], s[16:17]
	v_mov_b32_e32 v14, 0
	global_load_b64 v[16:17], v3, s[22:23]
	v_dual_mov_b32 v21, 0 :: v_dual_mov_b32 v18, 0
	v_dual_mov_b32 v15, 0 :: v_dual_mov_b32 v12, 0
	v_mov_b32_e32 v19, 0
	v_mov_b32_e32 v13, 0
	s_and_not1_b32 vcc_lo, exec_lo, s37
	s_wait_alu 0xfffe
	s_cbranch_vccnz .LBB484_15
; %bb.7:                                ;   in Loop: Header=BB484_6 Depth=1
	s_add_nc_u64 s[22:23], s[12:13], s[16:17]
	s_add_nc_u64 s[16:17], s[18:19], s[16:17]
	s_clause 0x1
	global_load_b64 v[22:23], v3, s[22:23]
	global_load_b64 v[24:25], v3, s[16:17]
	v_mov_b32_e32 v12, 0
	v_dual_mov_b32 v18, 0 :: v_dual_mov_b32 v13, 0
	v_dual_mov_b32 v14, 0 :: v_dual_mov_b32 v19, 0
	;; [unrolled: 1-line block ×3, first 2 shown]
	v_mov_b32_e32 v21, 0
	s_mov_b64 s[16:17], 0
	s_wait_loadcnt 0x1
	v_add_co_u32 v2, vcc_lo, v22, s4
	s_wait_alu 0xfffd
	v_add_co_ci_u32_e64 v22, null, s5, v23, vcc_lo
	s_wait_loadcnt 0x0
	v_add_co_u32 v23, vcc_lo, v24, s2
	s_wait_alu 0xfffd
	v_add_co_ci_u32_e64 v24, null, s3, v25, vcc_lo
	v_add_co_u32 v33, vcc_lo, v2, v6
	s_wait_alu 0xfffd
	v_add_co_ci_u32_e64 v34, null, v22, v7, vcc_lo
	;; [unrolled: 3-line block ×3, first 2 shown]
	s_branch .LBB484_9
.LBB484_8:                              ;   in Loop: Header=BB484_9 Depth=2
	s_or_b32 exec_lo, exec_lo, s22
	s_wait_loadcnt_dscnt 0x0
	ds_store_b64 v29, v[24:25]
	s_wait_dscnt 0x0
	s_barrier_signal -1
	s_barrier_wait -1
	global_inv scope:SCOPE_SE
	ds_load_b128 v[22:25], v31
	ds_load_2addr_b64 v[37:40], v30 offset1:16
	ds_load_b128 v[41:44], v31 offset:1024
	ds_load_b128 v[45:48], v31 offset:16
	;; [unrolled: 1-line block ×3, first 2 shown]
	s_add_nc_u64 s[16:17], s[16:17], 8
	s_wait_alu 0xfffe
	v_cmp_gt_i64_e64 s22, s[8:9], s[16:17]
	s_and_b32 vcc_lo, exec_lo, s22
	s_wait_dscnt 0x3
	v_fma_f64 v[20:21], v[37:38], v[22:23], v[20:21]
	v_fma_f64 v[18:19], v[39:40], v[22:23], v[18:19]
	s_wait_dscnt 0x2
	v_fma_f64 v[22:23], v[37:38], v[41:42], v[14:15]
	v_fma_f64 v[37:38], v[39:40], v[41:42], v[12:13]
	ds_load_2addr_b64 v[12:15], v30 offset0:32 offset1:48
	s_wait_dscnt 0x0
	v_fma_f64 v[20:21], v[12:13], v[24:25], v[20:21]
	v_fma_f64 v[18:19], v[14:15], v[24:25], v[18:19]
	v_fma_f64 v[22:23], v[12:13], v[43:44], v[22:23]
	v_fma_f64 v[24:25], v[14:15], v[43:44], v[37:38]
	ds_load_2addr_b64 v[12:15], v30 offset0:64 offset1:80
	s_wait_dscnt 0x0
	v_fma_f64 v[20:21], v[12:13], v[45:46], v[20:21]
	v_fma_f64 v[18:19], v[14:15], v[45:46], v[18:19]
	;; [unrolled: 6-line block ×3, first 2 shown]
	v_fma_f64 v[49:50], v[12:13], v[51:52], v[22:23]
	v_fma_f64 v[51:52], v[14:15], v[51:52], v[24:25]
	ds_load_b128 v[12:15], v31 offset:32
	ds_load_2addr_b64 v[18:21], v30 offset0:128 offset1:144
	ds_load_b128 v[22:25], v31 offset:1056
	ds_load_b128 v[37:40], v31 offset:48
	;; [unrolled: 1-line block ×3, first 2 shown]
	s_wait_dscnt 0x3
	v_fma_f64 v[45:46], v[18:19], v[12:13], v[45:46]
	v_fma_f64 v[12:13], v[20:21], v[12:13], v[47:48]
	s_wait_dscnt 0x2
	v_fma_f64 v[47:48], v[18:19], v[22:23], v[49:50]
	v_fma_f64 v[22:23], v[20:21], v[22:23], v[51:52]
	ds_load_2addr_b64 v[18:21], v30 offset0:160 offset1:176
	s_wait_dscnt 0x0
	v_fma_f64 v[45:46], v[18:19], v[14:15], v[45:46]
	v_fma_f64 v[49:50], v[20:21], v[14:15], v[12:13]
	;; [unrolled: 1-line block ×4, first 2 shown]
	ds_load_2addr_b64 v[12:15], v30 offset0:192 offset1:208
	ds_load_2addr_b64 v[22:25], v30 offset0:224 offset1:240
	s_wait_loadcnt_dscnt 0x0
	s_barrier_signal -1
	s_barrier_wait -1
	global_inv scope:SCOPE_SE
	v_fma_f64 v[45:46], v[12:13], v[37:38], v[45:46]
	v_fma_f64 v[37:38], v[14:15], v[37:38], v[49:50]
	;; [unrolled: 1-line block ×4, first 2 shown]
	s_delay_alu instid0(VALU_DEP_4) | instskip(NEXT) | instid1(VALU_DEP_4)
	v_fma_f64 v[20:21], v[22:23], v[39:40], v[45:46]
	v_fma_f64 v[18:19], v[24:25], v[39:40], v[37:38]
	s_delay_alu instid0(VALU_DEP_4) | instskip(NEXT) | instid1(VALU_DEP_4)
	v_fma_f64 v[14:15], v[22:23], v[43:44], v[12:13]
	v_fma_f64 v[12:13], v[24:25], v[43:44], v[41:42]
	s_wait_alu 0xfffe
	s_cbranch_vccz .LBB484_15
.LBB484_9:                              ;   Parent Loop BB484_6 Depth=1
                                        ; =>  This Inner Loop Header: Depth=2
	v_mov_b32_e32 v22, 0
	v_mov_b32_e32 v23, 0
	s_and_saveexec_b32 s22, s0
	s_cbranch_execz .LBB484_13
; %bb.10:                               ;   in Loop: Header=BB484_9 Depth=2
	v_mov_b32_e32 v22, 0
	s_wait_alu 0xfffe
	v_dual_mov_b32 v23, 0 :: v_dual_add_nc_u32 v2, s16, v27
	s_mov_b32 s23, exec_lo
	s_delay_alu instid0(VALU_DEP_1)
	v_cmpx_gt_u64_e64 s[8:9], v[2:3]
	s_cbranch_execz .LBB484_12
; %bb.11:                               ;   in Loop: Header=BB484_9 Depth=2
	v_lshlrev_b64_e32 v[22:23], 3, v[2:3]
	s_delay_alu instid0(VALU_DEP_1) | instskip(SKIP_1) | instid1(VALU_DEP_2)
	v_add_co_u32 v22, vcc_lo, v33, v22
	s_wait_alu 0xfffd
	v_add_co_ci_u32_e64 v23, null, v34, v23, vcc_lo
	flat_load_b64 v[22:23], v[22:23]
.LBB484_12:                             ;   in Loop: Header=BB484_9 Depth=2
	s_or_b32 exec_lo, exec_lo, s23
.LBB484_13:                             ;   in Loop: Header=BB484_9 Depth=2
	s_delay_alu instid0(SALU_CYCLE_1)
	s_or_b32 exec_lo, exec_lo, s22
	s_wait_alu 0xfffe
	v_add_nc_u32_e32 v2, s16, v26
	v_mov_b32_e32 v24, 0
	v_mov_b32_e32 v25, 0
	s_wait_loadcnt_dscnt 0x0
	ds_store_b64 v28, v[22:23]
	v_cmp_gt_u64_e32 vcc_lo, s[8:9], v[2:3]
	s_and_b32 s23, vcc_lo, s1
	s_delay_alu instid0(SALU_CYCLE_1)
	s_and_saveexec_b32 s22, s23
	s_cbranch_execz .LBB484_8
; %bb.14:                               ;   in Loop: Header=BB484_9 Depth=2
	v_mad_co_u64_u32 v[22:23], null, s20, v2, 0
	s_delay_alu instid0(VALU_DEP_1) | instskip(NEXT) | instid1(VALU_DEP_1)
	v_mad_co_u64_u32 v[23:24], null, s21, v2, v[23:24]
	v_lshlrev_b64_e32 v[22:23], 3, v[22:23]
	s_delay_alu instid0(VALU_DEP_1) | instskip(SKIP_1) | instid1(VALU_DEP_2)
	v_add_co_u32 v22, vcc_lo, v35, v22
	s_wait_alu 0xfffd
	v_add_co_ci_u32_e64 v23, null, v36, v23, vcc_lo
	flat_load_b64 v[24:25], v[22:23]
	s_branch .LBB484_8
.LBB484_15:                             ;   in Loop: Header=BB484_6 Depth=1
	s_wait_loadcnt 0x0
	s_wait_alu 0xfffe
	v_add_co_u32 v2, vcc_lo, v16, s14
	s_wait_alu 0xfffd
	v_add_co_ci_u32_e64 v22, null, s15, v17, vcc_lo
	s_delay_alu instid0(VALU_DEP_2) | instskip(SKIP_1) | instid1(VALU_DEP_2)
	v_add_co_u32 v23, vcc_lo, v2, v8
	s_wait_alu 0xfffd
	v_add_co_ci_u32_e64 v24, null, v22, v9, vcc_lo
	s_and_saveexec_b32 s16, s28
	s_cbranch_execz .LBB484_19
; %bb.16:                               ;   in Loop: Header=BB484_6 Depth=1
	v_mul_f64_e32 v[16:17], s[10:11], v[20:21]
	s_and_b32 vcc_lo, exec_lo, s34
	s_wait_alu 0xfffe
	s_cbranch_vccz .LBB484_30
; %bb.17:                               ;   in Loop: Header=BB484_6 Depth=1
	v_lshlrev_b64_e32 v[20:21], 3, v[0:1]
	s_delay_alu instid0(VALU_DEP_1) | instskip(SKIP_1) | instid1(VALU_DEP_2)
	v_add_co_u32 v20, vcc_lo, v23, v20
	s_wait_alu 0xfffd
	v_add_co_ci_u32_e64 v21, null, v24, v21, vcc_lo
	flat_load_b64 v[33:34], v[20:21]
	s_wait_loadcnt_dscnt 0x0
	v_fma_f64 v[33:34], s[6:7], v[33:34], v[16:17]
	flat_store_b64 v[20:21], v[33:34]
	s_cbranch_execnz .LBB484_19
.LBB484_18:                             ;   in Loop: Header=BB484_6 Depth=1
	v_lshlrev_b64_e32 v[20:21], 3, v[0:1]
	s_delay_alu instid0(VALU_DEP_1) | instskip(SKIP_1) | instid1(VALU_DEP_2)
	v_add_co_u32 v20, vcc_lo, v23, v20
	s_wait_alu 0xfffd
	v_add_co_ci_u32_e64 v21, null, v24, v21, vcc_lo
	flat_store_b64 v[20:21], v[16:17]
.LBB484_19:                             ;   in Loop: Header=BB484_6 Depth=1
	s_wait_alu 0xfffe
	s_or_b32 exec_lo, exec_lo, s16
	s_and_saveexec_b32 s16, s29
	s_cbranch_execz .LBB484_23
; %bb.20:                               ;   in Loop: Header=BB484_6 Depth=1
	v_mul_f64_e32 v[16:17], s[10:11], v[18:19]
	s_and_not1_b32 vcc_lo, exec_lo, s34
	s_wait_alu 0xfffe
	s_cbranch_vccnz .LBB484_31
; %bb.21:                               ;   in Loop: Header=BB484_6 Depth=1
	v_lshlrev_b64_e32 v[18:19], 3, v[4:5]
	s_delay_alu instid0(VALU_DEP_1) | instskip(SKIP_1) | instid1(VALU_DEP_2)
	v_add_co_u32 v18, vcc_lo, v23, v18
	s_wait_alu 0xfffd
	v_add_co_ci_u32_e64 v19, null, v24, v19, vcc_lo
	flat_load_b64 v[20:21], v[18:19]
	s_wait_loadcnt_dscnt 0x0
	v_fma_f64 v[20:21], s[6:7], v[20:21], v[16:17]
	flat_store_b64 v[18:19], v[20:21]
	s_cbranch_execnz .LBB484_23
.LBB484_22:                             ;   in Loop: Header=BB484_6 Depth=1
	v_lshlrev_b64_e32 v[18:19], 3, v[4:5]
	s_delay_alu instid0(VALU_DEP_1) | instskip(SKIP_1) | instid1(VALU_DEP_2)
	v_add_co_u32 v18, vcc_lo, v23, v18
	s_wait_alu 0xfffd
	v_add_co_ci_u32_e64 v19, null, v24, v19, vcc_lo
	flat_store_b64 v[18:19], v[16:17]
.LBB484_23:                             ;   in Loop: Header=BB484_6 Depth=1
	s_wait_alu 0xfffe
	s_or_b32 exec_lo, exec_lo, s16
	v_add_co_u32 v2, vcc_lo, v2, v10
	s_wait_alu 0xfffd
	v_add_co_ci_u32_e64 v18, null, v22, v11, vcc_lo
	s_and_saveexec_b32 s16, s35
	s_cbranch_execz .LBB484_27
; %bb.24:                               ;   in Loop: Header=BB484_6 Depth=1
	v_mul_f64_e32 v[14:15], s[10:11], v[14:15]
	v_lshlrev_b64_e32 v[16:17], 3, v[0:1]
	s_and_not1_b32 vcc_lo, exec_lo, s34
	s_wait_alu 0xfffe
	s_cbranch_vccnz .LBB484_32
; %bb.25:                               ;   in Loop: Header=BB484_6 Depth=1
	s_delay_alu instid0(VALU_DEP_1)
	v_add_co_u32 v19, vcc_lo, v2, v16
	s_wait_alu 0xfffd
	v_add_co_ci_u32_e64 v20, null, v18, v17, vcc_lo
	flat_load_b64 v[21:22], v[19:20]
	s_wait_loadcnt_dscnt 0x0
	v_fma_f64 v[21:22], s[6:7], v[21:22], v[14:15]
	flat_store_b64 v[19:20], v[21:22]
	s_cbranch_execnz .LBB484_27
.LBB484_26:                             ;   in Loop: Header=BB484_6 Depth=1
	s_delay_alu instid0(VALU_DEP_1)
	v_add_co_u32 v16, vcc_lo, v2, v16
	s_wait_alu 0xfffd
	v_add_co_ci_u32_e64 v17, null, v18, v17, vcc_lo
	flat_store_b64 v[16:17], v[14:15]
.LBB484_27:                             ;   in Loop: Header=BB484_6 Depth=1
	s_wait_alu 0xfffe
	s_or_b32 exec_lo, exec_lo, s16
	s_and_saveexec_b32 s16, s36
	s_cbranch_execz .LBB484_5
; %bb.28:                               ;   in Loop: Header=BB484_6 Depth=1
	v_mul_f64_e32 v[12:13], s[10:11], v[12:13]
	v_lshlrev_b64_e32 v[14:15], 3, v[4:5]
	s_and_not1_b32 vcc_lo, exec_lo, s34
	s_wait_alu 0xfffe
	s_cbranch_vccnz .LBB484_33
; %bb.29:                               ;   in Loop: Header=BB484_6 Depth=1
	s_delay_alu instid0(VALU_DEP_1)
	v_add_co_u32 v16, vcc_lo, v2, v14
	s_wait_alu 0xfffd
	v_add_co_ci_u32_e64 v17, null, v18, v15, vcc_lo
	flat_load_b64 v[19:20], v[16:17]
	s_wait_loadcnt_dscnt 0x0
	v_fma_f64 v[19:20], s[6:7], v[19:20], v[12:13]
	flat_store_b64 v[16:17], v[19:20]
	s_cbranch_execnz .LBB484_5
	s_branch .LBB484_34
.LBB484_30:                             ;   in Loop: Header=BB484_6 Depth=1
	s_branch .LBB484_18
.LBB484_31:                             ;   in Loop: Header=BB484_6 Depth=1
	s_branch .LBB484_22
.LBB484_32:                             ;   in Loop: Header=BB484_6 Depth=1
	s_branch .LBB484_26
.LBB484_33:                             ;   in Loop: Header=BB484_6 Depth=1
.LBB484_34:                             ;   in Loop: Header=BB484_6 Depth=1
	s_delay_alu instid0(VALU_DEP_1)
	v_add_co_u32 v14, vcc_lo, v2, v14
	s_wait_alu 0xfffd
	v_add_co_ci_u32_e64 v15, null, v18, v15, vcc_lo
	flat_store_b64 v[14:15], v[12:13]
	s_branch .LBB484_5
.LBB484_35:
	s_endpgm
	.section	.rodata,"a",@progbits
	.p2align	6, 0x0
	.amdhsa_kernel _ZL29rocblas_internal_gemmt_kernelIlLi16ELi32ELi8ELc67ELc84ELc76ELb0ELb0EdPKdPKS1_PKPdEviT_T9_T10_S7_lS9_S7_lS8_T11_S7_li
		.amdhsa_group_segment_fixed_size 4096
		.amdhsa_private_segment_fixed_size 0
		.amdhsa_kernarg_size 108
		.amdhsa_user_sgpr_count 2
		.amdhsa_user_sgpr_dispatch_ptr 0
		.amdhsa_user_sgpr_queue_ptr 0
		.amdhsa_user_sgpr_kernarg_segment_ptr 1
		.amdhsa_user_sgpr_dispatch_id 0
		.amdhsa_user_sgpr_private_segment_size 0
		.amdhsa_wavefront_size32 1
		.amdhsa_uses_dynamic_stack 0
		.amdhsa_enable_private_segment 0
		.amdhsa_system_sgpr_workgroup_id_x 1
		.amdhsa_system_sgpr_workgroup_id_y 1
		.amdhsa_system_sgpr_workgroup_id_z 1
		.amdhsa_system_sgpr_workgroup_info 0
		.amdhsa_system_vgpr_workitem_id 1
		.amdhsa_next_free_vgpr 53
		.amdhsa_next_free_sgpr 39
		.amdhsa_reserve_vcc 1
		.amdhsa_float_round_mode_32 0
		.amdhsa_float_round_mode_16_64 0
		.amdhsa_float_denorm_mode_32 3
		.amdhsa_float_denorm_mode_16_64 3
		.amdhsa_fp16_overflow 0
		.amdhsa_workgroup_processor_mode 1
		.amdhsa_memory_ordered 1
		.amdhsa_forward_progress 1
		.amdhsa_inst_pref_size 17
		.amdhsa_round_robin_scheduling 0
		.amdhsa_exception_fp_ieee_invalid_op 0
		.amdhsa_exception_fp_denorm_src 0
		.amdhsa_exception_fp_ieee_div_zero 0
		.amdhsa_exception_fp_ieee_overflow 0
		.amdhsa_exception_fp_ieee_underflow 0
		.amdhsa_exception_fp_ieee_inexact 0
		.amdhsa_exception_int_div_zero 0
	.end_amdhsa_kernel
	.section	.text._ZL29rocblas_internal_gemmt_kernelIlLi16ELi32ELi8ELc67ELc84ELc76ELb0ELb0EdPKdPKS1_PKPdEviT_T9_T10_S7_lS9_S7_lS8_T11_S7_li,"axG",@progbits,_ZL29rocblas_internal_gemmt_kernelIlLi16ELi32ELi8ELc67ELc84ELc76ELb0ELb0EdPKdPKS1_PKPdEviT_T9_T10_S7_lS9_S7_lS8_T11_S7_li,comdat
.Lfunc_end484:
	.size	_ZL29rocblas_internal_gemmt_kernelIlLi16ELi32ELi8ELc67ELc84ELc76ELb0ELb0EdPKdPKS1_PKPdEviT_T9_T10_S7_lS9_S7_lS8_T11_S7_li, .Lfunc_end484-_ZL29rocblas_internal_gemmt_kernelIlLi16ELi32ELi8ELc67ELc84ELc76ELb0ELb0EdPKdPKS1_PKPdEviT_T9_T10_S7_lS9_S7_lS8_T11_S7_li
                                        ; -- End function
	.set _ZL29rocblas_internal_gemmt_kernelIlLi16ELi32ELi8ELc67ELc84ELc76ELb0ELb0EdPKdPKS1_PKPdEviT_T9_T10_S7_lS9_S7_lS8_T11_S7_li.num_vgpr, 53
	.set _ZL29rocblas_internal_gemmt_kernelIlLi16ELi32ELi8ELc67ELc84ELc76ELb0ELb0EdPKdPKS1_PKPdEviT_T9_T10_S7_lS9_S7_lS8_T11_S7_li.num_agpr, 0
	.set _ZL29rocblas_internal_gemmt_kernelIlLi16ELi32ELi8ELc67ELc84ELc76ELb0ELb0EdPKdPKS1_PKPdEviT_T9_T10_S7_lS9_S7_lS8_T11_S7_li.numbered_sgpr, 39
	.set _ZL29rocblas_internal_gemmt_kernelIlLi16ELi32ELi8ELc67ELc84ELc76ELb0ELb0EdPKdPKS1_PKPdEviT_T9_T10_S7_lS9_S7_lS8_T11_S7_li.num_named_barrier, 0
	.set _ZL29rocblas_internal_gemmt_kernelIlLi16ELi32ELi8ELc67ELc84ELc76ELb0ELb0EdPKdPKS1_PKPdEviT_T9_T10_S7_lS9_S7_lS8_T11_S7_li.private_seg_size, 0
	.set _ZL29rocblas_internal_gemmt_kernelIlLi16ELi32ELi8ELc67ELc84ELc76ELb0ELb0EdPKdPKS1_PKPdEviT_T9_T10_S7_lS9_S7_lS8_T11_S7_li.uses_vcc, 1
	.set _ZL29rocblas_internal_gemmt_kernelIlLi16ELi32ELi8ELc67ELc84ELc76ELb0ELb0EdPKdPKS1_PKPdEviT_T9_T10_S7_lS9_S7_lS8_T11_S7_li.uses_flat_scratch, 0
	.set _ZL29rocblas_internal_gemmt_kernelIlLi16ELi32ELi8ELc67ELc84ELc76ELb0ELb0EdPKdPKS1_PKPdEviT_T9_T10_S7_lS9_S7_lS8_T11_S7_li.has_dyn_sized_stack, 0
	.set _ZL29rocblas_internal_gemmt_kernelIlLi16ELi32ELi8ELc67ELc84ELc76ELb0ELb0EdPKdPKS1_PKPdEviT_T9_T10_S7_lS9_S7_lS8_T11_S7_li.has_recursion, 0
	.set _ZL29rocblas_internal_gemmt_kernelIlLi16ELi32ELi8ELc67ELc84ELc76ELb0ELb0EdPKdPKS1_PKPdEviT_T9_T10_S7_lS9_S7_lS8_T11_S7_li.has_indirect_call, 0
	.section	.AMDGPU.csdata,"",@progbits
; Kernel info:
; codeLenInByte = 2140
; TotalNumSgprs: 41
; NumVgprs: 53
; ScratchSize: 0
; MemoryBound: 0
; FloatMode: 240
; IeeeMode: 1
; LDSByteSize: 4096 bytes/workgroup (compile time only)
; SGPRBlocks: 0
; VGPRBlocks: 6
; NumSGPRsForWavesPerEU: 41
; NumVGPRsForWavesPerEU: 53
; Occupancy: 16
; WaveLimiterHint : 1
; COMPUTE_PGM_RSRC2:SCRATCH_EN: 0
; COMPUTE_PGM_RSRC2:USER_SGPR: 2
; COMPUTE_PGM_RSRC2:TRAP_HANDLER: 0
; COMPUTE_PGM_RSRC2:TGID_X_EN: 1
; COMPUTE_PGM_RSRC2:TGID_Y_EN: 1
; COMPUTE_PGM_RSRC2:TGID_Z_EN: 1
; COMPUTE_PGM_RSRC2:TIDIG_COMP_CNT: 1
	.section	.text._ZL29rocblas_internal_gemmt_kernelIlLi16ELi32ELi8ELc67ELc67ELc76ELb0ELb0EdPKdPKS1_PKPdEviT_T9_T10_S7_lS9_S7_lS8_T11_S7_li,"axG",@progbits,_ZL29rocblas_internal_gemmt_kernelIlLi16ELi32ELi8ELc67ELc67ELc76ELb0ELb0EdPKdPKS1_PKPdEviT_T9_T10_S7_lS9_S7_lS8_T11_S7_li,comdat
	.globl	_ZL29rocblas_internal_gemmt_kernelIlLi16ELi32ELi8ELc67ELc67ELc76ELb0ELb0EdPKdPKS1_PKPdEviT_T9_T10_S7_lS9_S7_lS8_T11_S7_li ; -- Begin function _ZL29rocblas_internal_gemmt_kernelIlLi16ELi32ELi8ELc67ELc67ELc76ELb0ELb0EdPKdPKS1_PKPdEviT_T9_T10_S7_lS9_S7_lS8_T11_S7_li
	.p2align	8
	.type	_ZL29rocblas_internal_gemmt_kernelIlLi16ELi32ELi8ELc67ELc67ELc76ELb0ELb0EdPKdPKS1_PKPdEviT_T9_T10_S7_lS9_S7_lS8_T11_S7_li,@function
_ZL29rocblas_internal_gemmt_kernelIlLi16ELi32ELi8ELc67ELc67ELc76ELb0ELb0EdPKdPKS1_PKPdEviT_T9_T10_S7_lS9_S7_lS8_T11_S7_li: ; @_ZL29rocblas_internal_gemmt_kernelIlLi16ELi32ELi8ELc67ELc67ELc76ELb0ELb0EdPKdPKS1_PKPdEviT_T9_T10_S7_lS9_S7_lS8_T11_S7_li
; %bb.0:
	s_clause 0x1
	s_load_b256 s[24:31], s[0:1], 0x48
	s_load_b512 s[8:23], s[0:1], 0x8
	s_wait_kmcnt 0x0
	s_load_b64 s[6:7], s[24:25], 0x0
	s_load_b64 s[10:11], s[10:11], 0x0
	s_wait_kmcnt 0x0
	v_cmp_neq_f64_e64 s2, s[6:7], 1.0
	s_and_b32 vcc_lo, exec_lo, s2
	s_cbranch_vccnz .LBB485_2
; %bb.1:
	v_cmp_neq_f64_e64 s2, s[10:11], 0
	s_cmp_lg_u64 s[8:9], 0
	s_cselect_b32 s3, -1, 0
	s_delay_alu instid0(SALU_CYCLE_1)
	s_and_b32 s2, s3, s2
.LBB485_2:
	s_delay_alu instid0(SALU_CYCLE_1)
	s_and_not1_b32 vcc_lo, exec_lo, s2
	s_cbranch_vccnz .LBB485_35
; %bb.3:
	s_load_b32 s33, s[0:1], 0x68
	s_lshr_b32 s24, ttmp7, 16
	s_wait_kmcnt 0x0
	s_cmp_ge_u32 s24, s33
	s_cbranch_scc1 .LBB485_35
; %bb.4:
	v_and_b32_e32 v4, 0x3ff, v0
	v_bfe_u32 v5, v0, 10, 10
	s_load_b32 s4, s[0:1], 0x0
	s_lshl_b32 s0, ttmp7, 5
	v_and_b32_e32 v26, 7, v0
	s_and_b32 s0, s0, 0x1fffe0
	v_lshl_add_u32 v0, v5, 4, v4
	v_add_nc_u32_e32 v12, s0, v5
	s_lshl_b32 s2, ttmp9, 5
	v_cmp_neq_f64_e64 s37, s[10:11], 0
	s_ashr_i32 s1, s2, 31
	v_lshrrev_b32_e32 v27, 5, v0
	v_mad_co_u64_u32 v[8:9], null, s28, v12, 0
	v_and_b32_e32 v1, 31, v0
	v_lshrrev_b32_e32 v3, 3, v0
	s_wait_alu 0xfffe
	s_mul_i32 s3, s14, s1
	v_cmp_neq_f64_e64 s34, s[6:7], 0
	v_add_nc_u32_e32 v14, 16, v12
	v_or_b32_e32 v2, s2, v1
	v_add_nc_u32_e32 v13, s0, v3
	v_cmp_gt_i64_e64 s38, s[8:9], 0
	v_lshl_add_u32 v31, v5, 6, 0x800
	s_mov_b32 s25, 0
	v_mul_lo_u32 v0, s15, v2
	v_mad_co_u64_u32 v[6:7], null, s14, v2, 0
	s_wait_kmcnt 0x0
	v_cmp_gt_i32_e64 s0, s4, v2
	v_cmp_gt_i32_e64 s1, s4, v13
	v_lshlrev_b32_e32 v32, 3, v13
	s_lshl_b64 s[14:15], s[30:31], 3
	v_add3_u32 v7, v7, s3, v0
	v_dual_mov_b32 v0, v9 :: v_dual_lshlrev_b32 v1, 3, v1
	s_delay_alu instid0(VALU_DEP_2) | instskip(NEXT) | instid1(VALU_DEP_2)
	v_lshlrev_b64_e32 v[6:7], 3, v[6:7]
	v_lshl_or_b32 v28, v27, 8, v1
	s_delay_alu instid0(VALU_DEP_3) | instskip(SKIP_2) | instid1(VALU_DEP_1)
	v_mad_co_u64_u32 v[1:2], null, s29, v12, v[0:1]
	s_and_b32 s37, s37, s38
	v_dual_mov_b32 v9, v1 :: v_dual_lshlrev_b32 v10, 3, v26
	v_lshlrev_b64_e32 v[8:9], 3, v[8:9]
	s_delay_alu instid0(VALU_DEP_2) | instskip(SKIP_1) | instid1(VALU_DEP_2)
	v_lshl_or_b32 v3, v3, 6, v10
	v_mad_co_u64_u32 v[10:11], null, s28, v14, 0
	v_add_nc_u32_e32 v29, 0x800, v3
	v_dual_mov_b32 v3, 0 :: v_dual_add_nc_u32 v0, s2, v4
	s_delay_alu instid0(VALU_DEP_3) | instskip(NEXT) | instid1(VALU_DEP_2)
	v_dual_mov_b32 v1, v11 :: v_dual_lshlrev_b32 v30, 3, v4
	v_add_nc_u32_e32 v4, 16, v0
	v_cmp_le_i32_e32 vcc_lo, v12, v0
	v_cmp_gt_i32_e64 s2, s4, v0
	s_delay_alu instid0(VALU_DEP_3)
	v_cmp_le_i32_e64 s3, v12, v4
	v_mad_co_u64_u32 v[11:12], null, s29, v14, v[1:2]
	v_cmp_gt_i32_e64 s4, s4, v4
	s_and_b32 s28, vcc_lo, s2
	v_cmp_le_i32_e32 vcc_lo, v14, v0
	v_cmp_le_i32_e64 s5, v14, v4
	v_ashrrev_i32_e32 v1, 31, v0
	v_ashrrev_i32_e32 v5, 31, v4
	v_lshlrev_b64_e32 v[10:11], 3, v[10:11]
	s_and_b32 s29, s3, s4
	s_and_b32 s35, vcc_lo, s2
	s_and_b32 s36, s5, s4
	s_lshl_b64 s[2:3], s[22:23], 3
	s_lshl_b64 s[4:5], s[16:17], 3
	s_branch .LBB485_6
.LBB485_5:                              ;   in Loop: Header=BB485_6 Depth=1
	s_wait_alu 0xfffe
	s_or_b32 exec_lo, exec_lo, s16
	s_add_co_i32 s24, s24, 0x10000
	s_delay_alu instid0(SALU_CYCLE_1)
	s_cmp_lt_u32 s24, s33
	s_cbranch_scc0 .LBB485_35
.LBB485_6:                              ; =>This Loop Header: Depth=1
                                        ;     Child Loop BB485_9 Depth 2
	s_lshl_b64 s[16:17], s[24:25], 3
	v_mov_b32_e32 v20, 0
	s_wait_alu 0xfffe
	s_add_nc_u64 s[22:23], s[26:27], s[16:17]
	v_mov_b32_e32 v14, 0
	global_load_b64 v[16:17], v3, s[22:23]
	v_dual_mov_b32 v21, 0 :: v_dual_mov_b32 v18, 0
	v_dual_mov_b32 v15, 0 :: v_dual_mov_b32 v12, 0
	v_mov_b32_e32 v19, 0
	v_mov_b32_e32 v13, 0
	s_and_not1_b32 vcc_lo, exec_lo, s37
	s_wait_alu 0xfffe
	s_cbranch_vccnz .LBB485_15
; %bb.7:                                ;   in Loop: Header=BB485_6 Depth=1
	s_add_nc_u64 s[22:23], s[12:13], s[16:17]
	s_add_nc_u64 s[16:17], s[18:19], s[16:17]
	s_clause 0x1
	global_load_b64 v[22:23], v3, s[22:23]
	global_load_b64 v[24:25], v3, s[16:17]
	v_mov_b32_e32 v12, 0
	v_dual_mov_b32 v18, 0 :: v_dual_mov_b32 v13, 0
	v_dual_mov_b32 v14, 0 :: v_dual_mov_b32 v19, 0
	;; [unrolled: 1-line block ×3, first 2 shown]
	v_mov_b32_e32 v21, 0
	s_mov_b64 s[16:17], 0
	s_wait_loadcnt 0x1
	v_add_co_u32 v2, vcc_lo, v22, s4
	s_wait_alu 0xfffd
	v_add_co_ci_u32_e64 v22, null, s5, v23, vcc_lo
	s_wait_loadcnt 0x0
	v_add_co_u32 v23, vcc_lo, v24, s2
	s_wait_alu 0xfffd
	v_add_co_ci_u32_e64 v24, null, s3, v25, vcc_lo
	v_add_co_u32 v33, vcc_lo, v2, v6
	s_wait_alu 0xfffd
	v_add_co_ci_u32_e64 v34, null, v22, v7, vcc_lo
	;; [unrolled: 3-line block ×3, first 2 shown]
	s_branch .LBB485_9
.LBB485_8:                              ;   in Loop: Header=BB485_9 Depth=2
	s_or_b32 exec_lo, exec_lo, s22
	s_wait_loadcnt_dscnt 0x0
	ds_store_b64 v29, v[24:25]
	s_wait_dscnt 0x0
	s_barrier_signal -1
	s_barrier_wait -1
	global_inv scope:SCOPE_SE
	ds_load_b128 v[22:25], v31
	ds_load_2addr_b64 v[37:40], v30 offset1:16
	ds_load_b128 v[41:44], v31 offset:1024
	ds_load_b128 v[45:48], v31 offset:16
	;; [unrolled: 1-line block ×3, first 2 shown]
	s_add_nc_u64 s[16:17], s[16:17], 8
	s_wait_alu 0xfffe
	v_cmp_gt_i64_e64 s22, s[8:9], s[16:17]
	s_and_b32 vcc_lo, exec_lo, s22
	s_wait_dscnt 0x3
	v_fma_f64 v[20:21], v[37:38], v[22:23], v[20:21]
	v_fma_f64 v[18:19], v[39:40], v[22:23], v[18:19]
	s_wait_dscnt 0x2
	v_fma_f64 v[22:23], v[37:38], v[41:42], v[14:15]
	v_fma_f64 v[37:38], v[39:40], v[41:42], v[12:13]
	ds_load_2addr_b64 v[12:15], v30 offset0:32 offset1:48
	s_wait_dscnt 0x0
	v_fma_f64 v[20:21], v[12:13], v[24:25], v[20:21]
	v_fma_f64 v[18:19], v[14:15], v[24:25], v[18:19]
	v_fma_f64 v[22:23], v[12:13], v[43:44], v[22:23]
	v_fma_f64 v[24:25], v[14:15], v[43:44], v[37:38]
	ds_load_2addr_b64 v[12:15], v30 offset0:64 offset1:80
	s_wait_dscnt 0x0
	v_fma_f64 v[20:21], v[12:13], v[45:46], v[20:21]
	v_fma_f64 v[18:19], v[14:15], v[45:46], v[18:19]
	;; [unrolled: 6-line block ×3, first 2 shown]
	v_fma_f64 v[49:50], v[12:13], v[51:52], v[22:23]
	v_fma_f64 v[51:52], v[14:15], v[51:52], v[24:25]
	ds_load_b128 v[12:15], v31 offset:32
	ds_load_2addr_b64 v[18:21], v30 offset0:128 offset1:144
	ds_load_b128 v[22:25], v31 offset:1056
	ds_load_b128 v[37:40], v31 offset:48
	;; [unrolled: 1-line block ×3, first 2 shown]
	s_wait_dscnt 0x3
	v_fma_f64 v[45:46], v[18:19], v[12:13], v[45:46]
	v_fma_f64 v[12:13], v[20:21], v[12:13], v[47:48]
	s_wait_dscnt 0x2
	v_fma_f64 v[47:48], v[18:19], v[22:23], v[49:50]
	v_fma_f64 v[22:23], v[20:21], v[22:23], v[51:52]
	ds_load_2addr_b64 v[18:21], v30 offset0:160 offset1:176
	s_wait_dscnt 0x0
	v_fma_f64 v[45:46], v[18:19], v[14:15], v[45:46]
	v_fma_f64 v[49:50], v[20:21], v[14:15], v[12:13]
	;; [unrolled: 1-line block ×4, first 2 shown]
	ds_load_2addr_b64 v[12:15], v30 offset0:192 offset1:208
	ds_load_2addr_b64 v[22:25], v30 offset0:224 offset1:240
	s_wait_loadcnt_dscnt 0x0
	s_barrier_signal -1
	s_barrier_wait -1
	global_inv scope:SCOPE_SE
	v_fma_f64 v[45:46], v[12:13], v[37:38], v[45:46]
	v_fma_f64 v[37:38], v[14:15], v[37:38], v[49:50]
	v_fma_f64 v[12:13], v[12:13], v[41:42], v[18:19]
	v_fma_f64 v[41:42], v[14:15], v[41:42], v[20:21]
	s_delay_alu instid0(VALU_DEP_4) | instskip(NEXT) | instid1(VALU_DEP_4)
	v_fma_f64 v[20:21], v[22:23], v[39:40], v[45:46]
	v_fma_f64 v[18:19], v[24:25], v[39:40], v[37:38]
	s_delay_alu instid0(VALU_DEP_4) | instskip(NEXT) | instid1(VALU_DEP_4)
	v_fma_f64 v[14:15], v[22:23], v[43:44], v[12:13]
	v_fma_f64 v[12:13], v[24:25], v[43:44], v[41:42]
	s_wait_alu 0xfffe
	s_cbranch_vccz .LBB485_15
.LBB485_9:                              ;   Parent Loop BB485_6 Depth=1
                                        ; =>  This Inner Loop Header: Depth=2
	v_mov_b32_e32 v22, 0
	v_mov_b32_e32 v23, 0
	s_and_saveexec_b32 s22, s0
	s_cbranch_execz .LBB485_13
; %bb.10:                               ;   in Loop: Header=BB485_9 Depth=2
	v_mov_b32_e32 v22, 0
	s_wait_alu 0xfffe
	v_dual_mov_b32 v23, 0 :: v_dual_add_nc_u32 v2, s16, v27
	s_mov_b32 s23, exec_lo
	s_delay_alu instid0(VALU_DEP_1)
	v_cmpx_gt_u64_e64 s[8:9], v[2:3]
	s_cbranch_execz .LBB485_12
; %bb.11:                               ;   in Loop: Header=BB485_9 Depth=2
	v_lshlrev_b64_e32 v[22:23], 3, v[2:3]
	s_delay_alu instid0(VALU_DEP_1) | instskip(SKIP_1) | instid1(VALU_DEP_2)
	v_add_co_u32 v22, vcc_lo, v33, v22
	s_wait_alu 0xfffd
	v_add_co_ci_u32_e64 v23, null, v34, v23, vcc_lo
	flat_load_b64 v[22:23], v[22:23]
.LBB485_12:                             ;   in Loop: Header=BB485_9 Depth=2
	s_or_b32 exec_lo, exec_lo, s23
.LBB485_13:                             ;   in Loop: Header=BB485_9 Depth=2
	s_delay_alu instid0(SALU_CYCLE_1)
	s_or_b32 exec_lo, exec_lo, s22
	s_wait_alu 0xfffe
	v_add_nc_u32_e32 v2, s16, v26
	v_mov_b32_e32 v24, 0
	v_mov_b32_e32 v25, 0
	s_wait_loadcnt_dscnt 0x0
	ds_store_b64 v28, v[22:23]
	v_cmp_gt_u64_e32 vcc_lo, s[8:9], v[2:3]
	s_and_b32 s23, vcc_lo, s1
	s_delay_alu instid0(SALU_CYCLE_1)
	s_and_saveexec_b32 s22, s23
	s_cbranch_execz .LBB485_8
; %bb.14:                               ;   in Loop: Header=BB485_9 Depth=2
	v_mad_co_u64_u32 v[22:23], null, s20, v2, 0
	s_delay_alu instid0(VALU_DEP_1) | instskip(NEXT) | instid1(VALU_DEP_1)
	v_mad_co_u64_u32 v[23:24], null, s21, v2, v[23:24]
	v_lshlrev_b64_e32 v[22:23], 3, v[22:23]
	s_delay_alu instid0(VALU_DEP_1) | instskip(SKIP_1) | instid1(VALU_DEP_2)
	v_add_co_u32 v22, vcc_lo, v35, v22
	s_wait_alu 0xfffd
	v_add_co_ci_u32_e64 v23, null, v36, v23, vcc_lo
	flat_load_b64 v[24:25], v[22:23]
	s_branch .LBB485_8
.LBB485_15:                             ;   in Loop: Header=BB485_6 Depth=1
	s_wait_loadcnt 0x0
	s_wait_alu 0xfffe
	v_add_co_u32 v2, vcc_lo, v16, s14
	s_wait_alu 0xfffd
	v_add_co_ci_u32_e64 v22, null, s15, v17, vcc_lo
	s_delay_alu instid0(VALU_DEP_2) | instskip(SKIP_1) | instid1(VALU_DEP_2)
	v_add_co_u32 v23, vcc_lo, v2, v8
	s_wait_alu 0xfffd
	v_add_co_ci_u32_e64 v24, null, v22, v9, vcc_lo
	s_and_saveexec_b32 s16, s28
	s_cbranch_execz .LBB485_19
; %bb.16:                               ;   in Loop: Header=BB485_6 Depth=1
	v_mul_f64_e32 v[16:17], s[10:11], v[20:21]
	s_and_b32 vcc_lo, exec_lo, s34
	s_wait_alu 0xfffe
	s_cbranch_vccz .LBB485_30
; %bb.17:                               ;   in Loop: Header=BB485_6 Depth=1
	v_lshlrev_b64_e32 v[20:21], 3, v[0:1]
	s_delay_alu instid0(VALU_DEP_1) | instskip(SKIP_1) | instid1(VALU_DEP_2)
	v_add_co_u32 v20, vcc_lo, v23, v20
	s_wait_alu 0xfffd
	v_add_co_ci_u32_e64 v21, null, v24, v21, vcc_lo
	flat_load_b64 v[33:34], v[20:21]
	s_wait_loadcnt_dscnt 0x0
	v_fma_f64 v[33:34], s[6:7], v[33:34], v[16:17]
	flat_store_b64 v[20:21], v[33:34]
	s_cbranch_execnz .LBB485_19
.LBB485_18:                             ;   in Loop: Header=BB485_6 Depth=1
	v_lshlrev_b64_e32 v[20:21], 3, v[0:1]
	s_delay_alu instid0(VALU_DEP_1) | instskip(SKIP_1) | instid1(VALU_DEP_2)
	v_add_co_u32 v20, vcc_lo, v23, v20
	s_wait_alu 0xfffd
	v_add_co_ci_u32_e64 v21, null, v24, v21, vcc_lo
	flat_store_b64 v[20:21], v[16:17]
.LBB485_19:                             ;   in Loop: Header=BB485_6 Depth=1
	s_wait_alu 0xfffe
	s_or_b32 exec_lo, exec_lo, s16
	s_and_saveexec_b32 s16, s29
	s_cbranch_execz .LBB485_23
; %bb.20:                               ;   in Loop: Header=BB485_6 Depth=1
	v_mul_f64_e32 v[16:17], s[10:11], v[18:19]
	s_and_not1_b32 vcc_lo, exec_lo, s34
	s_wait_alu 0xfffe
	s_cbranch_vccnz .LBB485_31
; %bb.21:                               ;   in Loop: Header=BB485_6 Depth=1
	v_lshlrev_b64_e32 v[18:19], 3, v[4:5]
	s_delay_alu instid0(VALU_DEP_1) | instskip(SKIP_1) | instid1(VALU_DEP_2)
	v_add_co_u32 v18, vcc_lo, v23, v18
	s_wait_alu 0xfffd
	v_add_co_ci_u32_e64 v19, null, v24, v19, vcc_lo
	flat_load_b64 v[20:21], v[18:19]
	s_wait_loadcnt_dscnt 0x0
	v_fma_f64 v[20:21], s[6:7], v[20:21], v[16:17]
	flat_store_b64 v[18:19], v[20:21]
	s_cbranch_execnz .LBB485_23
.LBB485_22:                             ;   in Loop: Header=BB485_6 Depth=1
	v_lshlrev_b64_e32 v[18:19], 3, v[4:5]
	s_delay_alu instid0(VALU_DEP_1) | instskip(SKIP_1) | instid1(VALU_DEP_2)
	v_add_co_u32 v18, vcc_lo, v23, v18
	s_wait_alu 0xfffd
	v_add_co_ci_u32_e64 v19, null, v24, v19, vcc_lo
	flat_store_b64 v[18:19], v[16:17]
.LBB485_23:                             ;   in Loop: Header=BB485_6 Depth=1
	s_wait_alu 0xfffe
	s_or_b32 exec_lo, exec_lo, s16
	v_add_co_u32 v2, vcc_lo, v2, v10
	s_wait_alu 0xfffd
	v_add_co_ci_u32_e64 v18, null, v22, v11, vcc_lo
	s_and_saveexec_b32 s16, s35
	s_cbranch_execz .LBB485_27
; %bb.24:                               ;   in Loop: Header=BB485_6 Depth=1
	v_mul_f64_e32 v[14:15], s[10:11], v[14:15]
	v_lshlrev_b64_e32 v[16:17], 3, v[0:1]
	s_and_not1_b32 vcc_lo, exec_lo, s34
	s_wait_alu 0xfffe
	s_cbranch_vccnz .LBB485_32
; %bb.25:                               ;   in Loop: Header=BB485_6 Depth=1
	s_delay_alu instid0(VALU_DEP_1)
	v_add_co_u32 v19, vcc_lo, v2, v16
	s_wait_alu 0xfffd
	v_add_co_ci_u32_e64 v20, null, v18, v17, vcc_lo
	flat_load_b64 v[21:22], v[19:20]
	s_wait_loadcnt_dscnt 0x0
	v_fma_f64 v[21:22], s[6:7], v[21:22], v[14:15]
	flat_store_b64 v[19:20], v[21:22]
	s_cbranch_execnz .LBB485_27
.LBB485_26:                             ;   in Loop: Header=BB485_6 Depth=1
	s_delay_alu instid0(VALU_DEP_1)
	v_add_co_u32 v16, vcc_lo, v2, v16
	s_wait_alu 0xfffd
	v_add_co_ci_u32_e64 v17, null, v18, v17, vcc_lo
	flat_store_b64 v[16:17], v[14:15]
.LBB485_27:                             ;   in Loop: Header=BB485_6 Depth=1
	s_wait_alu 0xfffe
	s_or_b32 exec_lo, exec_lo, s16
	s_and_saveexec_b32 s16, s36
	s_cbranch_execz .LBB485_5
; %bb.28:                               ;   in Loop: Header=BB485_6 Depth=1
	v_mul_f64_e32 v[12:13], s[10:11], v[12:13]
	v_lshlrev_b64_e32 v[14:15], 3, v[4:5]
	s_and_not1_b32 vcc_lo, exec_lo, s34
	s_wait_alu 0xfffe
	s_cbranch_vccnz .LBB485_33
; %bb.29:                               ;   in Loop: Header=BB485_6 Depth=1
	s_delay_alu instid0(VALU_DEP_1)
	v_add_co_u32 v16, vcc_lo, v2, v14
	s_wait_alu 0xfffd
	v_add_co_ci_u32_e64 v17, null, v18, v15, vcc_lo
	flat_load_b64 v[19:20], v[16:17]
	s_wait_loadcnt_dscnt 0x0
	v_fma_f64 v[19:20], s[6:7], v[19:20], v[12:13]
	flat_store_b64 v[16:17], v[19:20]
	s_cbranch_execnz .LBB485_5
	s_branch .LBB485_34
.LBB485_30:                             ;   in Loop: Header=BB485_6 Depth=1
	s_branch .LBB485_18
.LBB485_31:                             ;   in Loop: Header=BB485_6 Depth=1
	s_branch .LBB485_22
.LBB485_32:                             ;   in Loop: Header=BB485_6 Depth=1
	s_branch .LBB485_26
.LBB485_33:                             ;   in Loop: Header=BB485_6 Depth=1
.LBB485_34:                             ;   in Loop: Header=BB485_6 Depth=1
	s_delay_alu instid0(VALU_DEP_1)
	v_add_co_u32 v14, vcc_lo, v2, v14
	s_wait_alu 0xfffd
	v_add_co_ci_u32_e64 v15, null, v18, v15, vcc_lo
	flat_store_b64 v[14:15], v[12:13]
	s_branch .LBB485_5
.LBB485_35:
	s_endpgm
	.section	.rodata,"a",@progbits
	.p2align	6, 0x0
	.amdhsa_kernel _ZL29rocblas_internal_gemmt_kernelIlLi16ELi32ELi8ELc67ELc67ELc76ELb0ELb0EdPKdPKS1_PKPdEviT_T9_T10_S7_lS9_S7_lS8_T11_S7_li
		.amdhsa_group_segment_fixed_size 4096
		.amdhsa_private_segment_fixed_size 0
		.amdhsa_kernarg_size 108
		.amdhsa_user_sgpr_count 2
		.amdhsa_user_sgpr_dispatch_ptr 0
		.amdhsa_user_sgpr_queue_ptr 0
		.amdhsa_user_sgpr_kernarg_segment_ptr 1
		.amdhsa_user_sgpr_dispatch_id 0
		.amdhsa_user_sgpr_private_segment_size 0
		.amdhsa_wavefront_size32 1
		.amdhsa_uses_dynamic_stack 0
		.amdhsa_enable_private_segment 0
		.amdhsa_system_sgpr_workgroup_id_x 1
		.amdhsa_system_sgpr_workgroup_id_y 1
		.amdhsa_system_sgpr_workgroup_id_z 1
		.amdhsa_system_sgpr_workgroup_info 0
		.amdhsa_system_vgpr_workitem_id 1
		.amdhsa_next_free_vgpr 53
		.amdhsa_next_free_sgpr 39
		.amdhsa_reserve_vcc 1
		.amdhsa_float_round_mode_32 0
		.amdhsa_float_round_mode_16_64 0
		.amdhsa_float_denorm_mode_32 3
		.amdhsa_float_denorm_mode_16_64 3
		.amdhsa_fp16_overflow 0
		.amdhsa_workgroup_processor_mode 1
		.amdhsa_memory_ordered 1
		.amdhsa_forward_progress 1
		.amdhsa_inst_pref_size 17
		.amdhsa_round_robin_scheduling 0
		.amdhsa_exception_fp_ieee_invalid_op 0
		.amdhsa_exception_fp_denorm_src 0
		.amdhsa_exception_fp_ieee_div_zero 0
		.amdhsa_exception_fp_ieee_overflow 0
		.amdhsa_exception_fp_ieee_underflow 0
		.amdhsa_exception_fp_ieee_inexact 0
		.amdhsa_exception_int_div_zero 0
	.end_amdhsa_kernel
	.section	.text._ZL29rocblas_internal_gemmt_kernelIlLi16ELi32ELi8ELc67ELc67ELc76ELb0ELb0EdPKdPKS1_PKPdEviT_T9_T10_S7_lS9_S7_lS8_T11_S7_li,"axG",@progbits,_ZL29rocblas_internal_gemmt_kernelIlLi16ELi32ELi8ELc67ELc67ELc76ELb0ELb0EdPKdPKS1_PKPdEviT_T9_T10_S7_lS9_S7_lS8_T11_S7_li,comdat
.Lfunc_end485:
	.size	_ZL29rocblas_internal_gemmt_kernelIlLi16ELi32ELi8ELc67ELc67ELc76ELb0ELb0EdPKdPKS1_PKPdEviT_T9_T10_S7_lS9_S7_lS8_T11_S7_li, .Lfunc_end485-_ZL29rocblas_internal_gemmt_kernelIlLi16ELi32ELi8ELc67ELc67ELc76ELb0ELb0EdPKdPKS1_PKPdEviT_T9_T10_S7_lS9_S7_lS8_T11_S7_li
                                        ; -- End function
	.set _ZL29rocblas_internal_gemmt_kernelIlLi16ELi32ELi8ELc67ELc67ELc76ELb0ELb0EdPKdPKS1_PKPdEviT_T9_T10_S7_lS9_S7_lS8_T11_S7_li.num_vgpr, 53
	.set _ZL29rocblas_internal_gemmt_kernelIlLi16ELi32ELi8ELc67ELc67ELc76ELb0ELb0EdPKdPKS1_PKPdEviT_T9_T10_S7_lS9_S7_lS8_T11_S7_li.num_agpr, 0
	.set _ZL29rocblas_internal_gemmt_kernelIlLi16ELi32ELi8ELc67ELc67ELc76ELb0ELb0EdPKdPKS1_PKPdEviT_T9_T10_S7_lS9_S7_lS8_T11_S7_li.numbered_sgpr, 39
	.set _ZL29rocblas_internal_gemmt_kernelIlLi16ELi32ELi8ELc67ELc67ELc76ELb0ELb0EdPKdPKS1_PKPdEviT_T9_T10_S7_lS9_S7_lS8_T11_S7_li.num_named_barrier, 0
	.set _ZL29rocblas_internal_gemmt_kernelIlLi16ELi32ELi8ELc67ELc67ELc76ELb0ELb0EdPKdPKS1_PKPdEviT_T9_T10_S7_lS9_S7_lS8_T11_S7_li.private_seg_size, 0
	.set _ZL29rocblas_internal_gemmt_kernelIlLi16ELi32ELi8ELc67ELc67ELc76ELb0ELb0EdPKdPKS1_PKPdEviT_T9_T10_S7_lS9_S7_lS8_T11_S7_li.uses_vcc, 1
	.set _ZL29rocblas_internal_gemmt_kernelIlLi16ELi32ELi8ELc67ELc67ELc76ELb0ELb0EdPKdPKS1_PKPdEviT_T9_T10_S7_lS9_S7_lS8_T11_S7_li.uses_flat_scratch, 0
	.set _ZL29rocblas_internal_gemmt_kernelIlLi16ELi32ELi8ELc67ELc67ELc76ELb0ELb0EdPKdPKS1_PKPdEviT_T9_T10_S7_lS9_S7_lS8_T11_S7_li.has_dyn_sized_stack, 0
	.set _ZL29rocblas_internal_gemmt_kernelIlLi16ELi32ELi8ELc67ELc67ELc76ELb0ELb0EdPKdPKS1_PKPdEviT_T9_T10_S7_lS9_S7_lS8_T11_S7_li.has_recursion, 0
	.set _ZL29rocblas_internal_gemmt_kernelIlLi16ELi32ELi8ELc67ELc67ELc76ELb0ELb0EdPKdPKS1_PKPdEviT_T9_T10_S7_lS9_S7_lS8_T11_S7_li.has_indirect_call, 0
	.section	.AMDGPU.csdata,"",@progbits
; Kernel info:
; codeLenInByte = 2140
; TotalNumSgprs: 41
; NumVgprs: 53
; ScratchSize: 0
; MemoryBound: 0
; FloatMode: 240
; IeeeMode: 1
; LDSByteSize: 4096 bytes/workgroup (compile time only)
; SGPRBlocks: 0
; VGPRBlocks: 6
; NumSGPRsForWavesPerEU: 41
; NumVGPRsForWavesPerEU: 53
; Occupancy: 16
; WaveLimiterHint : 1
; COMPUTE_PGM_RSRC2:SCRATCH_EN: 0
; COMPUTE_PGM_RSRC2:USER_SGPR: 2
; COMPUTE_PGM_RSRC2:TRAP_HANDLER: 0
; COMPUTE_PGM_RSRC2:TGID_X_EN: 1
; COMPUTE_PGM_RSRC2:TGID_Y_EN: 1
; COMPUTE_PGM_RSRC2:TGID_Z_EN: 1
; COMPUTE_PGM_RSRC2:TIDIG_COMP_CNT: 1
	.section	.text._ZL29rocblas_internal_gemmt_kernelIlLi16ELi32ELi8ELc78ELc78ELc85ELb0ELb0EddPKPKdPKPdEviT_T9_T10_S7_lS9_S7_lS8_T11_S7_li,"axG",@progbits,_ZL29rocblas_internal_gemmt_kernelIlLi16ELi32ELi8ELc78ELc78ELc85ELb0ELb0EddPKPKdPKPdEviT_T9_T10_S7_lS9_S7_lS8_T11_S7_li,comdat
	.globl	_ZL29rocblas_internal_gemmt_kernelIlLi16ELi32ELi8ELc78ELc78ELc85ELb0ELb0EddPKPKdPKPdEviT_T9_T10_S7_lS9_S7_lS8_T11_S7_li ; -- Begin function _ZL29rocblas_internal_gemmt_kernelIlLi16ELi32ELi8ELc78ELc78ELc85ELb0ELb0EddPKPKdPKPdEviT_T9_T10_S7_lS9_S7_lS8_T11_S7_li
	.p2align	8
	.type	_ZL29rocblas_internal_gemmt_kernelIlLi16ELi32ELi8ELc78ELc78ELc85ELb0ELb0EddPKPKdPKPdEviT_T9_T10_S7_lS9_S7_lS8_T11_S7_li,@function
_ZL29rocblas_internal_gemmt_kernelIlLi16ELi32ELi8ELc78ELc78ELc85ELb0ELb0EddPKPKdPKPdEviT_T9_T10_S7_lS9_S7_lS8_T11_S7_li: ; @_ZL29rocblas_internal_gemmt_kernelIlLi16ELi32ELi8ELc78ELc78ELc85ELb0ELb0EddPKPKdPKPdEviT_T9_T10_S7_lS9_S7_lS8_T11_S7_li
; %bb.0:
	s_clause 0x1
	s_load_b256 s[24:31], s[0:1], 0x48
	s_load_b512 s[8:23], s[0:1], 0x8
	s_wait_kmcnt 0x0
	v_cmp_neq_f64_e64 s2, s[24:25], 1.0
	s_and_b32 vcc_lo, exec_lo, s2
	s_cbranch_vccnz .LBB486_2
; %bb.1:
	v_cmp_neq_f64_e64 s2, s[10:11], 0
	s_cmp_lg_u64 s[8:9], 0
	s_cselect_b32 s3, -1, 0
	s_delay_alu instid0(SALU_CYCLE_1)
	s_and_b32 s2, s3, s2
.LBB486_2:
	s_delay_alu instid0(SALU_CYCLE_1)
	s_and_not1_b32 vcc_lo, exec_lo, s2
	s_cbranch_vccnz .LBB486_35
; %bb.3:
	s_load_b32 s33, s[0:1], 0x68
	s_lshr_b32 s6, ttmp7, 16
	s_wait_kmcnt 0x0
	s_cmp_ge_u32 s6, s33
	s_cbranch_scc1 .LBB486_35
; %bb.4:
	v_bfe_u32 v5, v0, 10, 10
	s_load_b32 s3, s[0:1], 0x0
	s_lshl_b32 s1, ttmp7, 5
	s_lshl_b32 s0, ttmp9, 5
	s_and_b32 s1, s1, 0x1fffe0
	v_cmp_neq_f64_e64 s37, s[10:11], 0
	v_add_nc_u32_e32 v15, s1, v5
	v_cmp_neq_f64_e64 s34, s[24:25], 0
	v_lshl_add_u32 v33, v5, 6, 0x800
	v_cmp_gt_i64_e64 s38, s[8:9], 0
	s_mov_b32 s7, 0
	v_mad_co_u64_u32 v[10:11], null, s28, v15, 0
	v_and_b32_e32 v1, 0x3ff, v0
	v_add_nc_u32_e32 v16, 16, v15
	s_delay_alu instid0(VALU_DEP_2) | instskip(NEXT) | instid1(VALU_DEP_2)
	v_lshl_add_u32 v2, v5, 4, v1
	v_mad_co_u64_u32 v[12:13], null, s28, v16, 0
	v_lshlrev_b32_e32 v29, 3, v1
	s_wait_kmcnt 0x0
	v_cmp_gt_i32_e32 vcc_lo, s3, v15
	v_lshrrev_b32_e32 v3, 3, v2
	v_lshrrev_b32_e32 v30, 5, v2
	s_delay_alu instid0(VALU_DEP_2) | instskip(NEXT) | instid1(VALU_DEP_1)
	v_add_nc_u32_e32 v14, s1, v3
	v_mad_co_u64_u32 v[8:9], null, s20, v14, 0
	v_and_b32_e32 v28, 7, v0
	v_add_nc_u32_e32 v0, s0, v1
	v_dual_mov_b32 v2, v11 :: v_dual_and_b32 v1, 31, v2
	s_delay_alu instid0(VALU_DEP_1) | instskip(SKIP_3) | instid1(VALU_DEP_3)
	v_or_b32_e32 v6, s0, v1
	v_lshlrev_b32_e32 v7, 3, v1
	v_dual_mov_b32 v1, v9 :: v_dual_lshlrev_b32 v4, 3, v28
	s_and_b32 s37, s37, s38
	v_cmp_gt_i32_e64 s0, s3, v6
	s_delay_alu instid0(VALU_DEP_3) | instskip(SKIP_3) | instid1(VALU_DEP_3)
	v_lshl_or_b32 v31, v30, 8, v7
	v_ashrrev_i32_e32 v7, 31, v6
	v_lshl_or_b32 v17, v3, 6, v4
	v_mad_co_u64_u32 v[3:4], null, s21, v14, v[1:2]
	v_lshlrev_b64_e32 v[6:7], 3, v[6:7]
	s_delay_alu instid0(VALU_DEP_3) | instskip(NEXT) | instid1(VALU_DEP_3)
	v_add_nc_u32_e32 v32, 0x800, v17
	v_mad_co_u64_u32 v[1:2], null, s29, v15, v[2:3]
	v_mov_b32_e32 v9, v3
	v_mov_b32_e32 v3, v13
	v_cmp_gt_i32_e64 s1, s3, v14
	s_delay_alu instid0(VALU_DEP_3) | instskip(NEXT) | instid1(VALU_DEP_3)
	v_lshlrev_b64_e32 v[8:9], 3, v[8:9]
	v_mad_co_u64_u32 v[4:5], null, s29, v16, v[3:4]
	v_mov_b32_e32 v11, v1
	v_cmp_le_i32_e64 s2, v0, v15
	v_add_nc_u32_e32 v2, 16, v0
	v_ashrrev_i32_e32 v1, 31, v0
	v_mov_b32_e32 v5, 0
	v_lshlrev_b64_e32 v[10:11], 3, v[10:11]
	v_mov_b32_e32 v13, v4
	s_and_b32 s28, vcc_lo, s2
	v_cmp_le_i32_e64 s2, v2, v15
	v_cmp_gt_i32_e64 s3, s3, v16
	v_cmp_le_i32_e64 s4, v0, v16
	v_cmp_le_i32_e64 s5, v2, v16
	v_lshlrev_b64_e32 v[12:13], 3, v[12:13]
	v_ashrrev_i32_e32 v3, 31, v2
	s_and_b32 s29, vcc_lo, s2
	s_and_b32 s35, s3, s4
	s_and_b32 s36, s3, s5
	s_lshl_b64 s[2:3], s[22:23], 3
	s_lshl_b64 s[4:5], s[16:17], 3
	;; [unrolled: 1-line block ×3, first 2 shown]
	s_branch .LBB486_6
.LBB486_5:                              ;   in Loop: Header=BB486_6 Depth=1
	s_wait_alu 0xfffe
	s_or_b32 exec_lo, exec_lo, s20
	s_add_co_i32 s6, s6, 0x10000
	s_delay_alu instid0(SALU_CYCLE_1)
	s_cmp_lt_u32 s6, s33
	s_cbranch_scc0 .LBB486_35
.LBB486_6:                              ; =>This Loop Header: Depth=1
                                        ;     Child Loop BB486_9 Depth 2
	s_lshl_b64 s[20:21], s[6:7], 3
	v_mov_b32_e32 v22, 0
	s_wait_alu 0xfffe
	s_add_nc_u64 s[22:23], s[26:27], s[20:21]
	v_mov_b32_e32 v16, 0
	global_load_b64 v[18:19], v5, s[22:23]
	v_dual_mov_b32 v23, 0 :: v_dual_mov_b32 v20, 0
	v_dual_mov_b32 v17, 0 :: v_dual_mov_b32 v14, 0
	v_mov_b32_e32 v21, 0
	v_mov_b32_e32 v15, 0
	s_and_not1_b32 vcc_lo, exec_lo, s37
	s_wait_alu 0xfffe
	s_cbranch_vccnz .LBB486_15
; %bb.7:                                ;   in Loop: Header=BB486_6 Depth=1
	s_add_nc_u64 s[22:23], s[12:13], s[20:21]
	s_add_nc_u64 s[20:21], s[18:19], s[20:21]
	s_clause 0x1
	global_load_b64 v[24:25], v5, s[22:23]
	global_load_b64 v[26:27], v5, s[20:21]
	v_mov_b32_e32 v14, 0
	v_dual_mov_b32 v20, 0 :: v_dual_mov_b32 v15, 0
	v_dual_mov_b32 v16, 0 :: v_dual_mov_b32 v21, 0
	v_dual_mov_b32 v22, 0 :: v_dual_mov_b32 v17, 0
	v_mov_b32_e32 v23, 0
	s_mov_b64 s[20:21], 0
	s_wait_loadcnt 0x1
	v_add_co_u32 v4, vcc_lo, v24, s4
	s_wait_alu 0xfffd
	v_add_co_ci_u32_e64 v24, null, s5, v25, vcc_lo
	s_wait_loadcnt 0x0
	v_add_co_u32 v25, vcc_lo, v26, s2
	s_wait_alu 0xfffd
	v_add_co_ci_u32_e64 v26, null, s3, v27, vcc_lo
	v_add_co_u32 v34, vcc_lo, v4, v6
	s_wait_alu 0xfffd
	v_add_co_ci_u32_e64 v35, null, v24, v7, vcc_lo
	;; [unrolled: 3-line block ×3, first 2 shown]
	s_branch .LBB486_9
.LBB486_8:                              ;   in Loop: Header=BB486_9 Depth=2
	s_or_b32 exec_lo, exec_lo, s22
	s_wait_loadcnt_dscnt 0x0
	ds_store_b64 v32, v[26:27]
	s_wait_dscnt 0x0
	s_barrier_signal -1
	s_barrier_wait -1
	global_inv scope:SCOPE_SE
	ds_load_b128 v[24:27], v33
	ds_load_2addr_b64 v[38:41], v29 offset1:16
	ds_load_b128 v[42:45], v33 offset:1024
	ds_load_b128 v[46:49], v33 offset:16
	;; [unrolled: 1-line block ×3, first 2 shown]
	s_add_nc_u64 s[20:21], s[20:21], 8
	s_wait_alu 0xfffe
	v_cmp_gt_i64_e64 s22, s[8:9], s[20:21]
	s_and_b32 vcc_lo, exec_lo, s22
	s_wait_dscnt 0x3
	v_fma_f64 v[22:23], v[38:39], v[24:25], v[22:23]
	v_fma_f64 v[20:21], v[40:41], v[24:25], v[20:21]
	s_wait_dscnt 0x2
	v_fma_f64 v[24:25], v[38:39], v[42:43], v[16:17]
	v_fma_f64 v[38:39], v[40:41], v[42:43], v[14:15]
	ds_load_2addr_b64 v[14:17], v29 offset0:32 offset1:48
	s_wait_dscnt 0x0
	v_fma_f64 v[22:23], v[14:15], v[26:27], v[22:23]
	v_fma_f64 v[20:21], v[16:17], v[26:27], v[20:21]
	v_fma_f64 v[24:25], v[14:15], v[44:45], v[24:25]
	v_fma_f64 v[26:27], v[16:17], v[44:45], v[38:39]
	ds_load_2addr_b64 v[14:17], v29 offset0:64 offset1:80
	s_wait_dscnt 0x0
	v_fma_f64 v[22:23], v[14:15], v[46:47], v[22:23]
	v_fma_f64 v[20:21], v[16:17], v[46:47], v[20:21]
	;; [unrolled: 6-line block ×3, first 2 shown]
	v_fma_f64 v[50:51], v[14:15], v[52:53], v[24:25]
	v_fma_f64 v[52:53], v[16:17], v[52:53], v[26:27]
	ds_load_b128 v[14:17], v33 offset:32
	ds_load_2addr_b64 v[20:23], v29 offset0:128 offset1:144
	ds_load_b128 v[24:27], v33 offset:1056
	ds_load_b128 v[38:41], v33 offset:48
	;; [unrolled: 1-line block ×3, first 2 shown]
	s_wait_dscnt 0x3
	v_fma_f64 v[46:47], v[20:21], v[14:15], v[46:47]
	v_fma_f64 v[14:15], v[22:23], v[14:15], v[48:49]
	s_wait_dscnt 0x2
	v_fma_f64 v[48:49], v[20:21], v[24:25], v[50:51]
	v_fma_f64 v[24:25], v[22:23], v[24:25], v[52:53]
	ds_load_2addr_b64 v[20:23], v29 offset0:160 offset1:176
	s_wait_dscnt 0x0
	v_fma_f64 v[46:47], v[20:21], v[16:17], v[46:47]
	v_fma_f64 v[50:51], v[22:23], v[16:17], v[14:15]
	;; [unrolled: 1-line block ×4, first 2 shown]
	ds_load_2addr_b64 v[14:17], v29 offset0:192 offset1:208
	ds_load_2addr_b64 v[24:27], v29 offset0:224 offset1:240
	s_wait_loadcnt_dscnt 0x0
	s_barrier_signal -1
	s_barrier_wait -1
	global_inv scope:SCOPE_SE
	v_fma_f64 v[46:47], v[14:15], v[38:39], v[46:47]
	v_fma_f64 v[38:39], v[16:17], v[38:39], v[50:51]
	;; [unrolled: 1-line block ×4, first 2 shown]
	s_delay_alu instid0(VALU_DEP_4) | instskip(NEXT) | instid1(VALU_DEP_4)
	v_fma_f64 v[22:23], v[24:25], v[40:41], v[46:47]
	v_fma_f64 v[20:21], v[26:27], v[40:41], v[38:39]
	s_delay_alu instid0(VALU_DEP_4) | instskip(NEXT) | instid1(VALU_DEP_4)
	v_fma_f64 v[16:17], v[24:25], v[44:45], v[14:15]
	v_fma_f64 v[14:15], v[26:27], v[44:45], v[42:43]
	s_wait_alu 0xfffe
	s_cbranch_vccz .LBB486_15
.LBB486_9:                              ;   Parent Loop BB486_6 Depth=1
                                        ; =>  This Inner Loop Header: Depth=2
	v_mov_b32_e32 v24, 0
	v_mov_b32_e32 v25, 0
	s_and_saveexec_b32 s22, s0
	s_cbranch_execz .LBB486_13
; %bb.10:                               ;   in Loop: Header=BB486_9 Depth=2
	v_mov_b32_e32 v24, 0
	s_wait_alu 0xfffe
	v_dual_mov_b32 v25, 0 :: v_dual_add_nc_u32 v4, s20, v30
	s_mov_b32 s23, exec_lo
	s_delay_alu instid0(VALU_DEP_1)
	v_cmpx_gt_u64_e64 s[8:9], v[4:5]
	s_cbranch_execz .LBB486_12
; %bb.11:                               ;   in Loop: Header=BB486_9 Depth=2
	v_mad_co_u64_u32 v[24:25], null, s14, v4, 0
	s_delay_alu instid0(VALU_DEP_1) | instskip(NEXT) | instid1(VALU_DEP_1)
	v_mad_co_u64_u32 v[25:26], null, s15, v4, v[25:26]
	v_lshlrev_b64_e32 v[24:25], 3, v[24:25]
	s_delay_alu instid0(VALU_DEP_1) | instskip(SKIP_1) | instid1(VALU_DEP_2)
	v_add_co_u32 v24, vcc_lo, v34, v24
	s_wait_alu 0xfffd
	v_add_co_ci_u32_e64 v25, null, v35, v25, vcc_lo
	flat_load_b64 v[24:25], v[24:25]
.LBB486_12:                             ;   in Loop: Header=BB486_9 Depth=2
	s_or_b32 exec_lo, exec_lo, s23
.LBB486_13:                             ;   in Loop: Header=BB486_9 Depth=2
	s_delay_alu instid0(SALU_CYCLE_1)
	s_or_b32 exec_lo, exec_lo, s22
	s_wait_alu 0xfffe
	v_add_nc_u32_e32 v4, s20, v28
	v_mov_b32_e32 v26, 0
	v_mov_b32_e32 v27, 0
	s_wait_loadcnt_dscnt 0x0
	ds_store_b64 v31, v[24:25]
	v_cmp_gt_u64_e32 vcc_lo, s[8:9], v[4:5]
	s_and_b32 s23, vcc_lo, s1
	s_delay_alu instid0(SALU_CYCLE_1)
	s_and_saveexec_b32 s22, s23
	s_cbranch_execz .LBB486_8
; %bb.14:                               ;   in Loop: Header=BB486_9 Depth=2
	v_lshlrev_b64_e32 v[24:25], 3, v[4:5]
	s_delay_alu instid0(VALU_DEP_1) | instskip(SKIP_1) | instid1(VALU_DEP_2)
	v_add_co_u32 v24, vcc_lo, v36, v24
	s_wait_alu 0xfffd
	v_add_co_ci_u32_e64 v25, null, v37, v25, vcc_lo
	flat_load_b64 v[26:27], v[24:25]
	s_branch .LBB486_8
.LBB486_15:                             ;   in Loop: Header=BB486_6 Depth=1
	s_wait_loadcnt 0x0
	v_add_co_u32 v4, vcc_lo, v18, s16
	s_wait_alu 0xfffd
	v_add_co_ci_u32_e64 v24, null, s17, v19, vcc_lo
	s_delay_alu instid0(VALU_DEP_2) | instskip(SKIP_1) | instid1(VALU_DEP_2)
	v_add_co_u32 v25, vcc_lo, v4, v10
	s_wait_alu 0xfffd
	v_add_co_ci_u32_e64 v26, null, v24, v11, vcc_lo
	s_and_saveexec_b32 s20, s28
	s_cbranch_execz .LBB486_19
; %bb.16:                               ;   in Loop: Header=BB486_6 Depth=1
	v_mul_f64_e32 v[18:19], s[10:11], v[22:23]
	s_and_b32 vcc_lo, exec_lo, s34
	s_wait_alu 0xfffe
	s_cbranch_vccz .LBB486_30
; %bb.17:                               ;   in Loop: Header=BB486_6 Depth=1
	v_lshlrev_b64_e32 v[22:23], 3, v[0:1]
	s_delay_alu instid0(VALU_DEP_1) | instskip(SKIP_1) | instid1(VALU_DEP_2)
	v_add_co_u32 v22, vcc_lo, v25, v22
	s_wait_alu 0xfffd
	v_add_co_ci_u32_e64 v23, null, v26, v23, vcc_lo
	flat_load_b64 v[34:35], v[22:23]
	s_wait_loadcnt_dscnt 0x0
	v_fma_f64 v[34:35], s[24:25], v[34:35], v[18:19]
	flat_store_b64 v[22:23], v[34:35]
	s_cbranch_execnz .LBB486_19
.LBB486_18:                             ;   in Loop: Header=BB486_6 Depth=1
	v_lshlrev_b64_e32 v[22:23], 3, v[0:1]
	s_delay_alu instid0(VALU_DEP_1) | instskip(SKIP_1) | instid1(VALU_DEP_2)
	v_add_co_u32 v22, vcc_lo, v25, v22
	s_wait_alu 0xfffd
	v_add_co_ci_u32_e64 v23, null, v26, v23, vcc_lo
	flat_store_b64 v[22:23], v[18:19]
.LBB486_19:                             ;   in Loop: Header=BB486_6 Depth=1
	s_wait_alu 0xfffe
	s_or_b32 exec_lo, exec_lo, s20
	s_and_saveexec_b32 s20, s29
	s_cbranch_execz .LBB486_23
; %bb.20:                               ;   in Loop: Header=BB486_6 Depth=1
	v_mul_f64_e32 v[18:19], s[10:11], v[20:21]
	s_and_not1_b32 vcc_lo, exec_lo, s34
	s_wait_alu 0xfffe
	s_cbranch_vccnz .LBB486_31
; %bb.21:                               ;   in Loop: Header=BB486_6 Depth=1
	v_lshlrev_b64_e32 v[20:21], 3, v[2:3]
	s_delay_alu instid0(VALU_DEP_1) | instskip(SKIP_1) | instid1(VALU_DEP_2)
	v_add_co_u32 v20, vcc_lo, v25, v20
	s_wait_alu 0xfffd
	v_add_co_ci_u32_e64 v21, null, v26, v21, vcc_lo
	flat_load_b64 v[22:23], v[20:21]
	s_wait_loadcnt_dscnt 0x0
	v_fma_f64 v[22:23], s[24:25], v[22:23], v[18:19]
	flat_store_b64 v[20:21], v[22:23]
	s_cbranch_execnz .LBB486_23
.LBB486_22:                             ;   in Loop: Header=BB486_6 Depth=1
	v_lshlrev_b64_e32 v[20:21], 3, v[2:3]
	s_delay_alu instid0(VALU_DEP_1) | instskip(SKIP_1) | instid1(VALU_DEP_2)
	v_add_co_u32 v20, vcc_lo, v25, v20
	s_wait_alu 0xfffd
	v_add_co_ci_u32_e64 v21, null, v26, v21, vcc_lo
	flat_store_b64 v[20:21], v[18:19]
.LBB486_23:                             ;   in Loop: Header=BB486_6 Depth=1
	s_wait_alu 0xfffe
	s_or_b32 exec_lo, exec_lo, s20
	v_add_co_u32 v4, vcc_lo, v4, v12
	s_wait_alu 0xfffd
	v_add_co_ci_u32_e64 v20, null, v24, v13, vcc_lo
	s_and_saveexec_b32 s20, s35
	s_cbranch_execz .LBB486_27
; %bb.24:                               ;   in Loop: Header=BB486_6 Depth=1
	v_mul_f64_e32 v[16:17], s[10:11], v[16:17]
	v_lshlrev_b64_e32 v[18:19], 3, v[0:1]
	s_and_not1_b32 vcc_lo, exec_lo, s34
	s_wait_alu 0xfffe
	s_cbranch_vccnz .LBB486_32
; %bb.25:                               ;   in Loop: Header=BB486_6 Depth=1
	s_delay_alu instid0(VALU_DEP_1)
	v_add_co_u32 v21, vcc_lo, v4, v18
	s_wait_alu 0xfffd
	v_add_co_ci_u32_e64 v22, null, v20, v19, vcc_lo
	flat_load_b64 v[23:24], v[21:22]
	s_wait_loadcnt_dscnt 0x0
	v_fma_f64 v[23:24], s[24:25], v[23:24], v[16:17]
	flat_store_b64 v[21:22], v[23:24]
	s_cbranch_execnz .LBB486_27
.LBB486_26:                             ;   in Loop: Header=BB486_6 Depth=1
	s_delay_alu instid0(VALU_DEP_1)
	v_add_co_u32 v18, vcc_lo, v4, v18
	s_wait_alu 0xfffd
	v_add_co_ci_u32_e64 v19, null, v20, v19, vcc_lo
	flat_store_b64 v[18:19], v[16:17]
.LBB486_27:                             ;   in Loop: Header=BB486_6 Depth=1
	s_wait_alu 0xfffe
	s_or_b32 exec_lo, exec_lo, s20
	s_and_saveexec_b32 s20, s36
	s_cbranch_execz .LBB486_5
; %bb.28:                               ;   in Loop: Header=BB486_6 Depth=1
	v_mul_f64_e32 v[14:15], s[10:11], v[14:15]
	v_lshlrev_b64_e32 v[16:17], 3, v[2:3]
	s_and_not1_b32 vcc_lo, exec_lo, s34
	s_wait_alu 0xfffe
	s_cbranch_vccnz .LBB486_33
; %bb.29:                               ;   in Loop: Header=BB486_6 Depth=1
	s_delay_alu instid0(VALU_DEP_1)
	v_add_co_u32 v18, vcc_lo, v4, v16
	s_wait_alu 0xfffd
	v_add_co_ci_u32_e64 v19, null, v20, v17, vcc_lo
	flat_load_b64 v[21:22], v[18:19]
	s_wait_loadcnt_dscnt 0x0
	v_fma_f64 v[21:22], s[24:25], v[21:22], v[14:15]
	flat_store_b64 v[18:19], v[21:22]
	s_cbranch_execnz .LBB486_5
	s_branch .LBB486_34
.LBB486_30:                             ;   in Loop: Header=BB486_6 Depth=1
	s_branch .LBB486_18
.LBB486_31:                             ;   in Loop: Header=BB486_6 Depth=1
	s_branch .LBB486_22
.LBB486_32:                             ;   in Loop: Header=BB486_6 Depth=1
	s_branch .LBB486_26
.LBB486_33:                             ;   in Loop: Header=BB486_6 Depth=1
.LBB486_34:                             ;   in Loop: Header=BB486_6 Depth=1
	s_delay_alu instid0(VALU_DEP_1)
	v_add_co_u32 v16, vcc_lo, v4, v16
	s_wait_alu 0xfffd
	v_add_co_ci_u32_e64 v17, null, v20, v17, vcc_lo
	flat_store_b64 v[16:17], v[14:15]
	s_branch .LBB486_5
.LBB486_35:
	s_endpgm
	.section	.rodata,"a",@progbits
	.p2align	6, 0x0
	.amdhsa_kernel _ZL29rocblas_internal_gemmt_kernelIlLi16ELi32ELi8ELc78ELc78ELc85ELb0ELb0EddPKPKdPKPdEviT_T9_T10_S7_lS9_S7_lS8_T11_S7_li
		.amdhsa_group_segment_fixed_size 4096
		.amdhsa_private_segment_fixed_size 0
		.amdhsa_kernarg_size 108
		.amdhsa_user_sgpr_count 2
		.amdhsa_user_sgpr_dispatch_ptr 0
		.amdhsa_user_sgpr_queue_ptr 0
		.amdhsa_user_sgpr_kernarg_segment_ptr 1
		.amdhsa_user_sgpr_dispatch_id 0
		.amdhsa_user_sgpr_private_segment_size 0
		.amdhsa_wavefront_size32 1
		.amdhsa_uses_dynamic_stack 0
		.amdhsa_enable_private_segment 0
		.amdhsa_system_sgpr_workgroup_id_x 1
		.amdhsa_system_sgpr_workgroup_id_y 1
		.amdhsa_system_sgpr_workgroup_id_z 1
		.amdhsa_system_sgpr_workgroup_info 0
		.amdhsa_system_vgpr_workitem_id 1
		.amdhsa_next_free_vgpr 54
		.amdhsa_next_free_sgpr 39
		.amdhsa_reserve_vcc 1
		.amdhsa_float_round_mode_32 0
		.amdhsa_float_round_mode_16_64 0
		.amdhsa_float_denorm_mode_32 3
		.amdhsa_float_denorm_mode_16_64 3
		.amdhsa_fp16_overflow 0
		.amdhsa_workgroup_processor_mode 1
		.amdhsa_memory_ordered 1
		.amdhsa_forward_progress 1
		.amdhsa_inst_pref_size 17
		.amdhsa_round_robin_scheduling 0
		.amdhsa_exception_fp_ieee_invalid_op 0
		.amdhsa_exception_fp_denorm_src 0
		.amdhsa_exception_fp_ieee_div_zero 0
		.amdhsa_exception_fp_ieee_overflow 0
		.amdhsa_exception_fp_ieee_underflow 0
		.amdhsa_exception_fp_ieee_inexact 0
		.amdhsa_exception_int_div_zero 0
	.end_amdhsa_kernel
	.section	.text._ZL29rocblas_internal_gemmt_kernelIlLi16ELi32ELi8ELc78ELc78ELc85ELb0ELb0EddPKPKdPKPdEviT_T9_T10_S7_lS9_S7_lS8_T11_S7_li,"axG",@progbits,_ZL29rocblas_internal_gemmt_kernelIlLi16ELi32ELi8ELc78ELc78ELc85ELb0ELb0EddPKPKdPKPdEviT_T9_T10_S7_lS9_S7_lS8_T11_S7_li,comdat
.Lfunc_end486:
	.size	_ZL29rocblas_internal_gemmt_kernelIlLi16ELi32ELi8ELc78ELc78ELc85ELb0ELb0EddPKPKdPKPdEviT_T9_T10_S7_lS9_S7_lS8_T11_S7_li, .Lfunc_end486-_ZL29rocblas_internal_gemmt_kernelIlLi16ELi32ELi8ELc78ELc78ELc85ELb0ELb0EddPKPKdPKPdEviT_T9_T10_S7_lS9_S7_lS8_T11_S7_li
                                        ; -- End function
	.set _ZL29rocblas_internal_gemmt_kernelIlLi16ELi32ELi8ELc78ELc78ELc85ELb0ELb0EddPKPKdPKPdEviT_T9_T10_S7_lS9_S7_lS8_T11_S7_li.num_vgpr, 54
	.set _ZL29rocblas_internal_gemmt_kernelIlLi16ELi32ELi8ELc78ELc78ELc85ELb0ELb0EddPKPKdPKPdEviT_T9_T10_S7_lS9_S7_lS8_T11_S7_li.num_agpr, 0
	.set _ZL29rocblas_internal_gemmt_kernelIlLi16ELi32ELi8ELc78ELc78ELc85ELb0ELb0EddPKPKdPKPdEviT_T9_T10_S7_lS9_S7_lS8_T11_S7_li.numbered_sgpr, 39
	.set _ZL29rocblas_internal_gemmt_kernelIlLi16ELi32ELi8ELc78ELc78ELc85ELb0ELb0EddPKPKdPKPdEviT_T9_T10_S7_lS9_S7_lS8_T11_S7_li.num_named_barrier, 0
	.set _ZL29rocblas_internal_gemmt_kernelIlLi16ELi32ELi8ELc78ELc78ELc85ELb0ELb0EddPKPKdPKPdEviT_T9_T10_S7_lS9_S7_lS8_T11_S7_li.private_seg_size, 0
	.set _ZL29rocblas_internal_gemmt_kernelIlLi16ELi32ELi8ELc78ELc78ELc85ELb0ELb0EddPKPKdPKPdEviT_T9_T10_S7_lS9_S7_lS8_T11_S7_li.uses_vcc, 1
	.set _ZL29rocblas_internal_gemmt_kernelIlLi16ELi32ELi8ELc78ELc78ELc85ELb0ELb0EddPKPKdPKPdEviT_T9_T10_S7_lS9_S7_lS8_T11_S7_li.uses_flat_scratch, 0
	.set _ZL29rocblas_internal_gemmt_kernelIlLi16ELi32ELi8ELc78ELc78ELc85ELb0ELb0EddPKPKdPKPdEviT_T9_T10_S7_lS9_S7_lS8_T11_S7_li.has_dyn_sized_stack, 0
	.set _ZL29rocblas_internal_gemmt_kernelIlLi16ELi32ELi8ELc78ELc78ELc85ELb0ELb0EddPKPKdPKPdEviT_T9_T10_S7_lS9_S7_lS8_T11_S7_li.has_recursion, 0
	.set _ZL29rocblas_internal_gemmt_kernelIlLi16ELi32ELi8ELc78ELc78ELc85ELb0ELb0EddPKPKdPKPdEviT_T9_T10_S7_lS9_S7_lS8_T11_S7_li.has_indirect_call, 0
	.section	.AMDGPU.csdata,"",@progbits
; Kernel info:
; codeLenInByte = 2120
; TotalNumSgprs: 41
; NumVgprs: 54
; ScratchSize: 0
; MemoryBound: 0
; FloatMode: 240
; IeeeMode: 1
; LDSByteSize: 4096 bytes/workgroup (compile time only)
; SGPRBlocks: 0
; VGPRBlocks: 6
; NumSGPRsForWavesPerEU: 41
; NumVGPRsForWavesPerEU: 54
; Occupancy: 16
; WaveLimiterHint : 1
; COMPUTE_PGM_RSRC2:SCRATCH_EN: 0
; COMPUTE_PGM_RSRC2:USER_SGPR: 2
; COMPUTE_PGM_RSRC2:TRAP_HANDLER: 0
; COMPUTE_PGM_RSRC2:TGID_X_EN: 1
; COMPUTE_PGM_RSRC2:TGID_Y_EN: 1
; COMPUTE_PGM_RSRC2:TGID_Z_EN: 1
; COMPUTE_PGM_RSRC2:TIDIG_COMP_CNT: 1
	.section	.text._ZL29rocblas_internal_gemmt_kernelIlLi16ELi32ELi8ELc78ELc84ELc85ELb0ELb0EddPKPKdPKPdEviT_T9_T10_S7_lS9_S7_lS8_T11_S7_li,"axG",@progbits,_ZL29rocblas_internal_gemmt_kernelIlLi16ELi32ELi8ELc78ELc84ELc85ELb0ELb0EddPKPKdPKPdEviT_T9_T10_S7_lS9_S7_lS8_T11_S7_li,comdat
	.globl	_ZL29rocblas_internal_gemmt_kernelIlLi16ELi32ELi8ELc78ELc84ELc85ELb0ELb0EddPKPKdPKPdEviT_T9_T10_S7_lS9_S7_lS8_T11_S7_li ; -- Begin function _ZL29rocblas_internal_gemmt_kernelIlLi16ELi32ELi8ELc78ELc84ELc85ELb0ELb0EddPKPKdPKPdEviT_T9_T10_S7_lS9_S7_lS8_T11_S7_li
	.p2align	8
	.type	_ZL29rocblas_internal_gemmt_kernelIlLi16ELi32ELi8ELc78ELc84ELc85ELb0ELb0EddPKPKdPKPdEviT_T9_T10_S7_lS9_S7_lS8_T11_S7_li,@function
_ZL29rocblas_internal_gemmt_kernelIlLi16ELi32ELi8ELc78ELc84ELc85ELb0ELb0EddPKPKdPKPdEviT_T9_T10_S7_lS9_S7_lS8_T11_S7_li: ; @_ZL29rocblas_internal_gemmt_kernelIlLi16ELi32ELi8ELc78ELc84ELc85ELb0ELb0EddPKPKdPKPdEviT_T9_T10_S7_lS9_S7_lS8_T11_S7_li
; %bb.0:
	s_clause 0x1
	s_load_b256 s[24:31], s[0:1], 0x48
	s_load_b512 s[8:23], s[0:1], 0x8
	s_wait_kmcnt 0x0
	v_cmp_neq_f64_e64 s2, s[24:25], 1.0
	s_and_b32 vcc_lo, exec_lo, s2
	s_cbranch_vccnz .LBB487_2
; %bb.1:
	v_cmp_neq_f64_e64 s2, s[10:11], 0
	s_cmp_lg_u64 s[8:9], 0
	s_cselect_b32 s3, -1, 0
	s_delay_alu instid0(SALU_CYCLE_1)
	s_and_b32 s2, s3, s2
.LBB487_2:
	s_delay_alu instid0(SALU_CYCLE_1)
	s_and_not1_b32 vcc_lo, exec_lo, s2
	s_cbranch_vccnz .LBB487_35
; %bb.3:
	s_load_b32 s33, s[0:1], 0x68
	s_lshr_b32 s6, ttmp7, 16
	s_wait_kmcnt 0x0
	s_cmp_ge_u32 s6, s33
	s_cbranch_scc1 .LBB487_35
; %bb.4:
	v_bfe_u32 v5, v0, 10, 10
	s_load_b32 s3, s[0:1], 0x0
	s_lshl_b32 s0, ttmp7, 5
	v_and_b32_e32 v26, 7, v0
	s_and_b32 s0, s0, 0x1fffe0
	v_cmp_neq_f64_e64 s37, s[10:11], 0
	v_add_nc_u32_e32 v13, s0, v5
	v_cmp_neq_f64_e64 s34, s[24:25], 0
	v_lshlrev_b32_e32 v3, 3, v26
	s_lshl_b32 s2, ttmp9, 5
	v_cmp_gt_i64_e64 s38, s[8:9], 0
	v_mad_co_u64_u32 v[8:9], null, s28, v13, 0
	v_and_b32_e32 v4, 0x3ff, v0
	v_add_nc_u32_e32 v15, 16, v13
	v_lshl_add_u32 v31, v5, 6, 0x800
	s_mov_b32 s7, 0
	s_delay_alu instid0(VALU_DEP_3) | instskip(NEXT) | instid1(VALU_DEP_3)
	v_lshl_add_u32 v0, v5, 4, v4
	v_mad_co_u64_u32 v[10:11], null, s28, v15, 0
	s_wait_kmcnt 0x0
	v_cmp_gt_i32_e32 vcc_lo, s3, v13
	s_delay_alu instid0(VALU_DEP_3) | instskip(SKIP_2) | instid1(VALU_DEP_3)
	v_and_b32_e32 v1, 31, v0
	v_lshrrev_b32_e32 v2, 3, v0
	v_lshrrev_b32_e32 v27, 5, v0
	v_or_b32_e32 v6, s2, v1
	v_lshlrev_b32_e32 v0, 3, v1
	s_delay_alu instid0(VALU_DEP_4) | instskip(SKIP_1) | instid1(VALU_DEP_4)
	v_lshl_or_b32 v1, v2, 6, v3
	v_dual_mov_b32 v3, 0 :: v_dual_add_nc_u32 v14, s0, v2
	v_ashrrev_i32_e32 v7, 31, v6
	s_delay_alu instid0(VALU_DEP_4) | instskip(NEXT) | instid1(VALU_DEP_4)
	v_lshl_or_b32 v28, v27, 8, v0
	v_add_nc_u32_e32 v29, 0x800, v1
	v_dual_mov_b32 v1, v9 :: v_dual_add_nc_u32 v0, s2, v4
	v_lshlrev_b32_e32 v30, 3, v4
	v_cmp_gt_i32_e64 s0, s3, v6
	v_lshlrev_b64_e32 v[6:7], 3, v[6:7]
	s_delay_alu instid0(VALU_DEP_4)
	v_mad_co_u64_u32 v[1:2], null, s29, v13, v[1:2]
	v_mov_b32_e32 v2, v11
	v_cmp_le_i32_e64 s2, v0, v13
	v_add_nc_u32_e32 v4, 16, v0
	v_cmp_le_i32_e64 s4, v0, v15
	s_and_b32 s37, s37, s38
	v_mad_co_u64_u32 v[11:12], null, s29, v15, v[2:3]
	v_mov_b32_e32 v9, v1
	v_cmp_gt_i32_e64 s1, s3, v14
	s_and_b32 s28, vcc_lo, s2
	v_cmp_le_i32_e64 s2, v4, v13
	v_cmp_gt_i32_e64 s3, s3, v15
	v_cmp_le_i32_e64 s5, v4, v15
	v_lshlrev_b64_e32 v[8:9], 3, v[8:9]
	v_lshlrev_b64_e32 v[10:11], 3, v[10:11]
	v_ashrrev_i32_e32 v1, 31, v0
	v_ashrrev_i32_e32 v5, 31, v4
	v_lshlrev_b32_e32 v32, 3, v14
	s_and_b32 s29, vcc_lo, s2
	s_and_b32 s35, s3, s4
	s_and_b32 s36, s3, s5
	s_lshl_b64 s[2:3], s[22:23], 3
	s_lshl_b64 s[4:5], s[16:17], 3
	;; [unrolled: 1-line block ×3, first 2 shown]
	s_branch .LBB487_6
.LBB487_5:                              ;   in Loop: Header=BB487_6 Depth=1
	s_wait_alu 0xfffe
	s_or_b32 exec_lo, exec_lo, s22
	s_add_co_i32 s6, s6, 0x10000
	s_delay_alu instid0(SALU_CYCLE_1)
	s_cmp_lt_u32 s6, s33
	s_cbranch_scc0 .LBB487_35
.LBB487_6:                              ; =>This Loop Header: Depth=1
                                        ;     Child Loop BB487_9 Depth 2
	s_lshl_b64 s[22:23], s[6:7], 3
	v_mov_b32_e32 v20, 0
	s_wait_alu 0xfffe
	s_add_nc_u64 s[30:31], s[26:27], s[22:23]
	v_mov_b32_e32 v14, 0
	global_load_b64 v[16:17], v3, s[30:31]
	v_dual_mov_b32 v21, 0 :: v_dual_mov_b32 v18, 0
	v_dual_mov_b32 v15, 0 :: v_dual_mov_b32 v12, 0
	v_mov_b32_e32 v19, 0
	v_mov_b32_e32 v13, 0
	s_and_not1_b32 vcc_lo, exec_lo, s37
	s_wait_alu 0xfffe
	s_cbranch_vccnz .LBB487_15
; %bb.7:                                ;   in Loop: Header=BB487_6 Depth=1
	s_add_nc_u64 s[30:31], s[12:13], s[22:23]
	s_add_nc_u64 s[22:23], s[18:19], s[22:23]
	s_clause 0x1
	global_load_b64 v[22:23], v3, s[30:31]
	global_load_b64 v[24:25], v3, s[22:23]
	v_mov_b32_e32 v12, 0
	v_dual_mov_b32 v18, 0 :: v_dual_mov_b32 v13, 0
	v_dual_mov_b32 v14, 0 :: v_dual_mov_b32 v19, 0
	;; [unrolled: 1-line block ×3, first 2 shown]
	v_mov_b32_e32 v21, 0
	s_mov_b64 s[22:23], 0
	s_wait_loadcnt 0x1
	v_add_co_u32 v2, vcc_lo, v22, s4
	s_wait_alu 0xfffd
	v_add_co_ci_u32_e64 v22, null, s5, v23, vcc_lo
	s_wait_loadcnt 0x0
	v_add_co_u32 v23, vcc_lo, v24, s2
	s_wait_alu 0xfffd
	v_add_co_ci_u32_e64 v24, null, s3, v25, vcc_lo
	v_add_co_u32 v33, vcc_lo, v2, v6
	s_wait_alu 0xfffd
	v_add_co_ci_u32_e64 v34, null, v22, v7, vcc_lo
	;; [unrolled: 3-line block ×3, first 2 shown]
	s_branch .LBB487_9
.LBB487_8:                              ;   in Loop: Header=BB487_9 Depth=2
	s_or_b32 exec_lo, exec_lo, s30
	s_wait_loadcnt_dscnt 0x0
	ds_store_b64 v29, v[24:25]
	s_wait_dscnt 0x0
	s_barrier_signal -1
	s_barrier_wait -1
	global_inv scope:SCOPE_SE
	ds_load_b128 v[22:25], v31
	ds_load_2addr_b64 v[37:40], v30 offset1:16
	ds_load_b128 v[41:44], v31 offset:1024
	ds_load_b128 v[45:48], v31 offset:16
	;; [unrolled: 1-line block ×3, first 2 shown]
	s_add_nc_u64 s[22:23], s[22:23], 8
	s_wait_alu 0xfffe
	v_cmp_gt_i64_e64 s30, s[8:9], s[22:23]
	s_and_b32 vcc_lo, exec_lo, s30
	s_wait_dscnt 0x3
	v_fma_f64 v[20:21], v[37:38], v[22:23], v[20:21]
	v_fma_f64 v[18:19], v[39:40], v[22:23], v[18:19]
	s_wait_dscnt 0x2
	v_fma_f64 v[22:23], v[37:38], v[41:42], v[14:15]
	v_fma_f64 v[37:38], v[39:40], v[41:42], v[12:13]
	ds_load_2addr_b64 v[12:15], v30 offset0:32 offset1:48
	s_wait_dscnt 0x0
	v_fma_f64 v[20:21], v[12:13], v[24:25], v[20:21]
	v_fma_f64 v[18:19], v[14:15], v[24:25], v[18:19]
	v_fma_f64 v[22:23], v[12:13], v[43:44], v[22:23]
	v_fma_f64 v[24:25], v[14:15], v[43:44], v[37:38]
	ds_load_2addr_b64 v[12:15], v30 offset0:64 offset1:80
	s_wait_dscnt 0x0
	v_fma_f64 v[20:21], v[12:13], v[45:46], v[20:21]
	v_fma_f64 v[18:19], v[14:15], v[45:46], v[18:19]
	;; [unrolled: 6-line block ×3, first 2 shown]
	v_fma_f64 v[49:50], v[12:13], v[51:52], v[22:23]
	v_fma_f64 v[51:52], v[14:15], v[51:52], v[24:25]
	ds_load_b128 v[12:15], v31 offset:32
	ds_load_2addr_b64 v[18:21], v30 offset0:128 offset1:144
	ds_load_b128 v[22:25], v31 offset:1056
	ds_load_b128 v[37:40], v31 offset:48
	;; [unrolled: 1-line block ×3, first 2 shown]
	s_wait_dscnt 0x3
	v_fma_f64 v[45:46], v[18:19], v[12:13], v[45:46]
	v_fma_f64 v[12:13], v[20:21], v[12:13], v[47:48]
	s_wait_dscnt 0x2
	v_fma_f64 v[47:48], v[18:19], v[22:23], v[49:50]
	v_fma_f64 v[22:23], v[20:21], v[22:23], v[51:52]
	ds_load_2addr_b64 v[18:21], v30 offset0:160 offset1:176
	s_wait_dscnt 0x0
	v_fma_f64 v[45:46], v[18:19], v[14:15], v[45:46]
	v_fma_f64 v[49:50], v[20:21], v[14:15], v[12:13]
	;; [unrolled: 1-line block ×4, first 2 shown]
	ds_load_2addr_b64 v[12:15], v30 offset0:192 offset1:208
	ds_load_2addr_b64 v[22:25], v30 offset0:224 offset1:240
	s_wait_loadcnt_dscnt 0x0
	s_barrier_signal -1
	s_barrier_wait -1
	global_inv scope:SCOPE_SE
	v_fma_f64 v[45:46], v[12:13], v[37:38], v[45:46]
	v_fma_f64 v[37:38], v[14:15], v[37:38], v[49:50]
	;; [unrolled: 1-line block ×4, first 2 shown]
	s_delay_alu instid0(VALU_DEP_4) | instskip(NEXT) | instid1(VALU_DEP_4)
	v_fma_f64 v[20:21], v[22:23], v[39:40], v[45:46]
	v_fma_f64 v[18:19], v[24:25], v[39:40], v[37:38]
	s_delay_alu instid0(VALU_DEP_4) | instskip(NEXT) | instid1(VALU_DEP_4)
	v_fma_f64 v[14:15], v[22:23], v[43:44], v[12:13]
	v_fma_f64 v[12:13], v[24:25], v[43:44], v[41:42]
	s_wait_alu 0xfffe
	s_cbranch_vccz .LBB487_15
.LBB487_9:                              ;   Parent Loop BB487_6 Depth=1
                                        ; =>  This Inner Loop Header: Depth=2
	v_mov_b32_e32 v22, 0
	v_mov_b32_e32 v23, 0
	s_and_saveexec_b32 s30, s0
	s_cbranch_execz .LBB487_13
; %bb.10:                               ;   in Loop: Header=BB487_9 Depth=2
	v_mov_b32_e32 v22, 0
	s_wait_alu 0xfffe
	v_dual_mov_b32 v23, 0 :: v_dual_add_nc_u32 v2, s22, v27
	s_mov_b32 s31, exec_lo
	s_delay_alu instid0(VALU_DEP_1)
	v_cmpx_gt_u64_e64 s[8:9], v[2:3]
	s_cbranch_execz .LBB487_12
; %bb.11:                               ;   in Loop: Header=BB487_9 Depth=2
	v_mad_co_u64_u32 v[22:23], null, s14, v2, 0
	s_delay_alu instid0(VALU_DEP_1) | instskip(NEXT) | instid1(VALU_DEP_1)
	v_mad_co_u64_u32 v[23:24], null, s15, v2, v[23:24]
	v_lshlrev_b64_e32 v[22:23], 3, v[22:23]
	s_delay_alu instid0(VALU_DEP_1) | instskip(SKIP_1) | instid1(VALU_DEP_2)
	v_add_co_u32 v22, vcc_lo, v33, v22
	s_wait_alu 0xfffd
	v_add_co_ci_u32_e64 v23, null, v34, v23, vcc_lo
	flat_load_b64 v[22:23], v[22:23]
.LBB487_12:                             ;   in Loop: Header=BB487_9 Depth=2
	s_or_b32 exec_lo, exec_lo, s31
.LBB487_13:                             ;   in Loop: Header=BB487_9 Depth=2
	s_delay_alu instid0(SALU_CYCLE_1)
	s_or_b32 exec_lo, exec_lo, s30
	s_wait_alu 0xfffe
	v_add_nc_u32_e32 v2, s22, v26
	v_mov_b32_e32 v24, 0
	v_mov_b32_e32 v25, 0
	s_wait_loadcnt_dscnt 0x0
	ds_store_b64 v28, v[22:23]
	v_cmp_gt_u64_e32 vcc_lo, s[8:9], v[2:3]
	s_and_b32 s31, vcc_lo, s1
	s_delay_alu instid0(SALU_CYCLE_1)
	s_and_saveexec_b32 s30, s31
	s_cbranch_execz .LBB487_8
; %bb.14:                               ;   in Loop: Header=BB487_9 Depth=2
	v_mad_co_u64_u32 v[22:23], null, s20, v2, 0
	s_delay_alu instid0(VALU_DEP_1) | instskip(NEXT) | instid1(VALU_DEP_1)
	v_mad_co_u64_u32 v[23:24], null, s21, v2, v[23:24]
	v_lshlrev_b64_e32 v[22:23], 3, v[22:23]
	s_delay_alu instid0(VALU_DEP_1) | instskip(SKIP_1) | instid1(VALU_DEP_2)
	v_add_co_u32 v22, vcc_lo, v35, v22
	s_wait_alu 0xfffd
	v_add_co_ci_u32_e64 v23, null, v36, v23, vcc_lo
	flat_load_b64 v[24:25], v[22:23]
	s_branch .LBB487_8
.LBB487_15:                             ;   in Loop: Header=BB487_6 Depth=1
	s_wait_loadcnt 0x0
	v_add_co_u32 v2, vcc_lo, v16, s16
	s_wait_alu 0xfffd
	v_add_co_ci_u32_e64 v22, null, s17, v17, vcc_lo
	s_delay_alu instid0(VALU_DEP_2) | instskip(SKIP_1) | instid1(VALU_DEP_2)
	v_add_co_u32 v23, vcc_lo, v2, v8
	s_wait_alu 0xfffd
	v_add_co_ci_u32_e64 v24, null, v22, v9, vcc_lo
	s_wait_alu 0xfffe
	s_and_saveexec_b32 s22, s28
	s_cbranch_execz .LBB487_19
; %bb.16:                               ;   in Loop: Header=BB487_6 Depth=1
	v_mul_f64_e32 v[16:17], s[10:11], v[20:21]
	s_and_b32 vcc_lo, exec_lo, s34
	s_wait_alu 0xfffe
	s_cbranch_vccz .LBB487_30
; %bb.17:                               ;   in Loop: Header=BB487_6 Depth=1
	v_lshlrev_b64_e32 v[20:21], 3, v[0:1]
	s_delay_alu instid0(VALU_DEP_1) | instskip(SKIP_1) | instid1(VALU_DEP_2)
	v_add_co_u32 v20, vcc_lo, v23, v20
	s_wait_alu 0xfffd
	v_add_co_ci_u32_e64 v21, null, v24, v21, vcc_lo
	flat_load_b64 v[33:34], v[20:21]
	s_wait_loadcnt_dscnt 0x0
	v_fma_f64 v[33:34], s[24:25], v[33:34], v[16:17]
	flat_store_b64 v[20:21], v[33:34]
	s_cbranch_execnz .LBB487_19
.LBB487_18:                             ;   in Loop: Header=BB487_6 Depth=1
	v_lshlrev_b64_e32 v[20:21], 3, v[0:1]
	s_delay_alu instid0(VALU_DEP_1) | instskip(SKIP_1) | instid1(VALU_DEP_2)
	v_add_co_u32 v20, vcc_lo, v23, v20
	s_wait_alu 0xfffd
	v_add_co_ci_u32_e64 v21, null, v24, v21, vcc_lo
	flat_store_b64 v[20:21], v[16:17]
.LBB487_19:                             ;   in Loop: Header=BB487_6 Depth=1
	s_wait_alu 0xfffe
	s_or_b32 exec_lo, exec_lo, s22
	s_and_saveexec_b32 s22, s29
	s_cbranch_execz .LBB487_23
; %bb.20:                               ;   in Loop: Header=BB487_6 Depth=1
	v_mul_f64_e32 v[16:17], s[10:11], v[18:19]
	s_and_not1_b32 vcc_lo, exec_lo, s34
	s_wait_alu 0xfffe
	s_cbranch_vccnz .LBB487_31
; %bb.21:                               ;   in Loop: Header=BB487_6 Depth=1
	v_lshlrev_b64_e32 v[18:19], 3, v[4:5]
	s_delay_alu instid0(VALU_DEP_1) | instskip(SKIP_1) | instid1(VALU_DEP_2)
	v_add_co_u32 v18, vcc_lo, v23, v18
	s_wait_alu 0xfffd
	v_add_co_ci_u32_e64 v19, null, v24, v19, vcc_lo
	flat_load_b64 v[20:21], v[18:19]
	s_wait_loadcnt_dscnt 0x0
	v_fma_f64 v[20:21], s[24:25], v[20:21], v[16:17]
	flat_store_b64 v[18:19], v[20:21]
	s_cbranch_execnz .LBB487_23
.LBB487_22:                             ;   in Loop: Header=BB487_6 Depth=1
	v_lshlrev_b64_e32 v[18:19], 3, v[4:5]
	s_delay_alu instid0(VALU_DEP_1) | instskip(SKIP_1) | instid1(VALU_DEP_2)
	v_add_co_u32 v18, vcc_lo, v23, v18
	s_wait_alu 0xfffd
	v_add_co_ci_u32_e64 v19, null, v24, v19, vcc_lo
	flat_store_b64 v[18:19], v[16:17]
.LBB487_23:                             ;   in Loop: Header=BB487_6 Depth=1
	s_wait_alu 0xfffe
	s_or_b32 exec_lo, exec_lo, s22
	v_add_co_u32 v2, vcc_lo, v2, v10
	s_wait_alu 0xfffd
	v_add_co_ci_u32_e64 v18, null, v22, v11, vcc_lo
	s_and_saveexec_b32 s22, s35
	s_cbranch_execz .LBB487_27
; %bb.24:                               ;   in Loop: Header=BB487_6 Depth=1
	v_mul_f64_e32 v[14:15], s[10:11], v[14:15]
	v_lshlrev_b64_e32 v[16:17], 3, v[0:1]
	s_and_not1_b32 vcc_lo, exec_lo, s34
	s_wait_alu 0xfffe
	s_cbranch_vccnz .LBB487_32
; %bb.25:                               ;   in Loop: Header=BB487_6 Depth=1
	s_delay_alu instid0(VALU_DEP_1)
	v_add_co_u32 v19, vcc_lo, v2, v16
	s_wait_alu 0xfffd
	v_add_co_ci_u32_e64 v20, null, v18, v17, vcc_lo
	flat_load_b64 v[21:22], v[19:20]
	s_wait_loadcnt_dscnt 0x0
	v_fma_f64 v[21:22], s[24:25], v[21:22], v[14:15]
	flat_store_b64 v[19:20], v[21:22]
	s_cbranch_execnz .LBB487_27
.LBB487_26:                             ;   in Loop: Header=BB487_6 Depth=1
	s_delay_alu instid0(VALU_DEP_1)
	v_add_co_u32 v16, vcc_lo, v2, v16
	s_wait_alu 0xfffd
	v_add_co_ci_u32_e64 v17, null, v18, v17, vcc_lo
	flat_store_b64 v[16:17], v[14:15]
.LBB487_27:                             ;   in Loop: Header=BB487_6 Depth=1
	s_wait_alu 0xfffe
	s_or_b32 exec_lo, exec_lo, s22
	s_and_saveexec_b32 s22, s36
	s_cbranch_execz .LBB487_5
; %bb.28:                               ;   in Loop: Header=BB487_6 Depth=1
	v_mul_f64_e32 v[12:13], s[10:11], v[12:13]
	v_lshlrev_b64_e32 v[14:15], 3, v[4:5]
	s_and_not1_b32 vcc_lo, exec_lo, s34
	s_wait_alu 0xfffe
	s_cbranch_vccnz .LBB487_33
; %bb.29:                               ;   in Loop: Header=BB487_6 Depth=1
	s_delay_alu instid0(VALU_DEP_1)
	v_add_co_u32 v16, vcc_lo, v2, v14
	s_wait_alu 0xfffd
	v_add_co_ci_u32_e64 v17, null, v18, v15, vcc_lo
	flat_load_b64 v[19:20], v[16:17]
	s_wait_loadcnt_dscnt 0x0
	v_fma_f64 v[19:20], s[24:25], v[19:20], v[12:13]
	flat_store_b64 v[16:17], v[19:20]
	s_cbranch_execnz .LBB487_5
	s_branch .LBB487_34
.LBB487_30:                             ;   in Loop: Header=BB487_6 Depth=1
	s_branch .LBB487_18
.LBB487_31:                             ;   in Loop: Header=BB487_6 Depth=1
	s_branch .LBB487_22
.LBB487_32:                             ;   in Loop: Header=BB487_6 Depth=1
	s_branch .LBB487_26
.LBB487_33:                             ;   in Loop: Header=BB487_6 Depth=1
.LBB487_34:                             ;   in Loop: Header=BB487_6 Depth=1
	s_delay_alu instid0(VALU_DEP_1)
	v_add_co_u32 v14, vcc_lo, v2, v14
	s_wait_alu 0xfffd
	v_add_co_ci_u32_e64 v15, null, v18, v15, vcc_lo
	flat_store_b64 v[14:15], v[12:13]
	s_branch .LBB487_5
.LBB487_35:
	s_endpgm
	.section	.rodata,"a",@progbits
	.p2align	6, 0x0
	.amdhsa_kernel _ZL29rocblas_internal_gemmt_kernelIlLi16ELi32ELi8ELc78ELc84ELc85ELb0ELb0EddPKPKdPKPdEviT_T9_T10_S7_lS9_S7_lS8_T11_S7_li
		.amdhsa_group_segment_fixed_size 4096
		.amdhsa_private_segment_fixed_size 0
		.amdhsa_kernarg_size 108
		.amdhsa_user_sgpr_count 2
		.amdhsa_user_sgpr_dispatch_ptr 0
		.amdhsa_user_sgpr_queue_ptr 0
		.amdhsa_user_sgpr_kernarg_segment_ptr 1
		.amdhsa_user_sgpr_dispatch_id 0
		.amdhsa_user_sgpr_private_segment_size 0
		.amdhsa_wavefront_size32 1
		.amdhsa_uses_dynamic_stack 0
		.amdhsa_enable_private_segment 0
		.amdhsa_system_sgpr_workgroup_id_x 1
		.amdhsa_system_sgpr_workgroup_id_y 1
		.amdhsa_system_sgpr_workgroup_id_z 1
		.amdhsa_system_sgpr_workgroup_info 0
		.amdhsa_system_vgpr_workitem_id 1
		.amdhsa_next_free_vgpr 53
		.amdhsa_next_free_sgpr 39
		.amdhsa_reserve_vcc 1
		.amdhsa_float_round_mode_32 0
		.amdhsa_float_round_mode_16_64 0
		.amdhsa_float_denorm_mode_32 3
		.amdhsa_float_denorm_mode_16_64 3
		.amdhsa_fp16_overflow 0
		.amdhsa_workgroup_processor_mode 1
		.amdhsa_memory_ordered 1
		.amdhsa_forward_progress 1
		.amdhsa_inst_pref_size 17
		.amdhsa_round_robin_scheduling 0
		.amdhsa_exception_fp_ieee_invalid_op 0
		.amdhsa_exception_fp_denorm_src 0
		.amdhsa_exception_fp_ieee_div_zero 0
		.amdhsa_exception_fp_ieee_overflow 0
		.amdhsa_exception_fp_ieee_underflow 0
		.amdhsa_exception_fp_ieee_inexact 0
		.amdhsa_exception_int_div_zero 0
	.end_amdhsa_kernel
	.section	.text._ZL29rocblas_internal_gemmt_kernelIlLi16ELi32ELi8ELc78ELc84ELc85ELb0ELb0EddPKPKdPKPdEviT_T9_T10_S7_lS9_S7_lS8_T11_S7_li,"axG",@progbits,_ZL29rocblas_internal_gemmt_kernelIlLi16ELi32ELi8ELc78ELc84ELc85ELb0ELb0EddPKPKdPKPdEviT_T9_T10_S7_lS9_S7_lS8_T11_S7_li,comdat
.Lfunc_end487:
	.size	_ZL29rocblas_internal_gemmt_kernelIlLi16ELi32ELi8ELc78ELc84ELc85ELb0ELb0EddPKPKdPKPdEviT_T9_T10_S7_lS9_S7_lS8_T11_S7_li, .Lfunc_end487-_ZL29rocblas_internal_gemmt_kernelIlLi16ELi32ELi8ELc78ELc84ELc85ELb0ELb0EddPKPKdPKPdEviT_T9_T10_S7_lS9_S7_lS8_T11_S7_li
                                        ; -- End function
	.set _ZL29rocblas_internal_gemmt_kernelIlLi16ELi32ELi8ELc78ELc84ELc85ELb0ELb0EddPKPKdPKPdEviT_T9_T10_S7_lS9_S7_lS8_T11_S7_li.num_vgpr, 53
	.set _ZL29rocblas_internal_gemmt_kernelIlLi16ELi32ELi8ELc78ELc84ELc85ELb0ELb0EddPKPKdPKPdEviT_T9_T10_S7_lS9_S7_lS8_T11_S7_li.num_agpr, 0
	.set _ZL29rocblas_internal_gemmt_kernelIlLi16ELi32ELi8ELc78ELc84ELc85ELb0ELb0EddPKPKdPKPdEviT_T9_T10_S7_lS9_S7_lS8_T11_S7_li.numbered_sgpr, 39
	.set _ZL29rocblas_internal_gemmt_kernelIlLi16ELi32ELi8ELc78ELc84ELc85ELb0ELb0EddPKPKdPKPdEviT_T9_T10_S7_lS9_S7_lS8_T11_S7_li.num_named_barrier, 0
	.set _ZL29rocblas_internal_gemmt_kernelIlLi16ELi32ELi8ELc78ELc84ELc85ELb0ELb0EddPKPKdPKPdEviT_T9_T10_S7_lS9_S7_lS8_T11_S7_li.private_seg_size, 0
	.set _ZL29rocblas_internal_gemmt_kernelIlLi16ELi32ELi8ELc78ELc84ELc85ELb0ELb0EddPKPKdPKPdEviT_T9_T10_S7_lS9_S7_lS8_T11_S7_li.uses_vcc, 1
	.set _ZL29rocblas_internal_gemmt_kernelIlLi16ELi32ELi8ELc78ELc84ELc85ELb0ELb0EddPKPKdPKPdEviT_T9_T10_S7_lS9_S7_lS8_T11_S7_li.uses_flat_scratch, 0
	.set _ZL29rocblas_internal_gemmt_kernelIlLi16ELi32ELi8ELc78ELc84ELc85ELb0ELb0EddPKPKdPKPdEviT_T9_T10_S7_lS9_S7_lS8_T11_S7_li.has_dyn_sized_stack, 0
	.set _ZL29rocblas_internal_gemmt_kernelIlLi16ELi32ELi8ELc78ELc84ELc85ELb0ELb0EddPKPKdPKPdEviT_T9_T10_S7_lS9_S7_lS8_T11_S7_li.has_recursion, 0
	.set _ZL29rocblas_internal_gemmt_kernelIlLi16ELi32ELi8ELc78ELc84ELc85ELb0ELb0EddPKPKdPKPdEviT_T9_T10_S7_lS9_S7_lS8_T11_S7_li.has_indirect_call, 0
	.section	.AMDGPU.csdata,"",@progbits
; Kernel info:
; codeLenInByte = 2112
; TotalNumSgprs: 41
; NumVgprs: 53
; ScratchSize: 0
; MemoryBound: 0
; FloatMode: 240
; IeeeMode: 1
; LDSByteSize: 4096 bytes/workgroup (compile time only)
; SGPRBlocks: 0
; VGPRBlocks: 6
; NumSGPRsForWavesPerEU: 41
; NumVGPRsForWavesPerEU: 53
; Occupancy: 16
; WaveLimiterHint : 1
; COMPUTE_PGM_RSRC2:SCRATCH_EN: 0
; COMPUTE_PGM_RSRC2:USER_SGPR: 2
; COMPUTE_PGM_RSRC2:TRAP_HANDLER: 0
; COMPUTE_PGM_RSRC2:TGID_X_EN: 1
; COMPUTE_PGM_RSRC2:TGID_Y_EN: 1
; COMPUTE_PGM_RSRC2:TGID_Z_EN: 1
; COMPUTE_PGM_RSRC2:TIDIG_COMP_CNT: 1
	.section	.text._ZL29rocblas_internal_gemmt_kernelIlLi16ELi32ELi8ELc78ELc67ELc85ELb0ELb0EddPKPKdPKPdEviT_T9_T10_S7_lS9_S7_lS8_T11_S7_li,"axG",@progbits,_ZL29rocblas_internal_gemmt_kernelIlLi16ELi32ELi8ELc78ELc67ELc85ELb0ELb0EddPKPKdPKPdEviT_T9_T10_S7_lS9_S7_lS8_T11_S7_li,comdat
	.globl	_ZL29rocblas_internal_gemmt_kernelIlLi16ELi32ELi8ELc78ELc67ELc85ELb0ELb0EddPKPKdPKPdEviT_T9_T10_S7_lS9_S7_lS8_T11_S7_li ; -- Begin function _ZL29rocblas_internal_gemmt_kernelIlLi16ELi32ELi8ELc78ELc67ELc85ELb0ELb0EddPKPKdPKPdEviT_T9_T10_S7_lS9_S7_lS8_T11_S7_li
	.p2align	8
	.type	_ZL29rocblas_internal_gemmt_kernelIlLi16ELi32ELi8ELc78ELc67ELc85ELb0ELb0EddPKPKdPKPdEviT_T9_T10_S7_lS9_S7_lS8_T11_S7_li,@function
_ZL29rocblas_internal_gemmt_kernelIlLi16ELi32ELi8ELc78ELc67ELc85ELb0ELb0EddPKPKdPKPdEviT_T9_T10_S7_lS9_S7_lS8_T11_S7_li: ; @_ZL29rocblas_internal_gemmt_kernelIlLi16ELi32ELi8ELc78ELc67ELc85ELb0ELb0EddPKPKdPKPdEviT_T9_T10_S7_lS9_S7_lS8_T11_S7_li
; %bb.0:
	s_clause 0x1
	s_load_b256 s[24:31], s[0:1], 0x48
	s_load_b512 s[8:23], s[0:1], 0x8
	s_wait_kmcnt 0x0
	v_cmp_neq_f64_e64 s2, s[24:25], 1.0
	s_and_b32 vcc_lo, exec_lo, s2
	s_cbranch_vccnz .LBB488_2
; %bb.1:
	v_cmp_neq_f64_e64 s2, s[10:11], 0
	s_cmp_lg_u64 s[8:9], 0
	s_cselect_b32 s3, -1, 0
	s_delay_alu instid0(SALU_CYCLE_1)
	s_and_b32 s2, s3, s2
.LBB488_2:
	s_delay_alu instid0(SALU_CYCLE_1)
	s_and_not1_b32 vcc_lo, exec_lo, s2
	s_cbranch_vccnz .LBB488_35
; %bb.3:
	s_load_b32 s33, s[0:1], 0x68
	s_lshr_b32 s6, ttmp7, 16
	s_wait_kmcnt 0x0
	s_cmp_ge_u32 s6, s33
	s_cbranch_scc1 .LBB488_35
; %bb.4:
	v_bfe_u32 v5, v0, 10, 10
	s_load_b32 s3, s[0:1], 0x0
	s_lshl_b32 s0, ttmp7, 5
	v_and_b32_e32 v26, 7, v0
	s_and_b32 s0, s0, 0x1fffe0
	v_cmp_neq_f64_e64 s37, s[10:11], 0
	v_add_nc_u32_e32 v13, s0, v5
	v_cmp_neq_f64_e64 s34, s[24:25], 0
	v_lshlrev_b32_e32 v3, 3, v26
	s_lshl_b32 s2, ttmp9, 5
	v_cmp_gt_i64_e64 s38, s[8:9], 0
	v_mad_co_u64_u32 v[8:9], null, s28, v13, 0
	v_and_b32_e32 v4, 0x3ff, v0
	v_add_nc_u32_e32 v15, 16, v13
	v_lshl_add_u32 v31, v5, 6, 0x800
	s_mov_b32 s7, 0
	s_delay_alu instid0(VALU_DEP_3) | instskip(NEXT) | instid1(VALU_DEP_3)
	v_lshl_add_u32 v0, v5, 4, v4
	v_mad_co_u64_u32 v[10:11], null, s28, v15, 0
	s_wait_kmcnt 0x0
	v_cmp_gt_i32_e32 vcc_lo, s3, v13
	s_delay_alu instid0(VALU_DEP_3) | instskip(SKIP_2) | instid1(VALU_DEP_3)
	v_and_b32_e32 v1, 31, v0
	v_lshrrev_b32_e32 v2, 3, v0
	v_lshrrev_b32_e32 v27, 5, v0
	v_or_b32_e32 v6, s2, v1
	v_lshlrev_b32_e32 v0, 3, v1
	s_delay_alu instid0(VALU_DEP_4) | instskip(SKIP_1) | instid1(VALU_DEP_4)
	v_lshl_or_b32 v1, v2, 6, v3
	v_dual_mov_b32 v3, 0 :: v_dual_add_nc_u32 v14, s0, v2
	v_ashrrev_i32_e32 v7, 31, v6
	s_delay_alu instid0(VALU_DEP_4) | instskip(NEXT) | instid1(VALU_DEP_4)
	v_lshl_or_b32 v28, v27, 8, v0
	v_add_nc_u32_e32 v29, 0x800, v1
	v_dual_mov_b32 v1, v9 :: v_dual_add_nc_u32 v0, s2, v4
	v_lshlrev_b32_e32 v30, 3, v4
	v_cmp_gt_i32_e64 s0, s3, v6
	v_lshlrev_b64_e32 v[6:7], 3, v[6:7]
	s_delay_alu instid0(VALU_DEP_4)
	v_mad_co_u64_u32 v[1:2], null, s29, v13, v[1:2]
	v_mov_b32_e32 v2, v11
	v_cmp_le_i32_e64 s2, v0, v13
	v_add_nc_u32_e32 v4, 16, v0
	v_cmp_le_i32_e64 s4, v0, v15
	s_and_b32 s37, s37, s38
	v_mad_co_u64_u32 v[11:12], null, s29, v15, v[2:3]
	v_mov_b32_e32 v9, v1
	v_cmp_gt_i32_e64 s1, s3, v14
	s_and_b32 s28, vcc_lo, s2
	v_cmp_le_i32_e64 s2, v4, v13
	v_cmp_gt_i32_e64 s3, s3, v15
	v_cmp_le_i32_e64 s5, v4, v15
	v_lshlrev_b64_e32 v[8:9], 3, v[8:9]
	v_lshlrev_b64_e32 v[10:11], 3, v[10:11]
	v_ashrrev_i32_e32 v1, 31, v0
	v_ashrrev_i32_e32 v5, 31, v4
	v_lshlrev_b32_e32 v32, 3, v14
	s_and_b32 s29, vcc_lo, s2
	s_and_b32 s35, s3, s4
	s_and_b32 s36, s3, s5
	s_lshl_b64 s[2:3], s[22:23], 3
	s_lshl_b64 s[4:5], s[16:17], 3
	;; [unrolled: 1-line block ×3, first 2 shown]
	s_branch .LBB488_6
.LBB488_5:                              ;   in Loop: Header=BB488_6 Depth=1
	s_wait_alu 0xfffe
	s_or_b32 exec_lo, exec_lo, s22
	s_add_co_i32 s6, s6, 0x10000
	s_delay_alu instid0(SALU_CYCLE_1)
	s_cmp_lt_u32 s6, s33
	s_cbranch_scc0 .LBB488_35
.LBB488_6:                              ; =>This Loop Header: Depth=1
                                        ;     Child Loop BB488_9 Depth 2
	s_lshl_b64 s[22:23], s[6:7], 3
	v_mov_b32_e32 v20, 0
	s_wait_alu 0xfffe
	s_add_nc_u64 s[30:31], s[26:27], s[22:23]
	v_mov_b32_e32 v14, 0
	global_load_b64 v[16:17], v3, s[30:31]
	v_dual_mov_b32 v21, 0 :: v_dual_mov_b32 v18, 0
	v_dual_mov_b32 v15, 0 :: v_dual_mov_b32 v12, 0
	v_mov_b32_e32 v19, 0
	v_mov_b32_e32 v13, 0
	s_and_not1_b32 vcc_lo, exec_lo, s37
	s_wait_alu 0xfffe
	s_cbranch_vccnz .LBB488_15
; %bb.7:                                ;   in Loop: Header=BB488_6 Depth=1
	s_add_nc_u64 s[30:31], s[12:13], s[22:23]
	s_add_nc_u64 s[22:23], s[18:19], s[22:23]
	s_clause 0x1
	global_load_b64 v[22:23], v3, s[30:31]
	global_load_b64 v[24:25], v3, s[22:23]
	v_mov_b32_e32 v12, 0
	v_dual_mov_b32 v18, 0 :: v_dual_mov_b32 v13, 0
	v_dual_mov_b32 v14, 0 :: v_dual_mov_b32 v19, 0
	v_dual_mov_b32 v20, 0 :: v_dual_mov_b32 v15, 0
	v_mov_b32_e32 v21, 0
	s_mov_b64 s[22:23], 0
	s_wait_loadcnt 0x1
	v_add_co_u32 v2, vcc_lo, v22, s4
	s_wait_alu 0xfffd
	v_add_co_ci_u32_e64 v22, null, s5, v23, vcc_lo
	s_wait_loadcnt 0x0
	v_add_co_u32 v23, vcc_lo, v24, s2
	s_wait_alu 0xfffd
	v_add_co_ci_u32_e64 v24, null, s3, v25, vcc_lo
	v_add_co_u32 v33, vcc_lo, v2, v6
	s_wait_alu 0xfffd
	v_add_co_ci_u32_e64 v34, null, v22, v7, vcc_lo
	;; [unrolled: 3-line block ×3, first 2 shown]
	s_branch .LBB488_9
.LBB488_8:                              ;   in Loop: Header=BB488_9 Depth=2
	s_or_b32 exec_lo, exec_lo, s30
	s_wait_loadcnt_dscnt 0x0
	ds_store_b64 v29, v[24:25]
	s_wait_dscnt 0x0
	s_barrier_signal -1
	s_barrier_wait -1
	global_inv scope:SCOPE_SE
	ds_load_b128 v[22:25], v31
	ds_load_2addr_b64 v[37:40], v30 offset1:16
	ds_load_b128 v[41:44], v31 offset:1024
	ds_load_b128 v[45:48], v31 offset:16
	;; [unrolled: 1-line block ×3, first 2 shown]
	s_add_nc_u64 s[22:23], s[22:23], 8
	s_wait_alu 0xfffe
	v_cmp_gt_i64_e64 s30, s[8:9], s[22:23]
	s_and_b32 vcc_lo, exec_lo, s30
	s_wait_dscnt 0x3
	v_fma_f64 v[20:21], v[37:38], v[22:23], v[20:21]
	v_fma_f64 v[18:19], v[39:40], v[22:23], v[18:19]
	s_wait_dscnt 0x2
	v_fma_f64 v[22:23], v[37:38], v[41:42], v[14:15]
	v_fma_f64 v[37:38], v[39:40], v[41:42], v[12:13]
	ds_load_2addr_b64 v[12:15], v30 offset0:32 offset1:48
	s_wait_dscnt 0x0
	v_fma_f64 v[20:21], v[12:13], v[24:25], v[20:21]
	v_fma_f64 v[18:19], v[14:15], v[24:25], v[18:19]
	v_fma_f64 v[22:23], v[12:13], v[43:44], v[22:23]
	v_fma_f64 v[24:25], v[14:15], v[43:44], v[37:38]
	ds_load_2addr_b64 v[12:15], v30 offset0:64 offset1:80
	s_wait_dscnt 0x0
	v_fma_f64 v[20:21], v[12:13], v[45:46], v[20:21]
	v_fma_f64 v[18:19], v[14:15], v[45:46], v[18:19]
	v_fma_f64 v[22:23], v[12:13], v[49:50], v[22:23]
	v_fma_f64 v[24:25], v[14:15], v[49:50], v[24:25]
	ds_load_2addr_b64 v[12:15], v30 offset0:96 offset1:112
	s_wait_dscnt 0x0
	v_fma_f64 v[45:46], v[12:13], v[47:48], v[20:21]
	v_fma_f64 v[47:48], v[14:15], v[47:48], v[18:19]
	v_fma_f64 v[49:50], v[12:13], v[51:52], v[22:23]
	v_fma_f64 v[51:52], v[14:15], v[51:52], v[24:25]
	ds_load_b128 v[12:15], v31 offset:32
	ds_load_2addr_b64 v[18:21], v30 offset0:128 offset1:144
	ds_load_b128 v[22:25], v31 offset:1056
	ds_load_b128 v[37:40], v31 offset:48
	;; [unrolled: 1-line block ×3, first 2 shown]
	s_wait_dscnt 0x3
	v_fma_f64 v[45:46], v[18:19], v[12:13], v[45:46]
	v_fma_f64 v[12:13], v[20:21], v[12:13], v[47:48]
	s_wait_dscnt 0x2
	v_fma_f64 v[47:48], v[18:19], v[22:23], v[49:50]
	v_fma_f64 v[22:23], v[20:21], v[22:23], v[51:52]
	ds_load_2addr_b64 v[18:21], v30 offset0:160 offset1:176
	s_wait_dscnt 0x0
	v_fma_f64 v[45:46], v[18:19], v[14:15], v[45:46]
	v_fma_f64 v[49:50], v[20:21], v[14:15], v[12:13]
	v_fma_f64 v[18:19], v[18:19], v[24:25], v[47:48]
	v_fma_f64 v[20:21], v[20:21], v[24:25], v[22:23]
	ds_load_2addr_b64 v[12:15], v30 offset0:192 offset1:208
	ds_load_2addr_b64 v[22:25], v30 offset0:224 offset1:240
	s_wait_loadcnt_dscnt 0x0
	s_barrier_signal -1
	s_barrier_wait -1
	global_inv scope:SCOPE_SE
	v_fma_f64 v[45:46], v[12:13], v[37:38], v[45:46]
	v_fma_f64 v[37:38], v[14:15], v[37:38], v[49:50]
	v_fma_f64 v[12:13], v[12:13], v[41:42], v[18:19]
	v_fma_f64 v[41:42], v[14:15], v[41:42], v[20:21]
	s_delay_alu instid0(VALU_DEP_4) | instskip(NEXT) | instid1(VALU_DEP_4)
	v_fma_f64 v[20:21], v[22:23], v[39:40], v[45:46]
	v_fma_f64 v[18:19], v[24:25], v[39:40], v[37:38]
	s_delay_alu instid0(VALU_DEP_4) | instskip(NEXT) | instid1(VALU_DEP_4)
	v_fma_f64 v[14:15], v[22:23], v[43:44], v[12:13]
	v_fma_f64 v[12:13], v[24:25], v[43:44], v[41:42]
	s_wait_alu 0xfffe
	s_cbranch_vccz .LBB488_15
.LBB488_9:                              ;   Parent Loop BB488_6 Depth=1
                                        ; =>  This Inner Loop Header: Depth=2
	v_mov_b32_e32 v22, 0
	v_mov_b32_e32 v23, 0
	s_and_saveexec_b32 s30, s0
	s_cbranch_execz .LBB488_13
; %bb.10:                               ;   in Loop: Header=BB488_9 Depth=2
	v_mov_b32_e32 v22, 0
	s_wait_alu 0xfffe
	v_dual_mov_b32 v23, 0 :: v_dual_add_nc_u32 v2, s22, v27
	s_mov_b32 s31, exec_lo
	s_delay_alu instid0(VALU_DEP_1)
	v_cmpx_gt_u64_e64 s[8:9], v[2:3]
	s_cbranch_execz .LBB488_12
; %bb.11:                               ;   in Loop: Header=BB488_9 Depth=2
	v_mad_co_u64_u32 v[22:23], null, s14, v2, 0
	s_delay_alu instid0(VALU_DEP_1) | instskip(NEXT) | instid1(VALU_DEP_1)
	v_mad_co_u64_u32 v[23:24], null, s15, v2, v[23:24]
	v_lshlrev_b64_e32 v[22:23], 3, v[22:23]
	s_delay_alu instid0(VALU_DEP_1) | instskip(SKIP_1) | instid1(VALU_DEP_2)
	v_add_co_u32 v22, vcc_lo, v33, v22
	s_wait_alu 0xfffd
	v_add_co_ci_u32_e64 v23, null, v34, v23, vcc_lo
	flat_load_b64 v[22:23], v[22:23]
.LBB488_12:                             ;   in Loop: Header=BB488_9 Depth=2
	s_or_b32 exec_lo, exec_lo, s31
.LBB488_13:                             ;   in Loop: Header=BB488_9 Depth=2
	s_delay_alu instid0(SALU_CYCLE_1)
	s_or_b32 exec_lo, exec_lo, s30
	s_wait_alu 0xfffe
	v_add_nc_u32_e32 v2, s22, v26
	v_mov_b32_e32 v24, 0
	v_mov_b32_e32 v25, 0
	s_wait_loadcnt_dscnt 0x0
	ds_store_b64 v28, v[22:23]
	v_cmp_gt_u64_e32 vcc_lo, s[8:9], v[2:3]
	s_and_b32 s31, vcc_lo, s1
	s_delay_alu instid0(SALU_CYCLE_1)
	s_and_saveexec_b32 s30, s31
	s_cbranch_execz .LBB488_8
; %bb.14:                               ;   in Loop: Header=BB488_9 Depth=2
	v_mad_co_u64_u32 v[22:23], null, s20, v2, 0
	s_delay_alu instid0(VALU_DEP_1) | instskip(NEXT) | instid1(VALU_DEP_1)
	v_mad_co_u64_u32 v[23:24], null, s21, v2, v[23:24]
	v_lshlrev_b64_e32 v[22:23], 3, v[22:23]
	s_delay_alu instid0(VALU_DEP_1) | instskip(SKIP_1) | instid1(VALU_DEP_2)
	v_add_co_u32 v22, vcc_lo, v35, v22
	s_wait_alu 0xfffd
	v_add_co_ci_u32_e64 v23, null, v36, v23, vcc_lo
	flat_load_b64 v[24:25], v[22:23]
	s_branch .LBB488_8
.LBB488_15:                             ;   in Loop: Header=BB488_6 Depth=1
	s_wait_loadcnt 0x0
	v_add_co_u32 v2, vcc_lo, v16, s16
	s_wait_alu 0xfffd
	v_add_co_ci_u32_e64 v22, null, s17, v17, vcc_lo
	s_delay_alu instid0(VALU_DEP_2) | instskip(SKIP_1) | instid1(VALU_DEP_2)
	v_add_co_u32 v23, vcc_lo, v2, v8
	s_wait_alu 0xfffd
	v_add_co_ci_u32_e64 v24, null, v22, v9, vcc_lo
	s_wait_alu 0xfffe
	s_and_saveexec_b32 s22, s28
	s_cbranch_execz .LBB488_19
; %bb.16:                               ;   in Loop: Header=BB488_6 Depth=1
	v_mul_f64_e32 v[16:17], s[10:11], v[20:21]
	s_and_b32 vcc_lo, exec_lo, s34
	s_wait_alu 0xfffe
	s_cbranch_vccz .LBB488_30
; %bb.17:                               ;   in Loop: Header=BB488_6 Depth=1
	v_lshlrev_b64_e32 v[20:21], 3, v[0:1]
	s_delay_alu instid0(VALU_DEP_1) | instskip(SKIP_1) | instid1(VALU_DEP_2)
	v_add_co_u32 v20, vcc_lo, v23, v20
	s_wait_alu 0xfffd
	v_add_co_ci_u32_e64 v21, null, v24, v21, vcc_lo
	flat_load_b64 v[33:34], v[20:21]
	s_wait_loadcnt_dscnt 0x0
	v_fma_f64 v[33:34], s[24:25], v[33:34], v[16:17]
	flat_store_b64 v[20:21], v[33:34]
	s_cbranch_execnz .LBB488_19
.LBB488_18:                             ;   in Loop: Header=BB488_6 Depth=1
	v_lshlrev_b64_e32 v[20:21], 3, v[0:1]
	s_delay_alu instid0(VALU_DEP_1) | instskip(SKIP_1) | instid1(VALU_DEP_2)
	v_add_co_u32 v20, vcc_lo, v23, v20
	s_wait_alu 0xfffd
	v_add_co_ci_u32_e64 v21, null, v24, v21, vcc_lo
	flat_store_b64 v[20:21], v[16:17]
.LBB488_19:                             ;   in Loop: Header=BB488_6 Depth=1
	s_wait_alu 0xfffe
	s_or_b32 exec_lo, exec_lo, s22
	s_and_saveexec_b32 s22, s29
	s_cbranch_execz .LBB488_23
; %bb.20:                               ;   in Loop: Header=BB488_6 Depth=1
	v_mul_f64_e32 v[16:17], s[10:11], v[18:19]
	s_and_not1_b32 vcc_lo, exec_lo, s34
	s_wait_alu 0xfffe
	s_cbranch_vccnz .LBB488_31
; %bb.21:                               ;   in Loop: Header=BB488_6 Depth=1
	v_lshlrev_b64_e32 v[18:19], 3, v[4:5]
	s_delay_alu instid0(VALU_DEP_1) | instskip(SKIP_1) | instid1(VALU_DEP_2)
	v_add_co_u32 v18, vcc_lo, v23, v18
	s_wait_alu 0xfffd
	v_add_co_ci_u32_e64 v19, null, v24, v19, vcc_lo
	flat_load_b64 v[20:21], v[18:19]
	s_wait_loadcnt_dscnt 0x0
	v_fma_f64 v[20:21], s[24:25], v[20:21], v[16:17]
	flat_store_b64 v[18:19], v[20:21]
	s_cbranch_execnz .LBB488_23
.LBB488_22:                             ;   in Loop: Header=BB488_6 Depth=1
	v_lshlrev_b64_e32 v[18:19], 3, v[4:5]
	s_delay_alu instid0(VALU_DEP_1) | instskip(SKIP_1) | instid1(VALU_DEP_2)
	v_add_co_u32 v18, vcc_lo, v23, v18
	s_wait_alu 0xfffd
	v_add_co_ci_u32_e64 v19, null, v24, v19, vcc_lo
	flat_store_b64 v[18:19], v[16:17]
.LBB488_23:                             ;   in Loop: Header=BB488_6 Depth=1
	s_wait_alu 0xfffe
	s_or_b32 exec_lo, exec_lo, s22
	v_add_co_u32 v2, vcc_lo, v2, v10
	s_wait_alu 0xfffd
	v_add_co_ci_u32_e64 v18, null, v22, v11, vcc_lo
	s_and_saveexec_b32 s22, s35
	s_cbranch_execz .LBB488_27
; %bb.24:                               ;   in Loop: Header=BB488_6 Depth=1
	v_mul_f64_e32 v[14:15], s[10:11], v[14:15]
	v_lshlrev_b64_e32 v[16:17], 3, v[0:1]
	s_and_not1_b32 vcc_lo, exec_lo, s34
	s_wait_alu 0xfffe
	s_cbranch_vccnz .LBB488_32
; %bb.25:                               ;   in Loop: Header=BB488_6 Depth=1
	s_delay_alu instid0(VALU_DEP_1)
	v_add_co_u32 v19, vcc_lo, v2, v16
	s_wait_alu 0xfffd
	v_add_co_ci_u32_e64 v20, null, v18, v17, vcc_lo
	flat_load_b64 v[21:22], v[19:20]
	s_wait_loadcnt_dscnt 0x0
	v_fma_f64 v[21:22], s[24:25], v[21:22], v[14:15]
	flat_store_b64 v[19:20], v[21:22]
	s_cbranch_execnz .LBB488_27
.LBB488_26:                             ;   in Loop: Header=BB488_6 Depth=1
	s_delay_alu instid0(VALU_DEP_1)
	v_add_co_u32 v16, vcc_lo, v2, v16
	s_wait_alu 0xfffd
	v_add_co_ci_u32_e64 v17, null, v18, v17, vcc_lo
	flat_store_b64 v[16:17], v[14:15]
.LBB488_27:                             ;   in Loop: Header=BB488_6 Depth=1
	s_wait_alu 0xfffe
	s_or_b32 exec_lo, exec_lo, s22
	s_and_saveexec_b32 s22, s36
	s_cbranch_execz .LBB488_5
; %bb.28:                               ;   in Loop: Header=BB488_6 Depth=1
	v_mul_f64_e32 v[12:13], s[10:11], v[12:13]
	v_lshlrev_b64_e32 v[14:15], 3, v[4:5]
	s_and_not1_b32 vcc_lo, exec_lo, s34
	s_wait_alu 0xfffe
	s_cbranch_vccnz .LBB488_33
; %bb.29:                               ;   in Loop: Header=BB488_6 Depth=1
	s_delay_alu instid0(VALU_DEP_1)
	v_add_co_u32 v16, vcc_lo, v2, v14
	s_wait_alu 0xfffd
	v_add_co_ci_u32_e64 v17, null, v18, v15, vcc_lo
	flat_load_b64 v[19:20], v[16:17]
	s_wait_loadcnt_dscnt 0x0
	v_fma_f64 v[19:20], s[24:25], v[19:20], v[12:13]
	flat_store_b64 v[16:17], v[19:20]
	s_cbranch_execnz .LBB488_5
	s_branch .LBB488_34
.LBB488_30:                             ;   in Loop: Header=BB488_6 Depth=1
	s_branch .LBB488_18
.LBB488_31:                             ;   in Loop: Header=BB488_6 Depth=1
	s_branch .LBB488_22
.LBB488_32:                             ;   in Loop: Header=BB488_6 Depth=1
	s_branch .LBB488_26
.LBB488_33:                             ;   in Loop: Header=BB488_6 Depth=1
.LBB488_34:                             ;   in Loop: Header=BB488_6 Depth=1
	s_delay_alu instid0(VALU_DEP_1)
	v_add_co_u32 v14, vcc_lo, v2, v14
	s_wait_alu 0xfffd
	v_add_co_ci_u32_e64 v15, null, v18, v15, vcc_lo
	flat_store_b64 v[14:15], v[12:13]
	s_branch .LBB488_5
.LBB488_35:
	s_endpgm
	.section	.rodata,"a",@progbits
	.p2align	6, 0x0
	.amdhsa_kernel _ZL29rocblas_internal_gemmt_kernelIlLi16ELi32ELi8ELc78ELc67ELc85ELb0ELb0EddPKPKdPKPdEviT_T9_T10_S7_lS9_S7_lS8_T11_S7_li
		.amdhsa_group_segment_fixed_size 4096
		.amdhsa_private_segment_fixed_size 0
		.amdhsa_kernarg_size 108
		.amdhsa_user_sgpr_count 2
		.amdhsa_user_sgpr_dispatch_ptr 0
		.amdhsa_user_sgpr_queue_ptr 0
		.amdhsa_user_sgpr_kernarg_segment_ptr 1
		.amdhsa_user_sgpr_dispatch_id 0
		.amdhsa_user_sgpr_private_segment_size 0
		.amdhsa_wavefront_size32 1
		.amdhsa_uses_dynamic_stack 0
		.amdhsa_enable_private_segment 0
		.amdhsa_system_sgpr_workgroup_id_x 1
		.amdhsa_system_sgpr_workgroup_id_y 1
		.amdhsa_system_sgpr_workgroup_id_z 1
		.amdhsa_system_sgpr_workgroup_info 0
		.amdhsa_system_vgpr_workitem_id 1
		.amdhsa_next_free_vgpr 53
		.amdhsa_next_free_sgpr 39
		.amdhsa_reserve_vcc 1
		.amdhsa_float_round_mode_32 0
		.amdhsa_float_round_mode_16_64 0
		.amdhsa_float_denorm_mode_32 3
		.amdhsa_float_denorm_mode_16_64 3
		.amdhsa_fp16_overflow 0
		.amdhsa_workgroup_processor_mode 1
		.amdhsa_memory_ordered 1
		.amdhsa_forward_progress 1
		.amdhsa_inst_pref_size 17
		.amdhsa_round_robin_scheduling 0
		.amdhsa_exception_fp_ieee_invalid_op 0
		.amdhsa_exception_fp_denorm_src 0
		.amdhsa_exception_fp_ieee_div_zero 0
		.amdhsa_exception_fp_ieee_overflow 0
		.amdhsa_exception_fp_ieee_underflow 0
		.amdhsa_exception_fp_ieee_inexact 0
		.amdhsa_exception_int_div_zero 0
	.end_amdhsa_kernel
	.section	.text._ZL29rocblas_internal_gemmt_kernelIlLi16ELi32ELi8ELc78ELc67ELc85ELb0ELb0EddPKPKdPKPdEviT_T9_T10_S7_lS9_S7_lS8_T11_S7_li,"axG",@progbits,_ZL29rocblas_internal_gemmt_kernelIlLi16ELi32ELi8ELc78ELc67ELc85ELb0ELb0EddPKPKdPKPdEviT_T9_T10_S7_lS9_S7_lS8_T11_S7_li,comdat
.Lfunc_end488:
	.size	_ZL29rocblas_internal_gemmt_kernelIlLi16ELi32ELi8ELc78ELc67ELc85ELb0ELb0EddPKPKdPKPdEviT_T9_T10_S7_lS9_S7_lS8_T11_S7_li, .Lfunc_end488-_ZL29rocblas_internal_gemmt_kernelIlLi16ELi32ELi8ELc78ELc67ELc85ELb0ELb0EddPKPKdPKPdEviT_T9_T10_S7_lS9_S7_lS8_T11_S7_li
                                        ; -- End function
	.set _ZL29rocblas_internal_gemmt_kernelIlLi16ELi32ELi8ELc78ELc67ELc85ELb0ELb0EddPKPKdPKPdEviT_T9_T10_S7_lS9_S7_lS8_T11_S7_li.num_vgpr, 53
	.set _ZL29rocblas_internal_gemmt_kernelIlLi16ELi32ELi8ELc78ELc67ELc85ELb0ELb0EddPKPKdPKPdEviT_T9_T10_S7_lS9_S7_lS8_T11_S7_li.num_agpr, 0
	.set _ZL29rocblas_internal_gemmt_kernelIlLi16ELi32ELi8ELc78ELc67ELc85ELb0ELb0EddPKPKdPKPdEviT_T9_T10_S7_lS9_S7_lS8_T11_S7_li.numbered_sgpr, 39
	.set _ZL29rocblas_internal_gemmt_kernelIlLi16ELi32ELi8ELc78ELc67ELc85ELb0ELb0EddPKPKdPKPdEviT_T9_T10_S7_lS9_S7_lS8_T11_S7_li.num_named_barrier, 0
	.set _ZL29rocblas_internal_gemmt_kernelIlLi16ELi32ELi8ELc78ELc67ELc85ELb0ELb0EddPKPKdPKPdEviT_T9_T10_S7_lS9_S7_lS8_T11_S7_li.private_seg_size, 0
	.set _ZL29rocblas_internal_gemmt_kernelIlLi16ELi32ELi8ELc78ELc67ELc85ELb0ELb0EddPKPKdPKPdEviT_T9_T10_S7_lS9_S7_lS8_T11_S7_li.uses_vcc, 1
	.set _ZL29rocblas_internal_gemmt_kernelIlLi16ELi32ELi8ELc78ELc67ELc85ELb0ELb0EddPKPKdPKPdEviT_T9_T10_S7_lS9_S7_lS8_T11_S7_li.uses_flat_scratch, 0
	.set _ZL29rocblas_internal_gemmt_kernelIlLi16ELi32ELi8ELc78ELc67ELc85ELb0ELb0EddPKPKdPKPdEviT_T9_T10_S7_lS9_S7_lS8_T11_S7_li.has_dyn_sized_stack, 0
	.set _ZL29rocblas_internal_gemmt_kernelIlLi16ELi32ELi8ELc78ELc67ELc85ELb0ELb0EddPKPKdPKPdEviT_T9_T10_S7_lS9_S7_lS8_T11_S7_li.has_recursion, 0
	.set _ZL29rocblas_internal_gemmt_kernelIlLi16ELi32ELi8ELc78ELc67ELc85ELb0ELb0EddPKPKdPKPdEviT_T9_T10_S7_lS9_S7_lS8_T11_S7_li.has_indirect_call, 0
	.section	.AMDGPU.csdata,"",@progbits
; Kernel info:
; codeLenInByte = 2112
; TotalNumSgprs: 41
; NumVgprs: 53
; ScratchSize: 0
; MemoryBound: 0
; FloatMode: 240
; IeeeMode: 1
; LDSByteSize: 4096 bytes/workgroup (compile time only)
; SGPRBlocks: 0
; VGPRBlocks: 6
; NumSGPRsForWavesPerEU: 41
; NumVGPRsForWavesPerEU: 53
; Occupancy: 16
; WaveLimiterHint : 1
; COMPUTE_PGM_RSRC2:SCRATCH_EN: 0
; COMPUTE_PGM_RSRC2:USER_SGPR: 2
; COMPUTE_PGM_RSRC2:TRAP_HANDLER: 0
; COMPUTE_PGM_RSRC2:TGID_X_EN: 1
; COMPUTE_PGM_RSRC2:TGID_Y_EN: 1
; COMPUTE_PGM_RSRC2:TGID_Z_EN: 1
; COMPUTE_PGM_RSRC2:TIDIG_COMP_CNT: 1
	.section	.text._ZL29rocblas_internal_gemmt_kernelIlLi16ELi32ELi8ELc84ELc78ELc85ELb0ELb0EddPKPKdPKPdEviT_T9_T10_S7_lS9_S7_lS8_T11_S7_li,"axG",@progbits,_ZL29rocblas_internal_gemmt_kernelIlLi16ELi32ELi8ELc84ELc78ELc85ELb0ELb0EddPKPKdPKPdEviT_T9_T10_S7_lS9_S7_lS8_T11_S7_li,comdat
	.globl	_ZL29rocblas_internal_gemmt_kernelIlLi16ELi32ELi8ELc84ELc78ELc85ELb0ELb0EddPKPKdPKPdEviT_T9_T10_S7_lS9_S7_lS8_T11_S7_li ; -- Begin function _ZL29rocblas_internal_gemmt_kernelIlLi16ELi32ELi8ELc84ELc78ELc85ELb0ELb0EddPKPKdPKPdEviT_T9_T10_S7_lS9_S7_lS8_T11_S7_li
	.p2align	8
	.type	_ZL29rocblas_internal_gemmt_kernelIlLi16ELi32ELi8ELc84ELc78ELc85ELb0ELb0EddPKPKdPKPdEviT_T9_T10_S7_lS9_S7_lS8_T11_S7_li,@function
_ZL29rocblas_internal_gemmt_kernelIlLi16ELi32ELi8ELc84ELc78ELc85ELb0ELb0EddPKPKdPKPdEviT_T9_T10_S7_lS9_S7_lS8_T11_S7_li: ; @_ZL29rocblas_internal_gemmt_kernelIlLi16ELi32ELi8ELc84ELc78ELc85ELb0ELb0EddPKPKdPKPdEviT_T9_T10_S7_lS9_S7_lS8_T11_S7_li
; %bb.0:
	s_clause 0x1
	s_load_b256 s[24:31], s[0:1], 0x48
	s_load_b512 s[8:23], s[0:1], 0x8
	s_wait_kmcnt 0x0
	v_cmp_neq_f64_e64 s2, s[24:25], 1.0
	s_and_b32 vcc_lo, exec_lo, s2
	s_cbranch_vccnz .LBB489_2
; %bb.1:
	v_cmp_neq_f64_e64 s2, s[10:11], 0
	s_cmp_lg_u64 s[8:9], 0
	s_cselect_b32 s3, -1, 0
	s_delay_alu instid0(SALU_CYCLE_1)
	s_and_b32 s2, s3, s2
.LBB489_2:
	s_delay_alu instid0(SALU_CYCLE_1)
	s_and_not1_b32 vcc_lo, exec_lo, s2
	s_cbranch_vccnz .LBB489_35
; %bb.3:
	s_load_b32 s33, s[0:1], 0x68
	s_lshr_b32 s6, ttmp7, 16
	s_wait_kmcnt 0x0
	s_cmp_ge_u32 s6, s33
	s_cbranch_scc1 .LBB489_35
; %bb.4:
	v_bfe_u32 v14, v0, 10, 10
	s_load_b32 s3, s[0:1], 0x0
	s_lshl_b32 s0, ttmp7, 5
	v_and_b32_e32 v5, 0x3ff, v0
	s_and_b32 s0, s0, 0x1fffe0
	v_and_b32_e32 v28, 7, v0
	v_add_nc_u32_e32 v15, s0, v14
	s_lshl_b32 s2, ttmp9, 5
	v_lshl_add_u32 v0, v14, 4, v5
	v_cmp_neq_f64_e64 s35, s[10:11], 0
	s_ashr_i32 s1, s2, 31
	v_add_nc_u32_e32 v16, 16, v15
	s_wait_alu 0xfffe
	s_mul_i32 s1, s14, s1
	v_lshrrev_b32_e32 v1, 3, v0
	v_lshrrev_b32_e32 v29, 5, v0
	v_cmp_gt_i64_e64 s36, s[8:9], 0
	v_mad_co_u64_u32 v[12:13], null, s28, v16, 0
	v_and_b32_e32 v2, 31, v0
	v_add_nc_u32_e32 v4, s0, v1
	v_lshl_add_u32 v33, v14, 6, 0x800
	s_wait_kmcnt 0x0
	v_cmp_gt_i32_e32 vcc_lo, s3, v15
	s_mov_b32 s7, 0
	v_or_b32_e32 v10, s2, v2
	v_mad_co_u64_u32 v[8:9], null, s20, v4, 0
	v_lshlrev_b32_e32 v0, 3, v2
	v_cmp_neq_f64_e64 s20, s[24:25], 0
	s_delay_alu instid0(VALU_DEP_4)
	v_mul_lo_u32 v2, s15, v10
	v_mad_co_u64_u32 v[6:7], null, s14, v10, 0
	v_cmp_gt_i32_e64 s0, s3, v10
	v_mad_co_u64_u32 v[10:11], null, s28, v15, 0
	v_lshlrev_b32_e32 v3, 3, v28
	v_lshl_or_b32 v30, v29, 8, v0
	v_mov_b32_e32 v0, v9
	s_wait_alu 0xfffe
	v_add3_u32 v7, v7, s1, v2
	v_cmp_gt_i32_e64 s1, s3, v4
	v_lshl_or_b32 v1, v1, 6, v3
	v_lshlrev_b32_e32 v32, 3, v5
	s_lshl_b64 s[14:15], s[30:31], 3
	v_lshlrev_b64_e32 v[6:7], 3, v[6:7]
	s_delay_alu instid0(VALU_DEP_3) | instskip(SKIP_4) | instid1(VALU_DEP_2)
	v_add_nc_u32_e32 v31, 0x800, v1
	v_mad_co_u64_u32 v[1:2], null, s21, v4, v[0:1]
	v_add_nc_u32_e32 v0, s2, v5
	v_mov_b32_e32 v2, v11
	s_and_b32 s35, s35, s36
	v_cmp_le_i32_e64 s2, v0, v15
	s_delay_alu instid0(VALU_DEP_2) | instskip(SKIP_2) | instid1(VALU_DEP_4)
	v_mad_co_u64_u32 v[3:4], null, s29, v15, v[2:3]
	v_mov_b32_e32 v9, v1
	v_dual_mov_b32 v1, v13 :: v_dual_add_nc_u32 v2, 16, v0
	s_and_b32 s21, vcc_lo, s2
	s_delay_alu instid0(VALU_DEP_2) | instskip(NEXT) | instid1(VALU_DEP_4)
	v_lshlrev_b64_e32 v[8:9], 3, v[8:9]
	v_mov_b32_e32 v11, v3
	s_delay_alu instid0(VALU_DEP_3)
	v_mad_co_u64_u32 v[4:5], null, s29, v16, v[1:2]
	v_cmp_le_i32_e64 s2, v2, v15
	v_mov_b32_e32 v5, 0
	v_cmp_gt_i32_e64 s3, s3, v16
	v_cmp_le_i32_e64 s4, v0, v16
	v_cmp_le_i32_e64 s5, v2, v16
	v_lshlrev_b64_e32 v[10:11], 3, v[10:11]
	v_mov_b32_e32 v13, v4
	v_ashrrev_i32_e32 v1, 31, v0
	v_ashrrev_i32_e32 v3, 31, v2
	s_and_b32 s28, vcc_lo, s2
	s_and_b32 s29, s3, s4
	v_lshlrev_b64_e32 v[12:13], 3, v[12:13]
	s_and_b32 s34, s3, s5
	s_lshl_b64 s[2:3], s[22:23], 3
	s_lshl_b64 s[4:5], s[16:17], 3
	s_branch .LBB489_6
.LBB489_5:                              ;   in Loop: Header=BB489_6 Depth=1
	s_wait_alu 0xfffe
	s_or_b32 exec_lo, exec_lo, s16
	s_add_co_i32 s6, s6, 0x10000
	s_delay_alu instid0(SALU_CYCLE_1)
	s_cmp_lt_u32 s6, s33
	s_cbranch_scc0 .LBB489_35
.LBB489_6:                              ; =>This Loop Header: Depth=1
                                        ;     Child Loop BB489_9 Depth 2
	s_lshl_b64 s[16:17], s[6:7], 3
	v_mov_b32_e32 v22, 0
	s_wait_alu 0xfffe
	s_add_nc_u64 s[22:23], s[26:27], s[16:17]
	v_mov_b32_e32 v16, 0
	global_load_b64 v[18:19], v5, s[22:23]
	v_dual_mov_b32 v23, 0 :: v_dual_mov_b32 v20, 0
	v_dual_mov_b32 v17, 0 :: v_dual_mov_b32 v14, 0
	v_mov_b32_e32 v21, 0
	v_mov_b32_e32 v15, 0
	s_and_not1_b32 vcc_lo, exec_lo, s35
	s_wait_alu 0xfffe
	s_cbranch_vccnz .LBB489_15
; %bb.7:                                ;   in Loop: Header=BB489_6 Depth=1
	s_add_nc_u64 s[22:23], s[12:13], s[16:17]
	s_add_nc_u64 s[16:17], s[18:19], s[16:17]
	s_clause 0x1
	global_load_b64 v[24:25], v5, s[22:23]
	global_load_b64 v[26:27], v5, s[16:17]
	v_mov_b32_e32 v14, 0
	v_dual_mov_b32 v20, 0 :: v_dual_mov_b32 v15, 0
	v_dual_mov_b32 v16, 0 :: v_dual_mov_b32 v21, 0
	;; [unrolled: 1-line block ×3, first 2 shown]
	v_mov_b32_e32 v23, 0
	s_mov_b64 s[16:17], 0
	s_wait_loadcnt 0x1
	v_add_co_u32 v4, vcc_lo, v24, s4
	s_wait_alu 0xfffd
	v_add_co_ci_u32_e64 v24, null, s5, v25, vcc_lo
	s_wait_loadcnt 0x0
	v_add_co_u32 v25, vcc_lo, v26, s2
	s_wait_alu 0xfffd
	v_add_co_ci_u32_e64 v26, null, s3, v27, vcc_lo
	v_add_co_u32 v34, vcc_lo, v4, v6
	s_wait_alu 0xfffd
	v_add_co_ci_u32_e64 v35, null, v24, v7, vcc_lo
	;; [unrolled: 3-line block ×3, first 2 shown]
	s_branch .LBB489_9
.LBB489_8:                              ;   in Loop: Header=BB489_9 Depth=2
	s_or_b32 exec_lo, exec_lo, s22
	s_wait_loadcnt_dscnt 0x0
	ds_store_b64 v31, v[26:27]
	s_wait_dscnt 0x0
	s_barrier_signal -1
	s_barrier_wait -1
	global_inv scope:SCOPE_SE
	ds_load_b128 v[24:27], v33
	ds_load_2addr_b64 v[38:41], v32 offset1:16
	ds_load_b128 v[42:45], v33 offset:1024
	ds_load_b128 v[46:49], v33 offset:16
	;; [unrolled: 1-line block ×3, first 2 shown]
	s_add_nc_u64 s[16:17], s[16:17], 8
	s_wait_alu 0xfffe
	v_cmp_gt_i64_e64 s22, s[8:9], s[16:17]
	s_and_b32 vcc_lo, exec_lo, s22
	s_wait_dscnt 0x3
	v_fma_f64 v[22:23], v[38:39], v[24:25], v[22:23]
	v_fma_f64 v[20:21], v[40:41], v[24:25], v[20:21]
	s_wait_dscnt 0x2
	v_fma_f64 v[24:25], v[38:39], v[42:43], v[16:17]
	v_fma_f64 v[38:39], v[40:41], v[42:43], v[14:15]
	ds_load_2addr_b64 v[14:17], v32 offset0:32 offset1:48
	s_wait_dscnt 0x0
	v_fma_f64 v[22:23], v[14:15], v[26:27], v[22:23]
	v_fma_f64 v[20:21], v[16:17], v[26:27], v[20:21]
	v_fma_f64 v[24:25], v[14:15], v[44:45], v[24:25]
	v_fma_f64 v[26:27], v[16:17], v[44:45], v[38:39]
	ds_load_2addr_b64 v[14:17], v32 offset0:64 offset1:80
	s_wait_dscnt 0x0
	v_fma_f64 v[22:23], v[14:15], v[46:47], v[22:23]
	v_fma_f64 v[20:21], v[16:17], v[46:47], v[20:21]
	v_fma_f64 v[24:25], v[14:15], v[50:51], v[24:25]
	v_fma_f64 v[26:27], v[16:17], v[50:51], v[26:27]
	ds_load_2addr_b64 v[14:17], v32 offset0:96 offset1:112
	s_wait_dscnt 0x0
	v_fma_f64 v[46:47], v[14:15], v[48:49], v[22:23]
	v_fma_f64 v[48:49], v[16:17], v[48:49], v[20:21]
	v_fma_f64 v[50:51], v[14:15], v[52:53], v[24:25]
	v_fma_f64 v[52:53], v[16:17], v[52:53], v[26:27]
	ds_load_b128 v[14:17], v33 offset:32
	ds_load_2addr_b64 v[20:23], v32 offset0:128 offset1:144
	ds_load_b128 v[24:27], v33 offset:1056
	ds_load_b128 v[38:41], v33 offset:48
	;; [unrolled: 1-line block ×3, first 2 shown]
	s_wait_dscnt 0x3
	v_fma_f64 v[46:47], v[20:21], v[14:15], v[46:47]
	v_fma_f64 v[14:15], v[22:23], v[14:15], v[48:49]
	s_wait_dscnt 0x2
	v_fma_f64 v[48:49], v[20:21], v[24:25], v[50:51]
	v_fma_f64 v[24:25], v[22:23], v[24:25], v[52:53]
	ds_load_2addr_b64 v[20:23], v32 offset0:160 offset1:176
	s_wait_dscnt 0x0
	v_fma_f64 v[46:47], v[20:21], v[16:17], v[46:47]
	v_fma_f64 v[50:51], v[22:23], v[16:17], v[14:15]
	v_fma_f64 v[20:21], v[20:21], v[26:27], v[48:49]
	v_fma_f64 v[22:23], v[22:23], v[26:27], v[24:25]
	ds_load_2addr_b64 v[14:17], v32 offset0:192 offset1:208
	ds_load_2addr_b64 v[24:27], v32 offset0:224 offset1:240
	s_wait_loadcnt_dscnt 0x0
	s_barrier_signal -1
	s_barrier_wait -1
	global_inv scope:SCOPE_SE
	v_fma_f64 v[46:47], v[14:15], v[38:39], v[46:47]
	v_fma_f64 v[38:39], v[16:17], v[38:39], v[50:51]
	;; [unrolled: 1-line block ×4, first 2 shown]
	s_delay_alu instid0(VALU_DEP_4) | instskip(NEXT) | instid1(VALU_DEP_4)
	v_fma_f64 v[22:23], v[24:25], v[40:41], v[46:47]
	v_fma_f64 v[20:21], v[26:27], v[40:41], v[38:39]
	s_delay_alu instid0(VALU_DEP_4) | instskip(NEXT) | instid1(VALU_DEP_4)
	v_fma_f64 v[16:17], v[24:25], v[44:45], v[14:15]
	v_fma_f64 v[14:15], v[26:27], v[44:45], v[42:43]
	s_wait_alu 0xfffe
	s_cbranch_vccz .LBB489_15
.LBB489_9:                              ;   Parent Loop BB489_6 Depth=1
                                        ; =>  This Inner Loop Header: Depth=2
	v_mov_b32_e32 v24, 0
	v_mov_b32_e32 v25, 0
	s_and_saveexec_b32 s22, s0
	s_cbranch_execz .LBB489_13
; %bb.10:                               ;   in Loop: Header=BB489_9 Depth=2
	v_mov_b32_e32 v24, 0
	s_wait_alu 0xfffe
	v_dual_mov_b32 v25, 0 :: v_dual_add_nc_u32 v4, s16, v29
	s_mov_b32 s23, exec_lo
	s_delay_alu instid0(VALU_DEP_1)
	v_cmpx_gt_u64_e64 s[8:9], v[4:5]
	s_cbranch_execz .LBB489_12
; %bb.11:                               ;   in Loop: Header=BB489_9 Depth=2
	v_lshlrev_b64_e32 v[24:25], 3, v[4:5]
	s_delay_alu instid0(VALU_DEP_1) | instskip(SKIP_1) | instid1(VALU_DEP_2)
	v_add_co_u32 v24, vcc_lo, v34, v24
	s_wait_alu 0xfffd
	v_add_co_ci_u32_e64 v25, null, v35, v25, vcc_lo
	flat_load_b64 v[24:25], v[24:25]
.LBB489_12:                             ;   in Loop: Header=BB489_9 Depth=2
	s_or_b32 exec_lo, exec_lo, s23
.LBB489_13:                             ;   in Loop: Header=BB489_9 Depth=2
	s_delay_alu instid0(SALU_CYCLE_1)
	s_or_b32 exec_lo, exec_lo, s22
	s_wait_alu 0xfffe
	v_add_nc_u32_e32 v4, s16, v28
	v_mov_b32_e32 v26, 0
	v_mov_b32_e32 v27, 0
	s_wait_loadcnt_dscnt 0x0
	ds_store_b64 v30, v[24:25]
	v_cmp_gt_u64_e32 vcc_lo, s[8:9], v[4:5]
	s_and_b32 s23, vcc_lo, s1
	s_delay_alu instid0(SALU_CYCLE_1)
	s_and_saveexec_b32 s22, s23
	s_cbranch_execz .LBB489_8
; %bb.14:                               ;   in Loop: Header=BB489_9 Depth=2
	v_lshlrev_b64_e32 v[24:25], 3, v[4:5]
	s_delay_alu instid0(VALU_DEP_1) | instskip(SKIP_1) | instid1(VALU_DEP_2)
	v_add_co_u32 v24, vcc_lo, v36, v24
	s_wait_alu 0xfffd
	v_add_co_ci_u32_e64 v25, null, v37, v25, vcc_lo
	flat_load_b64 v[26:27], v[24:25]
	s_branch .LBB489_8
.LBB489_15:                             ;   in Loop: Header=BB489_6 Depth=1
	s_wait_loadcnt 0x0
	s_wait_alu 0xfffe
	v_add_co_u32 v4, vcc_lo, v18, s14
	s_wait_alu 0xfffd
	v_add_co_ci_u32_e64 v24, null, s15, v19, vcc_lo
	s_delay_alu instid0(VALU_DEP_2) | instskip(SKIP_1) | instid1(VALU_DEP_2)
	v_add_co_u32 v25, vcc_lo, v4, v10
	s_wait_alu 0xfffd
	v_add_co_ci_u32_e64 v26, null, v24, v11, vcc_lo
	s_and_saveexec_b32 s16, s21
	s_cbranch_execz .LBB489_19
; %bb.16:                               ;   in Loop: Header=BB489_6 Depth=1
	v_mul_f64_e32 v[18:19], s[10:11], v[22:23]
	s_and_b32 vcc_lo, exec_lo, s20
	s_wait_alu 0xfffe
	s_cbranch_vccz .LBB489_30
; %bb.17:                               ;   in Loop: Header=BB489_6 Depth=1
	v_lshlrev_b64_e32 v[22:23], 3, v[0:1]
	s_delay_alu instid0(VALU_DEP_1) | instskip(SKIP_1) | instid1(VALU_DEP_2)
	v_add_co_u32 v22, vcc_lo, v25, v22
	s_wait_alu 0xfffd
	v_add_co_ci_u32_e64 v23, null, v26, v23, vcc_lo
	flat_load_b64 v[34:35], v[22:23]
	s_wait_loadcnt_dscnt 0x0
	v_fma_f64 v[34:35], s[24:25], v[34:35], v[18:19]
	flat_store_b64 v[22:23], v[34:35]
	s_cbranch_execnz .LBB489_19
.LBB489_18:                             ;   in Loop: Header=BB489_6 Depth=1
	v_lshlrev_b64_e32 v[22:23], 3, v[0:1]
	s_delay_alu instid0(VALU_DEP_1) | instskip(SKIP_1) | instid1(VALU_DEP_2)
	v_add_co_u32 v22, vcc_lo, v25, v22
	s_wait_alu 0xfffd
	v_add_co_ci_u32_e64 v23, null, v26, v23, vcc_lo
	flat_store_b64 v[22:23], v[18:19]
.LBB489_19:                             ;   in Loop: Header=BB489_6 Depth=1
	s_wait_alu 0xfffe
	s_or_b32 exec_lo, exec_lo, s16
	s_and_saveexec_b32 s16, s28
	s_cbranch_execz .LBB489_23
; %bb.20:                               ;   in Loop: Header=BB489_6 Depth=1
	v_mul_f64_e32 v[18:19], s[10:11], v[20:21]
	s_and_not1_b32 vcc_lo, exec_lo, s20
	s_wait_alu 0xfffe
	s_cbranch_vccnz .LBB489_31
; %bb.21:                               ;   in Loop: Header=BB489_6 Depth=1
	v_lshlrev_b64_e32 v[20:21], 3, v[2:3]
	s_delay_alu instid0(VALU_DEP_1) | instskip(SKIP_1) | instid1(VALU_DEP_2)
	v_add_co_u32 v20, vcc_lo, v25, v20
	s_wait_alu 0xfffd
	v_add_co_ci_u32_e64 v21, null, v26, v21, vcc_lo
	flat_load_b64 v[22:23], v[20:21]
	s_wait_loadcnt_dscnt 0x0
	v_fma_f64 v[22:23], s[24:25], v[22:23], v[18:19]
	flat_store_b64 v[20:21], v[22:23]
	s_cbranch_execnz .LBB489_23
.LBB489_22:                             ;   in Loop: Header=BB489_6 Depth=1
	v_lshlrev_b64_e32 v[20:21], 3, v[2:3]
	s_delay_alu instid0(VALU_DEP_1) | instskip(SKIP_1) | instid1(VALU_DEP_2)
	v_add_co_u32 v20, vcc_lo, v25, v20
	s_wait_alu 0xfffd
	v_add_co_ci_u32_e64 v21, null, v26, v21, vcc_lo
	flat_store_b64 v[20:21], v[18:19]
.LBB489_23:                             ;   in Loop: Header=BB489_6 Depth=1
	s_wait_alu 0xfffe
	s_or_b32 exec_lo, exec_lo, s16
	v_add_co_u32 v4, vcc_lo, v4, v12
	s_wait_alu 0xfffd
	v_add_co_ci_u32_e64 v20, null, v24, v13, vcc_lo
	s_and_saveexec_b32 s16, s29
	s_cbranch_execz .LBB489_27
; %bb.24:                               ;   in Loop: Header=BB489_6 Depth=1
	v_mul_f64_e32 v[16:17], s[10:11], v[16:17]
	v_lshlrev_b64_e32 v[18:19], 3, v[0:1]
	s_and_not1_b32 vcc_lo, exec_lo, s20
	s_wait_alu 0xfffe
	s_cbranch_vccnz .LBB489_32
; %bb.25:                               ;   in Loop: Header=BB489_6 Depth=1
	s_delay_alu instid0(VALU_DEP_1)
	v_add_co_u32 v21, vcc_lo, v4, v18
	s_wait_alu 0xfffd
	v_add_co_ci_u32_e64 v22, null, v20, v19, vcc_lo
	flat_load_b64 v[23:24], v[21:22]
	s_wait_loadcnt_dscnt 0x0
	v_fma_f64 v[23:24], s[24:25], v[23:24], v[16:17]
	flat_store_b64 v[21:22], v[23:24]
	s_cbranch_execnz .LBB489_27
.LBB489_26:                             ;   in Loop: Header=BB489_6 Depth=1
	s_delay_alu instid0(VALU_DEP_1)
	v_add_co_u32 v18, vcc_lo, v4, v18
	s_wait_alu 0xfffd
	v_add_co_ci_u32_e64 v19, null, v20, v19, vcc_lo
	flat_store_b64 v[18:19], v[16:17]
.LBB489_27:                             ;   in Loop: Header=BB489_6 Depth=1
	s_wait_alu 0xfffe
	s_or_b32 exec_lo, exec_lo, s16
	s_and_saveexec_b32 s16, s34
	s_cbranch_execz .LBB489_5
; %bb.28:                               ;   in Loop: Header=BB489_6 Depth=1
	v_mul_f64_e32 v[14:15], s[10:11], v[14:15]
	v_lshlrev_b64_e32 v[16:17], 3, v[2:3]
	s_and_not1_b32 vcc_lo, exec_lo, s20
	s_wait_alu 0xfffe
	s_cbranch_vccnz .LBB489_33
; %bb.29:                               ;   in Loop: Header=BB489_6 Depth=1
	s_delay_alu instid0(VALU_DEP_1)
	v_add_co_u32 v18, vcc_lo, v4, v16
	s_wait_alu 0xfffd
	v_add_co_ci_u32_e64 v19, null, v20, v17, vcc_lo
	flat_load_b64 v[21:22], v[18:19]
	s_wait_loadcnt_dscnt 0x0
	v_fma_f64 v[21:22], s[24:25], v[21:22], v[14:15]
	flat_store_b64 v[18:19], v[21:22]
	s_cbranch_execnz .LBB489_5
	s_branch .LBB489_34
.LBB489_30:                             ;   in Loop: Header=BB489_6 Depth=1
	s_branch .LBB489_18
.LBB489_31:                             ;   in Loop: Header=BB489_6 Depth=1
	s_branch .LBB489_22
.LBB489_32:                             ;   in Loop: Header=BB489_6 Depth=1
	s_branch .LBB489_26
.LBB489_33:                             ;   in Loop: Header=BB489_6 Depth=1
.LBB489_34:                             ;   in Loop: Header=BB489_6 Depth=1
	s_delay_alu instid0(VALU_DEP_1)
	v_add_co_u32 v16, vcc_lo, v4, v16
	s_wait_alu 0xfffd
	v_add_co_ci_u32_e64 v17, null, v20, v17, vcc_lo
	flat_store_b64 v[16:17], v[14:15]
	s_branch .LBB489_5
.LBB489_35:
	s_endpgm
	.section	.rodata,"a",@progbits
	.p2align	6, 0x0
	.amdhsa_kernel _ZL29rocblas_internal_gemmt_kernelIlLi16ELi32ELi8ELc84ELc78ELc85ELb0ELb0EddPKPKdPKPdEviT_T9_T10_S7_lS9_S7_lS8_T11_S7_li
		.amdhsa_group_segment_fixed_size 4096
		.amdhsa_private_segment_fixed_size 0
		.amdhsa_kernarg_size 108
		.amdhsa_user_sgpr_count 2
		.amdhsa_user_sgpr_dispatch_ptr 0
		.amdhsa_user_sgpr_queue_ptr 0
		.amdhsa_user_sgpr_kernarg_segment_ptr 1
		.amdhsa_user_sgpr_dispatch_id 0
		.amdhsa_user_sgpr_private_segment_size 0
		.amdhsa_wavefront_size32 1
		.amdhsa_uses_dynamic_stack 0
		.amdhsa_enable_private_segment 0
		.amdhsa_system_sgpr_workgroup_id_x 1
		.amdhsa_system_sgpr_workgroup_id_y 1
		.amdhsa_system_sgpr_workgroup_id_z 1
		.amdhsa_system_sgpr_workgroup_info 0
		.amdhsa_system_vgpr_workitem_id 1
		.amdhsa_next_free_vgpr 54
		.amdhsa_next_free_sgpr 37
		.amdhsa_reserve_vcc 1
		.amdhsa_float_round_mode_32 0
		.amdhsa_float_round_mode_16_64 0
		.amdhsa_float_denorm_mode_32 3
		.amdhsa_float_denorm_mode_16_64 3
		.amdhsa_fp16_overflow 0
		.amdhsa_workgroup_processor_mode 1
		.amdhsa_memory_ordered 1
		.amdhsa_forward_progress 1
		.amdhsa_inst_pref_size 17
		.amdhsa_round_robin_scheduling 0
		.amdhsa_exception_fp_ieee_invalid_op 0
		.amdhsa_exception_fp_denorm_src 0
		.amdhsa_exception_fp_ieee_div_zero 0
		.amdhsa_exception_fp_ieee_overflow 0
		.amdhsa_exception_fp_ieee_underflow 0
		.amdhsa_exception_fp_ieee_inexact 0
		.amdhsa_exception_int_div_zero 0
	.end_amdhsa_kernel
	.section	.text._ZL29rocblas_internal_gemmt_kernelIlLi16ELi32ELi8ELc84ELc78ELc85ELb0ELb0EddPKPKdPKPdEviT_T9_T10_S7_lS9_S7_lS8_T11_S7_li,"axG",@progbits,_ZL29rocblas_internal_gemmt_kernelIlLi16ELi32ELi8ELc84ELc78ELc85ELb0ELb0EddPKPKdPKPdEviT_T9_T10_S7_lS9_S7_lS8_T11_S7_li,comdat
.Lfunc_end489:
	.size	_ZL29rocblas_internal_gemmt_kernelIlLi16ELi32ELi8ELc84ELc78ELc85ELb0ELb0EddPKPKdPKPdEviT_T9_T10_S7_lS9_S7_lS8_T11_S7_li, .Lfunc_end489-_ZL29rocblas_internal_gemmt_kernelIlLi16ELi32ELi8ELc84ELc78ELc85ELb0ELb0EddPKPKdPKPdEviT_T9_T10_S7_lS9_S7_lS8_T11_S7_li
                                        ; -- End function
	.set _ZL29rocblas_internal_gemmt_kernelIlLi16ELi32ELi8ELc84ELc78ELc85ELb0ELb0EddPKPKdPKPdEviT_T9_T10_S7_lS9_S7_lS8_T11_S7_li.num_vgpr, 54
	.set _ZL29rocblas_internal_gemmt_kernelIlLi16ELi32ELi8ELc84ELc78ELc85ELb0ELb0EddPKPKdPKPdEviT_T9_T10_S7_lS9_S7_lS8_T11_S7_li.num_agpr, 0
	.set _ZL29rocblas_internal_gemmt_kernelIlLi16ELi32ELi8ELc84ELc78ELc85ELb0ELb0EddPKPKdPKPdEviT_T9_T10_S7_lS9_S7_lS8_T11_S7_li.numbered_sgpr, 37
	.set _ZL29rocblas_internal_gemmt_kernelIlLi16ELi32ELi8ELc84ELc78ELc85ELb0ELb0EddPKPKdPKPdEviT_T9_T10_S7_lS9_S7_lS8_T11_S7_li.num_named_barrier, 0
	.set _ZL29rocblas_internal_gemmt_kernelIlLi16ELi32ELi8ELc84ELc78ELc85ELb0ELb0EddPKPKdPKPdEviT_T9_T10_S7_lS9_S7_lS8_T11_S7_li.private_seg_size, 0
	.set _ZL29rocblas_internal_gemmt_kernelIlLi16ELi32ELi8ELc84ELc78ELc85ELb0ELb0EddPKPKdPKPdEviT_T9_T10_S7_lS9_S7_lS8_T11_S7_li.uses_vcc, 1
	.set _ZL29rocblas_internal_gemmt_kernelIlLi16ELi32ELi8ELc84ELc78ELc85ELb0ELb0EddPKPKdPKPdEviT_T9_T10_S7_lS9_S7_lS8_T11_S7_li.uses_flat_scratch, 0
	.set _ZL29rocblas_internal_gemmt_kernelIlLi16ELi32ELi8ELc84ELc78ELc85ELb0ELb0EddPKPKdPKPdEviT_T9_T10_S7_lS9_S7_lS8_T11_S7_li.has_dyn_sized_stack, 0
	.set _ZL29rocblas_internal_gemmt_kernelIlLi16ELi32ELi8ELc84ELc78ELc85ELb0ELb0EddPKPKdPKPdEviT_T9_T10_S7_lS9_S7_lS8_T11_S7_li.has_recursion, 0
	.set _ZL29rocblas_internal_gemmt_kernelIlLi16ELi32ELi8ELc84ELc78ELc85ELb0ELb0EddPKPKdPKPdEviT_T9_T10_S7_lS9_S7_lS8_T11_S7_li.has_indirect_call, 0
	.section	.AMDGPU.csdata,"",@progbits
; Kernel info:
; codeLenInByte = 2136
; TotalNumSgprs: 39
; NumVgprs: 54
; ScratchSize: 0
; MemoryBound: 0
; FloatMode: 240
; IeeeMode: 1
; LDSByteSize: 4096 bytes/workgroup (compile time only)
; SGPRBlocks: 0
; VGPRBlocks: 6
; NumSGPRsForWavesPerEU: 39
; NumVGPRsForWavesPerEU: 54
; Occupancy: 16
; WaveLimiterHint : 1
; COMPUTE_PGM_RSRC2:SCRATCH_EN: 0
; COMPUTE_PGM_RSRC2:USER_SGPR: 2
; COMPUTE_PGM_RSRC2:TRAP_HANDLER: 0
; COMPUTE_PGM_RSRC2:TGID_X_EN: 1
; COMPUTE_PGM_RSRC2:TGID_Y_EN: 1
; COMPUTE_PGM_RSRC2:TGID_Z_EN: 1
; COMPUTE_PGM_RSRC2:TIDIG_COMP_CNT: 1
	.section	.text._ZL29rocblas_internal_gemmt_kernelIlLi16ELi32ELi8ELc84ELc84ELc85ELb0ELb0EddPKPKdPKPdEviT_T9_T10_S7_lS9_S7_lS8_T11_S7_li,"axG",@progbits,_ZL29rocblas_internal_gemmt_kernelIlLi16ELi32ELi8ELc84ELc84ELc85ELb0ELb0EddPKPKdPKPdEviT_T9_T10_S7_lS9_S7_lS8_T11_S7_li,comdat
	.globl	_ZL29rocblas_internal_gemmt_kernelIlLi16ELi32ELi8ELc84ELc84ELc85ELb0ELb0EddPKPKdPKPdEviT_T9_T10_S7_lS9_S7_lS8_T11_S7_li ; -- Begin function _ZL29rocblas_internal_gemmt_kernelIlLi16ELi32ELi8ELc84ELc84ELc85ELb0ELb0EddPKPKdPKPdEviT_T9_T10_S7_lS9_S7_lS8_T11_S7_li
	.p2align	8
	.type	_ZL29rocblas_internal_gemmt_kernelIlLi16ELi32ELi8ELc84ELc84ELc85ELb0ELb0EddPKPKdPKPdEviT_T9_T10_S7_lS9_S7_lS8_T11_S7_li,@function
_ZL29rocblas_internal_gemmt_kernelIlLi16ELi32ELi8ELc84ELc84ELc85ELb0ELb0EddPKPKdPKPdEviT_T9_T10_S7_lS9_S7_lS8_T11_S7_li: ; @_ZL29rocblas_internal_gemmt_kernelIlLi16ELi32ELi8ELc84ELc84ELc85ELb0ELb0EddPKPKdPKPdEviT_T9_T10_S7_lS9_S7_lS8_T11_S7_li
; %bb.0:
	s_clause 0x1
	s_load_b256 s[24:31], s[0:1], 0x48
	s_load_b512 s[8:23], s[0:1], 0x8
	s_wait_kmcnt 0x0
	v_cmp_neq_f64_e64 s2, s[24:25], 1.0
	s_and_b32 vcc_lo, exec_lo, s2
	s_cbranch_vccnz .LBB490_2
; %bb.1:
	v_cmp_neq_f64_e64 s2, s[10:11], 0
	s_cmp_lg_u64 s[8:9], 0
	s_cselect_b32 s3, -1, 0
	s_delay_alu instid0(SALU_CYCLE_1)
	s_and_b32 s2, s3, s2
.LBB490_2:
	s_delay_alu instid0(SALU_CYCLE_1)
	s_and_not1_b32 vcc_lo, exec_lo, s2
	s_cbranch_vccnz .LBB490_35
; %bb.3:
	s_load_b32 s33, s[0:1], 0x68
	s_lshr_b32 s6, ttmp7, 16
	s_wait_kmcnt 0x0
	s_cmp_ge_u32 s6, s33
	s_cbranch_scc1 .LBB490_35
; %bb.4:
	v_bfe_u32 v5, v0, 10, 10
	s_load_b32 s3, s[0:1], 0x0
	s_lshl_b32 s0, ttmp7, 5
	v_and_b32_e32 v26, 7, v0
	s_and_b32 s0, s0, 0x1fffe0
	s_lshl_b32 s2, ttmp9, 5
	v_add_nc_u32_e32 v13, s0, v5
	v_cmp_neq_f64_e64 s37, s[10:11], 0
	v_cmp_neq_f64_e64 s34, s[24:25], 0
	s_ashr_i32 s1, s2, 31
	v_lshlrev_b32_e32 v3, 3, v26
	v_mad_co_u64_u32 v[8:9], null, s28, v13, 0
	v_and_b32_e32 v4, 0x3ff, v0
	v_add_nc_u32_e32 v15, 16, v13
	s_wait_alu 0xfffe
	s_mul_i32 s1, s14, s1
	v_cmp_gt_i64_e64 s38, s[8:9], 0
	v_lshl_add_u32 v31, v5, 6, 0x800
	v_lshl_add_u32 v0, v5, 4, v4
	s_mov_b32 s7, 0
	s_wait_kmcnt 0x0
	v_cmp_gt_i32_e32 vcc_lo, s3, v13
	s_delay_alu instid0(VALU_DEP_2) | instskip(SKIP_2) | instid1(VALU_DEP_3)
	v_and_b32_e32 v1, 31, v0
	v_lshrrev_b32_e32 v27, 5, v0
	v_lshrrev_b32_e32 v0, 3, v0
	v_or_b32_e32 v2, s2, v1
	v_lshlrev_b32_e32 v1, 3, v1
	s_delay_alu instid0(VALU_DEP_3)
	v_add_nc_u32_e32 v14, s0, v0
	v_lshl_or_b32 v0, v0, 6, v3
	v_mov_b32_e32 v3, 0
	v_mul_lo_u32 v10, s15, v2
	v_mad_co_u64_u32 v[6:7], null, s14, v2, 0
	v_lshl_or_b32 v28, v27, 8, v1
	v_mov_b32_e32 v1, v9
	v_cmp_gt_i32_e64 s0, s3, v2
	v_add_nc_u32_e32 v29, 0x800, v0
	v_add_nc_u32_e32 v0, s2, v4
	v_lshlrev_b32_e32 v30, 3, v4
	s_wait_alu 0xfffe
	v_add3_u32 v7, v7, s1, v10
	v_mad_co_u64_u32 v[10:11], null, s28, v15, 0
	v_mad_co_u64_u32 v[1:2], null, s29, v13, v[1:2]
	v_cmp_le_i32_e64 s2, v0, v13
	v_add_nc_u32_e32 v4, 16, v0
	v_cmp_le_i32_e64 s4, v0, v15
	v_lshlrev_b64_e32 v[6:7], 3, v[6:7]
	v_mov_b32_e32 v2, v11
	s_and_b32 s28, vcc_lo, s2
	v_mov_b32_e32 v9, v1
	v_cmp_gt_i32_e64 s1, s3, v14
	v_cmp_le_i32_e64 s2, v4, v13
	v_mad_co_u64_u32 v[11:12], null, s29, v15, v[2:3]
	v_cmp_gt_i32_e64 s3, s3, v15
	v_cmp_le_i32_e64 s5, v4, v15
	v_lshlrev_b64_e32 v[8:9], 3, v[8:9]
	v_ashrrev_i32_e32 v1, 31, v0
	v_ashrrev_i32_e32 v5, 31, v4
	v_lshlrev_b32_e32 v32, 3, v14
	v_lshlrev_b64_e32 v[10:11], 3, v[10:11]
	s_and_b32 s29, vcc_lo, s2
	s_and_b32 s35, s3, s4
	s_and_b32 s36, s3, s5
	;; [unrolled: 1-line block ×3, first 2 shown]
	s_lshl_b64 s[2:3], s[22:23], 3
	s_lshl_b64 s[4:5], s[16:17], 3
	;; [unrolled: 1-line block ×3, first 2 shown]
	s_branch .LBB490_6
.LBB490_5:                              ;   in Loop: Header=BB490_6 Depth=1
	s_wait_alu 0xfffe
	s_or_b32 exec_lo, exec_lo, s16
	s_add_co_i32 s6, s6, 0x10000
	s_delay_alu instid0(SALU_CYCLE_1)
	s_cmp_lt_u32 s6, s33
	s_cbranch_scc0 .LBB490_35
.LBB490_6:                              ; =>This Loop Header: Depth=1
                                        ;     Child Loop BB490_9 Depth 2
	s_lshl_b64 s[16:17], s[6:7], 3
	v_mov_b32_e32 v20, 0
	s_wait_alu 0xfffe
	s_add_nc_u64 s[22:23], s[26:27], s[16:17]
	v_mov_b32_e32 v14, 0
	global_load_b64 v[16:17], v3, s[22:23]
	v_dual_mov_b32 v21, 0 :: v_dual_mov_b32 v18, 0
	v_dual_mov_b32 v15, 0 :: v_dual_mov_b32 v12, 0
	v_mov_b32_e32 v19, 0
	v_mov_b32_e32 v13, 0
	s_and_not1_b32 vcc_lo, exec_lo, s37
	s_wait_alu 0xfffe
	s_cbranch_vccnz .LBB490_15
; %bb.7:                                ;   in Loop: Header=BB490_6 Depth=1
	s_add_nc_u64 s[22:23], s[12:13], s[16:17]
	s_add_nc_u64 s[16:17], s[18:19], s[16:17]
	s_clause 0x1
	global_load_b64 v[22:23], v3, s[22:23]
	global_load_b64 v[24:25], v3, s[16:17]
	v_mov_b32_e32 v12, 0
	v_dual_mov_b32 v18, 0 :: v_dual_mov_b32 v13, 0
	v_dual_mov_b32 v14, 0 :: v_dual_mov_b32 v19, 0
	;; [unrolled: 1-line block ×3, first 2 shown]
	v_mov_b32_e32 v21, 0
	s_mov_b64 s[16:17], 0
	s_wait_loadcnt 0x1
	v_add_co_u32 v2, vcc_lo, v22, s4
	s_wait_alu 0xfffd
	v_add_co_ci_u32_e64 v22, null, s5, v23, vcc_lo
	s_wait_loadcnt 0x0
	v_add_co_u32 v23, vcc_lo, v24, s2
	s_wait_alu 0xfffd
	v_add_co_ci_u32_e64 v24, null, s3, v25, vcc_lo
	v_add_co_u32 v33, vcc_lo, v2, v6
	s_wait_alu 0xfffd
	v_add_co_ci_u32_e64 v34, null, v22, v7, vcc_lo
	;; [unrolled: 3-line block ×3, first 2 shown]
	s_branch .LBB490_9
.LBB490_8:                              ;   in Loop: Header=BB490_9 Depth=2
	s_or_b32 exec_lo, exec_lo, s22
	s_wait_loadcnt_dscnt 0x0
	ds_store_b64 v29, v[24:25]
	s_wait_dscnt 0x0
	s_barrier_signal -1
	s_barrier_wait -1
	global_inv scope:SCOPE_SE
	ds_load_b128 v[22:25], v31
	ds_load_2addr_b64 v[37:40], v30 offset1:16
	ds_load_b128 v[41:44], v31 offset:1024
	ds_load_b128 v[45:48], v31 offset:16
	ds_load_b128 v[49:52], v31 offset:1040
	s_add_nc_u64 s[16:17], s[16:17], 8
	s_wait_alu 0xfffe
	v_cmp_gt_i64_e64 s22, s[8:9], s[16:17]
	s_and_b32 vcc_lo, exec_lo, s22
	s_wait_dscnt 0x3
	v_fma_f64 v[20:21], v[37:38], v[22:23], v[20:21]
	v_fma_f64 v[18:19], v[39:40], v[22:23], v[18:19]
	s_wait_dscnt 0x2
	v_fma_f64 v[22:23], v[37:38], v[41:42], v[14:15]
	v_fma_f64 v[37:38], v[39:40], v[41:42], v[12:13]
	ds_load_2addr_b64 v[12:15], v30 offset0:32 offset1:48
	s_wait_dscnt 0x0
	v_fma_f64 v[20:21], v[12:13], v[24:25], v[20:21]
	v_fma_f64 v[18:19], v[14:15], v[24:25], v[18:19]
	v_fma_f64 v[22:23], v[12:13], v[43:44], v[22:23]
	v_fma_f64 v[24:25], v[14:15], v[43:44], v[37:38]
	ds_load_2addr_b64 v[12:15], v30 offset0:64 offset1:80
	s_wait_dscnt 0x0
	v_fma_f64 v[20:21], v[12:13], v[45:46], v[20:21]
	v_fma_f64 v[18:19], v[14:15], v[45:46], v[18:19]
	;; [unrolled: 6-line block ×3, first 2 shown]
	v_fma_f64 v[49:50], v[12:13], v[51:52], v[22:23]
	v_fma_f64 v[51:52], v[14:15], v[51:52], v[24:25]
	ds_load_b128 v[12:15], v31 offset:32
	ds_load_2addr_b64 v[18:21], v30 offset0:128 offset1:144
	ds_load_b128 v[22:25], v31 offset:1056
	ds_load_b128 v[37:40], v31 offset:48
	ds_load_b128 v[41:44], v31 offset:1072
	s_wait_dscnt 0x3
	v_fma_f64 v[45:46], v[18:19], v[12:13], v[45:46]
	v_fma_f64 v[12:13], v[20:21], v[12:13], v[47:48]
	s_wait_dscnt 0x2
	v_fma_f64 v[47:48], v[18:19], v[22:23], v[49:50]
	v_fma_f64 v[22:23], v[20:21], v[22:23], v[51:52]
	ds_load_2addr_b64 v[18:21], v30 offset0:160 offset1:176
	s_wait_dscnt 0x0
	v_fma_f64 v[45:46], v[18:19], v[14:15], v[45:46]
	v_fma_f64 v[49:50], v[20:21], v[14:15], v[12:13]
	;; [unrolled: 1-line block ×4, first 2 shown]
	ds_load_2addr_b64 v[12:15], v30 offset0:192 offset1:208
	ds_load_2addr_b64 v[22:25], v30 offset0:224 offset1:240
	s_wait_loadcnt_dscnt 0x0
	s_barrier_signal -1
	s_barrier_wait -1
	global_inv scope:SCOPE_SE
	v_fma_f64 v[45:46], v[12:13], v[37:38], v[45:46]
	v_fma_f64 v[37:38], v[14:15], v[37:38], v[49:50]
	v_fma_f64 v[12:13], v[12:13], v[41:42], v[18:19]
	v_fma_f64 v[41:42], v[14:15], v[41:42], v[20:21]
	s_delay_alu instid0(VALU_DEP_4) | instskip(NEXT) | instid1(VALU_DEP_4)
	v_fma_f64 v[20:21], v[22:23], v[39:40], v[45:46]
	v_fma_f64 v[18:19], v[24:25], v[39:40], v[37:38]
	s_delay_alu instid0(VALU_DEP_4) | instskip(NEXT) | instid1(VALU_DEP_4)
	v_fma_f64 v[14:15], v[22:23], v[43:44], v[12:13]
	v_fma_f64 v[12:13], v[24:25], v[43:44], v[41:42]
	s_wait_alu 0xfffe
	s_cbranch_vccz .LBB490_15
.LBB490_9:                              ;   Parent Loop BB490_6 Depth=1
                                        ; =>  This Inner Loop Header: Depth=2
	v_mov_b32_e32 v22, 0
	v_mov_b32_e32 v23, 0
	s_and_saveexec_b32 s22, s0
	s_cbranch_execz .LBB490_13
; %bb.10:                               ;   in Loop: Header=BB490_9 Depth=2
	v_mov_b32_e32 v22, 0
	s_wait_alu 0xfffe
	v_dual_mov_b32 v23, 0 :: v_dual_add_nc_u32 v2, s16, v27
	s_mov_b32 s23, exec_lo
	s_delay_alu instid0(VALU_DEP_1)
	v_cmpx_gt_u64_e64 s[8:9], v[2:3]
	s_cbranch_execz .LBB490_12
; %bb.11:                               ;   in Loop: Header=BB490_9 Depth=2
	v_lshlrev_b64_e32 v[22:23], 3, v[2:3]
	s_delay_alu instid0(VALU_DEP_1) | instskip(SKIP_1) | instid1(VALU_DEP_2)
	v_add_co_u32 v22, vcc_lo, v33, v22
	s_wait_alu 0xfffd
	v_add_co_ci_u32_e64 v23, null, v34, v23, vcc_lo
	flat_load_b64 v[22:23], v[22:23]
.LBB490_12:                             ;   in Loop: Header=BB490_9 Depth=2
	s_or_b32 exec_lo, exec_lo, s23
.LBB490_13:                             ;   in Loop: Header=BB490_9 Depth=2
	s_delay_alu instid0(SALU_CYCLE_1)
	s_or_b32 exec_lo, exec_lo, s22
	s_wait_alu 0xfffe
	v_add_nc_u32_e32 v2, s16, v26
	v_mov_b32_e32 v24, 0
	v_mov_b32_e32 v25, 0
	s_wait_loadcnt_dscnt 0x0
	ds_store_b64 v28, v[22:23]
	v_cmp_gt_u64_e32 vcc_lo, s[8:9], v[2:3]
	s_and_b32 s23, vcc_lo, s1
	s_delay_alu instid0(SALU_CYCLE_1)
	s_and_saveexec_b32 s22, s23
	s_cbranch_execz .LBB490_8
; %bb.14:                               ;   in Loop: Header=BB490_9 Depth=2
	v_mad_co_u64_u32 v[22:23], null, s20, v2, 0
	s_delay_alu instid0(VALU_DEP_1) | instskip(NEXT) | instid1(VALU_DEP_1)
	v_mad_co_u64_u32 v[23:24], null, s21, v2, v[23:24]
	v_lshlrev_b64_e32 v[22:23], 3, v[22:23]
	s_delay_alu instid0(VALU_DEP_1) | instskip(SKIP_1) | instid1(VALU_DEP_2)
	v_add_co_u32 v22, vcc_lo, v35, v22
	s_wait_alu 0xfffd
	v_add_co_ci_u32_e64 v23, null, v36, v23, vcc_lo
	flat_load_b64 v[24:25], v[22:23]
	s_branch .LBB490_8
.LBB490_15:                             ;   in Loop: Header=BB490_6 Depth=1
	s_wait_loadcnt 0x0
	s_wait_alu 0xfffe
	v_add_co_u32 v2, vcc_lo, v16, s14
	s_wait_alu 0xfffd
	v_add_co_ci_u32_e64 v22, null, s15, v17, vcc_lo
	s_delay_alu instid0(VALU_DEP_2) | instskip(SKIP_1) | instid1(VALU_DEP_2)
	v_add_co_u32 v23, vcc_lo, v2, v8
	s_wait_alu 0xfffd
	v_add_co_ci_u32_e64 v24, null, v22, v9, vcc_lo
	s_and_saveexec_b32 s16, s28
	s_cbranch_execz .LBB490_19
; %bb.16:                               ;   in Loop: Header=BB490_6 Depth=1
	v_mul_f64_e32 v[16:17], s[10:11], v[20:21]
	s_and_b32 vcc_lo, exec_lo, s34
	s_wait_alu 0xfffe
	s_cbranch_vccz .LBB490_30
; %bb.17:                               ;   in Loop: Header=BB490_6 Depth=1
	v_lshlrev_b64_e32 v[20:21], 3, v[0:1]
	s_delay_alu instid0(VALU_DEP_1) | instskip(SKIP_1) | instid1(VALU_DEP_2)
	v_add_co_u32 v20, vcc_lo, v23, v20
	s_wait_alu 0xfffd
	v_add_co_ci_u32_e64 v21, null, v24, v21, vcc_lo
	flat_load_b64 v[33:34], v[20:21]
	s_wait_loadcnt_dscnt 0x0
	v_fma_f64 v[33:34], s[24:25], v[33:34], v[16:17]
	flat_store_b64 v[20:21], v[33:34]
	s_cbranch_execnz .LBB490_19
.LBB490_18:                             ;   in Loop: Header=BB490_6 Depth=1
	v_lshlrev_b64_e32 v[20:21], 3, v[0:1]
	s_delay_alu instid0(VALU_DEP_1) | instskip(SKIP_1) | instid1(VALU_DEP_2)
	v_add_co_u32 v20, vcc_lo, v23, v20
	s_wait_alu 0xfffd
	v_add_co_ci_u32_e64 v21, null, v24, v21, vcc_lo
	flat_store_b64 v[20:21], v[16:17]
.LBB490_19:                             ;   in Loop: Header=BB490_6 Depth=1
	s_wait_alu 0xfffe
	s_or_b32 exec_lo, exec_lo, s16
	s_and_saveexec_b32 s16, s29
	s_cbranch_execz .LBB490_23
; %bb.20:                               ;   in Loop: Header=BB490_6 Depth=1
	v_mul_f64_e32 v[16:17], s[10:11], v[18:19]
	s_and_not1_b32 vcc_lo, exec_lo, s34
	s_wait_alu 0xfffe
	s_cbranch_vccnz .LBB490_31
; %bb.21:                               ;   in Loop: Header=BB490_6 Depth=1
	v_lshlrev_b64_e32 v[18:19], 3, v[4:5]
	s_delay_alu instid0(VALU_DEP_1) | instskip(SKIP_1) | instid1(VALU_DEP_2)
	v_add_co_u32 v18, vcc_lo, v23, v18
	s_wait_alu 0xfffd
	v_add_co_ci_u32_e64 v19, null, v24, v19, vcc_lo
	flat_load_b64 v[20:21], v[18:19]
	s_wait_loadcnt_dscnt 0x0
	v_fma_f64 v[20:21], s[24:25], v[20:21], v[16:17]
	flat_store_b64 v[18:19], v[20:21]
	s_cbranch_execnz .LBB490_23
.LBB490_22:                             ;   in Loop: Header=BB490_6 Depth=1
	v_lshlrev_b64_e32 v[18:19], 3, v[4:5]
	s_delay_alu instid0(VALU_DEP_1) | instskip(SKIP_1) | instid1(VALU_DEP_2)
	v_add_co_u32 v18, vcc_lo, v23, v18
	s_wait_alu 0xfffd
	v_add_co_ci_u32_e64 v19, null, v24, v19, vcc_lo
	flat_store_b64 v[18:19], v[16:17]
.LBB490_23:                             ;   in Loop: Header=BB490_6 Depth=1
	s_wait_alu 0xfffe
	s_or_b32 exec_lo, exec_lo, s16
	v_add_co_u32 v2, vcc_lo, v2, v10
	s_wait_alu 0xfffd
	v_add_co_ci_u32_e64 v18, null, v22, v11, vcc_lo
	s_and_saveexec_b32 s16, s35
	s_cbranch_execz .LBB490_27
; %bb.24:                               ;   in Loop: Header=BB490_6 Depth=1
	v_mul_f64_e32 v[14:15], s[10:11], v[14:15]
	v_lshlrev_b64_e32 v[16:17], 3, v[0:1]
	s_and_not1_b32 vcc_lo, exec_lo, s34
	s_wait_alu 0xfffe
	s_cbranch_vccnz .LBB490_32
; %bb.25:                               ;   in Loop: Header=BB490_6 Depth=1
	s_delay_alu instid0(VALU_DEP_1)
	v_add_co_u32 v19, vcc_lo, v2, v16
	s_wait_alu 0xfffd
	v_add_co_ci_u32_e64 v20, null, v18, v17, vcc_lo
	flat_load_b64 v[21:22], v[19:20]
	s_wait_loadcnt_dscnt 0x0
	v_fma_f64 v[21:22], s[24:25], v[21:22], v[14:15]
	flat_store_b64 v[19:20], v[21:22]
	s_cbranch_execnz .LBB490_27
.LBB490_26:                             ;   in Loop: Header=BB490_6 Depth=1
	s_delay_alu instid0(VALU_DEP_1)
	v_add_co_u32 v16, vcc_lo, v2, v16
	s_wait_alu 0xfffd
	v_add_co_ci_u32_e64 v17, null, v18, v17, vcc_lo
	flat_store_b64 v[16:17], v[14:15]
.LBB490_27:                             ;   in Loop: Header=BB490_6 Depth=1
	s_wait_alu 0xfffe
	s_or_b32 exec_lo, exec_lo, s16
	s_and_saveexec_b32 s16, s36
	s_cbranch_execz .LBB490_5
; %bb.28:                               ;   in Loop: Header=BB490_6 Depth=1
	v_mul_f64_e32 v[12:13], s[10:11], v[12:13]
	v_lshlrev_b64_e32 v[14:15], 3, v[4:5]
	s_and_not1_b32 vcc_lo, exec_lo, s34
	s_wait_alu 0xfffe
	s_cbranch_vccnz .LBB490_33
; %bb.29:                               ;   in Loop: Header=BB490_6 Depth=1
	s_delay_alu instid0(VALU_DEP_1)
	v_add_co_u32 v16, vcc_lo, v2, v14
	s_wait_alu 0xfffd
	v_add_co_ci_u32_e64 v17, null, v18, v15, vcc_lo
	flat_load_b64 v[19:20], v[16:17]
	s_wait_loadcnt_dscnt 0x0
	v_fma_f64 v[19:20], s[24:25], v[19:20], v[12:13]
	flat_store_b64 v[16:17], v[19:20]
	s_cbranch_execnz .LBB490_5
	s_branch .LBB490_34
.LBB490_30:                             ;   in Loop: Header=BB490_6 Depth=1
	s_branch .LBB490_18
.LBB490_31:                             ;   in Loop: Header=BB490_6 Depth=1
	s_branch .LBB490_22
.LBB490_32:                             ;   in Loop: Header=BB490_6 Depth=1
	s_branch .LBB490_26
.LBB490_33:                             ;   in Loop: Header=BB490_6 Depth=1
.LBB490_34:                             ;   in Loop: Header=BB490_6 Depth=1
	s_delay_alu instid0(VALU_DEP_1)
	v_add_co_u32 v14, vcc_lo, v2, v14
	s_wait_alu 0xfffd
	v_add_co_ci_u32_e64 v15, null, v18, v15, vcc_lo
	flat_store_b64 v[14:15], v[12:13]
	s_branch .LBB490_5
.LBB490_35:
	s_endpgm
	.section	.rodata,"a",@progbits
	.p2align	6, 0x0
	.amdhsa_kernel _ZL29rocblas_internal_gemmt_kernelIlLi16ELi32ELi8ELc84ELc84ELc85ELb0ELb0EddPKPKdPKPdEviT_T9_T10_S7_lS9_S7_lS8_T11_S7_li
		.amdhsa_group_segment_fixed_size 4096
		.amdhsa_private_segment_fixed_size 0
		.amdhsa_kernarg_size 108
		.amdhsa_user_sgpr_count 2
		.amdhsa_user_sgpr_dispatch_ptr 0
		.amdhsa_user_sgpr_queue_ptr 0
		.amdhsa_user_sgpr_kernarg_segment_ptr 1
		.amdhsa_user_sgpr_dispatch_id 0
		.amdhsa_user_sgpr_private_segment_size 0
		.amdhsa_wavefront_size32 1
		.amdhsa_uses_dynamic_stack 0
		.amdhsa_enable_private_segment 0
		.amdhsa_system_sgpr_workgroup_id_x 1
		.amdhsa_system_sgpr_workgroup_id_y 1
		.amdhsa_system_sgpr_workgroup_id_z 1
		.amdhsa_system_sgpr_workgroup_info 0
		.amdhsa_system_vgpr_workitem_id 1
		.amdhsa_next_free_vgpr 53
		.amdhsa_next_free_sgpr 39
		.amdhsa_reserve_vcc 1
		.amdhsa_float_round_mode_32 0
		.amdhsa_float_round_mode_16_64 0
		.amdhsa_float_denorm_mode_32 3
		.amdhsa_float_denorm_mode_16_64 3
		.amdhsa_fp16_overflow 0
		.amdhsa_workgroup_processor_mode 1
		.amdhsa_memory_ordered 1
		.amdhsa_forward_progress 1
		.amdhsa_inst_pref_size 17
		.amdhsa_round_robin_scheduling 0
		.amdhsa_exception_fp_ieee_invalid_op 0
		.amdhsa_exception_fp_denorm_src 0
		.amdhsa_exception_fp_ieee_div_zero 0
		.amdhsa_exception_fp_ieee_overflow 0
		.amdhsa_exception_fp_ieee_underflow 0
		.amdhsa_exception_fp_ieee_inexact 0
		.amdhsa_exception_int_div_zero 0
	.end_amdhsa_kernel
	.section	.text._ZL29rocblas_internal_gemmt_kernelIlLi16ELi32ELi8ELc84ELc84ELc85ELb0ELb0EddPKPKdPKPdEviT_T9_T10_S7_lS9_S7_lS8_T11_S7_li,"axG",@progbits,_ZL29rocblas_internal_gemmt_kernelIlLi16ELi32ELi8ELc84ELc84ELc85ELb0ELb0EddPKPKdPKPdEviT_T9_T10_S7_lS9_S7_lS8_T11_S7_li,comdat
.Lfunc_end490:
	.size	_ZL29rocblas_internal_gemmt_kernelIlLi16ELi32ELi8ELc84ELc84ELc85ELb0ELb0EddPKPKdPKPdEviT_T9_T10_S7_lS9_S7_lS8_T11_S7_li, .Lfunc_end490-_ZL29rocblas_internal_gemmt_kernelIlLi16ELi32ELi8ELc84ELc84ELc85ELb0ELb0EddPKPKdPKPdEviT_T9_T10_S7_lS9_S7_lS8_T11_S7_li
                                        ; -- End function
	.set _ZL29rocblas_internal_gemmt_kernelIlLi16ELi32ELi8ELc84ELc84ELc85ELb0ELb0EddPKPKdPKPdEviT_T9_T10_S7_lS9_S7_lS8_T11_S7_li.num_vgpr, 53
	.set _ZL29rocblas_internal_gemmt_kernelIlLi16ELi32ELi8ELc84ELc84ELc85ELb0ELb0EddPKPKdPKPdEviT_T9_T10_S7_lS9_S7_lS8_T11_S7_li.num_agpr, 0
	.set _ZL29rocblas_internal_gemmt_kernelIlLi16ELi32ELi8ELc84ELc84ELc85ELb0ELb0EddPKPKdPKPdEviT_T9_T10_S7_lS9_S7_lS8_T11_S7_li.numbered_sgpr, 39
	.set _ZL29rocblas_internal_gemmt_kernelIlLi16ELi32ELi8ELc84ELc84ELc85ELb0ELb0EddPKPKdPKPdEviT_T9_T10_S7_lS9_S7_lS8_T11_S7_li.num_named_barrier, 0
	.set _ZL29rocblas_internal_gemmt_kernelIlLi16ELi32ELi8ELc84ELc84ELc85ELb0ELb0EddPKPKdPKPdEviT_T9_T10_S7_lS9_S7_lS8_T11_S7_li.private_seg_size, 0
	.set _ZL29rocblas_internal_gemmt_kernelIlLi16ELi32ELi8ELc84ELc84ELc85ELb0ELb0EddPKPKdPKPdEviT_T9_T10_S7_lS9_S7_lS8_T11_S7_li.uses_vcc, 1
	.set _ZL29rocblas_internal_gemmt_kernelIlLi16ELi32ELi8ELc84ELc84ELc85ELb0ELb0EddPKPKdPKPdEviT_T9_T10_S7_lS9_S7_lS8_T11_S7_li.uses_flat_scratch, 0
	.set _ZL29rocblas_internal_gemmt_kernelIlLi16ELi32ELi8ELc84ELc84ELc85ELb0ELb0EddPKPKdPKPdEviT_T9_T10_S7_lS9_S7_lS8_T11_S7_li.has_dyn_sized_stack, 0
	.set _ZL29rocblas_internal_gemmt_kernelIlLi16ELi32ELi8ELc84ELc84ELc85ELb0ELb0EddPKPKdPKPdEviT_T9_T10_S7_lS9_S7_lS8_T11_S7_li.has_recursion, 0
	.set _ZL29rocblas_internal_gemmt_kernelIlLi16ELi32ELi8ELc84ELc84ELc85ELb0ELb0EddPKPKdPKPdEviT_T9_T10_S7_lS9_S7_lS8_T11_S7_li.has_indirect_call, 0
	.section	.AMDGPU.csdata,"",@progbits
; Kernel info:
; codeLenInByte = 2116
; TotalNumSgprs: 41
; NumVgprs: 53
; ScratchSize: 0
; MemoryBound: 0
; FloatMode: 240
; IeeeMode: 1
; LDSByteSize: 4096 bytes/workgroup (compile time only)
; SGPRBlocks: 0
; VGPRBlocks: 6
; NumSGPRsForWavesPerEU: 41
; NumVGPRsForWavesPerEU: 53
; Occupancy: 16
; WaveLimiterHint : 1
; COMPUTE_PGM_RSRC2:SCRATCH_EN: 0
; COMPUTE_PGM_RSRC2:USER_SGPR: 2
; COMPUTE_PGM_RSRC2:TRAP_HANDLER: 0
; COMPUTE_PGM_RSRC2:TGID_X_EN: 1
; COMPUTE_PGM_RSRC2:TGID_Y_EN: 1
; COMPUTE_PGM_RSRC2:TGID_Z_EN: 1
; COMPUTE_PGM_RSRC2:TIDIG_COMP_CNT: 1
	.section	.text._ZL29rocblas_internal_gemmt_kernelIlLi16ELi32ELi8ELc84ELc67ELc85ELb0ELb0EddPKPKdPKPdEviT_T9_T10_S7_lS9_S7_lS8_T11_S7_li,"axG",@progbits,_ZL29rocblas_internal_gemmt_kernelIlLi16ELi32ELi8ELc84ELc67ELc85ELb0ELb0EddPKPKdPKPdEviT_T9_T10_S7_lS9_S7_lS8_T11_S7_li,comdat
	.globl	_ZL29rocblas_internal_gemmt_kernelIlLi16ELi32ELi8ELc84ELc67ELc85ELb0ELb0EddPKPKdPKPdEviT_T9_T10_S7_lS9_S7_lS8_T11_S7_li ; -- Begin function _ZL29rocblas_internal_gemmt_kernelIlLi16ELi32ELi8ELc84ELc67ELc85ELb0ELb0EddPKPKdPKPdEviT_T9_T10_S7_lS9_S7_lS8_T11_S7_li
	.p2align	8
	.type	_ZL29rocblas_internal_gemmt_kernelIlLi16ELi32ELi8ELc84ELc67ELc85ELb0ELb0EddPKPKdPKPdEviT_T9_T10_S7_lS9_S7_lS8_T11_S7_li,@function
_ZL29rocblas_internal_gemmt_kernelIlLi16ELi32ELi8ELc84ELc67ELc85ELb0ELb0EddPKPKdPKPdEviT_T9_T10_S7_lS9_S7_lS8_T11_S7_li: ; @_ZL29rocblas_internal_gemmt_kernelIlLi16ELi32ELi8ELc84ELc67ELc85ELb0ELb0EddPKPKdPKPdEviT_T9_T10_S7_lS9_S7_lS8_T11_S7_li
; %bb.0:
	s_clause 0x1
	s_load_b256 s[24:31], s[0:1], 0x48
	s_load_b512 s[8:23], s[0:1], 0x8
	s_wait_kmcnt 0x0
	v_cmp_neq_f64_e64 s2, s[24:25], 1.0
	s_and_b32 vcc_lo, exec_lo, s2
	s_cbranch_vccnz .LBB491_2
; %bb.1:
	v_cmp_neq_f64_e64 s2, s[10:11], 0
	s_cmp_lg_u64 s[8:9], 0
	s_cselect_b32 s3, -1, 0
	s_delay_alu instid0(SALU_CYCLE_1)
	s_and_b32 s2, s3, s2
.LBB491_2:
	s_delay_alu instid0(SALU_CYCLE_1)
	s_and_not1_b32 vcc_lo, exec_lo, s2
	s_cbranch_vccnz .LBB491_35
; %bb.3:
	s_load_b32 s33, s[0:1], 0x68
	s_lshr_b32 s6, ttmp7, 16
	s_wait_kmcnt 0x0
	s_cmp_ge_u32 s6, s33
	s_cbranch_scc1 .LBB491_35
; %bb.4:
	v_bfe_u32 v5, v0, 10, 10
	s_load_b32 s3, s[0:1], 0x0
	s_lshl_b32 s0, ttmp7, 5
	v_and_b32_e32 v26, 7, v0
	s_and_b32 s0, s0, 0x1fffe0
	s_lshl_b32 s2, ttmp9, 5
	v_add_nc_u32_e32 v13, s0, v5
	v_cmp_neq_f64_e64 s37, s[10:11], 0
	v_cmp_neq_f64_e64 s34, s[24:25], 0
	s_ashr_i32 s1, s2, 31
	v_lshlrev_b32_e32 v3, 3, v26
	v_mad_co_u64_u32 v[8:9], null, s28, v13, 0
	v_and_b32_e32 v4, 0x3ff, v0
	v_add_nc_u32_e32 v15, 16, v13
	s_wait_alu 0xfffe
	s_mul_i32 s1, s14, s1
	v_cmp_gt_i64_e64 s38, s[8:9], 0
	v_lshl_add_u32 v31, v5, 6, 0x800
	v_lshl_add_u32 v0, v5, 4, v4
	s_mov_b32 s7, 0
	s_wait_kmcnt 0x0
	v_cmp_gt_i32_e32 vcc_lo, s3, v13
	s_delay_alu instid0(VALU_DEP_2) | instskip(SKIP_2) | instid1(VALU_DEP_3)
	v_and_b32_e32 v1, 31, v0
	v_lshrrev_b32_e32 v27, 5, v0
	v_lshrrev_b32_e32 v0, 3, v0
	v_or_b32_e32 v2, s2, v1
	v_lshlrev_b32_e32 v1, 3, v1
	s_delay_alu instid0(VALU_DEP_3)
	v_add_nc_u32_e32 v14, s0, v0
	v_lshl_or_b32 v0, v0, 6, v3
	v_mov_b32_e32 v3, 0
	v_mul_lo_u32 v10, s15, v2
	v_mad_co_u64_u32 v[6:7], null, s14, v2, 0
	v_lshl_or_b32 v28, v27, 8, v1
	v_mov_b32_e32 v1, v9
	v_cmp_gt_i32_e64 s0, s3, v2
	v_add_nc_u32_e32 v29, 0x800, v0
	v_add_nc_u32_e32 v0, s2, v4
	v_lshlrev_b32_e32 v30, 3, v4
	s_wait_alu 0xfffe
	v_add3_u32 v7, v7, s1, v10
	v_mad_co_u64_u32 v[10:11], null, s28, v15, 0
	v_mad_co_u64_u32 v[1:2], null, s29, v13, v[1:2]
	v_cmp_le_i32_e64 s2, v0, v13
	v_add_nc_u32_e32 v4, 16, v0
	v_cmp_le_i32_e64 s4, v0, v15
	v_lshlrev_b64_e32 v[6:7], 3, v[6:7]
	v_mov_b32_e32 v2, v11
	s_and_b32 s28, vcc_lo, s2
	v_mov_b32_e32 v9, v1
	v_cmp_gt_i32_e64 s1, s3, v14
	v_cmp_le_i32_e64 s2, v4, v13
	v_mad_co_u64_u32 v[11:12], null, s29, v15, v[2:3]
	v_cmp_gt_i32_e64 s3, s3, v15
	v_cmp_le_i32_e64 s5, v4, v15
	v_lshlrev_b64_e32 v[8:9], 3, v[8:9]
	v_ashrrev_i32_e32 v1, 31, v0
	v_ashrrev_i32_e32 v5, 31, v4
	v_lshlrev_b32_e32 v32, 3, v14
	v_lshlrev_b64_e32 v[10:11], 3, v[10:11]
	s_and_b32 s29, vcc_lo, s2
	s_and_b32 s35, s3, s4
	s_and_b32 s36, s3, s5
	;; [unrolled: 1-line block ×3, first 2 shown]
	s_lshl_b64 s[2:3], s[22:23], 3
	s_lshl_b64 s[4:5], s[16:17], 3
	;; [unrolled: 1-line block ×3, first 2 shown]
	s_branch .LBB491_6
.LBB491_5:                              ;   in Loop: Header=BB491_6 Depth=1
	s_wait_alu 0xfffe
	s_or_b32 exec_lo, exec_lo, s16
	s_add_co_i32 s6, s6, 0x10000
	s_delay_alu instid0(SALU_CYCLE_1)
	s_cmp_lt_u32 s6, s33
	s_cbranch_scc0 .LBB491_35
.LBB491_6:                              ; =>This Loop Header: Depth=1
                                        ;     Child Loop BB491_9 Depth 2
	s_lshl_b64 s[16:17], s[6:7], 3
	v_mov_b32_e32 v20, 0
	s_wait_alu 0xfffe
	s_add_nc_u64 s[22:23], s[26:27], s[16:17]
	v_mov_b32_e32 v14, 0
	global_load_b64 v[16:17], v3, s[22:23]
	v_dual_mov_b32 v21, 0 :: v_dual_mov_b32 v18, 0
	v_dual_mov_b32 v15, 0 :: v_dual_mov_b32 v12, 0
	v_mov_b32_e32 v19, 0
	v_mov_b32_e32 v13, 0
	s_and_not1_b32 vcc_lo, exec_lo, s37
	s_wait_alu 0xfffe
	s_cbranch_vccnz .LBB491_15
; %bb.7:                                ;   in Loop: Header=BB491_6 Depth=1
	s_add_nc_u64 s[22:23], s[12:13], s[16:17]
	s_add_nc_u64 s[16:17], s[18:19], s[16:17]
	s_clause 0x1
	global_load_b64 v[22:23], v3, s[22:23]
	global_load_b64 v[24:25], v3, s[16:17]
	v_mov_b32_e32 v12, 0
	v_dual_mov_b32 v18, 0 :: v_dual_mov_b32 v13, 0
	v_dual_mov_b32 v14, 0 :: v_dual_mov_b32 v19, 0
	v_dual_mov_b32 v20, 0 :: v_dual_mov_b32 v15, 0
	v_mov_b32_e32 v21, 0
	s_mov_b64 s[16:17], 0
	s_wait_loadcnt 0x1
	v_add_co_u32 v2, vcc_lo, v22, s4
	s_wait_alu 0xfffd
	v_add_co_ci_u32_e64 v22, null, s5, v23, vcc_lo
	s_wait_loadcnt 0x0
	v_add_co_u32 v23, vcc_lo, v24, s2
	s_wait_alu 0xfffd
	v_add_co_ci_u32_e64 v24, null, s3, v25, vcc_lo
	v_add_co_u32 v33, vcc_lo, v2, v6
	s_wait_alu 0xfffd
	v_add_co_ci_u32_e64 v34, null, v22, v7, vcc_lo
	;; [unrolled: 3-line block ×3, first 2 shown]
	s_branch .LBB491_9
.LBB491_8:                              ;   in Loop: Header=BB491_9 Depth=2
	s_or_b32 exec_lo, exec_lo, s22
	s_wait_loadcnt_dscnt 0x0
	ds_store_b64 v29, v[24:25]
	s_wait_dscnt 0x0
	s_barrier_signal -1
	s_barrier_wait -1
	global_inv scope:SCOPE_SE
	ds_load_b128 v[22:25], v31
	ds_load_2addr_b64 v[37:40], v30 offset1:16
	ds_load_b128 v[41:44], v31 offset:1024
	ds_load_b128 v[45:48], v31 offset:16
	;; [unrolled: 1-line block ×3, first 2 shown]
	s_add_nc_u64 s[16:17], s[16:17], 8
	s_wait_alu 0xfffe
	v_cmp_gt_i64_e64 s22, s[8:9], s[16:17]
	s_and_b32 vcc_lo, exec_lo, s22
	s_wait_dscnt 0x3
	v_fma_f64 v[20:21], v[37:38], v[22:23], v[20:21]
	v_fma_f64 v[18:19], v[39:40], v[22:23], v[18:19]
	s_wait_dscnt 0x2
	v_fma_f64 v[22:23], v[37:38], v[41:42], v[14:15]
	v_fma_f64 v[37:38], v[39:40], v[41:42], v[12:13]
	ds_load_2addr_b64 v[12:15], v30 offset0:32 offset1:48
	s_wait_dscnt 0x0
	v_fma_f64 v[20:21], v[12:13], v[24:25], v[20:21]
	v_fma_f64 v[18:19], v[14:15], v[24:25], v[18:19]
	v_fma_f64 v[22:23], v[12:13], v[43:44], v[22:23]
	v_fma_f64 v[24:25], v[14:15], v[43:44], v[37:38]
	ds_load_2addr_b64 v[12:15], v30 offset0:64 offset1:80
	s_wait_dscnt 0x0
	v_fma_f64 v[20:21], v[12:13], v[45:46], v[20:21]
	v_fma_f64 v[18:19], v[14:15], v[45:46], v[18:19]
	;; [unrolled: 6-line block ×3, first 2 shown]
	v_fma_f64 v[49:50], v[12:13], v[51:52], v[22:23]
	v_fma_f64 v[51:52], v[14:15], v[51:52], v[24:25]
	ds_load_b128 v[12:15], v31 offset:32
	ds_load_2addr_b64 v[18:21], v30 offset0:128 offset1:144
	ds_load_b128 v[22:25], v31 offset:1056
	ds_load_b128 v[37:40], v31 offset:48
	;; [unrolled: 1-line block ×3, first 2 shown]
	s_wait_dscnt 0x3
	v_fma_f64 v[45:46], v[18:19], v[12:13], v[45:46]
	v_fma_f64 v[12:13], v[20:21], v[12:13], v[47:48]
	s_wait_dscnt 0x2
	v_fma_f64 v[47:48], v[18:19], v[22:23], v[49:50]
	v_fma_f64 v[22:23], v[20:21], v[22:23], v[51:52]
	ds_load_2addr_b64 v[18:21], v30 offset0:160 offset1:176
	s_wait_dscnt 0x0
	v_fma_f64 v[45:46], v[18:19], v[14:15], v[45:46]
	v_fma_f64 v[49:50], v[20:21], v[14:15], v[12:13]
	;; [unrolled: 1-line block ×4, first 2 shown]
	ds_load_2addr_b64 v[12:15], v30 offset0:192 offset1:208
	ds_load_2addr_b64 v[22:25], v30 offset0:224 offset1:240
	s_wait_loadcnt_dscnt 0x0
	s_barrier_signal -1
	s_barrier_wait -1
	global_inv scope:SCOPE_SE
	v_fma_f64 v[45:46], v[12:13], v[37:38], v[45:46]
	v_fma_f64 v[37:38], v[14:15], v[37:38], v[49:50]
	;; [unrolled: 1-line block ×4, first 2 shown]
	s_delay_alu instid0(VALU_DEP_4) | instskip(NEXT) | instid1(VALU_DEP_4)
	v_fma_f64 v[20:21], v[22:23], v[39:40], v[45:46]
	v_fma_f64 v[18:19], v[24:25], v[39:40], v[37:38]
	s_delay_alu instid0(VALU_DEP_4) | instskip(NEXT) | instid1(VALU_DEP_4)
	v_fma_f64 v[14:15], v[22:23], v[43:44], v[12:13]
	v_fma_f64 v[12:13], v[24:25], v[43:44], v[41:42]
	s_wait_alu 0xfffe
	s_cbranch_vccz .LBB491_15
.LBB491_9:                              ;   Parent Loop BB491_6 Depth=1
                                        ; =>  This Inner Loop Header: Depth=2
	v_mov_b32_e32 v22, 0
	v_mov_b32_e32 v23, 0
	s_and_saveexec_b32 s22, s0
	s_cbranch_execz .LBB491_13
; %bb.10:                               ;   in Loop: Header=BB491_9 Depth=2
	v_mov_b32_e32 v22, 0
	s_wait_alu 0xfffe
	v_dual_mov_b32 v23, 0 :: v_dual_add_nc_u32 v2, s16, v27
	s_mov_b32 s23, exec_lo
	s_delay_alu instid0(VALU_DEP_1)
	v_cmpx_gt_u64_e64 s[8:9], v[2:3]
	s_cbranch_execz .LBB491_12
; %bb.11:                               ;   in Loop: Header=BB491_9 Depth=2
	v_lshlrev_b64_e32 v[22:23], 3, v[2:3]
	s_delay_alu instid0(VALU_DEP_1) | instskip(SKIP_1) | instid1(VALU_DEP_2)
	v_add_co_u32 v22, vcc_lo, v33, v22
	s_wait_alu 0xfffd
	v_add_co_ci_u32_e64 v23, null, v34, v23, vcc_lo
	flat_load_b64 v[22:23], v[22:23]
.LBB491_12:                             ;   in Loop: Header=BB491_9 Depth=2
	s_or_b32 exec_lo, exec_lo, s23
.LBB491_13:                             ;   in Loop: Header=BB491_9 Depth=2
	s_delay_alu instid0(SALU_CYCLE_1)
	s_or_b32 exec_lo, exec_lo, s22
	s_wait_alu 0xfffe
	v_add_nc_u32_e32 v2, s16, v26
	v_mov_b32_e32 v24, 0
	v_mov_b32_e32 v25, 0
	s_wait_loadcnt_dscnt 0x0
	ds_store_b64 v28, v[22:23]
	v_cmp_gt_u64_e32 vcc_lo, s[8:9], v[2:3]
	s_and_b32 s23, vcc_lo, s1
	s_delay_alu instid0(SALU_CYCLE_1)
	s_and_saveexec_b32 s22, s23
	s_cbranch_execz .LBB491_8
; %bb.14:                               ;   in Loop: Header=BB491_9 Depth=2
	v_mad_co_u64_u32 v[22:23], null, s20, v2, 0
	s_delay_alu instid0(VALU_DEP_1) | instskip(NEXT) | instid1(VALU_DEP_1)
	v_mad_co_u64_u32 v[23:24], null, s21, v2, v[23:24]
	v_lshlrev_b64_e32 v[22:23], 3, v[22:23]
	s_delay_alu instid0(VALU_DEP_1) | instskip(SKIP_1) | instid1(VALU_DEP_2)
	v_add_co_u32 v22, vcc_lo, v35, v22
	s_wait_alu 0xfffd
	v_add_co_ci_u32_e64 v23, null, v36, v23, vcc_lo
	flat_load_b64 v[24:25], v[22:23]
	s_branch .LBB491_8
.LBB491_15:                             ;   in Loop: Header=BB491_6 Depth=1
	s_wait_loadcnt 0x0
	s_wait_alu 0xfffe
	v_add_co_u32 v2, vcc_lo, v16, s14
	s_wait_alu 0xfffd
	v_add_co_ci_u32_e64 v22, null, s15, v17, vcc_lo
	s_delay_alu instid0(VALU_DEP_2) | instskip(SKIP_1) | instid1(VALU_DEP_2)
	v_add_co_u32 v23, vcc_lo, v2, v8
	s_wait_alu 0xfffd
	v_add_co_ci_u32_e64 v24, null, v22, v9, vcc_lo
	s_and_saveexec_b32 s16, s28
	s_cbranch_execz .LBB491_19
; %bb.16:                               ;   in Loop: Header=BB491_6 Depth=1
	v_mul_f64_e32 v[16:17], s[10:11], v[20:21]
	s_and_b32 vcc_lo, exec_lo, s34
	s_wait_alu 0xfffe
	s_cbranch_vccz .LBB491_30
; %bb.17:                               ;   in Loop: Header=BB491_6 Depth=1
	v_lshlrev_b64_e32 v[20:21], 3, v[0:1]
	s_delay_alu instid0(VALU_DEP_1) | instskip(SKIP_1) | instid1(VALU_DEP_2)
	v_add_co_u32 v20, vcc_lo, v23, v20
	s_wait_alu 0xfffd
	v_add_co_ci_u32_e64 v21, null, v24, v21, vcc_lo
	flat_load_b64 v[33:34], v[20:21]
	s_wait_loadcnt_dscnt 0x0
	v_fma_f64 v[33:34], s[24:25], v[33:34], v[16:17]
	flat_store_b64 v[20:21], v[33:34]
	s_cbranch_execnz .LBB491_19
.LBB491_18:                             ;   in Loop: Header=BB491_6 Depth=1
	v_lshlrev_b64_e32 v[20:21], 3, v[0:1]
	s_delay_alu instid0(VALU_DEP_1) | instskip(SKIP_1) | instid1(VALU_DEP_2)
	v_add_co_u32 v20, vcc_lo, v23, v20
	s_wait_alu 0xfffd
	v_add_co_ci_u32_e64 v21, null, v24, v21, vcc_lo
	flat_store_b64 v[20:21], v[16:17]
.LBB491_19:                             ;   in Loop: Header=BB491_6 Depth=1
	s_wait_alu 0xfffe
	s_or_b32 exec_lo, exec_lo, s16
	s_and_saveexec_b32 s16, s29
	s_cbranch_execz .LBB491_23
; %bb.20:                               ;   in Loop: Header=BB491_6 Depth=1
	v_mul_f64_e32 v[16:17], s[10:11], v[18:19]
	s_and_not1_b32 vcc_lo, exec_lo, s34
	s_wait_alu 0xfffe
	s_cbranch_vccnz .LBB491_31
; %bb.21:                               ;   in Loop: Header=BB491_6 Depth=1
	v_lshlrev_b64_e32 v[18:19], 3, v[4:5]
	s_delay_alu instid0(VALU_DEP_1) | instskip(SKIP_1) | instid1(VALU_DEP_2)
	v_add_co_u32 v18, vcc_lo, v23, v18
	s_wait_alu 0xfffd
	v_add_co_ci_u32_e64 v19, null, v24, v19, vcc_lo
	flat_load_b64 v[20:21], v[18:19]
	s_wait_loadcnt_dscnt 0x0
	v_fma_f64 v[20:21], s[24:25], v[20:21], v[16:17]
	flat_store_b64 v[18:19], v[20:21]
	s_cbranch_execnz .LBB491_23
.LBB491_22:                             ;   in Loop: Header=BB491_6 Depth=1
	v_lshlrev_b64_e32 v[18:19], 3, v[4:5]
	s_delay_alu instid0(VALU_DEP_1) | instskip(SKIP_1) | instid1(VALU_DEP_2)
	v_add_co_u32 v18, vcc_lo, v23, v18
	s_wait_alu 0xfffd
	v_add_co_ci_u32_e64 v19, null, v24, v19, vcc_lo
	flat_store_b64 v[18:19], v[16:17]
.LBB491_23:                             ;   in Loop: Header=BB491_6 Depth=1
	s_wait_alu 0xfffe
	s_or_b32 exec_lo, exec_lo, s16
	v_add_co_u32 v2, vcc_lo, v2, v10
	s_wait_alu 0xfffd
	v_add_co_ci_u32_e64 v18, null, v22, v11, vcc_lo
	s_and_saveexec_b32 s16, s35
	s_cbranch_execz .LBB491_27
; %bb.24:                               ;   in Loop: Header=BB491_6 Depth=1
	v_mul_f64_e32 v[14:15], s[10:11], v[14:15]
	v_lshlrev_b64_e32 v[16:17], 3, v[0:1]
	s_and_not1_b32 vcc_lo, exec_lo, s34
	s_wait_alu 0xfffe
	s_cbranch_vccnz .LBB491_32
; %bb.25:                               ;   in Loop: Header=BB491_6 Depth=1
	s_delay_alu instid0(VALU_DEP_1)
	v_add_co_u32 v19, vcc_lo, v2, v16
	s_wait_alu 0xfffd
	v_add_co_ci_u32_e64 v20, null, v18, v17, vcc_lo
	flat_load_b64 v[21:22], v[19:20]
	s_wait_loadcnt_dscnt 0x0
	v_fma_f64 v[21:22], s[24:25], v[21:22], v[14:15]
	flat_store_b64 v[19:20], v[21:22]
	s_cbranch_execnz .LBB491_27
.LBB491_26:                             ;   in Loop: Header=BB491_6 Depth=1
	s_delay_alu instid0(VALU_DEP_1)
	v_add_co_u32 v16, vcc_lo, v2, v16
	s_wait_alu 0xfffd
	v_add_co_ci_u32_e64 v17, null, v18, v17, vcc_lo
	flat_store_b64 v[16:17], v[14:15]
.LBB491_27:                             ;   in Loop: Header=BB491_6 Depth=1
	s_wait_alu 0xfffe
	s_or_b32 exec_lo, exec_lo, s16
	s_and_saveexec_b32 s16, s36
	s_cbranch_execz .LBB491_5
; %bb.28:                               ;   in Loop: Header=BB491_6 Depth=1
	v_mul_f64_e32 v[12:13], s[10:11], v[12:13]
	v_lshlrev_b64_e32 v[14:15], 3, v[4:5]
	s_and_not1_b32 vcc_lo, exec_lo, s34
	s_wait_alu 0xfffe
	s_cbranch_vccnz .LBB491_33
; %bb.29:                               ;   in Loop: Header=BB491_6 Depth=1
	s_delay_alu instid0(VALU_DEP_1)
	v_add_co_u32 v16, vcc_lo, v2, v14
	s_wait_alu 0xfffd
	v_add_co_ci_u32_e64 v17, null, v18, v15, vcc_lo
	flat_load_b64 v[19:20], v[16:17]
	s_wait_loadcnt_dscnt 0x0
	v_fma_f64 v[19:20], s[24:25], v[19:20], v[12:13]
	flat_store_b64 v[16:17], v[19:20]
	s_cbranch_execnz .LBB491_5
	s_branch .LBB491_34
.LBB491_30:                             ;   in Loop: Header=BB491_6 Depth=1
	s_branch .LBB491_18
.LBB491_31:                             ;   in Loop: Header=BB491_6 Depth=1
	s_branch .LBB491_22
.LBB491_32:                             ;   in Loop: Header=BB491_6 Depth=1
	s_branch .LBB491_26
.LBB491_33:                             ;   in Loop: Header=BB491_6 Depth=1
.LBB491_34:                             ;   in Loop: Header=BB491_6 Depth=1
	s_delay_alu instid0(VALU_DEP_1)
	v_add_co_u32 v14, vcc_lo, v2, v14
	s_wait_alu 0xfffd
	v_add_co_ci_u32_e64 v15, null, v18, v15, vcc_lo
	flat_store_b64 v[14:15], v[12:13]
	s_branch .LBB491_5
.LBB491_35:
	s_endpgm
	.section	.rodata,"a",@progbits
	.p2align	6, 0x0
	.amdhsa_kernel _ZL29rocblas_internal_gemmt_kernelIlLi16ELi32ELi8ELc84ELc67ELc85ELb0ELb0EddPKPKdPKPdEviT_T9_T10_S7_lS9_S7_lS8_T11_S7_li
		.amdhsa_group_segment_fixed_size 4096
		.amdhsa_private_segment_fixed_size 0
		.amdhsa_kernarg_size 108
		.amdhsa_user_sgpr_count 2
		.amdhsa_user_sgpr_dispatch_ptr 0
		.amdhsa_user_sgpr_queue_ptr 0
		.amdhsa_user_sgpr_kernarg_segment_ptr 1
		.amdhsa_user_sgpr_dispatch_id 0
		.amdhsa_user_sgpr_private_segment_size 0
		.amdhsa_wavefront_size32 1
		.amdhsa_uses_dynamic_stack 0
		.amdhsa_enable_private_segment 0
		.amdhsa_system_sgpr_workgroup_id_x 1
		.amdhsa_system_sgpr_workgroup_id_y 1
		.amdhsa_system_sgpr_workgroup_id_z 1
		.amdhsa_system_sgpr_workgroup_info 0
		.amdhsa_system_vgpr_workitem_id 1
		.amdhsa_next_free_vgpr 53
		.amdhsa_next_free_sgpr 39
		.amdhsa_reserve_vcc 1
		.amdhsa_float_round_mode_32 0
		.amdhsa_float_round_mode_16_64 0
		.amdhsa_float_denorm_mode_32 3
		.amdhsa_float_denorm_mode_16_64 3
		.amdhsa_fp16_overflow 0
		.amdhsa_workgroup_processor_mode 1
		.amdhsa_memory_ordered 1
		.amdhsa_forward_progress 1
		.amdhsa_inst_pref_size 17
		.amdhsa_round_robin_scheduling 0
		.amdhsa_exception_fp_ieee_invalid_op 0
		.amdhsa_exception_fp_denorm_src 0
		.amdhsa_exception_fp_ieee_div_zero 0
		.amdhsa_exception_fp_ieee_overflow 0
		.amdhsa_exception_fp_ieee_underflow 0
		.amdhsa_exception_fp_ieee_inexact 0
		.amdhsa_exception_int_div_zero 0
	.end_amdhsa_kernel
	.section	.text._ZL29rocblas_internal_gemmt_kernelIlLi16ELi32ELi8ELc84ELc67ELc85ELb0ELb0EddPKPKdPKPdEviT_T9_T10_S7_lS9_S7_lS8_T11_S7_li,"axG",@progbits,_ZL29rocblas_internal_gemmt_kernelIlLi16ELi32ELi8ELc84ELc67ELc85ELb0ELb0EddPKPKdPKPdEviT_T9_T10_S7_lS9_S7_lS8_T11_S7_li,comdat
.Lfunc_end491:
	.size	_ZL29rocblas_internal_gemmt_kernelIlLi16ELi32ELi8ELc84ELc67ELc85ELb0ELb0EddPKPKdPKPdEviT_T9_T10_S7_lS9_S7_lS8_T11_S7_li, .Lfunc_end491-_ZL29rocblas_internal_gemmt_kernelIlLi16ELi32ELi8ELc84ELc67ELc85ELb0ELb0EddPKPKdPKPdEviT_T9_T10_S7_lS9_S7_lS8_T11_S7_li
                                        ; -- End function
	.set _ZL29rocblas_internal_gemmt_kernelIlLi16ELi32ELi8ELc84ELc67ELc85ELb0ELb0EddPKPKdPKPdEviT_T9_T10_S7_lS9_S7_lS8_T11_S7_li.num_vgpr, 53
	.set _ZL29rocblas_internal_gemmt_kernelIlLi16ELi32ELi8ELc84ELc67ELc85ELb0ELb0EddPKPKdPKPdEviT_T9_T10_S7_lS9_S7_lS8_T11_S7_li.num_agpr, 0
	.set _ZL29rocblas_internal_gemmt_kernelIlLi16ELi32ELi8ELc84ELc67ELc85ELb0ELb0EddPKPKdPKPdEviT_T9_T10_S7_lS9_S7_lS8_T11_S7_li.numbered_sgpr, 39
	.set _ZL29rocblas_internal_gemmt_kernelIlLi16ELi32ELi8ELc84ELc67ELc85ELb0ELb0EddPKPKdPKPdEviT_T9_T10_S7_lS9_S7_lS8_T11_S7_li.num_named_barrier, 0
	.set _ZL29rocblas_internal_gemmt_kernelIlLi16ELi32ELi8ELc84ELc67ELc85ELb0ELb0EddPKPKdPKPdEviT_T9_T10_S7_lS9_S7_lS8_T11_S7_li.private_seg_size, 0
	.set _ZL29rocblas_internal_gemmt_kernelIlLi16ELi32ELi8ELc84ELc67ELc85ELb0ELb0EddPKPKdPKPdEviT_T9_T10_S7_lS9_S7_lS8_T11_S7_li.uses_vcc, 1
	.set _ZL29rocblas_internal_gemmt_kernelIlLi16ELi32ELi8ELc84ELc67ELc85ELb0ELb0EddPKPKdPKPdEviT_T9_T10_S7_lS9_S7_lS8_T11_S7_li.uses_flat_scratch, 0
	.set _ZL29rocblas_internal_gemmt_kernelIlLi16ELi32ELi8ELc84ELc67ELc85ELb0ELb0EddPKPKdPKPdEviT_T9_T10_S7_lS9_S7_lS8_T11_S7_li.has_dyn_sized_stack, 0
	.set _ZL29rocblas_internal_gemmt_kernelIlLi16ELi32ELi8ELc84ELc67ELc85ELb0ELb0EddPKPKdPKPdEviT_T9_T10_S7_lS9_S7_lS8_T11_S7_li.has_recursion, 0
	.set _ZL29rocblas_internal_gemmt_kernelIlLi16ELi32ELi8ELc84ELc67ELc85ELb0ELb0EddPKPKdPKPdEviT_T9_T10_S7_lS9_S7_lS8_T11_S7_li.has_indirect_call, 0
	.section	.AMDGPU.csdata,"",@progbits
; Kernel info:
; codeLenInByte = 2116
; TotalNumSgprs: 41
; NumVgprs: 53
; ScratchSize: 0
; MemoryBound: 0
; FloatMode: 240
; IeeeMode: 1
; LDSByteSize: 4096 bytes/workgroup (compile time only)
; SGPRBlocks: 0
; VGPRBlocks: 6
; NumSGPRsForWavesPerEU: 41
; NumVGPRsForWavesPerEU: 53
; Occupancy: 16
; WaveLimiterHint : 1
; COMPUTE_PGM_RSRC2:SCRATCH_EN: 0
; COMPUTE_PGM_RSRC2:USER_SGPR: 2
; COMPUTE_PGM_RSRC2:TRAP_HANDLER: 0
; COMPUTE_PGM_RSRC2:TGID_X_EN: 1
; COMPUTE_PGM_RSRC2:TGID_Y_EN: 1
; COMPUTE_PGM_RSRC2:TGID_Z_EN: 1
; COMPUTE_PGM_RSRC2:TIDIG_COMP_CNT: 1
	.section	.text._ZL29rocblas_internal_gemmt_kernelIlLi16ELi32ELi8ELc67ELc78ELc85ELb0ELb0EddPKPKdPKPdEviT_T9_T10_S7_lS9_S7_lS8_T11_S7_li,"axG",@progbits,_ZL29rocblas_internal_gemmt_kernelIlLi16ELi32ELi8ELc67ELc78ELc85ELb0ELb0EddPKPKdPKPdEviT_T9_T10_S7_lS9_S7_lS8_T11_S7_li,comdat
	.globl	_ZL29rocblas_internal_gemmt_kernelIlLi16ELi32ELi8ELc67ELc78ELc85ELb0ELb0EddPKPKdPKPdEviT_T9_T10_S7_lS9_S7_lS8_T11_S7_li ; -- Begin function _ZL29rocblas_internal_gemmt_kernelIlLi16ELi32ELi8ELc67ELc78ELc85ELb0ELb0EddPKPKdPKPdEviT_T9_T10_S7_lS9_S7_lS8_T11_S7_li
	.p2align	8
	.type	_ZL29rocblas_internal_gemmt_kernelIlLi16ELi32ELi8ELc67ELc78ELc85ELb0ELb0EddPKPKdPKPdEviT_T9_T10_S7_lS9_S7_lS8_T11_S7_li,@function
_ZL29rocblas_internal_gemmt_kernelIlLi16ELi32ELi8ELc67ELc78ELc85ELb0ELb0EddPKPKdPKPdEviT_T9_T10_S7_lS9_S7_lS8_T11_S7_li: ; @_ZL29rocblas_internal_gemmt_kernelIlLi16ELi32ELi8ELc67ELc78ELc85ELb0ELb0EddPKPKdPKPdEviT_T9_T10_S7_lS9_S7_lS8_T11_S7_li
; %bb.0:
	s_clause 0x1
	s_load_b256 s[24:31], s[0:1], 0x48
	s_load_b512 s[8:23], s[0:1], 0x8
	s_wait_kmcnt 0x0
	v_cmp_neq_f64_e64 s2, s[24:25], 1.0
	s_and_b32 vcc_lo, exec_lo, s2
	s_cbranch_vccnz .LBB492_2
; %bb.1:
	v_cmp_neq_f64_e64 s2, s[10:11], 0
	s_cmp_lg_u64 s[8:9], 0
	s_cselect_b32 s3, -1, 0
	s_delay_alu instid0(SALU_CYCLE_1)
	s_and_b32 s2, s3, s2
.LBB492_2:
	s_delay_alu instid0(SALU_CYCLE_1)
	s_and_not1_b32 vcc_lo, exec_lo, s2
	s_cbranch_vccnz .LBB492_35
; %bb.3:
	s_load_b32 s33, s[0:1], 0x68
	s_lshr_b32 s6, ttmp7, 16
	s_wait_kmcnt 0x0
	s_cmp_ge_u32 s6, s33
	s_cbranch_scc1 .LBB492_35
; %bb.4:
	v_bfe_u32 v14, v0, 10, 10
	s_load_b32 s3, s[0:1], 0x0
	s_lshl_b32 s0, ttmp7, 5
	v_and_b32_e32 v5, 0x3ff, v0
	s_and_b32 s0, s0, 0x1fffe0
	v_and_b32_e32 v28, 7, v0
	v_add_nc_u32_e32 v15, s0, v14
	s_lshl_b32 s2, ttmp9, 5
	v_lshl_add_u32 v0, v14, 4, v5
	v_cmp_neq_f64_e64 s35, s[10:11], 0
	s_ashr_i32 s1, s2, 31
	v_add_nc_u32_e32 v16, 16, v15
	s_wait_alu 0xfffe
	s_mul_i32 s1, s14, s1
	v_lshrrev_b32_e32 v1, 3, v0
	v_lshrrev_b32_e32 v29, 5, v0
	v_cmp_gt_i64_e64 s36, s[8:9], 0
	v_mad_co_u64_u32 v[12:13], null, s28, v16, 0
	v_and_b32_e32 v2, 31, v0
	v_add_nc_u32_e32 v4, s0, v1
	v_lshl_add_u32 v33, v14, 6, 0x800
	s_wait_kmcnt 0x0
	v_cmp_gt_i32_e32 vcc_lo, s3, v15
	s_mov_b32 s7, 0
	v_or_b32_e32 v10, s2, v2
	v_mad_co_u64_u32 v[8:9], null, s20, v4, 0
	v_lshlrev_b32_e32 v0, 3, v2
	v_cmp_neq_f64_e64 s20, s[24:25], 0
	s_delay_alu instid0(VALU_DEP_4)
	v_mul_lo_u32 v2, s15, v10
	v_mad_co_u64_u32 v[6:7], null, s14, v10, 0
	v_cmp_gt_i32_e64 s0, s3, v10
	v_mad_co_u64_u32 v[10:11], null, s28, v15, 0
	v_lshlrev_b32_e32 v3, 3, v28
	v_lshl_or_b32 v30, v29, 8, v0
	v_mov_b32_e32 v0, v9
	s_wait_alu 0xfffe
	v_add3_u32 v7, v7, s1, v2
	v_cmp_gt_i32_e64 s1, s3, v4
	v_lshl_or_b32 v1, v1, 6, v3
	v_lshlrev_b32_e32 v32, 3, v5
	s_lshl_b64 s[14:15], s[30:31], 3
	v_lshlrev_b64_e32 v[6:7], 3, v[6:7]
	s_delay_alu instid0(VALU_DEP_3) | instskip(SKIP_4) | instid1(VALU_DEP_2)
	v_add_nc_u32_e32 v31, 0x800, v1
	v_mad_co_u64_u32 v[1:2], null, s21, v4, v[0:1]
	v_add_nc_u32_e32 v0, s2, v5
	v_mov_b32_e32 v2, v11
	s_and_b32 s35, s35, s36
	v_cmp_le_i32_e64 s2, v0, v15
	s_delay_alu instid0(VALU_DEP_2) | instskip(SKIP_2) | instid1(VALU_DEP_4)
	v_mad_co_u64_u32 v[3:4], null, s29, v15, v[2:3]
	v_mov_b32_e32 v9, v1
	v_dual_mov_b32 v1, v13 :: v_dual_add_nc_u32 v2, 16, v0
	s_and_b32 s21, vcc_lo, s2
	s_delay_alu instid0(VALU_DEP_2) | instskip(NEXT) | instid1(VALU_DEP_4)
	v_lshlrev_b64_e32 v[8:9], 3, v[8:9]
	v_mov_b32_e32 v11, v3
	s_delay_alu instid0(VALU_DEP_3)
	v_mad_co_u64_u32 v[4:5], null, s29, v16, v[1:2]
	v_cmp_le_i32_e64 s2, v2, v15
	v_mov_b32_e32 v5, 0
	v_cmp_gt_i32_e64 s3, s3, v16
	v_cmp_le_i32_e64 s4, v0, v16
	v_cmp_le_i32_e64 s5, v2, v16
	v_lshlrev_b64_e32 v[10:11], 3, v[10:11]
	v_mov_b32_e32 v13, v4
	v_ashrrev_i32_e32 v1, 31, v0
	v_ashrrev_i32_e32 v3, 31, v2
	s_and_b32 s28, vcc_lo, s2
	s_and_b32 s29, s3, s4
	v_lshlrev_b64_e32 v[12:13], 3, v[12:13]
	s_and_b32 s34, s3, s5
	s_lshl_b64 s[2:3], s[22:23], 3
	s_lshl_b64 s[4:5], s[16:17], 3
	s_branch .LBB492_6
.LBB492_5:                              ;   in Loop: Header=BB492_6 Depth=1
	s_wait_alu 0xfffe
	s_or_b32 exec_lo, exec_lo, s16
	s_add_co_i32 s6, s6, 0x10000
	s_delay_alu instid0(SALU_CYCLE_1)
	s_cmp_lt_u32 s6, s33
	s_cbranch_scc0 .LBB492_35
.LBB492_6:                              ; =>This Loop Header: Depth=1
                                        ;     Child Loop BB492_9 Depth 2
	s_lshl_b64 s[16:17], s[6:7], 3
	v_mov_b32_e32 v22, 0
	s_wait_alu 0xfffe
	s_add_nc_u64 s[22:23], s[26:27], s[16:17]
	v_mov_b32_e32 v16, 0
	global_load_b64 v[18:19], v5, s[22:23]
	v_dual_mov_b32 v23, 0 :: v_dual_mov_b32 v20, 0
	v_dual_mov_b32 v17, 0 :: v_dual_mov_b32 v14, 0
	v_mov_b32_e32 v21, 0
	v_mov_b32_e32 v15, 0
	s_and_not1_b32 vcc_lo, exec_lo, s35
	s_wait_alu 0xfffe
	s_cbranch_vccnz .LBB492_15
; %bb.7:                                ;   in Loop: Header=BB492_6 Depth=1
	s_add_nc_u64 s[22:23], s[12:13], s[16:17]
	s_add_nc_u64 s[16:17], s[18:19], s[16:17]
	s_clause 0x1
	global_load_b64 v[24:25], v5, s[22:23]
	global_load_b64 v[26:27], v5, s[16:17]
	v_mov_b32_e32 v14, 0
	v_dual_mov_b32 v20, 0 :: v_dual_mov_b32 v15, 0
	v_dual_mov_b32 v16, 0 :: v_dual_mov_b32 v21, 0
	;; [unrolled: 1-line block ×3, first 2 shown]
	v_mov_b32_e32 v23, 0
	s_mov_b64 s[16:17], 0
	s_wait_loadcnt 0x1
	v_add_co_u32 v4, vcc_lo, v24, s4
	s_wait_alu 0xfffd
	v_add_co_ci_u32_e64 v24, null, s5, v25, vcc_lo
	s_wait_loadcnt 0x0
	v_add_co_u32 v25, vcc_lo, v26, s2
	s_wait_alu 0xfffd
	v_add_co_ci_u32_e64 v26, null, s3, v27, vcc_lo
	v_add_co_u32 v34, vcc_lo, v4, v6
	s_wait_alu 0xfffd
	v_add_co_ci_u32_e64 v35, null, v24, v7, vcc_lo
	v_add_co_u32 v36, vcc_lo, v25, v8
	s_wait_alu 0xfffd
	v_add_co_ci_u32_e64 v37, null, v26, v9, vcc_lo
	s_branch .LBB492_9
.LBB492_8:                              ;   in Loop: Header=BB492_9 Depth=2
	s_or_b32 exec_lo, exec_lo, s22
	s_wait_loadcnt_dscnt 0x0
	ds_store_b64 v31, v[26:27]
	s_wait_dscnt 0x0
	s_barrier_signal -1
	s_barrier_wait -1
	global_inv scope:SCOPE_SE
	ds_load_b128 v[24:27], v33
	ds_load_2addr_b64 v[38:41], v32 offset1:16
	ds_load_b128 v[42:45], v33 offset:1024
	ds_load_b128 v[46:49], v33 offset:16
	;; [unrolled: 1-line block ×3, first 2 shown]
	s_add_nc_u64 s[16:17], s[16:17], 8
	s_wait_alu 0xfffe
	v_cmp_gt_i64_e64 s22, s[8:9], s[16:17]
	s_and_b32 vcc_lo, exec_lo, s22
	s_wait_dscnt 0x3
	v_fma_f64 v[22:23], v[38:39], v[24:25], v[22:23]
	v_fma_f64 v[20:21], v[40:41], v[24:25], v[20:21]
	s_wait_dscnt 0x2
	v_fma_f64 v[24:25], v[38:39], v[42:43], v[16:17]
	v_fma_f64 v[38:39], v[40:41], v[42:43], v[14:15]
	ds_load_2addr_b64 v[14:17], v32 offset0:32 offset1:48
	s_wait_dscnt 0x0
	v_fma_f64 v[22:23], v[14:15], v[26:27], v[22:23]
	v_fma_f64 v[20:21], v[16:17], v[26:27], v[20:21]
	v_fma_f64 v[24:25], v[14:15], v[44:45], v[24:25]
	v_fma_f64 v[26:27], v[16:17], v[44:45], v[38:39]
	ds_load_2addr_b64 v[14:17], v32 offset0:64 offset1:80
	s_wait_dscnt 0x0
	v_fma_f64 v[22:23], v[14:15], v[46:47], v[22:23]
	v_fma_f64 v[20:21], v[16:17], v[46:47], v[20:21]
	;; [unrolled: 6-line block ×3, first 2 shown]
	v_fma_f64 v[50:51], v[14:15], v[52:53], v[24:25]
	v_fma_f64 v[52:53], v[16:17], v[52:53], v[26:27]
	ds_load_b128 v[14:17], v33 offset:32
	ds_load_2addr_b64 v[20:23], v32 offset0:128 offset1:144
	ds_load_b128 v[24:27], v33 offset:1056
	ds_load_b128 v[38:41], v33 offset:48
	;; [unrolled: 1-line block ×3, first 2 shown]
	s_wait_dscnt 0x3
	v_fma_f64 v[46:47], v[20:21], v[14:15], v[46:47]
	v_fma_f64 v[14:15], v[22:23], v[14:15], v[48:49]
	s_wait_dscnt 0x2
	v_fma_f64 v[48:49], v[20:21], v[24:25], v[50:51]
	v_fma_f64 v[24:25], v[22:23], v[24:25], v[52:53]
	ds_load_2addr_b64 v[20:23], v32 offset0:160 offset1:176
	s_wait_dscnt 0x0
	v_fma_f64 v[46:47], v[20:21], v[16:17], v[46:47]
	v_fma_f64 v[50:51], v[22:23], v[16:17], v[14:15]
	;; [unrolled: 1-line block ×4, first 2 shown]
	ds_load_2addr_b64 v[14:17], v32 offset0:192 offset1:208
	ds_load_2addr_b64 v[24:27], v32 offset0:224 offset1:240
	s_wait_loadcnt_dscnt 0x0
	s_barrier_signal -1
	s_barrier_wait -1
	global_inv scope:SCOPE_SE
	v_fma_f64 v[46:47], v[14:15], v[38:39], v[46:47]
	v_fma_f64 v[38:39], v[16:17], v[38:39], v[50:51]
	;; [unrolled: 1-line block ×4, first 2 shown]
	s_delay_alu instid0(VALU_DEP_4) | instskip(NEXT) | instid1(VALU_DEP_4)
	v_fma_f64 v[22:23], v[24:25], v[40:41], v[46:47]
	v_fma_f64 v[20:21], v[26:27], v[40:41], v[38:39]
	s_delay_alu instid0(VALU_DEP_4) | instskip(NEXT) | instid1(VALU_DEP_4)
	v_fma_f64 v[16:17], v[24:25], v[44:45], v[14:15]
	v_fma_f64 v[14:15], v[26:27], v[44:45], v[42:43]
	s_wait_alu 0xfffe
	s_cbranch_vccz .LBB492_15
.LBB492_9:                              ;   Parent Loop BB492_6 Depth=1
                                        ; =>  This Inner Loop Header: Depth=2
	v_mov_b32_e32 v24, 0
	v_mov_b32_e32 v25, 0
	s_and_saveexec_b32 s22, s0
	s_cbranch_execz .LBB492_13
; %bb.10:                               ;   in Loop: Header=BB492_9 Depth=2
	v_mov_b32_e32 v24, 0
	s_wait_alu 0xfffe
	v_dual_mov_b32 v25, 0 :: v_dual_add_nc_u32 v4, s16, v29
	s_mov_b32 s23, exec_lo
	s_delay_alu instid0(VALU_DEP_1)
	v_cmpx_gt_u64_e64 s[8:9], v[4:5]
	s_cbranch_execz .LBB492_12
; %bb.11:                               ;   in Loop: Header=BB492_9 Depth=2
	v_lshlrev_b64_e32 v[24:25], 3, v[4:5]
	s_delay_alu instid0(VALU_DEP_1) | instskip(SKIP_1) | instid1(VALU_DEP_2)
	v_add_co_u32 v24, vcc_lo, v34, v24
	s_wait_alu 0xfffd
	v_add_co_ci_u32_e64 v25, null, v35, v25, vcc_lo
	flat_load_b64 v[24:25], v[24:25]
.LBB492_12:                             ;   in Loop: Header=BB492_9 Depth=2
	s_or_b32 exec_lo, exec_lo, s23
.LBB492_13:                             ;   in Loop: Header=BB492_9 Depth=2
	s_delay_alu instid0(SALU_CYCLE_1)
	s_or_b32 exec_lo, exec_lo, s22
	s_wait_alu 0xfffe
	v_add_nc_u32_e32 v4, s16, v28
	v_mov_b32_e32 v26, 0
	v_mov_b32_e32 v27, 0
	s_wait_loadcnt_dscnt 0x0
	ds_store_b64 v30, v[24:25]
	v_cmp_gt_u64_e32 vcc_lo, s[8:9], v[4:5]
	s_and_b32 s23, vcc_lo, s1
	s_delay_alu instid0(SALU_CYCLE_1)
	s_and_saveexec_b32 s22, s23
	s_cbranch_execz .LBB492_8
; %bb.14:                               ;   in Loop: Header=BB492_9 Depth=2
	v_lshlrev_b64_e32 v[24:25], 3, v[4:5]
	s_delay_alu instid0(VALU_DEP_1) | instskip(SKIP_1) | instid1(VALU_DEP_2)
	v_add_co_u32 v24, vcc_lo, v36, v24
	s_wait_alu 0xfffd
	v_add_co_ci_u32_e64 v25, null, v37, v25, vcc_lo
	flat_load_b64 v[26:27], v[24:25]
	s_branch .LBB492_8
.LBB492_15:                             ;   in Loop: Header=BB492_6 Depth=1
	s_wait_loadcnt 0x0
	s_wait_alu 0xfffe
	v_add_co_u32 v4, vcc_lo, v18, s14
	s_wait_alu 0xfffd
	v_add_co_ci_u32_e64 v24, null, s15, v19, vcc_lo
	s_delay_alu instid0(VALU_DEP_2) | instskip(SKIP_1) | instid1(VALU_DEP_2)
	v_add_co_u32 v25, vcc_lo, v4, v10
	s_wait_alu 0xfffd
	v_add_co_ci_u32_e64 v26, null, v24, v11, vcc_lo
	s_and_saveexec_b32 s16, s21
	s_cbranch_execz .LBB492_19
; %bb.16:                               ;   in Loop: Header=BB492_6 Depth=1
	v_mul_f64_e32 v[18:19], s[10:11], v[22:23]
	s_and_b32 vcc_lo, exec_lo, s20
	s_wait_alu 0xfffe
	s_cbranch_vccz .LBB492_30
; %bb.17:                               ;   in Loop: Header=BB492_6 Depth=1
	v_lshlrev_b64_e32 v[22:23], 3, v[0:1]
	s_delay_alu instid0(VALU_DEP_1) | instskip(SKIP_1) | instid1(VALU_DEP_2)
	v_add_co_u32 v22, vcc_lo, v25, v22
	s_wait_alu 0xfffd
	v_add_co_ci_u32_e64 v23, null, v26, v23, vcc_lo
	flat_load_b64 v[34:35], v[22:23]
	s_wait_loadcnt_dscnt 0x0
	v_fma_f64 v[34:35], s[24:25], v[34:35], v[18:19]
	flat_store_b64 v[22:23], v[34:35]
	s_cbranch_execnz .LBB492_19
.LBB492_18:                             ;   in Loop: Header=BB492_6 Depth=1
	v_lshlrev_b64_e32 v[22:23], 3, v[0:1]
	s_delay_alu instid0(VALU_DEP_1) | instskip(SKIP_1) | instid1(VALU_DEP_2)
	v_add_co_u32 v22, vcc_lo, v25, v22
	s_wait_alu 0xfffd
	v_add_co_ci_u32_e64 v23, null, v26, v23, vcc_lo
	flat_store_b64 v[22:23], v[18:19]
.LBB492_19:                             ;   in Loop: Header=BB492_6 Depth=1
	s_wait_alu 0xfffe
	s_or_b32 exec_lo, exec_lo, s16
	s_and_saveexec_b32 s16, s28
	s_cbranch_execz .LBB492_23
; %bb.20:                               ;   in Loop: Header=BB492_6 Depth=1
	v_mul_f64_e32 v[18:19], s[10:11], v[20:21]
	s_and_not1_b32 vcc_lo, exec_lo, s20
	s_wait_alu 0xfffe
	s_cbranch_vccnz .LBB492_31
; %bb.21:                               ;   in Loop: Header=BB492_6 Depth=1
	v_lshlrev_b64_e32 v[20:21], 3, v[2:3]
	s_delay_alu instid0(VALU_DEP_1) | instskip(SKIP_1) | instid1(VALU_DEP_2)
	v_add_co_u32 v20, vcc_lo, v25, v20
	s_wait_alu 0xfffd
	v_add_co_ci_u32_e64 v21, null, v26, v21, vcc_lo
	flat_load_b64 v[22:23], v[20:21]
	s_wait_loadcnt_dscnt 0x0
	v_fma_f64 v[22:23], s[24:25], v[22:23], v[18:19]
	flat_store_b64 v[20:21], v[22:23]
	s_cbranch_execnz .LBB492_23
.LBB492_22:                             ;   in Loop: Header=BB492_6 Depth=1
	v_lshlrev_b64_e32 v[20:21], 3, v[2:3]
	s_delay_alu instid0(VALU_DEP_1) | instskip(SKIP_1) | instid1(VALU_DEP_2)
	v_add_co_u32 v20, vcc_lo, v25, v20
	s_wait_alu 0xfffd
	v_add_co_ci_u32_e64 v21, null, v26, v21, vcc_lo
	flat_store_b64 v[20:21], v[18:19]
.LBB492_23:                             ;   in Loop: Header=BB492_6 Depth=1
	s_wait_alu 0xfffe
	s_or_b32 exec_lo, exec_lo, s16
	v_add_co_u32 v4, vcc_lo, v4, v12
	s_wait_alu 0xfffd
	v_add_co_ci_u32_e64 v20, null, v24, v13, vcc_lo
	s_and_saveexec_b32 s16, s29
	s_cbranch_execz .LBB492_27
; %bb.24:                               ;   in Loop: Header=BB492_6 Depth=1
	v_mul_f64_e32 v[16:17], s[10:11], v[16:17]
	v_lshlrev_b64_e32 v[18:19], 3, v[0:1]
	s_and_not1_b32 vcc_lo, exec_lo, s20
	s_wait_alu 0xfffe
	s_cbranch_vccnz .LBB492_32
; %bb.25:                               ;   in Loop: Header=BB492_6 Depth=1
	s_delay_alu instid0(VALU_DEP_1)
	v_add_co_u32 v21, vcc_lo, v4, v18
	s_wait_alu 0xfffd
	v_add_co_ci_u32_e64 v22, null, v20, v19, vcc_lo
	flat_load_b64 v[23:24], v[21:22]
	s_wait_loadcnt_dscnt 0x0
	v_fma_f64 v[23:24], s[24:25], v[23:24], v[16:17]
	flat_store_b64 v[21:22], v[23:24]
	s_cbranch_execnz .LBB492_27
.LBB492_26:                             ;   in Loop: Header=BB492_6 Depth=1
	s_delay_alu instid0(VALU_DEP_1)
	v_add_co_u32 v18, vcc_lo, v4, v18
	s_wait_alu 0xfffd
	v_add_co_ci_u32_e64 v19, null, v20, v19, vcc_lo
	flat_store_b64 v[18:19], v[16:17]
.LBB492_27:                             ;   in Loop: Header=BB492_6 Depth=1
	s_wait_alu 0xfffe
	s_or_b32 exec_lo, exec_lo, s16
	s_and_saveexec_b32 s16, s34
	s_cbranch_execz .LBB492_5
; %bb.28:                               ;   in Loop: Header=BB492_6 Depth=1
	v_mul_f64_e32 v[14:15], s[10:11], v[14:15]
	v_lshlrev_b64_e32 v[16:17], 3, v[2:3]
	s_and_not1_b32 vcc_lo, exec_lo, s20
	s_wait_alu 0xfffe
	s_cbranch_vccnz .LBB492_33
; %bb.29:                               ;   in Loop: Header=BB492_6 Depth=1
	s_delay_alu instid0(VALU_DEP_1)
	v_add_co_u32 v18, vcc_lo, v4, v16
	s_wait_alu 0xfffd
	v_add_co_ci_u32_e64 v19, null, v20, v17, vcc_lo
	flat_load_b64 v[21:22], v[18:19]
	s_wait_loadcnt_dscnt 0x0
	v_fma_f64 v[21:22], s[24:25], v[21:22], v[14:15]
	flat_store_b64 v[18:19], v[21:22]
	s_cbranch_execnz .LBB492_5
	s_branch .LBB492_34
.LBB492_30:                             ;   in Loop: Header=BB492_6 Depth=1
	s_branch .LBB492_18
.LBB492_31:                             ;   in Loop: Header=BB492_6 Depth=1
	s_branch .LBB492_22
.LBB492_32:                             ;   in Loop: Header=BB492_6 Depth=1
	s_branch .LBB492_26
.LBB492_33:                             ;   in Loop: Header=BB492_6 Depth=1
.LBB492_34:                             ;   in Loop: Header=BB492_6 Depth=1
	s_delay_alu instid0(VALU_DEP_1)
	v_add_co_u32 v16, vcc_lo, v4, v16
	s_wait_alu 0xfffd
	v_add_co_ci_u32_e64 v17, null, v20, v17, vcc_lo
	flat_store_b64 v[16:17], v[14:15]
	s_branch .LBB492_5
.LBB492_35:
	s_endpgm
	.section	.rodata,"a",@progbits
	.p2align	6, 0x0
	.amdhsa_kernel _ZL29rocblas_internal_gemmt_kernelIlLi16ELi32ELi8ELc67ELc78ELc85ELb0ELb0EddPKPKdPKPdEviT_T9_T10_S7_lS9_S7_lS8_T11_S7_li
		.amdhsa_group_segment_fixed_size 4096
		.amdhsa_private_segment_fixed_size 0
		.amdhsa_kernarg_size 108
		.amdhsa_user_sgpr_count 2
		.amdhsa_user_sgpr_dispatch_ptr 0
		.amdhsa_user_sgpr_queue_ptr 0
		.amdhsa_user_sgpr_kernarg_segment_ptr 1
		.amdhsa_user_sgpr_dispatch_id 0
		.amdhsa_user_sgpr_private_segment_size 0
		.amdhsa_wavefront_size32 1
		.amdhsa_uses_dynamic_stack 0
		.amdhsa_enable_private_segment 0
		.amdhsa_system_sgpr_workgroup_id_x 1
		.amdhsa_system_sgpr_workgroup_id_y 1
		.amdhsa_system_sgpr_workgroup_id_z 1
		.amdhsa_system_sgpr_workgroup_info 0
		.amdhsa_system_vgpr_workitem_id 1
		.amdhsa_next_free_vgpr 54
		.amdhsa_next_free_sgpr 37
		.amdhsa_reserve_vcc 1
		.amdhsa_float_round_mode_32 0
		.amdhsa_float_round_mode_16_64 0
		.amdhsa_float_denorm_mode_32 3
		.amdhsa_float_denorm_mode_16_64 3
		.amdhsa_fp16_overflow 0
		.amdhsa_workgroup_processor_mode 1
		.amdhsa_memory_ordered 1
		.amdhsa_forward_progress 1
		.amdhsa_inst_pref_size 17
		.amdhsa_round_robin_scheduling 0
		.amdhsa_exception_fp_ieee_invalid_op 0
		.amdhsa_exception_fp_denorm_src 0
		.amdhsa_exception_fp_ieee_div_zero 0
		.amdhsa_exception_fp_ieee_overflow 0
		.amdhsa_exception_fp_ieee_underflow 0
		.amdhsa_exception_fp_ieee_inexact 0
		.amdhsa_exception_int_div_zero 0
	.end_amdhsa_kernel
	.section	.text._ZL29rocblas_internal_gemmt_kernelIlLi16ELi32ELi8ELc67ELc78ELc85ELb0ELb0EddPKPKdPKPdEviT_T9_T10_S7_lS9_S7_lS8_T11_S7_li,"axG",@progbits,_ZL29rocblas_internal_gemmt_kernelIlLi16ELi32ELi8ELc67ELc78ELc85ELb0ELb0EddPKPKdPKPdEviT_T9_T10_S7_lS9_S7_lS8_T11_S7_li,comdat
.Lfunc_end492:
	.size	_ZL29rocblas_internal_gemmt_kernelIlLi16ELi32ELi8ELc67ELc78ELc85ELb0ELb0EddPKPKdPKPdEviT_T9_T10_S7_lS9_S7_lS8_T11_S7_li, .Lfunc_end492-_ZL29rocblas_internal_gemmt_kernelIlLi16ELi32ELi8ELc67ELc78ELc85ELb0ELb0EddPKPKdPKPdEviT_T9_T10_S7_lS9_S7_lS8_T11_S7_li
                                        ; -- End function
	.set _ZL29rocblas_internal_gemmt_kernelIlLi16ELi32ELi8ELc67ELc78ELc85ELb0ELb0EddPKPKdPKPdEviT_T9_T10_S7_lS9_S7_lS8_T11_S7_li.num_vgpr, 54
	.set _ZL29rocblas_internal_gemmt_kernelIlLi16ELi32ELi8ELc67ELc78ELc85ELb0ELb0EddPKPKdPKPdEviT_T9_T10_S7_lS9_S7_lS8_T11_S7_li.num_agpr, 0
	.set _ZL29rocblas_internal_gemmt_kernelIlLi16ELi32ELi8ELc67ELc78ELc85ELb0ELb0EddPKPKdPKPdEviT_T9_T10_S7_lS9_S7_lS8_T11_S7_li.numbered_sgpr, 37
	.set _ZL29rocblas_internal_gemmt_kernelIlLi16ELi32ELi8ELc67ELc78ELc85ELb0ELb0EddPKPKdPKPdEviT_T9_T10_S7_lS9_S7_lS8_T11_S7_li.num_named_barrier, 0
	.set _ZL29rocblas_internal_gemmt_kernelIlLi16ELi32ELi8ELc67ELc78ELc85ELb0ELb0EddPKPKdPKPdEviT_T9_T10_S7_lS9_S7_lS8_T11_S7_li.private_seg_size, 0
	.set _ZL29rocblas_internal_gemmt_kernelIlLi16ELi32ELi8ELc67ELc78ELc85ELb0ELb0EddPKPKdPKPdEviT_T9_T10_S7_lS9_S7_lS8_T11_S7_li.uses_vcc, 1
	.set _ZL29rocblas_internal_gemmt_kernelIlLi16ELi32ELi8ELc67ELc78ELc85ELb0ELb0EddPKPKdPKPdEviT_T9_T10_S7_lS9_S7_lS8_T11_S7_li.uses_flat_scratch, 0
	.set _ZL29rocblas_internal_gemmt_kernelIlLi16ELi32ELi8ELc67ELc78ELc85ELb0ELb0EddPKPKdPKPdEviT_T9_T10_S7_lS9_S7_lS8_T11_S7_li.has_dyn_sized_stack, 0
	.set _ZL29rocblas_internal_gemmt_kernelIlLi16ELi32ELi8ELc67ELc78ELc85ELb0ELb0EddPKPKdPKPdEviT_T9_T10_S7_lS9_S7_lS8_T11_S7_li.has_recursion, 0
	.set _ZL29rocblas_internal_gemmt_kernelIlLi16ELi32ELi8ELc67ELc78ELc85ELb0ELb0EddPKPKdPKPdEviT_T9_T10_S7_lS9_S7_lS8_T11_S7_li.has_indirect_call, 0
	.section	.AMDGPU.csdata,"",@progbits
; Kernel info:
; codeLenInByte = 2136
; TotalNumSgprs: 39
; NumVgprs: 54
; ScratchSize: 0
; MemoryBound: 0
; FloatMode: 240
; IeeeMode: 1
; LDSByteSize: 4096 bytes/workgroup (compile time only)
; SGPRBlocks: 0
; VGPRBlocks: 6
; NumSGPRsForWavesPerEU: 39
; NumVGPRsForWavesPerEU: 54
; Occupancy: 16
; WaveLimiterHint : 1
; COMPUTE_PGM_RSRC2:SCRATCH_EN: 0
; COMPUTE_PGM_RSRC2:USER_SGPR: 2
; COMPUTE_PGM_RSRC2:TRAP_HANDLER: 0
; COMPUTE_PGM_RSRC2:TGID_X_EN: 1
; COMPUTE_PGM_RSRC2:TGID_Y_EN: 1
; COMPUTE_PGM_RSRC2:TGID_Z_EN: 1
; COMPUTE_PGM_RSRC2:TIDIG_COMP_CNT: 1
	.section	.text._ZL29rocblas_internal_gemmt_kernelIlLi16ELi32ELi8ELc67ELc84ELc85ELb0ELb0EddPKPKdPKPdEviT_T9_T10_S7_lS9_S7_lS8_T11_S7_li,"axG",@progbits,_ZL29rocblas_internal_gemmt_kernelIlLi16ELi32ELi8ELc67ELc84ELc85ELb0ELb0EddPKPKdPKPdEviT_T9_T10_S7_lS9_S7_lS8_T11_S7_li,comdat
	.globl	_ZL29rocblas_internal_gemmt_kernelIlLi16ELi32ELi8ELc67ELc84ELc85ELb0ELb0EddPKPKdPKPdEviT_T9_T10_S7_lS9_S7_lS8_T11_S7_li ; -- Begin function _ZL29rocblas_internal_gemmt_kernelIlLi16ELi32ELi8ELc67ELc84ELc85ELb0ELb0EddPKPKdPKPdEviT_T9_T10_S7_lS9_S7_lS8_T11_S7_li
	.p2align	8
	.type	_ZL29rocblas_internal_gemmt_kernelIlLi16ELi32ELi8ELc67ELc84ELc85ELb0ELb0EddPKPKdPKPdEviT_T9_T10_S7_lS9_S7_lS8_T11_S7_li,@function
_ZL29rocblas_internal_gemmt_kernelIlLi16ELi32ELi8ELc67ELc84ELc85ELb0ELb0EddPKPKdPKPdEviT_T9_T10_S7_lS9_S7_lS8_T11_S7_li: ; @_ZL29rocblas_internal_gemmt_kernelIlLi16ELi32ELi8ELc67ELc84ELc85ELb0ELb0EddPKPKdPKPdEviT_T9_T10_S7_lS9_S7_lS8_T11_S7_li
; %bb.0:
	s_clause 0x1
	s_load_b256 s[24:31], s[0:1], 0x48
	s_load_b512 s[8:23], s[0:1], 0x8
	s_wait_kmcnt 0x0
	v_cmp_neq_f64_e64 s2, s[24:25], 1.0
	s_and_b32 vcc_lo, exec_lo, s2
	s_cbranch_vccnz .LBB493_2
; %bb.1:
	v_cmp_neq_f64_e64 s2, s[10:11], 0
	s_cmp_lg_u64 s[8:9], 0
	s_cselect_b32 s3, -1, 0
	s_delay_alu instid0(SALU_CYCLE_1)
	s_and_b32 s2, s3, s2
.LBB493_2:
	s_delay_alu instid0(SALU_CYCLE_1)
	s_and_not1_b32 vcc_lo, exec_lo, s2
	s_cbranch_vccnz .LBB493_35
; %bb.3:
	s_load_b32 s33, s[0:1], 0x68
	s_lshr_b32 s6, ttmp7, 16
	s_wait_kmcnt 0x0
	s_cmp_ge_u32 s6, s33
	s_cbranch_scc1 .LBB493_35
; %bb.4:
	v_bfe_u32 v5, v0, 10, 10
	s_load_b32 s3, s[0:1], 0x0
	s_lshl_b32 s0, ttmp7, 5
	v_and_b32_e32 v26, 7, v0
	s_and_b32 s0, s0, 0x1fffe0
	s_lshl_b32 s2, ttmp9, 5
	v_add_nc_u32_e32 v13, s0, v5
	v_cmp_neq_f64_e64 s37, s[10:11], 0
	v_cmp_neq_f64_e64 s34, s[24:25], 0
	s_ashr_i32 s1, s2, 31
	v_lshlrev_b32_e32 v3, 3, v26
	v_mad_co_u64_u32 v[8:9], null, s28, v13, 0
	v_and_b32_e32 v4, 0x3ff, v0
	v_add_nc_u32_e32 v15, 16, v13
	s_wait_alu 0xfffe
	s_mul_i32 s1, s14, s1
	v_cmp_gt_i64_e64 s38, s[8:9], 0
	v_lshl_add_u32 v31, v5, 6, 0x800
	v_lshl_add_u32 v0, v5, 4, v4
	s_mov_b32 s7, 0
	s_wait_kmcnt 0x0
	v_cmp_gt_i32_e32 vcc_lo, s3, v13
	s_delay_alu instid0(VALU_DEP_2) | instskip(SKIP_2) | instid1(VALU_DEP_3)
	v_and_b32_e32 v1, 31, v0
	v_lshrrev_b32_e32 v27, 5, v0
	v_lshrrev_b32_e32 v0, 3, v0
	v_or_b32_e32 v2, s2, v1
	v_lshlrev_b32_e32 v1, 3, v1
	s_delay_alu instid0(VALU_DEP_3)
	v_add_nc_u32_e32 v14, s0, v0
	v_lshl_or_b32 v0, v0, 6, v3
	v_mov_b32_e32 v3, 0
	v_mul_lo_u32 v10, s15, v2
	v_mad_co_u64_u32 v[6:7], null, s14, v2, 0
	v_lshl_or_b32 v28, v27, 8, v1
	v_mov_b32_e32 v1, v9
	v_cmp_gt_i32_e64 s0, s3, v2
	v_add_nc_u32_e32 v29, 0x800, v0
	v_add_nc_u32_e32 v0, s2, v4
	v_lshlrev_b32_e32 v30, 3, v4
	s_wait_alu 0xfffe
	v_add3_u32 v7, v7, s1, v10
	v_mad_co_u64_u32 v[10:11], null, s28, v15, 0
	v_mad_co_u64_u32 v[1:2], null, s29, v13, v[1:2]
	v_cmp_le_i32_e64 s2, v0, v13
	v_add_nc_u32_e32 v4, 16, v0
	v_cmp_le_i32_e64 s4, v0, v15
	v_lshlrev_b64_e32 v[6:7], 3, v[6:7]
	v_mov_b32_e32 v2, v11
	s_and_b32 s28, vcc_lo, s2
	v_mov_b32_e32 v9, v1
	v_cmp_gt_i32_e64 s1, s3, v14
	v_cmp_le_i32_e64 s2, v4, v13
	v_mad_co_u64_u32 v[11:12], null, s29, v15, v[2:3]
	v_cmp_gt_i32_e64 s3, s3, v15
	v_cmp_le_i32_e64 s5, v4, v15
	v_lshlrev_b64_e32 v[8:9], 3, v[8:9]
	v_ashrrev_i32_e32 v1, 31, v0
	v_ashrrev_i32_e32 v5, 31, v4
	v_lshlrev_b32_e32 v32, 3, v14
	v_lshlrev_b64_e32 v[10:11], 3, v[10:11]
	s_and_b32 s29, vcc_lo, s2
	s_and_b32 s35, s3, s4
	s_and_b32 s36, s3, s5
	;; [unrolled: 1-line block ×3, first 2 shown]
	s_lshl_b64 s[2:3], s[22:23], 3
	s_lshl_b64 s[4:5], s[16:17], 3
	;; [unrolled: 1-line block ×3, first 2 shown]
	s_branch .LBB493_6
.LBB493_5:                              ;   in Loop: Header=BB493_6 Depth=1
	s_wait_alu 0xfffe
	s_or_b32 exec_lo, exec_lo, s16
	s_add_co_i32 s6, s6, 0x10000
	s_delay_alu instid0(SALU_CYCLE_1)
	s_cmp_lt_u32 s6, s33
	s_cbranch_scc0 .LBB493_35
.LBB493_6:                              ; =>This Loop Header: Depth=1
                                        ;     Child Loop BB493_9 Depth 2
	s_lshl_b64 s[16:17], s[6:7], 3
	v_mov_b32_e32 v20, 0
	s_wait_alu 0xfffe
	s_add_nc_u64 s[22:23], s[26:27], s[16:17]
	v_mov_b32_e32 v14, 0
	global_load_b64 v[16:17], v3, s[22:23]
	v_dual_mov_b32 v21, 0 :: v_dual_mov_b32 v18, 0
	v_dual_mov_b32 v15, 0 :: v_dual_mov_b32 v12, 0
	v_mov_b32_e32 v19, 0
	v_mov_b32_e32 v13, 0
	s_and_not1_b32 vcc_lo, exec_lo, s37
	s_wait_alu 0xfffe
	s_cbranch_vccnz .LBB493_15
; %bb.7:                                ;   in Loop: Header=BB493_6 Depth=1
	s_add_nc_u64 s[22:23], s[12:13], s[16:17]
	s_add_nc_u64 s[16:17], s[18:19], s[16:17]
	s_clause 0x1
	global_load_b64 v[22:23], v3, s[22:23]
	global_load_b64 v[24:25], v3, s[16:17]
	v_mov_b32_e32 v12, 0
	v_dual_mov_b32 v18, 0 :: v_dual_mov_b32 v13, 0
	v_dual_mov_b32 v14, 0 :: v_dual_mov_b32 v19, 0
	;; [unrolled: 1-line block ×3, first 2 shown]
	v_mov_b32_e32 v21, 0
	s_mov_b64 s[16:17], 0
	s_wait_loadcnt 0x1
	v_add_co_u32 v2, vcc_lo, v22, s4
	s_wait_alu 0xfffd
	v_add_co_ci_u32_e64 v22, null, s5, v23, vcc_lo
	s_wait_loadcnt 0x0
	v_add_co_u32 v23, vcc_lo, v24, s2
	s_wait_alu 0xfffd
	v_add_co_ci_u32_e64 v24, null, s3, v25, vcc_lo
	v_add_co_u32 v33, vcc_lo, v2, v6
	s_wait_alu 0xfffd
	v_add_co_ci_u32_e64 v34, null, v22, v7, vcc_lo
	;; [unrolled: 3-line block ×3, first 2 shown]
	s_branch .LBB493_9
.LBB493_8:                              ;   in Loop: Header=BB493_9 Depth=2
	s_or_b32 exec_lo, exec_lo, s22
	s_wait_loadcnt_dscnt 0x0
	ds_store_b64 v29, v[24:25]
	s_wait_dscnt 0x0
	s_barrier_signal -1
	s_barrier_wait -1
	global_inv scope:SCOPE_SE
	ds_load_b128 v[22:25], v31
	ds_load_2addr_b64 v[37:40], v30 offset1:16
	ds_load_b128 v[41:44], v31 offset:1024
	ds_load_b128 v[45:48], v31 offset:16
	;; [unrolled: 1-line block ×3, first 2 shown]
	s_add_nc_u64 s[16:17], s[16:17], 8
	s_wait_alu 0xfffe
	v_cmp_gt_i64_e64 s22, s[8:9], s[16:17]
	s_and_b32 vcc_lo, exec_lo, s22
	s_wait_dscnt 0x3
	v_fma_f64 v[20:21], v[37:38], v[22:23], v[20:21]
	v_fma_f64 v[18:19], v[39:40], v[22:23], v[18:19]
	s_wait_dscnt 0x2
	v_fma_f64 v[22:23], v[37:38], v[41:42], v[14:15]
	v_fma_f64 v[37:38], v[39:40], v[41:42], v[12:13]
	ds_load_2addr_b64 v[12:15], v30 offset0:32 offset1:48
	s_wait_dscnt 0x0
	v_fma_f64 v[20:21], v[12:13], v[24:25], v[20:21]
	v_fma_f64 v[18:19], v[14:15], v[24:25], v[18:19]
	v_fma_f64 v[22:23], v[12:13], v[43:44], v[22:23]
	v_fma_f64 v[24:25], v[14:15], v[43:44], v[37:38]
	ds_load_2addr_b64 v[12:15], v30 offset0:64 offset1:80
	s_wait_dscnt 0x0
	v_fma_f64 v[20:21], v[12:13], v[45:46], v[20:21]
	v_fma_f64 v[18:19], v[14:15], v[45:46], v[18:19]
	;; [unrolled: 6-line block ×3, first 2 shown]
	v_fma_f64 v[49:50], v[12:13], v[51:52], v[22:23]
	v_fma_f64 v[51:52], v[14:15], v[51:52], v[24:25]
	ds_load_b128 v[12:15], v31 offset:32
	ds_load_2addr_b64 v[18:21], v30 offset0:128 offset1:144
	ds_load_b128 v[22:25], v31 offset:1056
	ds_load_b128 v[37:40], v31 offset:48
	;; [unrolled: 1-line block ×3, first 2 shown]
	s_wait_dscnt 0x3
	v_fma_f64 v[45:46], v[18:19], v[12:13], v[45:46]
	v_fma_f64 v[12:13], v[20:21], v[12:13], v[47:48]
	s_wait_dscnt 0x2
	v_fma_f64 v[47:48], v[18:19], v[22:23], v[49:50]
	v_fma_f64 v[22:23], v[20:21], v[22:23], v[51:52]
	ds_load_2addr_b64 v[18:21], v30 offset0:160 offset1:176
	s_wait_dscnt 0x0
	v_fma_f64 v[45:46], v[18:19], v[14:15], v[45:46]
	v_fma_f64 v[49:50], v[20:21], v[14:15], v[12:13]
	;; [unrolled: 1-line block ×4, first 2 shown]
	ds_load_2addr_b64 v[12:15], v30 offset0:192 offset1:208
	ds_load_2addr_b64 v[22:25], v30 offset0:224 offset1:240
	s_wait_loadcnt_dscnt 0x0
	s_barrier_signal -1
	s_barrier_wait -1
	global_inv scope:SCOPE_SE
	v_fma_f64 v[45:46], v[12:13], v[37:38], v[45:46]
	v_fma_f64 v[37:38], v[14:15], v[37:38], v[49:50]
	;; [unrolled: 1-line block ×4, first 2 shown]
	s_delay_alu instid0(VALU_DEP_4) | instskip(NEXT) | instid1(VALU_DEP_4)
	v_fma_f64 v[20:21], v[22:23], v[39:40], v[45:46]
	v_fma_f64 v[18:19], v[24:25], v[39:40], v[37:38]
	s_delay_alu instid0(VALU_DEP_4) | instskip(NEXT) | instid1(VALU_DEP_4)
	v_fma_f64 v[14:15], v[22:23], v[43:44], v[12:13]
	v_fma_f64 v[12:13], v[24:25], v[43:44], v[41:42]
	s_wait_alu 0xfffe
	s_cbranch_vccz .LBB493_15
.LBB493_9:                              ;   Parent Loop BB493_6 Depth=1
                                        ; =>  This Inner Loop Header: Depth=2
	v_mov_b32_e32 v22, 0
	v_mov_b32_e32 v23, 0
	s_and_saveexec_b32 s22, s0
	s_cbranch_execz .LBB493_13
; %bb.10:                               ;   in Loop: Header=BB493_9 Depth=2
	v_mov_b32_e32 v22, 0
	s_wait_alu 0xfffe
	v_dual_mov_b32 v23, 0 :: v_dual_add_nc_u32 v2, s16, v27
	s_mov_b32 s23, exec_lo
	s_delay_alu instid0(VALU_DEP_1)
	v_cmpx_gt_u64_e64 s[8:9], v[2:3]
	s_cbranch_execz .LBB493_12
; %bb.11:                               ;   in Loop: Header=BB493_9 Depth=2
	v_lshlrev_b64_e32 v[22:23], 3, v[2:3]
	s_delay_alu instid0(VALU_DEP_1) | instskip(SKIP_1) | instid1(VALU_DEP_2)
	v_add_co_u32 v22, vcc_lo, v33, v22
	s_wait_alu 0xfffd
	v_add_co_ci_u32_e64 v23, null, v34, v23, vcc_lo
	flat_load_b64 v[22:23], v[22:23]
.LBB493_12:                             ;   in Loop: Header=BB493_9 Depth=2
	s_or_b32 exec_lo, exec_lo, s23
.LBB493_13:                             ;   in Loop: Header=BB493_9 Depth=2
	s_delay_alu instid0(SALU_CYCLE_1)
	s_or_b32 exec_lo, exec_lo, s22
	s_wait_alu 0xfffe
	v_add_nc_u32_e32 v2, s16, v26
	v_mov_b32_e32 v24, 0
	v_mov_b32_e32 v25, 0
	s_wait_loadcnt_dscnt 0x0
	ds_store_b64 v28, v[22:23]
	v_cmp_gt_u64_e32 vcc_lo, s[8:9], v[2:3]
	s_and_b32 s23, vcc_lo, s1
	s_delay_alu instid0(SALU_CYCLE_1)
	s_and_saveexec_b32 s22, s23
	s_cbranch_execz .LBB493_8
; %bb.14:                               ;   in Loop: Header=BB493_9 Depth=2
	v_mad_co_u64_u32 v[22:23], null, s20, v2, 0
	s_delay_alu instid0(VALU_DEP_1) | instskip(NEXT) | instid1(VALU_DEP_1)
	v_mad_co_u64_u32 v[23:24], null, s21, v2, v[23:24]
	v_lshlrev_b64_e32 v[22:23], 3, v[22:23]
	s_delay_alu instid0(VALU_DEP_1) | instskip(SKIP_1) | instid1(VALU_DEP_2)
	v_add_co_u32 v22, vcc_lo, v35, v22
	s_wait_alu 0xfffd
	v_add_co_ci_u32_e64 v23, null, v36, v23, vcc_lo
	flat_load_b64 v[24:25], v[22:23]
	s_branch .LBB493_8
.LBB493_15:                             ;   in Loop: Header=BB493_6 Depth=1
	s_wait_loadcnt 0x0
	s_wait_alu 0xfffe
	v_add_co_u32 v2, vcc_lo, v16, s14
	s_wait_alu 0xfffd
	v_add_co_ci_u32_e64 v22, null, s15, v17, vcc_lo
	s_delay_alu instid0(VALU_DEP_2) | instskip(SKIP_1) | instid1(VALU_DEP_2)
	v_add_co_u32 v23, vcc_lo, v2, v8
	s_wait_alu 0xfffd
	v_add_co_ci_u32_e64 v24, null, v22, v9, vcc_lo
	s_and_saveexec_b32 s16, s28
	s_cbranch_execz .LBB493_19
; %bb.16:                               ;   in Loop: Header=BB493_6 Depth=1
	v_mul_f64_e32 v[16:17], s[10:11], v[20:21]
	s_and_b32 vcc_lo, exec_lo, s34
	s_wait_alu 0xfffe
	s_cbranch_vccz .LBB493_30
; %bb.17:                               ;   in Loop: Header=BB493_6 Depth=1
	v_lshlrev_b64_e32 v[20:21], 3, v[0:1]
	s_delay_alu instid0(VALU_DEP_1) | instskip(SKIP_1) | instid1(VALU_DEP_2)
	v_add_co_u32 v20, vcc_lo, v23, v20
	s_wait_alu 0xfffd
	v_add_co_ci_u32_e64 v21, null, v24, v21, vcc_lo
	flat_load_b64 v[33:34], v[20:21]
	s_wait_loadcnt_dscnt 0x0
	v_fma_f64 v[33:34], s[24:25], v[33:34], v[16:17]
	flat_store_b64 v[20:21], v[33:34]
	s_cbranch_execnz .LBB493_19
.LBB493_18:                             ;   in Loop: Header=BB493_6 Depth=1
	v_lshlrev_b64_e32 v[20:21], 3, v[0:1]
	s_delay_alu instid0(VALU_DEP_1) | instskip(SKIP_1) | instid1(VALU_DEP_2)
	v_add_co_u32 v20, vcc_lo, v23, v20
	s_wait_alu 0xfffd
	v_add_co_ci_u32_e64 v21, null, v24, v21, vcc_lo
	flat_store_b64 v[20:21], v[16:17]
.LBB493_19:                             ;   in Loop: Header=BB493_6 Depth=1
	s_wait_alu 0xfffe
	s_or_b32 exec_lo, exec_lo, s16
	s_and_saveexec_b32 s16, s29
	s_cbranch_execz .LBB493_23
; %bb.20:                               ;   in Loop: Header=BB493_6 Depth=1
	v_mul_f64_e32 v[16:17], s[10:11], v[18:19]
	s_and_not1_b32 vcc_lo, exec_lo, s34
	s_wait_alu 0xfffe
	s_cbranch_vccnz .LBB493_31
; %bb.21:                               ;   in Loop: Header=BB493_6 Depth=1
	v_lshlrev_b64_e32 v[18:19], 3, v[4:5]
	s_delay_alu instid0(VALU_DEP_1) | instskip(SKIP_1) | instid1(VALU_DEP_2)
	v_add_co_u32 v18, vcc_lo, v23, v18
	s_wait_alu 0xfffd
	v_add_co_ci_u32_e64 v19, null, v24, v19, vcc_lo
	flat_load_b64 v[20:21], v[18:19]
	s_wait_loadcnt_dscnt 0x0
	v_fma_f64 v[20:21], s[24:25], v[20:21], v[16:17]
	flat_store_b64 v[18:19], v[20:21]
	s_cbranch_execnz .LBB493_23
.LBB493_22:                             ;   in Loop: Header=BB493_6 Depth=1
	v_lshlrev_b64_e32 v[18:19], 3, v[4:5]
	s_delay_alu instid0(VALU_DEP_1) | instskip(SKIP_1) | instid1(VALU_DEP_2)
	v_add_co_u32 v18, vcc_lo, v23, v18
	s_wait_alu 0xfffd
	v_add_co_ci_u32_e64 v19, null, v24, v19, vcc_lo
	flat_store_b64 v[18:19], v[16:17]
.LBB493_23:                             ;   in Loop: Header=BB493_6 Depth=1
	s_wait_alu 0xfffe
	s_or_b32 exec_lo, exec_lo, s16
	v_add_co_u32 v2, vcc_lo, v2, v10
	s_wait_alu 0xfffd
	v_add_co_ci_u32_e64 v18, null, v22, v11, vcc_lo
	s_and_saveexec_b32 s16, s35
	s_cbranch_execz .LBB493_27
; %bb.24:                               ;   in Loop: Header=BB493_6 Depth=1
	v_mul_f64_e32 v[14:15], s[10:11], v[14:15]
	v_lshlrev_b64_e32 v[16:17], 3, v[0:1]
	s_and_not1_b32 vcc_lo, exec_lo, s34
	s_wait_alu 0xfffe
	s_cbranch_vccnz .LBB493_32
; %bb.25:                               ;   in Loop: Header=BB493_6 Depth=1
	s_delay_alu instid0(VALU_DEP_1)
	v_add_co_u32 v19, vcc_lo, v2, v16
	s_wait_alu 0xfffd
	v_add_co_ci_u32_e64 v20, null, v18, v17, vcc_lo
	flat_load_b64 v[21:22], v[19:20]
	s_wait_loadcnt_dscnt 0x0
	v_fma_f64 v[21:22], s[24:25], v[21:22], v[14:15]
	flat_store_b64 v[19:20], v[21:22]
	s_cbranch_execnz .LBB493_27
.LBB493_26:                             ;   in Loop: Header=BB493_6 Depth=1
	s_delay_alu instid0(VALU_DEP_1)
	v_add_co_u32 v16, vcc_lo, v2, v16
	s_wait_alu 0xfffd
	v_add_co_ci_u32_e64 v17, null, v18, v17, vcc_lo
	flat_store_b64 v[16:17], v[14:15]
.LBB493_27:                             ;   in Loop: Header=BB493_6 Depth=1
	s_wait_alu 0xfffe
	s_or_b32 exec_lo, exec_lo, s16
	s_and_saveexec_b32 s16, s36
	s_cbranch_execz .LBB493_5
; %bb.28:                               ;   in Loop: Header=BB493_6 Depth=1
	v_mul_f64_e32 v[12:13], s[10:11], v[12:13]
	v_lshlrev_b64_e32 v[14:15], 3, v[4:5]
	s_and_not1_b32 vcc_lo, exec_lo, s34
	s_wait_alu 0xfffe
	s_cbranch_vccnz .LBB493_33
; %bb.29:                               ;   in Loop: Header=BB493_6 Depth=1
	s_delay_alu instid0(VALU_DEP_1)
	v_add_co_u32 v16, vcc_lo, v2, v14
	s_wait_alu 0xfffd
	v_add_co_ci_u32_e64 v17, null, v18, v15, vcc_lo
	flat_load_b64 v[19:20], v[16:17]
	s_wait_loadcnt_dscnt 0x0
	v_fma_f64 v[19:20], s[24:25], v[19:20], v[12:13]
	flat_store_b64 v[16:17], v[19:20]
	s_cbranch_execnz .LBB493_5
	s_branch .LBB493_34
.LBB493_30:                             ;   in Loop: Header=BB493_6 Depth=1
	s_branch .LBB493_18
.LBB493_31:                             ;   in Loop: Header=BB493_6 Depth=1
	s_branch .LBB493_22
.LBB493_32:                             ;   in Loop: Header=BB493_6 Depth=1
	s_branch .LBB493_26
.LBB493_33:                             ;   in Loop: Header=BB493_6 Depth=1
.LBB493_34:                             ;   in Loop: Header=BB493_6 Depth=1
	s_delay_alu instid0(VALU_DEP_1)
	v_add_co_u32 v14, vcc_lo, v2, v14
	s_wait_alu 0xfffd
	v_add_co_ci_u32_e64 v15, null, v18, v15, vcc_lo
	flat_store_b64 v[14:15], v[12:13]
	s_branch .LBB493_5
.LBB493_35:
	s_endpgm
	.section	.rodata,"a",@progbits
	.p2align	6, 0x0
	.amdhsa_kernel _ZL29rocblas_internal_gemmt_kernelIlLi16ELi32ELi8ELc67ELc84ELc85ELb0ELb0EddPKPKdPKPdEviT_T9_T10_S7_lS9_S7_lS8_T11_S7_li
		.amdhsa_group_segment_fixed_size 4096
		.amdhsa_private_segment_fixed_size 0
		.amdhsa_kernarg_size 108
		.amdhsa_user_sgpr_count 2
		.amdhsa_user_sgpr_dispatch_ptr 0
		.amdhsa_user_sgpr_queue_ptr 0
		.amdhsa_user_sgpr_kernarg_segment_ptr 1
		.amdhsa_user_sgpr_dispatch_id 0
		.amdhsa_user_sgpr_private_segment_size 0
		.amdhsa_wavefront_size32 1
		.amdhsa_uses_dynamic_stack 0
		.amdhsa_enable_private_segment 0
		.amdhsa_system_sgpr_workgroup_id_x 1
		.amdhsa_system_sgpr_workgroup_id_y 1
		.amdhsa_system_sgpr_workgroup_id_z 1
		.amdhsa_system_sgpr_workgroup_info 0
		.amdhsa_system_vgpr_workitem_id 1
		.amdhsa_next_free_vgpr 53
		.amdhsa_next_free_sgpr 39
		.amdhsa_reserve_vcc 1
		.amdhsa_float_round_mode_32 0
		.amdhsa_float_round_mode_16_64 0
		.amdhsa_float_denorm_mode_32 3
		.amdhsa_float_denorm_mode_16_64 3
		.amdhsa_fp16_overflow 0
		.amdhsa_workgroup_processor_mode 1
		.amdhsa_memory_ordered 1
		.amdhsa_forward_progress 1
		.amdhsa_inst_pref_size 17
		.amdhsa_round_robin_scheduling 0
		.amdhsa_exception_fp_ieee_invalid_op 0
		.amdhsa_exception_fp_denorm_src 0
		.amdhsa_exception_fp_ieee_div_zero 0
		.amdhsa_exception_fp_ieee_overflow 0
		.amdhsa_exception_fp_ieee_underflow 0
		.amdhsa_exception_fp_ieee_inexact 0
		.amdhsa_exception_int_div_zero 0
	.end_amdhsa_kernel
	.section	.text._ZL29rocblas_internal_gemmt_kernelIlLi16ELi32ELi8ELc67ELc84ELc85ELb0ELb0EddPKPKdPKPdEviT_T9_T10_S7_lS9_S7_lS8_T11_S7_li,"axG",@progbits,_ZL29rocblas_internal_gemmt_kernelIlLi16ELi32ELi8ELc67ELc84ELc85ELb0ELb0EddPKPKdPKPdEviT_T9_T10_S7_lS9_S7_lS8_T11_S7_li,comdat
.Lfunc_end493:
	.size	_ZL29rocblas_internal_gemmt_kernelIlLi16ELi32ELi8ELc67ELc84ELc85ELb0ELb0EddPKPKdPKPdEviT_T9_T10_S7_lS9_S7_lS8_T11_S7_li, .Lfunc_end493-_ZL29rocblas_internal_gemmt_kernelIlLi16ELi32ELi8ELc67ELc84ELc85ELb0ELb0EddPKPKdPKPdEviT_T9_T10_S7_lS9_S7_lS8_T11_S7_li
                                        ; -- End function
	.set _ZL29rocblas_internal_gemmt_kernelIlLi16ELi32ELi8ELc67ELc84ELc85ELb0ELb0EddPKPKdPKPdEviT_T9_T10_S7_lS9_S7_lS8_T11_S7_li.num_vgpr, 53
	.set _ZL29rocblas_internal_gemmt_kernelIlLi16ELi32ELi8ELc67ELc84ELc85ELb0ELb0EddPKPKdPKPdEviT_T9_T10_S7_lS9_S7_lS8_T11_S7_li.num_agpr, 0
	.set _ZL29rocblas_internal_gemmt_kernelIlLi16ELi32ELi8ELc67ELc84ELc85ELb0ELb0EddPKPKdPKPdEviT_T9_T10_S7_lS9_S7_lS8_T11_S7_li.numbered_sgpr, 39
	.set _ZL29rocblas_internal_gemmt_kernelIlLi16ELi32ELi8ELc67ELc84ELc85ELb0ELb0EddPKPKdPKPdEviT_T9_T10_S7_lS9_S7_lS8_T11_S7_li.num_named_barrier, 0
	.set _ZL29rocblas_internal_gemmt_kernelIlLi16ELi32ELi8ELc67ELc84ELc85ELb0ELb0EddPKPKdPKPdEviT_T9_T10_S7_lS9_S7_lS8_T11_S7_li.private_seg_size, 0
	.set _ZL29rocblas_internal_gemmt_kernelIlLi16ELi32ELi8ELc67ELc84ELc85ELb0ELb0EddPKPKdPKPdEviT_T9_T10_S7_lS9_S7_lS8_T11_S7_li.uses_vcc, 1
	.set _ZL29rocblas_internal_gemmt_kernelIlLi16ELi32ELi8ELc67ELc84ELc85ELb0ELb0EddPKPKdPKPdEviT_T9_T10_S7_lS9_S7_lS8_T11_S7_li.uses_flat_scratch, 0
	.set _ZL29rocblas_internal_gemmt_kernelIlLi16ELi32ELi8ELc67ELc84ELc85ELb0ELb0EddPKPKdPKPdEviT_T9_T10_S7_lS9_S7_lS8_T11_S7_li.has_dyn_sized_stack, 0
	.set _ZL29rocblas_internal_gemmt_kernelIlLi16ELi32ELi8ELc67ELc84ELc85ELb0ELb0EddPKPKdPKPdEviT_T9_T10_S7_lS9_S7_lS8_T11_S7_li.has_recursion, 0
	.set _ZL29rocblas_internal_gemmt_kernelIlLi16ELi32ELi8ELc67ELc84ELc85ELb0ELb0EddPKPKdPKPdEviT_T9_T10_S7_lS9_S7_lS8_T11_S7_li.has_indirect_call, 0
	.section	.AMDGPU.csdata,"",@progbits
; Kernel info:
; codeLenInByte = 2116
; TotalNumSgprs: 41
; NumVgprs: 53
; ScratchSize: 0
; MemoryBound: 0
; FloatMode: 240
; IeeeMode: 1
; LDSByteSize: 4096 bytes/workgroup (compile time only)
; SGPRBlocks: 0
; VGPRBlocks: 6
; NumSGPRsForWavesPerEU: 41
; NumVGPRsForWavesPerEU: 53
; Occupancy: 16
; WaveLimiterHint : 1
; COMPUTE_PGM_RSRC2:SCRATCH_EN: 0
; COMPUTE_PGM_RSRC2:USER_SGPR: 2
; COMPUTE_PGM_RSRC2:TRAP_HANDLER: 0
; COMPUTE_PGM_RSRC2:TGID_X_EN: 1
; COMPUTE_PGM_RSRC2:TGID_Y_EN: 1
; COMPUTE_PGM_RSRC2:TGID_Z_EN: 1
; COMPUTE_PGM_RSRC2:TIDIG_COMP_CNT: 1
	.section	.text._ZL29rocblas_internal_gemmt_kernelIlLi16ELi32ELi8ELc67ELc67ELc85ELb0ELb0EddPKPKdPKPdEviT_T9_T10_S7_lS9_S7_lS8_T11_S7_li,"axG",@progbits,_ZL29rocblas_internal_gemmt_kernelIlLi16ELi32ELi8ELc67ELc67ELc85ELb0ELb0EddPKPKdPKPdEviT_T9_T10_S7_lS9_S7_lS8_T11_S7_li,comdat
	.globl	_ZL29rocblas_internal_gemmt_kernelIlLi16ELi32ELi8ELc67ELc67ELc85ELb0ELb0EddPKPKdPKPdEviT_T9_T10_S7_lS9_S7_lS8_T11_S7_li ; -- Begin function _ZL29rocblas_internal_gemmt_kernelIlLi16ELi32ELi8ELc67ELc67ELc85ELb0ELb0EddPKPKdPKPdEviT_T9_T10_S7_lS9_S7_lS8_T11_S7_li
	.p2align	8
	.type	_ZL29rocblas_internal_gemmt_kernelIlLi16ELi32ELi8ELc67ELc67ELc85ELb0ELb0EddPKPKdPKPdEviT_T9_T10_S7_lS9_S7_lS8_T11_S7_li,@function
_ZL29rocblas_internal_gemmt_kernelIlLi16ELi32ELi8ELc67ELc67ELc85ELb0ELb0EddPKPKdPKPdEviT_T9_T10_S7_lS9_S7_lS8_T11_S7_li: ; @_ZL29rocblas_internal_gemmt_kernelIlLi16ELi32ELi8ELc67ELc67ELc85ELb0ELb0EddPKPKdPKPdEviT_T9_T10_S7_lS9_S7_lS8_T11_S7_li
; %bb.0:
	s_clause 0x1
	s_load_b256 s[24:31], s[0:1], 0x48
	s_load_b512 s[8:23], s[0:1], 0x8
	s_wait_kmcnt 0x0
	v_cmp_neq_f64_e64 s2, s[24:25], 1.0
	s_and_b32 vcc_lo, exec_lo, s2
	s_cbranch_vccnz .LBB494_2
; %bb.1:
	v_cmp_neq_f64_e64 s2, s[10:11], 0
	s_cmp_lg_u64 s[8:9], 0
	s_cselect_b32 s3, -1, 0
	s_delay_alu instid0(SALU_CYCLE_1)
	s_and_b32 s2, s3, s2
.LBB494_2:
	s_delay_alu instid0(SALU_CYCLE_1)
	s_and_not1_b32 vcc_lo, exec_lo, s2
	s_cbranch_vccnz .LBB494_35
; %bb.3:
	s_load_b32 s33, s[0:1], 0x68
	s_lshr_b32 s6, ttmp7, 16
	s_wait_kmcnt 0x0
	s_cmp_ge_u32 s6, s33
	s_cbranch_scc1 .LBB494_35
; %bb.4:
	v_bfe_u32 v5, v0, 10, 10
	s_load_b32 s3, s[0:1], 0x0
	s_lshl_b32 s0, ttmp7, 5
	v_and_b32_e32 v26, 7, v0
	s_and_b32 s0, s0, 0x1fffe0
	s_lshl_b32 s2, ttmp9, 5
	v_add_nc_u32_e32 v13, s0, v5
	v_cmp_neq_f64_e64 s37, s[10:11], 0
	v_cmp_neq_f64_e64 s34, s[24:25], 0
	s_ashr_i32 s1, s2, 31
	v_lshlrev_b32_e32 v3, 3, v26
	v_mad_co_u64_u32 v[8:9], null, s28, v13, 0
	v_and_b32_e32 v4, 0x3ff, v0
	v_add_nc_u32_e32 v15, 16, v13
	s_wait_alu 0xfffe
	s_mul_i32 s1, s14, s1
	v_cmp_gt_i64_e64 s38, s[8:9], 0
	v_lshl_add_u32 v31, v5, 6, 0x800
	v_lshl_add_u32 v0, v5, 4, v4
	s_mov_b32 s7, 0
	s_wait_kmcnt 0x0
	v_cmp_gt_i32_e32 vcc_lo, s3, v13
	s_delay_alu instid0(VALU_DEP_2) | instskip(SKIP_2) | instid1(VALU_DEP_3)
	v_and_b32_e32 v1, 31, v0
	v_lshrrev_b32_e32 v27, 5, v0
	v_lshrrev_b32_e32 v0, 3, v0
	v_or_b32_e32 v2, s2, v1
	v_lshlrev_b32_e32 v1, 3, v1
	s_delay_alu instid0(VALU_DEP_3)
	v_add_nc_u32_e32 v14, s0, v0
	v_lshl_or_b32 v0, v0, 6, v3
	v_mov_b32_e32 v3, 0
	v_mul_lo_u32 v10, s15, v2
	v_mad_co_u64_u32 v[6:7], null, s14, v2, 0
	v_lshl_or_b32 v28, v27, 8, v1
	v_mov_b32_e32 v1, v9
	v_cmp_gt_i32_e64 s0, s3, v2
	v_add_nc_u32_e32 v29, 0x800, v0
	v_add_nc_u32_e32 v0, s2, v4
	v_lshlrev_b32_e32 v30, 3, v4
	s_wait_alu 0xfffe
	v_add3_u32 v7, v7, s1, v10
	v_mad_co_u64_u32 v[10:11], null, s28, v15, 0
	v_mad_co_u64_u32 v[1:2], null, s29, v13, v[1:2]
	v_cmp_le_i32_e64 s2, v0, v13
	v_add_nc_u32_e32 v4, 16, v0
	v_cmp_le_i32_e64 s4, v0, v15
	v_lshlrev_b64_e32 v[6:7], 3, v[6:7]
	v_mov_b32_e32 v2, v11
	s_and_b32 s28, vcc_lo, s2
	v_mov_b32_e32 v9, v1
	v_cmp_gt_i32_e64 s1, s3, v14
	v_cmp_le_i32_e64 s2, v4, v13
	v_mad_co_u64_u32 v[11:12], null, s29, v15, v[2:3]
	v_cmp_gt_i32_e64 s3, s3, v15
	v_cmp_le_i32_e64 s5, v4, v15
	v_lshlrev_b64_e32 v[8:9], 3, v[8:9]
	v_ashrrev_i32_e32 v1, 31, v0
	v_ashrrev_i32_e32 v5, 31, v4
	v_lshlrev_b32_e32 v32, 3, v14
	v_lshlrev_b64_e32 v[10:11], 3, v[10:11]
	s_and_b32 s29, vcc_lo, s2
	s_and_b32 s35, s3, s4
	s_and_b32 s36, s3, s5
	;; [unrolled: 1-line block ×3, first 2 shown]
	s_lshl_b64 s[2:3], s[22:23], 3
	s_lshl_b64 s[4:5], s[16:17], 3
	;; [unrolled: 1-line block ×3, first 2 shown]
	s_branch .LBB494_6
.LBB494_5:                              ;   in Loop: Header=BB494_6 Depth=1
	s_wait_alu 0xfffe
	s_or_b32 exec_lo, exec_lo, s16
	s_add_co_i32 s6, s6, 0x10000
	s_delay_alu instid0(SALU_CYCLE_1)
	s_cmp_lt_u32 s6, s33
	s_cbranch_scc0 .LBB494_35
.LBB494_6:                              ; =>This Loop Header: Depth=1
                                        ;     Child Loop BB494_9 Depth 2
	s_lshl_b64 s[16:17], s[6:7], 3
	v_mov_b32_e32 v20, 0
	s_wait_alu 0xfffe
	s_add_nc_u64 s[22:23], s[26:27], s[16:17]
	v_mov_b32_e32 v14, 0
	global_load_b64 v[16:17], v3, s[22:23]
	v_dual_mov_b32 v21, 0 :: v_dual_mov_b32 v18, 0
	v_dual_mov_b32 v15, 0 :: v_dual_mov_b32 v12, 0
	v_mov_b32_e32 v19, 0
	v_mov_b32_e32 v13, 0
	s_and_not1_b32 vcc_lo, exec_lo, s37
	s_wait_alu 0xfffe
	s_cbranch_vccnz .LBB494_15
; %bb.7:                                ;   in Loop: Header=BB494_6 Depth=1
	s_add_nc_u64 s[22:23], s[12:13], s[16:17]
	s_add_nc_u64 s[16:17], s[18:19], s[16:17]
	s_clause 0x1
	global_load_b64 v[22:23], v3, s[22:23]
	global_load_b64 v[24:25], v3, s[16:17]
	v_mov_b32_e32 v12, 0
	v_dual_mov_b32 v18, 0 :: v_dual_mov_b32 v13, 0
	v_dual_mov_b32 v14, 0 :: v_dual_mov_b32 v19, 0
	;; [unrolled: 1-line block ×3, first 2 shown]
	v_mov_b32_e32 v21, 0
	s_mov_b64 s[16:17], 0
	s_wait_loadcnt 0x1
	v_add_co_u32 v2, vcc_lo, v22, s4
	s_wait_alu 0xfffd
	v_add_co_ci_u32_e64 v22, null, s5, v23, vcc_lo
	s_wait_loadcnt 0x0
	v_add_co_u32 v23, vcc_lo, v24, s2
	s_wait_alu 0xfffd
	v_add_co_ci_u32_e64 v24, null, s3, v25, vcc_lo
	v_add_co_u32 v33, vcc_lo, v2, v6
	s_wait_alu 0xfffd
	v_add_co_ci_u32_e64 v34, null, v22, v7, vcc_lo
	;; [unrolled: 3-line block ×3, first 2 shown]
	s_branch .LBB494_9
.LBB494_8:                              ;   in Loop: Header=BB494_9 Depth=2
	s_or_b32 exec_lo, exec_lo, s22
	s_wait_loadcnt_dscnt 0x0
	ds_store_b64 v29, v[24:25]
	s_wait_dscnt 0x0
	s_barrier_signal -1
	s_barrier_wait -1
	global_inv scope:SCOPE_SE
	ds_load_b128 v[22:25], v31
	ds_load_2addr_b64 v[37:40], v30 offset1:16
	ds_load_b128 v[41:44], v31 offset:1024
	ds_load_b128 v[45:48], v31 offset:16
	;; [unrolled: 1-line block ×3, first 2 shown]
	s_add_nc_u64 s[16:17], s[16:17], 8
	s_wait_alu 0xfffe
	v_cmp_gt_i64_e64 s22, s[8:9], s[16:17]
	s_and_b32 vcc_lo, exec_lo, s22
	s_wait_dscnt 0x3
	v_fma_f64 v[20:21], v[37:38], v[22:23], v[20:21]
	v_fma_f64 v[18:19], v[39:40], v[22:23], v[18:19]
	s_wait_dscnt 0x2
	v_fma_f64 v[22:23], v[37:38], v[41:42], v[14:15]
	v_fma_f64 v[37:38], v[39:40], v[41:42], v[12:13]
	ds_load_2addr_b64 v[12:15], v30 offset0:32 offset1:48
	s_wait_dscnt 0x0
	v_fma_f64 v[20:21], v[12:13], v[24:25], v[20:21]
	v_fma_f64 v[18:19], v[14:15], v[24:25], v[18:19]
	v_fma_f64 v[22:23], v[12:13], v[43:44], v[22:23]
	v_fma_f64 v[24:25], v[14:15], v[43:44], v[37:38]
	ds_load_2addr_b64 v[12:15], v30 offset0:64 offset1:80
	s_wait_dscnt 0x0
	v_fma_f64 v[20:21], v[12:13], v[45:46], v[20:21]
	v_fma_f64 v[18:19], v[14:15], v[45:46], v[18:19]
	;; [unrolled: 6-line block ×3, first 2 shown]
	v_fma_f64 v[49:50], v[12:13], v[51:52], v[22:23]
	v_fma_f64 v[51:52], v[14:15], v[51:52], v[24:25]
	ds_load_b128 v[12:15], v31 offset:32
	ds_load_2addr_b64 v[18:21], v30 offset0:128 offset1:144
	ds_load_b128 v[22:25], v31 offset:1056
	ds_load_b128 v[37:40], v31 offset:48
	;; [unrolled: 1-line block ×3, first 2 shown]
	s_wait_dscnt 0x3
	v_fma_f64 v[45:46], v[18:19], v[12:13], v[45:46]
	v_fma_f64 v[12:13], v[20:21], v[12:13], v[47:48]
	s_wait_dscnt 0x2
	v_fma_f64 v[47:48], v[18:19], v[22:23], v[49:50]
	v_fma_f64 v[22:23], v[20:21], v[22:23], v[51:52]
	ds_load_2addr_b64 v[18:21], v30 offset0:160 offset1:176
	s_wait_dscnt 0x0
	v_fma_f64 v[45:46], v[18:19], v[14:15], v[45:46]
	v_fma_f64 v[49:50], v[20:21], v[14:15], v[12:13]
	;; [unrolled: 1-line block ×4, first 2 shown]
	ds_load_2addr_b64 v[12:15], v30 offset0:192 offset1:208
	ds_load_2addr_b64 v[22:25], v30 offset0:224 offset1:240
	s_wait_loadcnt_dscnt 0x0
	s_barrier_signal -1
	s_barrier_wait -1
	global_inv scope:SCOPE_SE
	v_fma_f64 v[45:46], v[12:13], v[37:38], v[45:46]
	v_fma_f64 v[37:38], v[14:15], v[37:38], v[49:50]
	;; [unrolled: 1-line block ×4, first 2 shown]
	s_delay_alu instid0(VALU_DEP_4) | instskip(NEXT) | instid1(VALU_DEP_4)
	v_fma_f64 v[20:21], v[22:23], v[39:40], v[45:46]
	v_fma_f64 v[18:19], v[24:25], v[39:40], v[37:38]
	s_delay_alu instid0(VALU_DEP_4) | instskip(NEXT) | instid1(VALU_DEP_4)
	v_fma_f64 v[14:15], v[22:23], v[43:44], v[12:13]
	v_fma_f64 v[12:13], v[24:25], v[43:44], v[41:42]
	s_wait_alu 0xfffe
	s_cbranch_vccz .LBB494_15
.LBB494_9:                              ;   Parent Loop BB494_6 Depth=1
                                        ; =>  This Inner Loop Header: Depth=2
	v_mov_b32_e32 v22, 0
	v_mov_b32_e32 v23, 0
	s_and_saveexec_b32 s22, s0
	s_cbranch_execz .LBB494_13
; %bb.10:                               ;   in Loop: Header=BB494_9 Depth=2
	v_mov_b32_e32 v22, 0
	s_wait_alu 0xfffe
	v_dual_mov_b32 v23, 0 :: v_dual_add_nc_u32 v2, s16, v27
	s_mov_b32 s23, exec_lo
	s_delay_alu instid0(VALU_DEP_1)
	v_cmpx_gt_u64_e64 s[8:9], v[2:3]
	s_cbranch_execz .LBB494_12
; %bb.11:                               ;   in Loop: Header=BB494_9 Depth=2
	v_lshlrev_b64_e32 v[22:23], 3, v[2:3]
	s_delay_alu instid0(VALU_DEP_1) | instskip(SKIP_1) | instid1(VALU_DEP_2)
	v_add_co_u32 v22, vcc_lo, v33, v22
	s_wait_alu 0xfffd
	v_add_co_ci_u32_e64 v23, null, v34, v23, vcc_lo
	flat_load_b64 v[22:23], v[22:23]
.LBB494_12:                             ;   in Loop: Header=BB494_9 Depth=2
	s_or_b32 exec_lo, exec_lo, s23
.LBB494_13:                             ;   in Loop: Header=BB494_9 Depth=2
	s_delay_alu instid0(SALU_CYCLE_1)
	s_or_b32 exec_lo, exec_lo, s22
	s_wait_alu 0xfffe
	v_add_nc_u32_e32 v2, s16, v26
	v_mov_b32_e32 v24, 0
	v_mov_b32_e32 v25, 0
	s_wait_loadcnt_dscnt 0x0
	ds_store_b64 v28, v[22:23]
	v_cmp_gt_u64_e32 vcc_lo, s[8:9], v[2:3]
	s_and_b32 s23, vcc_lo, s1
	s_delay_alu instid0(SALU_CYCLE_1)
	s_and_saveexec_b32 s22, s23
	s_cbranch_execz .LBB494_8
; %bb.14:                               ;   in Loop: Header=BB494_9 Depth=2
	v_mad_co_u64_u32 v[22:23], null, s20, v2, 0
	s_delay_alu instid0(VALU_DEP_1) | instskip(NEXT) | instid1(VALU_DEP_1)
	v_mad_co_u64_u32 v[23:24], null, s21, v2, v[23:24]
	v_lshlrev_b64_e32 v[22:23], 3, v[22:23]
	s_delay_alu instid0(VALU_DEP_1) | instskip(SKIP_1) | instid1(VALU_DEP_2)
	v_add_co_u32 v22, vcc_lo, v35, v22
	s_wait_alu 0xfffd
	v_add_co_ci_u32_e64 v23, null, v36, v23, vcc_lo
	flat_load_b64 v[24:25], v[22:23]
	s_branch .LBB494_8
.LBB494_15:                             ;   in Loop: Header=BB494_6 Depth=1
	s_wait_loadcnt 0x0
	s_wait_alu 0xfffe
	v_add_co_u32 v2, vcc_lo, v16, s14
	s_wait_alu 0xfffd
	v_add_co_ci_u32_e64 v22, null, s15, v17, vcc_lo
	s_delay_alu instid0(VALU_DEP_2) | instskip(SKIP_1) | instid1(VALU_DEP_2)
	v_add_co_u32 v23, vcc_lo, v2, v8
	s_wait_alu 0xfffd
	v_add_co_ci_u32_e64 v24, null, v22, v9, vcc_lo
	s_and_saveexec_b32 s16, s28
	s_cbranch_execz .LBB494_19
; %bb.16:                               ;   in Loop: Header=BB494_6 Depth=1
	v_mul_f64_e32 v[16:17], s[10:11], v[20:21]
	s_and_b32 vcc_lo, exec_lo, s34
	s_wait_alu 0xfffe
	s_cbranch_vccz .LBB494_30
; %bb.17:                               ;   in Loop: Header=BB494_6 Depth=1
	v_lshlrev_b64_e32 v[20:21], 3, v[0:1]
	s_delay_alu instid0(VALU_DEP_1) | instskip(SKIP_1) | instid1(VALU_DEP_2)
	v_add_co_u32 v20, vcc_lo, v23, v20
	s_wait_alu 0xfffd
	v_add_co_ci_u32_e64 v21, null, v24, v21, vcc_lo
	flat_load_b64 v[33:34], v[20:21]
	s_wait_loadcnt_dscnt 0x0
	v_fma_f64 v[33:34], s[24:25], v[33:34], v[16:17]
	flat_store_b64 v[20:21], v[33:34]
	s_cbranch_execnz .LBB494_19
.LBB494_18:                             ;   in Loop: Header=BB494_6 Depth=1
	v_lshlrev_b64_e32 v[20:21], 3, v[0:1]
	s_delay_alu instid0(VALU_DEP_1) | instskip(SKIP_1) | instid1(VALU_DEP_2)
	v_add_co_u32 v20, vcc_lo, v23, v20
	s_wait_alu 0xfffd
	v_add_co_ci_u32_e64 v21, null, v24, v21, vcc_lo
	flat_store_b64 v[20:21], v[16:17]
.LBB494_19:                             ;   in Loop: Header=BB494_6 Depth=1
	s_wait_alu 0xfffe
	s_or_b32 exec_lo, exec_lo, s16
	s_and_saveexec_b32 s16, s29
	s_cbranch_execz .LBB494_23
; %bb.20:                               ;   in Loop: Header=BB494_6 Depth=1
	v_mul_f64_e32 v[16:17], s[10:11], v[18:19]
	s_and_not1_b32 vcc_lo, exec_lo, s34
	s_wait_alu 0xfffe
	s_cbranch_vccnz .LBB494_31
; %bb.21:                               ;   in Loop: Header=BB494_6 Depth=1
	v_lshlrev_b64_e32 v[18:19], 3, v[4:5]
	s_delay_alu instid0(VALU_DEP_1) | instskip(SKIP_1) | instid1(VALU_DEP_2)
	v_add_co_u32 v18, vcc_lo, v23, v18
	s_wait_alu 0xfffd
	v_add_co_ci_u32_e64 v19, null, v24, v19, vcc_lo
	flat_load_b64 v[20:21], v[18:19]
	s_wait_loadcnt_dscnt 0x0
	v_fma_f64 v[20:21], s[24:25], v[20:21], v[16:17]
	flat_store_b64 v[18:19], v[20:21]
	s_cbranch_execnz .LBB494_23
.LBB494_22:                             ;   in Loop: Header=BB494_6 Depth=1
	v_lshlrev_b64_e32 v[18:19], 3, v[4:5]
	s_delay_alu instid0(VALU_DEP_1) | instskip(SKIP_1) | instid1(VALU_DEP_2)
	v_add_co_u32 v18, vcc_lo, v23, v18
	s_wait_alu 0xfffd
	v_add_co_ci_u32_e64 v19, null, v24, v19, vcc_lo
	flat_store_b64 v[18:19], v[16:17]
.LBB494_23:                             ;   in Loop: Header=BB494_6 Depth=1
	s_wait_alu 0xfffe
	s_or_b32 exec_lo, exec_lo, s16
	v_add_co_u32 v2, vcc_lo, v2, v10
	s_wait_alu 0xfffd
	v_add_co_ci_u32_e64 v18, null, v22, v11, vcc_lo
	s_and_saveexec_b32 s16, s35
	s_cbranch_execz .LBB494_27
; %bb.24:                               ;   in Loop: Header=BB494_6 Depth=1
	v_mul_f64_e32 v[14:15], s[10:11], v[14:15]
	v_lshlrev_b64_e32 v[16:17], 3, v[0:1]
	s_and_not1_b32 vcc_lo, exec_lo, s34
	s_wait_alu 0xfffe
	s_cbranch_vccnz .LBB494_32
; %bb.25:                               ;   in Loop: Header=BB494_6 Depth=1
	s_delay_alu instid0(VALU_DEP_1)
	v_add_co_u32 v19, vcc_lo, v2, v16
	s_wait_alu 0xfffd
	v_add_co_ci_u32_e64 v20, null, v18, v17, vcc_lo
	flat_load_b64 v[21:22], v[19:20]
	s_wait_loadcnt_dscnt 0x0
	v_fma_f64 v[21:22], s[24:25], v[21:22], v[14:15]
	flat_store_b64 v[19:20], v[21:22]
	s_cbranch_execnz .LBB494_27
.LBB494_26:                             ;   in Loop: Header=BB494_6 Depth=1
	s_delay_alu instid0(VALU_DEP_1)
	v_add_co_u32 v16, vcc_lo, v2, v16
	s_wait_alu 0xfffd
	v_add_co_ci_u32_e64 v17, null, v18, v17, vcc_lo
	flat_store_b64 v[16:17], v[14:15]
.LBB494_27:                             ;   in Loop: Header=BB494_6 Depth=1
	s_wait_alu 0xfffe
	s_or_b32 exec_lo, exec_lo, s16
	s_and_saveexec_b32 s16, s36
	s_cbranch_execz .LBB494_5
; %bb.28:                               ;   in Loop: Header=BB494_6 Depth=1
	v_mul_f64_e32 v[12:13], s[10:11], v[12:13]
	v_lshlrev_b64_e32 v[14:15], 3, v[4:5]
	s_and_not1_b32 vcc_lo, exec_lo, s34
	s_wait_alu 0xfffe
	s_cbranch_vccnz .LBB494_33
; %bb.29:                               ;   in Loop: Header=BB494_6 Depth=1
	s_delay_alu instid0(VALU_DEP_1)
	v_add_co_u32 v16, vcc_lo, v2, v14
	s_wait_alu 0xfffd
	v_add_co_ci_u32_e64 v17, null, v18, v15, vcc_lo
	flat_load_b64 v[19:20], v[16:17]
	s_wait_loadcnt_dscnt 0x0
	v_fma_f64 v[19:20], s[24:25], v[19:20], v[12:13]
	flat_store_b64 v[16:17], v[19:20]
	s_cbranch_execnz .LBB494_5
	s_branch .LBB494_34
.LBB494_30:                             ;   in Loop: Header=BB494_6 Depth=1
	s_branch .LBB494_18
.LBB494_31:                             ;   in Loop: Header=BB494_6 Depth=1
	s_branch .LBB494_22
.LBB494_32:                             ;   in Loop: Header=BB494_6 Depth=1
	s_branch .LBB494_26
.LBB494_33:                             ;   in Loop: Header=BB494_6 Depth=1
.LBB494_34:                             ;   in Loop: Header=BB494_6 Depth=1
	s_delay_alu instid0(VALU_DEP_1)
	v_add_co_u32 v14, vcc_lo, v2, v14
	s_wait_alu 0xfffd
	v_add_co_ci_u32_e64 v15, null, v18, v15, vcc_lo
	flat_store_b64 v[14:15], v[12:13]
	s_branch .LBB494_5
.LBB494_35:
	s_endpgm
	.section	.rodata,"a",@progbits
	.p2align	6, 0x0
	.amdhsa_kernel _ZL29rocblas_internal_gemmt_kernelIlLi16ELi32ELi8ELc67ELc67ELc85ELb0ELb0EddPKPKdPKPdEviT_T9_T10_S7_lS9_S7_lS8_T11_S7_li
		.amdhsa_group_segment_fixed_size 4096
		.amdhsa_private_segment_fixed_size 0
		.amdhsa_kernarg_size 108
		.amdhsa_user_sgpr_count 2
		.amdhsa_user_sgpr_dispatch_ptr 0
		.amdhsa_user_sgpr_queue_ptr 0
		.amdhsa_user_sgpr_kernarg_segment_ptr 1
		.amdhsa_user_sgpr_dispatch_id 0
		.amdhsa_user_sgpr_private_segment_size 0
		.amdhsa_wavefront_size32 1
		.amdhsa_uses_dynamic_stack 0
		.amdhsa_enable_private_segment 0
		.amdhsa_system_sgpr_workgroup_id_x 1
		.amdhsa_system_sgpr_workgroup_id_y 1
		.amdhsa_system_sgpr_workgroup_id_z 1
		.amdhsa_system_sgpr_workgroup_info 0
		.amdhsa_system_vgpr_workitem_id 1
		.amdhsa_next_free_vgpr 53
		.amdhsa_next_free_sgpr 39
		.amdhsa_reserve_vcc 1
		.amdhsa_float_round_mode_32 0
		.amdhsa_float_round_mode_16_64 0
		.amdhsa_float_denorm_mode_32 3
		.amdhsa_float_denorm_mode_16_64 3
		.amdhsa_fp16_overflow 0
		.amdhsa_workgroup_processor_mode 1
		.amdhsa_memory_ordered 1
		.amdhsa_forward_progress 1
		.amdhsa_inst_pref_size 17
		.amdhsa_round_robin_scheduling 0
		.amdhsa_exception_fp_ieee_invalid_op 0
		.amdhsa_exception_fp_denorm_src 0
		.amdhsa_exception_fp_ieee_div_zero 0
		.amdhsa_exception_fp_ieee_overflow 0
		.amdhsa_exception_fp_ieee_underflow 0
		.amdhsa_exception_fp_ieee_inexact 0
		.amdhsa_exception_int_div_zero 0
	.end_amdhsa_kernel
	.section	.text._ZL29rocblas_internal_gemmt_kernelIlLi16ELi32ELi8ELc67ELc67ELc85ELb0ELb0EddPKPKdPKPdEviT_T9_T10_S7_lS9_S7_lS8_T11_S7_li,"axG",@progbits,_ZL29rocblas_internal_gemmt_kernelIlLi16ELi32ELi8ELc67ELc67ELc85ELb0ELb0EddPKPKdPKPdEviT_T9_T10_S7_lS9_S7_lS8_T11_S7_li,comdat
.Lfunc_end494:
	.size	_ZL29rocblas_internal_gemmt_kernelIlLi16ELi32ELi8ELc67ELc67ELc85ELb0ELb0EddPKPKdPKPdEviT_T9_T10_S7_lS9_S7_lS8_T11_S7_li, .Lfunc_end494-_ZL29rocblas_internal_gemmt_kernelIlLi16ELi32ELi8ELc67ELc67ELc85ELb0ELb0EddPKPKdPKPdEviT_T9_T10_S7_lS9_S7_lS8_T11_S7_li
                                        ; -- End function
	.set _ZL29rocblas_internal_gemmt_kernelIlLi16ELi32ELi8ELc67ELc67ELc85ELb0ELb0EddPKPKdPKPdEviT_T9_T10_S7_lS9_S7_lS8_T11_S7_li.num_vgpr, 53
	.set _ZL29rocblas_internal_gemmt_kernelIlLi16ELi32ELi8ELc67ELc67ELc85ELb0ELb0EddPKPKdPKPdEviT_T9_T10_S7_lS9_S7_lS8_T11_S7_li.num_agpr, 0
	.set _ZL29rocblas_internal_gemmt_kernelIlLi16ELi32ELi8ELc67ELc67ELc85ELb0ELb0EddPKPKdPKPdEviT_T9_T10_S7_lS9_S7_lS8_T11_S7_li.numbered_sgpr, 39
	.set _ZL29rocblas_internal_gemmt_kernelIlLi16ELi32ELi8ELc67ELc67ELc85ELb0ELb0EddPKPKdPKPdEviT_T9_T10_S7_lS9_S7_lS8_T11_S7_li.num_named_barrier, 0
	.set _ZL29rocblas_internal_gemmt_kernelIlLi16ELi32ELi8ELc67ELc67ELc85ELb0ELb0EddPKPKdPKPdEviT_T9_T10_S7_lS9_S7_lS8_T11_S7_li.private_seg_size, 0
	.set _ZL29rocblas_internal_gemmt_kernelIlLi16ELi32ELi8ELc67ELc67ELc85ELb0ELb0EddPKPKdPKPdEviT_T9_T10_S7_lS9_S7_lS8_T11_S7_li.uses_vcc, 1
	.set _ZL29rocblas_internal_gemmt_kernelIlLi16ELi32ELi8ELc67ELc67ELc85ELb0ELb0EddPKPKdPKPdEviT_T9_T10_S7_lS9_S7_lS8_T11_S7_li.uses_flat_scratch, 0
	.set _ZL29rocblas_internal_gemmt_kernelIlLi16ELi32ELi8ELc67ELc67ELc85ELb0ELb0EddPKPKdPKPdEviT_T9_T10_S7_lS9_S7_lS8_T11_S7_li.has_dyn_sized_stack, 0
	.set _ZL29rocblas_internal_gemmt_kernelIlLi16ELi32ELi8ELc67ELc67ELc85ELb0ELb0EddPKPKdPKPdEviT_T9_T10_S7_lS9_S7_lS8_T11_S7_li.has_recursion, 0
	.set _ZL29rocblas_internal_gemmt_kernelIlLi16ELi32ELi8ELc67ELc67ELc85ELb0ELb0EddPKPKdPKPdEviT_T9_T10_S7_lS9_S7_lS8_T11_S7_li.has_indirect_call, 0
	.section	.AMDGPU.csdata,"",@progbits
; Kernel info:
; codeLenInByte = 2116
; TotalNumSgprs: 41
; NumVgprs: 53
; ScratchSize: 0
; MemoryBound: 0
; FloatMode: 240
; IeeeMode: 1
; LDSByteSize: 4096 bytes/workgroup (compile time only)
; SGPRBlocks: 0
; VGPRBlocks: 6
; NumSGPRsForWavesPerEU: 41
; NumVGPRsForWavesPerEU: 53
; Occupancy: 16
; WaveLimiterHint : 1
; COMPUTE_PGM_RSRC2:SCRATCH_EN: 0
; COMPUTE_PGM_RSRC2:USER_SGPR: 2
; COMPUTE_PGM_RSRC2:TRAP_HANDLER: 0
; COMPUTE_PGM_RSRC2:TGID_X_EN: 1
; COMPUTE_PGM_RSRC2:TGID_Y_EN: 1
; COMPUTE_PGM_RSRC2:TGID_Z_EN: 1
; COMPUTE_PGM_RSRC2:TIDIG_COMP_CNT: 1
	.section	.text._ZL29rocblas_internal_gemmt_kernelIlLi16ELi32ELi8ELc78ELc78ELc76ELb0ELb0EddPKPKdPKPdEviT_T9_T10_S7_lS9_S7_lS8_T11_S7_li,"axG",@progbits,_ZL29rocblas_internal_gemmt_kernelIlLi16ELi32ELi8ELc78ELc78ELc76ELb0ELb0EddPKPKdPKPdEviT_T9_T10_S7_lS9_S7_lS8_T11_S7_li,comdat
	.globl	_ZL29rocblas_internal_gemmt_kernelIlLi16ELi32ELi8ELc78ELc78ELc76ELb0ELb0EddPKPKdPKPdEviT_T9_T10_S7_lS9_S7_lS8_T11_S7_li ; -- Begin function _ZL29rocblas_internal_gemmt_kernelIlLi16ELi32ELi8ELc78ELc78ELc76ELb0ELb0EddPKPKdPKPdEviT_T9_T10_S7_lS9_S7_lS8_T11_S7_li
	.p2align	8
	.type	_ZL29rocblas_internal_gemmt_kernelIlLi16ELi32ELi8ELc78ELc78ELc76ELb0ELb0EddPKPKdPKPdEviT_T9_T10_S7_lS9_S7_lS8_T11_S7_li,@function
_ZL29rocblas_internal_gemmt_kernelIlLi16ELi32ELi8ELc78ELc78ELc76ELb0ELb0EddPKPKdPKPdEviT_T9_T10_S7_lS9_S7_lS8_T11_S7_li: ; @_ZL29rocblas_internal_gemmt_kernelIlLi16ELi32ELi8ELc78ELc78ELc76ELb0ELb0EddPKPKdPKPdEviT_T9_T10_S7_lS9_S7_lS8_T11_S7_li
; %bb.0:
	s_clause 0x1
	s_load_b256 s[24:31], s[0:1], 0x48
	s_load_b512 s[8:23], s[0:1], 0x8
	s_wait_kmcnt 0x0
	v_cmp_neq_f64_e64 s2, s[24:25], 1.0
	s_and_b32 vcc_lo, exec_lo, s2
	s_cbranch_vccnz .LBB495_2
; %bb.1:
	v_cmp_neq_f64_e64 s2, s[10:11], 0
	s_cmp_lg_u64 s[8:9], 0
	s_cselect_b32 s3, -1, 0
	s_delay_alu instid0(SALU_CYCLE_1)
	s_and_b32 s2, s3, s2
.LBB495_2:
	s_delay_alu instid0(SALU_CYCLE_1)
	s_and_not1_b32 vcc_lo, exec_lo, s2
	s_cbranch_vccnz .LBB495_35
; %bb.3:
	s_load_b32 s33, s[0:1], 0x68
	s_lshr_b32 s6, ttmp7, 16
	s_wait_kmcnt 0x0
	s_cmp_ge_u32 s6, s33
	s_cbranch_scc1 .LBB495_35
; %bb.4:
	v_bfe_u32 v2, v0, 10, 10
	s_load_b32 s4, s[0:1], 0x0
	s_lshl_b32 s1, ttmp7, 5
	s_lshl_b32 s0, ttmp9, 5
	s_and_b32 s1, s1, 0x1fffe0
	v_lshl_add_u32 v30, v2, 6, 0x800
	v_add_nc_u32_e32 v15, s1, v2
	v_cmp_neq_f64_e64 s37, s[10:11], 0
	v_cmp_neq_f64_e64 s34, s[24:25], 0
	v_cmp_gt_i64_e64 s38, s[8:9], 0
	s_mov_b32 s7, 0
	v_mad_co_u64_u32 v[10:11], null, s28, v15, 0
	v_and_b32_e32 v1, 0x3ff, v0
	v_add_nc_u32_e32 v16, 16, v15
	s_delay_alu instid0(VALU_DEP_2) | instskip(NEXT) | instid1(VALU_DEP_2)
	v_lshl_add_u32 v3, v2, 4, v1
	v_mad_co_u64_u32 v[12:13], null, s28, v16, 0
	s_delay_alu instid0(VALU_DEP_2) | instskip(SKIP_2) | instid1(VALU_DEP_3)
	v_lshrrev_b32_e32 v4, 3, v3
	v_and_b32_e32 v2, 31, v3
	v_lshrrev_b32_e32 v31, 5, v3
	v_add_nc_u32_e32 v14, s1, v4
	s_delay_alu instid0(VALU_DEP_3) | instskip(SKIP_2) | instid1(VALU_DEP_4)
	v_or_b32_e32 v6, s0, v2
	v_dual_mov_b32 v2, v11 :: v_dual_lshlrev_b32 v7, 3, v2
	v_lshlrev_b32_e32 v29, 3, v1
	v_mad_co_u64_u32 v[8:9], null, s20, v14, 0
	v_and_b32_e32 v28, 7, v0
	v_add_nc_u32_e32 v0, s0, v1
	v_lshl_or_b32 v32, v31, 8, v7
	v_ashrrev_i32_e32 v7, 31, v6
	s_wait_kmcnt 0x0
	v_cmp_gt_i32_e64 s0, s4, v6
	v_mov_b32_e32 v1, v9
	v_lshlrev_b32_e32 v5, 3, v28
	v_lshlrev_b64_e32 v[6:7], 3, v[6:7]
	s_and_b32 s37, s37, s38
	s_delay_alu instid0(VALU_DEP_2) | instskip(SKIP_1) | instid1(VALU_DEP_2)
	v_lshl_or_b32 v5, v4, 6, v5
	v_mad_co_u64_u32 v[3:4], null, s21, v14, v[1:2]
	v_add_nc_u32_e32 v33, 0x800, v5
	s_delay_alu instid0(VALU_DEP_2) | instskip(SKIP_2) | instid1(VALU_DEP_2)
	v_mad_co_u64_u32 v[1:2], null, s29, v15, v[2:3]
	v_mov_b32_e32 v9, v3
	v_cmp_gt_i32_e64 s1, s4, v14
	v_lshlrev_b64_e32 v[8:9], 3, v[8:9]
	s_delay_alu instid0(VALU_DEP_4) | instskip(SKIP_3) | instid1(VALU_DEP_4)
	v_mov_b32_e32 v11, v1
	v_dual_mov_b32 v1, v13 :: v_dual_add_nc_u32 v2, 16, v0
	v_cmp_le_i32_e32 vcc_lo, v15, v0
	v_cmp_gt_i32_e64 s2, s4, v0
	v_lshlrev_b64_e32 v[10:11], 3, v[10:11]
	s_delay_alu instid0(VALU_DEP_4)
	v_mad_co_u64_u32 v[4:5], null, s29, v16, v[1:2]
	s_and_b32 s28, vcc_lo, s2
	v_mov_b32_e32 v5, 0
	v_cmp_le_i32_e64 s3, v15, v2
	v_cmp_gt_i32_e64 s4, s4, v2
	v_ashrrev_i32_e32 v1, 31, v0
	v_ashrrev_i32_e32 v3, 31, v2
	v_mov_b32_e32 v13, v4
	v_cmp_le_i32_e32 vcc_lo, v16, v0
	v_cmp_le_i32_e64 s5, v16, v2
	s_and_b32 s29, s3, s4
	v_lshlrev_b64_e32 v[12:13], 3, v[12:13]
	s_and_b32 s35, vcc_lo, s2
	s_and_b32 s36, s5, s4
	s_lshl_b64 s[2:3], s[22:23], 3
	s_lshl_b64 s[4:5], s[16:17], 3
	;; [unrolled: 1-line block ×3, first 2 shown]
	s_branch .LBB495_6
.LBB495_5:                              ;   in Loop: Header=BB495_6 Depth=1
	s_wait_alu 0xfffe
	s_or_b32 exec_lo, exec_lo, s20
	s_add_co_i32 s6, s6, 0x10000
	s_delay_alu instid0(SALU_CYCLE_1)
	s_cmp_lt_u32 s6, s33
	s_cbranch_scc0 .LBB495_35
.LBB495_6:                              ; =>This Loop Header: Depth=1
                                        ;     Child Loop BB495_9 Depth 2
	s_lshl_b64 s[20:21], s[6:7], 3
	v_mov_b32_e32 v22, 0
	s_wait_alu 0xfffe
	s_add_nc_u64 s[22:23], s[26:27], s[20:21]
	v_mov_b32_e32 v16, 0
	global_load_b64 v[18:19], v5, s[22:23]
	v_dual_mov_b32 v23, 0 :: v_dual_mov_b32 v20, 0
	v_dual_mov_b32 v17, 0 :: v_dual_mov_b32 v14, 0
	v_mov_b32_e32 v21, 0
	v_mov_b32_e32 v15, 0
	s_and_not1_b32 vcc_lo, exec_lo, s37
	s_wait_alu 0xfffe
	s_cbranch_vccnz .LBB495_15
; %bb.7:                                ;   in Loop: Header=BB495_6 Depth=1
	s_add_nc_u64 s[22:23], s[12:13], s[20:21]
	s_add_nc_u64 s[20:21], s[18:19], s[20:21]
	s_clause 0x1
	global_load_b64 v[24:25], v5, s[22:23]
	global_load_b64 v[26:27], v5, s[20:21]
	v_mov_b32_e32 v14, 0
	v_dual_mov_b32 v20, 0 :: v_dual_mov_b32 v15, 0
	v_dual_mov_b32 v16, 0 :: v_dual_mov_b32 v21, 0
	;; [unrolled: 1-line block ×3, first 2 shown]
	v_mov_b32_e32 v23, 0
	s_mov_b64 s[20:21], 0
	s_wait_loadcnt 0x1
	v_add_co_u32 v4, vcc_lo, v24, s4
	s_wait_alu 0xfffd
	v_add_co_ci_u32_e64 v24, null, s5, v25, vcc_lo
	s_wait_loadcnt 0x0
	v_add_co_u32 v25, vcc_lo, v26, s2
	s_wait_alu 0xfffd
	v_add_co_ci_u32_e64 v26, null, s3, v27, vcc_lo
	v_add_co_u32 v34, vcc_lo, v4, v6
	s_wait_alu 0xfffd
	v_add_co_ci_u32_e64 v35, null, v24, v7, vcc_lo
	;; [unrolled: 3-line block ×3, first 2 shown]
	s_branch .LBB495_9
.LBB495_8:                              ;   in Loop: Header=BB495_9 Depth=2
	s_or_b32 exec_lo, exec_lo, s22
	s_wait_loadcnt_dscnt 0x0
	ds_store_b64 v33, v[26:27]
	s_wait_dscnt 0x0
	s_barrier_signal -1
	s_barrier_wait -1
	global_inv scope:SCOPE_SE
	ds_load_b128 v[24:27], v30
	ds_load_2addr_b64 v[38:41], v29 offset1:16
	ds_load_b128 v[42:45], v30 offset:1024
	ds_load_b128 v[46:49], v30 offset:16
	;; [unrolled: 1-line block ×3, first 2 shown]
	s_add_nc_u64 s[20:21], s[20:21], 8
	s_wait_alu 0xfffe
	v_cmp_gt_i64_e64 s22, s[8:9], s[20:21]
	s_and_b32 vcc_lo, exec_lo, s22
	s_wait_dscnt 0x3
	v_fma_f64 v[22:23], v[38:39], v[24:25], v[22:23]
	v_fma_f64 v[20:21], v[40:41], v[24:25], v[20:21]
	s_wait_dscnt 0x2
	v_fma_f64 v[24:25], v[38:39], v[42:43], v[16:17]
	v_fma_f64 v[38:39], v[40:41], v[42:43], v[14:15]
	ds_load_2addr_b64 v[14:17], v29 offset0:32 offset1:48
	s_wait_dscnt 0x0
	v_fma_f64 v[22:23], v[14:15], v[26:27], v[22:23]
	v_fma_f64 v[20:21], v[16:17], v[26:27], v[20:21]
	v_fma_f64 v[24:25], v[14:15], v[44:45], v[24:25]
	v_fma_f64 v[26:27], v[16:17], v[44:45], v[38:39]
	ds_load_2addr_b64 v[14:17], v29 offset0:64 offset1:80
	s_wait_dscnt 0x0
	v_fma_f64 v[22:23], v[14:15], v[46:47], v[22:23]
	v_fma_f64 v[20:21], v[16:17], v[46:47], v[20:21]
	;; [unrolled: 6-line block ×3, first 2 shown]
	v_fma_f64 v[50:51], v[14:15], v[52:53], v[24:25]
	v_fma_f64 v[52:53], v[16:17], v[52:53], v[26:27]
	ds_load_b128 v[14:17], v30 offset:32
	ds_load_2addr_b64 v[20:23], v29 offset0:128 offset1:144
	ds_load_b128 v[24:27], v30 offset:1056
	ds_load_b128 v[38:41], v30 offset:48
	;; [unrolled: 1-line block ×3, first 2 shown]
	s_wait_dscnt 0x3
	v_fma_f64 v[46:47], v[20:21], v[14:15], v[46:47]
	v_fma_f64 v[14:15], v[22:23], v[14:15], v[48:49]
	s_wait_dscnt 0x2
	v_fma_f64 v[48:49], v[20:21], v[24:25], v[50:51]
	v_fma_f64 v[24:25], v[22:23], v[24:25], v[52:53]
	ds_load_2addr_b64 v[20:23], v29 offset0:160 offset1:176
	s_wait_dscnt 0x0
	v_fma_f64 v[46:47], v[20:21], v[16:17], v[46:47]
	v_fma_f64 v[50:51], v[22:23], v[16:17], v[14:15]
	;; [unrolled: 1-line block ×4, first 2 shown]
	ds_load_2addr_b64 v[14:17], v29 offset0:192 offset1:208
	ds_load_2addr_b64 v[24:27], v29 offset0:224 offset1:240
	s_wait_loadcnt_dscnt 0x0
	s_barrier_signal -1
	s_barrier_wait -1
	global_inv scope:SCOPE_SE
	v_fma_f64 v[46:47], v[14:15], v[38:39], v[46:47]
	v_fma_f64 v[38:39], v[16:17], v[38:39], v[50:51]
	;; [unrolled: 1-line block ×4, first 2 shown]
	s_delay_alu instid0(VALU_DEP_4) | instskip(NEXT) | instid1(VALU_DEP_4)
	v_fma_f64 v[22:23], v[24:25], v[40:41], v[46:47]
	v_fma_f64 v[20:21], v[26:27], v[40:41], v[38:39]
	s_delay_alu instid0(VALU_DEP_4) | instskip(NEXT) | instid1(VALU_DEP_4)
	v_fma_f64 v[16:17], v[24:25], v[44:45], v[14:15]
	v_fma_f64 v[14:15], v[26:27], v[44:45], v[42:43]
	s_wait_alu 0xfffe
	s_cbranch_vccz .LBB495_15
.LBB495_9:                              ;   Parent Loop BB495_6 Depth=1
                                        ; =>  This Inner Loop Header: Depth=2
	v_mov_b32_e32 v24, 0
	v_mov_b32_e32 v25, 0
	s_and_saveexec_b32 s22, s0
	s_cbranch_execz .LBB495_13
; %bb.10:                               ;   in Loop: Header=BB495_9 Depth=2
	v_mov_b32_e32 v24, 0
	s_wait_alu 0xfffe
	v_dual_mov_b32 v25, 0 :: v_dual_add_nc_u32 v4, s20, v31
	s_mov_b32 s23, exec_lo
	s_delay_alu instid0(VALU_DEP_1)
	v_cmpx_gt_u64_e64 s[8:9], v[4:5]
	s_cbranch_execz .LBB495_12
; %bb.11:                               ;   in Loop: Header=BB495_9 Depth=2
	v_mad_co_u64_u32 v[24:25], null, s14, v4, 0
	s_delay_alu instid0(VALU_DEP_1) | instskip(NEXT) | instid1(VALU_DEP_1)
	v_mad_co_u64_u32 v[25:26], null, s15, v4, v[25:26]
	v_lshlrev_b64_e32 v[24:25], 3, v[24:25]
	s_delay_alu instid0(VALU_DEP_1) | instskip(SKIP_1) | instid1(VALU_DEP_2)
	v_add_co_u32 v24, vcc_lo, v34, v24
	s_wait_alu 0xfffd
	v_add_co_ci_u32_e64 v25, null, v35, v25, vcc_lo
	flat_load_b64 v[24:25], v[24:25]
.LBB495_12:                             ;   in Loop: Header=BB495_9 Depth=2
	s_or_b32 exec_lo, exec_lo, s23
.LBB495_13:                             ;   in Loop: Header=BB495_9 Depth=2
	s_delay_alu instid0(SALU_CYCLE_1)
	s_or_b32 exec_lo, exec_lo, s22
	s_wait_alu 0xfffe
	v_add_nc_u32_e32 v4, s20, v28
	v_mov_b32_e32 v26, 0
	v_mov_b32_e32 v27, 0
	s_wait_loadcnt_dscnt 0x0
	ds_store_b64 v32, v[24:25]
	v_cmp_gt_u64_e32 vcc_lo, s[8:9], v[4:5]
	s_and_b32 s23, vcc_lo, s1
	s_delay_alu instid0(SALU_CYCLE_1)
	s_and_saveexec_b32 s22, s23
	s_cbranch_execz .LBB495_8
; %bb.14:                               ;   in Loop: Header=BB495_9 Depth=2
	v_lshlrev_b64_e32 v[24:25], 3, v[4:5]
	s_delay_alu instid0(VALU_DEP_1) | instskip(SKIP_1) | instid1(VALU_DEP_2)
	v_add_co_u32 v24, vcc_lo, v36, v24
	s_wait_alu 0xfffd
	v_add_co_ci_u32_e64 v25, null, v37, v25, vcc_lo
	flat_load_b64 v[26:27], v[24:25]
	s_branch .LBB495_8
.LBB495_15:                             ;   in Loop: Header=BB495_6 Depth=1
	s_wait_loadcnt 0x0
	v_add_co_u32 v4, vcc_lo, v18, s16
	s_wait_alu 0xfffd
	v_add_co_ci_u32_e64 v24, null, s17, v19, vcc_lo
	s_delay_alu instid0(VALU_DEP_2) | instskip(SKIP_1) | instid1(VALU_DEP_2)
	v_add_co_u32 v25, vcc_lo, v4, v10
	s_wait_alu 0xfffd
	v_add_co_ci_u32_e64 v26, null, v24, v11, vcc_lo
	s_and_saveexec_b32 s20, s28
	s_cbranch_execz .LBB495_19
; %bb.16:                               ;   in Loop: Header=BB495_6 Depth=1
	v_mul_f64_e32 v[18:19], s[10:11], v[22:23]
	s_and_b32 vcc_lo, exec_lo, s34
	s_wait_alu 0xfffe
	s_cbranch_vccz .LBB495_30
; %bb.17:                               ;   in Loop: Header=BB495_6 Depth=1
	v_lshlrev_b64_e32 v[22:23], 3, v[0:1]
	s_delay_alu instid0(VALU_DEP_1) | instskip(SKIP_1) | instid1(VALU_DEP_2)
	v_add_co_u32 v22, vcc_lo, v25, v22
	s_wait_alu 0xfffd
	v_add_co_ci_u32_e64 v23, null, v26, v23, vcc_lo
	flat_load_b64 v[34:35], v[22:23]
	s_wait_loadcnt_dscnt 0x0
	v_fma_f64 v[34:35], s[24:25], v[34:35], v[18:19]
	flat_store_b64 v[22:23], v[34:35]
	s_cbranch_execnz .LBB495_19
.LBB495_18:                             ;   in Loop: Header=BB495_6 Depth=1
	v_lshlrev_b64_e32 v[22:23], 3, v[0:1]
	s_delay_alu instid0(VALU_DEP_1) | instskip(SKIP_1) | instid1(VALU_DEP_2)
	v_add_co_u32 v22, vcc_lo, v25, v22
	s_wait_alu 0xfffd
	v_add_co_ci_u32_e64 v23, null, v26, v23, vcc_lo
	flat_store_b64 v[22:23], v[18:19]
.LBB495_19:                             ;   in Loop: Header=BB495_6 Depth=1
	s_wait_alu 0xfffe
	s_or_b32 exec_lo, exec_lo, s20
	s_and_saveexec_b32 s20, s29
	s_cbranch_execz .LBB495_23
; %bb.20:                               ;   in Loop: Header=BB495_6 Depth=1
	v_mul_f64_e32 v[18:19], s[10:11], v[20:21]
	s_and_not1_b32 vcc_lo, exec_lo, s34
	s_wait_alu 0xfffe
	s_cbranch_vccnz .LBB495_31
; %bb.21:                               ;   in Loop: Header=BB495_6 Depth=1
	v_lshlrev_b64_e32 v[20:21], 3, v[2:3]
	s_delay_alu instid0(VALU_DEP_1) | instskip(SKIP_1) | instid1(VALU_DEP_2)
	v_add_co_u32 v20, vcc_lo, v25, v20
	s_wait_alu 0xfffd
	v_add_co_ci_u32_e64 v21, null, v26, v21, vcc_lo
	flat_load_b64 v[22:23], v[20:21]
	s_wait_loadcnt_dscnt 0x0
	v_fma_f64 v[22:23], s[24:25], v[22:23], v[18:19]
	flat_store_b64 v[20:21], v[22:23]
	s_cbranch_execnz .LBB495_23
.LBB495_22:                             ;   in Loop: Header=BB495_6 Depth=1
	v_lshlrev_b64_e32 v[20:21], 3, v[2:3]
	s_delay_alu instid0(VALU_DEP_1) | instskip(SKIP_1) | instid1(VALU_DEP_2)
	v_add_co_u32 v20, vcc_lo, v25, v20
	s_wait_alu 0xfffd
	v_add_co_ci_u32_e64 v21, null, v26, v21, vcc_lo
	flat_store_b64 v[20:21], v[18:19]
.LBB495_23:                             ;   in Loop: Header=BB495_6 Depth=1
	s_wait_alu 0xfffe
	s_or_b32 exec_lo, exec_lo, s20
	v_add_co_u32 v4, vcc_lo, v4, v12
	s_wait_alu 0xfffd
	v_add_co_ci_u32_e64 v20, null, v24, v13, vcc_lo
	s_and_saveexec_b32 s20, s35
	s_cbranch_execz .LBB495_27
; %bb.24:                               ;   in Loop: Header=BB495_6 Depth=1
	v_mul_f64_e32 v[16:17], s[10:11], v[16:17]
	v_lshlrev_b64_e32 v[18:19], 3, v[0:1]
	s_and_not1_b32 vcc_lo, exec_lo, s34
	s_wait_alu 0xfffe
	s_cbranch_vccnz .LBB495_32
; %bb.25:                               ;   in Loop: Header=BB495_6 Depth=1
	s_delay_alu instid0(VALU_DEP_1)
	v_add_co_u32 v21, vcc_lo, v4, v18
	s_wait_alu 0xfffd
	v_add_co_ci_u32_e64 v22, null, v20, v19, vcc_lo
	flat_load_b64 v[23:24], v[21:22]
	s_wait_loadcnt_dscnt 0x0
	v_fma_f64 v[23:24], s[24:25], v[23:24], v[16:17]
	flat_store_b64 v[21:22], v[23:24]
	s_cbranch_execnz .LBB495_27
.LBB495_26:                             ;   in Loop: Header=BB495_6 Depth=1
	s_delay_alu instid0(VALU_DEP_1)
	v_add_co_u32 v18, vcc_lo, v4, v18
	s_wait_alu 0xfffd
	v_add_co_ci_u32_e64 v19, null, v20, v19, vcc_lo
	flat_store_b64 v[18:19], v[16:17]
.LBB495_27:                             ;   in Loop: Header=BB495_6 Depth=1
	s_wait_alu 0xfffe
	s_or_b32 exec_lo, exec_lo, s20
	s_and_saveexec_b32 s20, s36
	s_cbranch_execz .LBB495_5
; %bb.28:                               ;   in Loop: Header=BB495_6 Depth=1
	v_mul_f64_e32 v[14:15], s[10:11], v[14:15]
	v_lshlrev_b64_e32 v[16:17], 3, v[2:3]
	s_and_not1_b32 vcc_lo, exec_lo, s34
	s_wait_alu 0xfffe
	s_cbranch_vccnz .LBB495_33
; %bb.29:                               ;   in Loop: Header=BB495_6 Depth=1
	s_delay_alu instid0(VALU_DEP_1)
	v_add_co_u32 v18, vcc_lo, v4, v16
	s_wait_alu 0xfffd
	v_add_co_ci_u32_e64 v19, null, v20, v17, vcc_lo
	flat_load_b64 v[21:22], v[18:19]
	s_wait_loadcnt_dscnt 0x0
	v_fma_f64 v[21:22], s[24:25], v[21:22], v[14:15]
	flat_store_b64 v[18:19], v[21:22]
	s_cbranch_execnz .LBB495_5
	s_branch .LBB495_34
.LBB495_30:                             ;   in Loop: Header=BB495_6 Depth=1
	s_branch .LBB495_18
.LBB495_31:                             ;   in Loop: Header=BB495_6 Depth=1
	s_branch .LBB495_22
.LBB495_32:                             ;   in Loop: Header=BB495_6 Depth=1
	s_branch .LBB495_26
.LBB495_33:                             ;   in Loop: Header=BB495_6 Depth=1
.LBB495_34:                             ;   in Loop: Header=BB495_6 Depth=1
	s_delay_alu instid0(VALU_DEP_1)
	v_add_co_u32 v16, vcc_lo, v4, v16
	s_wait_alu 0xfffd
	v_add_co_ci_u32_e64 v17, null, v20, v17, vcc_lo
	flat_store_b64 v[16:17], v[14:15]
	s_branch .LBB495_5
.LBB495_35:
	s_endpgm
	.section	.rodata,"a",@progbits
	.p2align	6, 0x0
	.amdhsa_kernel _ZL29rocblas_internal_gemmt_kernelIlLi16ELi32ELi8ELc78ELc78ELc76ELb0ELb0EddPKPKdPKPdEviT_T9_T10_S7_lS9_S7_lS8_T11_S7_li
		.amdhsa_group_segment_fixed_size 4096
		.amdhsa_private_segment_fixed_size 0
		.amdhsa_kernarg_size 108
		.amdhsa_user_sgpr_count 2
		.amdhsa_user_sgpr_dispatch_ptr 0
		.amdhsa_user_sgpr_queue_ptr 0
		.amdhsa_user_sgpr_kernarg_segment_ptr 1
		.amdhsa_user_sgpr_dispatch_id 0
		.amdhsa_user_sgpr_private_segment_size 0
		.amdhsa_wavefront_size32 1
		.amdhsa_uses_dynamic_stack 0
		.amdhsa_enable_private_segment 0
		.amdhsa_system_sgpr_workgroup_id_x 1
		.amdhsa_system_sgpr_workgroup_id_y 1
		.amdhsa_system_sgpr_workgroup_id_z 1
		.amdhsa_system_sgpr_workgroup_info 0
		.amdhsa_system_vgpr_workitem_id 1
		.amdhsa_next_free_vgpr 54
		.amdhsa_next_free_sgpr 39
		.amdhsa_reserve_vcc 1
		.amdhsa_float_round_mode_32 0
		.amdhsa_float_round_mode_16_64 0
		.amdhsa_float_denorm_mode_32 3
		.amdhsa_float_denorm_mode_16_64 3
		.amdhsa_fp16_overflow 0
		.amdhsa_workgroup_processor_mode 1
		.amdhsa_memory_ordered 1
		.amdhsa_forward_progress 1
		.amdhsa_inst_pref_size 17
		.amdhsa_round_robin_scheduling 0
		.amdhsa_exception_fp_ieee_invalid_op 0
		.amdhsa_exception_fp_denorm_src 0
		.amdhsa_exception_fp_ieee_div_zero 0
		.amdhsa_exception_fp_ieee_overflow 0
		.amdhsa_exception_fp_ieee_underflow 0
		.amdhsa_exception_fp_ieee_inexact 0
		.amdhsa_exception_int_div_zero 0
	.end_amdhsa_kernel
	.section	.text._ZL29rocblas_internal_gemmt_kernelIlLi16ELi32ELi8ELc78ELc78ELc76ELb0ELb0EddPKPKdPKPdEviT_T9_T10_S7_lS9_S7_lS8_T11_S7_li,"axG",@progbits,_ZL29rocblas_internal_gemmt_kernelIlLi16ELi32ELi8ELc78ELc78ELc76ELb0ELb0EddPKPKdPKPdEviT_T9_T10_S7_lS9_S7_lS8_T11_S7_li,comdat
.Lfunc_end495:
	.size	_ZL29rocblas_internal_gemmt_kernelIlLi16ELi32ELi8ELc78ELc78ELc76ELb0ELb0EddPKPKdPKPdEviT_T9_T10_S7_lS9_S7_lS8_T11_S7_li, .Lfunc_end495-_ZL29rocblas_internal_gemmt_kernelIlLi16ELi32ELi8ELc78ELc78ELc76ELb0ELb0EddPKPKdPKPdEviT_T9_T10_S7_lS9_S7_lS8_T11_S7_li
                                        ; -- End function
	.set _ZL29rocblas_internal_gemmt_kernelIlLi16ELi32ELi8ELc78ELc78ELc76ELb0ELb0EddPKPKdPKPdEviT_T9_T10_S7_lS9_S7_lS8_T11_S7_li.num_vgpr, 54
	.set _ZL29rocblas_internal_gemmt_kernelIlLi16ELi32ELi8ELc78ELc78ELc76ELb0ELb0EddPKPKdPKPdEviT_T9_T10_S7_lS9_S7_lS8_T11_S7_li.num_agpr, 0
	.set _ZL29rocblas_internal_gemmt_kernelIlLi16ELi32ELi8ELc78ELc78ELc76ELb0ELb0EddPKPKdPKPdEviT_T9_T10_S7_lS9_S7_lS8_T11_S7_li.numbered_sgpr, 39
	.set _ZL29rocblas_internal_gemmt_kernelIlLi16ELi32ELi8ELc78ELc78ELc76ELb0ELb0EddPKPKdPKPdEviT_T9_T10_S7_lS9_S7_lS8_T11_S7_li.num_named_barrier, 0
	.set _ZL29rocblas_internal_gemmt_kernelIlLi16ELi32ELi8ELc78ELc78ELc76ELb0ELb0EddPKPKdPKPdEviT_T9_T10_S7_lS9_S7_lS8_T11_S7_li.private_seg_size, 0
	.set _ZL29rocblas_internal_gemmt_kernelIlLi16ELi32ELi8ELc78ELc78ELc76ELb0ELb0EddPKPKdPKPdEviT_T9_T10_S7_lS9_S7_lS8_T11_S7_li.uses_vcc, 1
	.set _ZL29rocblas_internal_gemmt_kernelIlLi16ELi32ELi8ELc78ELc78ELc76ELb0ELb0EddPKPKdPKPdEviT_T9_T10_S7_lS9_S7_lS8_T11_S7_li.uses_flat_scratch, 0
	.set _ZL29rocblas_internal_gemmt_kernelIlLi16ELi32ELi8ELc78ELc78ELc76ELb0ELb0EddPKPKdPKPdEviT_T9_T10_S7_lS9_S7_lS8_T11_S7_li.has_dyn_sized_stack, 0
	.set _ZL29rocblas_internal_gemmt_kernelIlLi16ELi32ELi8ELc78ELc78ELc76ELb0ELb0EddPKPKdPKPdEviT_T9_T10_S7_lS9_S7_lS8_T11_S7_li.has_recursion, 0
	.set _ZL29rocblas_internal_gemmt_kernelIlLi16ELi32ELi8ELc78ELc78ELc76ELb0ELb0EddPKPKdPKPdEviT_T9_T10_S7_lS9_S7_lS8_T11_S7_li.has_indirect_call, 0
	.section	.AMDGPU.csdata,"",@progbits
; Kernel info:
; codeLenInByte = 2120
; TotalNumSgprs: 41
; NumVgprs: 54
; ScratchSize: 0
; MemoryBound: 0
; FloatMode: 240
; IeeeMode: 1
; LDSByteSize: 4096 bytes/workgroup (compile time only)
; SGPRBlocks: 0
; VGPRBlocks: 6
; NumSGPRsForWavesPerEU: 41
; NumVGPRsForWavesPerEU: 54
; Occupancy: 16
; WaveLimiterHint : 1
; COMPUTE_PGM_RSRC2:SCRATCH_EN: 0
; COMPUTE_PGM_RSRC2:USER_SGPR: 2
; COMPUTE_PGM_RSRC2:TRAP_HANDLER: 0
; COMPUTE_PGM_RSRC2:TGID_X_EN: 1
; COMPUTE_PGM_RSRC2:TGID_Y_EN: 1
; COMPUTE_PGM_RSRC2:TGID_Z_EN: 1
; COMPUTE_PGM_RSRC2:TIDIG_COMP_CNT: 1
	.section	.text._ZL29rocblas_internal_gemmt_kernelIlLi16ELi32ELi8ELc78ELc84ELc76ELb0ELb0EddPKPKdPKPdEviT_T9_T10_S7_lS9_S7_lS8_T11_S7_li,"axG",@progbits,_ZL29rocblas_internal_gemmt_kernelIlLi16ELi32ELi8ELc78ELc84ELc76ELb0ELb0EddPKPKdPKPdEviT_T9_T10_S7_lS9_S7_lS8_T11_S7_li,comdat
	.globl	_ZL29rocblas_internal_gemmt_kernelIlLi16ELi32ELi8ELc78ELc84ELc76ELb0ELb0EddPKPKdPKPdEviT_T9_T10_S7_lS9_S7_lS8_T11_S7_li ; -- Begin function _ZL29rocblas_internal_gemmt_kernelIlLi16ELi32ELi8ELc78ELc84ELc76ELb0ELb0EddPKPKdPKPdEviT_T9_T10_S7_lS9_S7_lS8_T11_S7_li
	.p2align	8
	.type	_ZL29rocblas_internal_gemmt_kernelIlLi16ELi32ELi8ELc78ELc84ELc76ELb0ELb0EddPKPKdPKPdEviT_T9_T10_S7_lS9_S7_lS8_T11_S7_li,@function
_ZL29rocblas_internal_gemmt_kernelIlLi16ELi32ELi8ELc78ELc84ELc76ELb0ELb0EddPKPKdPKPdEviT_T9_T10_S7_lS9_S7_lS8_T11_S7_li: ; @_ZL29rocblas_internal_gemmt_kernelIlLi16ELi32ELi8ELc78ELc84ELc76ELb0ELb0EddPKPKdPKPdEviT_T9_T10_S7_lS9_S7_lS8_T11_S7_li
; %bb.0:
	s_clause 0x1
	s_load_b256 s[24:31], s[0:1], 0x48
	s_load_b512 s[8:23], s[0:1], 0x8
	s_wait_kmcnt 0x0
	v_cmp_neq_f64_e64 s2, s[24:25], 1.0
	s_and_b32 vcc_lo, exec_lo, s2
	s_cbranch_vccnz .LBB496_2
; %bb.1:
	v_cmp_neq_f64_e64 s2, s[10:11], 0
	s_cmp_lg_u64 s[8:9], 0
	s_cselect_b32 s3, -1, 0
	s_delay_alu instid0(SALU_CYCLE_1)
	s_and_b32 s2, s3, s2
.LBB496_2:
	s_delay_alu instid0(SALU_CYCLE_1)
	s_and_not1_b32 vcc_lo, exec_lo, s2
	s_cbranch_vccnz .LBB496_35
; %bb.3:
	s_load_b32 s33, s[0:1], 0x68
	s_lshr_b32 s6, ttmp7, 16
	s_wait_kmcnt 0x0
	s_cmp_ge_u32 s6, s33
	s_cbranch_scc1 .LBB496_35
; %bb.4:
	v_and_b32_e32 v4, 0x3ff, v0
	v_bfe_u32 v5, v0, 10, 10
	s_load_b32 s4, s[0:1], 0x0
	s_lshl_b32 s0, ttmp7, 5
	v_and_b32_e32 v26, 7, v0
	s_and_b32 s0, s0, 0x1fffe0
	v_lshl_add_u32 v0, v5, 4, v4
	v_add_nc_u32_e32 v12, s0, v5
	v_cmp_neq_f64_e64 s37, s[10:11], 0
	v_cmp_neq_f64_e64 s34, s[24:25], 0
	s_lshl_b32 s2, ttmp9, 5
	v_lshrrev_b32_e32 v27, 5, v0
	v_mad_co_u64_u32 v[8:9], null, s28, v12, 0
	v_and_b32_e32 v1, 31, v0
	v_lshrrev_b32_e32 v2, 3, v0
	v_add_nc_u32_e32 v14, 16, v12
	v_cmp_gt_i64_e64 s38, s[8:9], 0
	v_lshl_add_u32 v31, v5, 6, 0x800
	v_lshlrev_b32_e32 v0, 3, v1
	v_add_nc_u32_e32 v13, s0, v2
	v_mad_co_u64_u32 v[10:11], null, s28, v14, 0
	s_mov_b32 s7, 0
	v_lshl_or_b32 v28, v27, 8, v0
	v_mov_b32_e32 v0, v9
	v_or_b32_e32 v6, s2, v1
	v_lshlrev_b32_e32 v1, 3, v26
	s_wait_kmcnt 0x0
	v_cmp_gt_i32_e64 s1, s4, v13
	v_lshlrev_b32_e32 v32, 3, v13
	v_ashrrev_i32_e32 v7, 31, v6
	v_lshl_or_b32 v3, v2, 6, v1
	v_mad_co_u64_u32 v[1:2], null, s29, v12, v[0:1]
	v_cmp_gt_i32_e64 s0, s4, v6
	s_delay_alu instid0(VALU_DEP_4) | instskip(NEXT) | instid1(VALU_DEP_4)
	v_lshlrev_b64_e32 v[6:7], 3, v[6:7]
	v_add_nc_u32_e32 v29, 0x800, v3
	v_dual_mov_b32 v3, 0 :: v_dual_add_nc_u32 v0, s2, v4
	v_dual_mov_b32 v9, v1 :: v_dual_lshlrev_b32 v30, 3, v4
	s_delay_alu instid0(VALU_DEP_2) | instskip(SKIP_2) | instid1(VALU_DEP_4)
	v_dual_mov_b32 v1, v11 :: v_dual_add_nc_u32 v4, 16, v0
	v_cmp_le_i32_e32 vcc_lo, v12, v0
	v_cmp_gt_i32_e64 s2, s4, v0
	v_lshlrev_b64_e32 v[8:9], 3, v[8:9]
	s_and_b32 s37, s37, s38
	v_cmp_le_i32_e64 s3, v12, v4
	v_mad_co_u64_u32 v[11:12], null, s29, v14, v[1:2]
	v_cmp_gt_i32_e64 s4, s4, v4
	s_and_b32 s28, vcc_lo, s2
	v_cmp_le_i32_e32 vcc_lo, v14, v0
	v_cmp_le_i32_e64 s5, v14, v4
	v_ashrrev_i32_e32 v1, 31, v0
	v_ashrrev_i32_e32 v5, 31, v4
	v_lshlrev_b64_e32 v[10:11], 3, v[10:11]
	s_and_b32 s29, s3, s4
	s_and_b32 s35, vcc_lo, s2
	s_and_b32 s36, s5, s4
	s_lshl_b64 s[2:3], s[22:23], 3
	s_lshl_b64 s[4:5], s[16:17], 3
	;; [unrolled: 1-line block ×3, first 2 shown]
	s_branch .LBB496_6
.LBB496_5:                              ;   in Loop: Header=BB496_6 Depth=1
	s_wait_alu 0xfffe
	s_or_b32 exec_lo, exec_lo, s22
	s_add_co_i32 s6, s6, 0x10000
	s_delay_alu instid0(SALU_CYCLE_1)
	s_cmp_lt_u32 s6, s33
	s_cbranch_scc0 .LBB496_35
.LBB496_6:                              ; =>This Loop Header: Depth=1
                                        ;     Child Loop BB496_9 Depth 2
	s_lshl_b64 s[22:23], s[6:7], 3
	v_mov_b32_e32 v20, 0
	s_wait_alu 0xfffe
	s_add_nc_u64 s[30:31], s[26:27], s[22:23]
	v_mov_b32_e32 v14, 0
	global_load_b64 v[16:17], v3, s[30:31]
	v_dual_mov_b32 v21, 0 :: v_dual_mov_b32 v18, 0
	v_dual_mov_b32 v15, 0 :: v_dual_mov_b32 v12, 0
	v_mov_b32_e32 v19, 0
	v_mov_b32_e32 v13, 0
	s_and_not1_b32 vcc_lo, exec_lo, s37
	s_wait_alu 0xfffe
	s_cbranch_vccnz .LBB496_15
; %bb.7:                                ;   in Loop: Header=BB496_6 Depth=1
	s_add_nc_u64 s[30:31], s[12:13], s[22:23]
	s_add_nc_u64 s[22:23], s[18:19], s[22:23]
	s_clause 0x1
	global_load_b64 v[22:23], v3, s[30:31]
	global_load_b64 v[24:25], v3, s[22:23]
	v_mov_b32_e32 v12, 0
	v_dual_mov_b32 v18, 0 :: v_dual_mov_b32 v13, 0
	v_dual_mov_b32 v14, 0 :: v_dual_mov_b32 v19, 0
	;; [unrolled: 1-line block ×3, first 2 shown]
	v_mov_b32_e32 v21, 0
	s_mov_b64 s[22:23], 0
	s_wait_loadcnt 0x1
	v_add_co_u32 v2, vcc_lo, v22, s4
	s_wait_alu 0xfffd
	v_add_co_ci_u32_e64 v22, null, s5, v23, vcc_lo
	s_wait_loadcnt 0x0
	v_add_co_u32 v23, vcc_lo, v24, s2
	s_wait_alu 0xfffd
	v_add_co_ci_u32_e64 v24, null, s3, v25, vcc_lo
	v_add_co_u32 v33, vcc_lo, v2, v6
	s_wait_alu 0xfffd
	v_add_co_ci_u32_e64 v34, null, v22, v7, vcc_lo
	;; [unrolled: 3-line block ×3, first 2 shown]
	s_branch .LBB496_9
.LBB496_8:                              ;   in Loop: Header=BB496_9 Depth=2
	s_or_b32 exec_lo, exec_lo, s30
	s_wait_loadcnt_dscnt 0x0
	ds_store_b64 v29, v[24:25]
	s_wait_dscnt 0x0
	s_barrier_signal -1
	s_barrier_wait -1
	global_inv scope:SCOPE_SE
	ds_load_b128 v[22:25], v31
	ds_load_2addr_b64 v[37:40], v30 offset1:16
	ds_load_b128 v[41:44], v31 offset:1024
	ds_load_b128 v[45:48], v31 offset:16
	;; [unrolled: 1-line block ×3, first 2 shown]
	s_add_nc_u64 s[22:23], s[22:23], 8
	s_wait_alu 0xfffe
	v_cmp_gt_i64_e64 s30, s[8:9], s[22:23]
	s_and_b32 vcc_lo, exec_lo, s30
	s_wait_dscnt 0x3
	v_fma_f64 v[20:21], v[37:38], v[22:23], v[20:21]
	v_fma_f64 v[18:19], v[39:40], v[22:23], v[18:19]
	s_wait_dscnt 0x2
	v_fma_f64 v[22:23], v[37:38], v[41:42], v[14:15]
	v_fma_f64 v[37:38], v[39:40], v[41:42], v[12:13]
	ds_load_2addr_b64 v[12:15], v30 offset0:32 offset1:48
	s_wait_dscnt 0x0
	v_fma_f64 v[20:21], v[12:13], v[24:25], v[20:21]
	v_fma_f64 v[18:19], v[14:15], v[24:25], v[18:19]
	v_fma_f64 v[22:23], v[12:13], v[43:44], v[22:23]
	v_fma_f64 v[24:25], v[14:15], v[43:44], v[37:38]
	ds_load_2addr_b64 v[12:15], v30 offset0:64 offset1:80
	s_wait_dscnt 0x0
	v_fma_f64 v[20:21], v[12:13], v[45:46], v[20:21]
	v_fma_f64 v[18:19], v[14:15], v[45:46], v[18:19]
	v_fma_f64 v[22:23], v[12:13], v[49:50], v[22:23]
	v_fma_f64 v[24:25], v[14:15], v[49:50], v[24:25]
	ds_load_2addr_b64 v[12:15], v30 offset0:96 offset1:112
	s_wait_dscnt 0x0
	v_fma_f64 v[45:46], v[12:13], v[47:48], v[20:21]
	v_fma_f64 v[47:48], v[14:15], v[47:48], v[18:19]
	v_fma_f64 v[49:50], v[12:13], v[51:52], v[22:23]
	v_fma_f64 v[51:52], v[14:15], v[51:52], v[24:25]
	ds_load_b128 v[12:15], v31 offset:32
	ds_load_2addr_b64 v[18:21], v30 offset0:128 offset1:144
	ds_load_b128 v[22:25], v31 offset:1056
	ds_load_b128 v[37:40], v31 offset:48
	;; [unrolled: 1-line block ×3, first 2 shown]
	s_wait_dscnt 0x3
	v_fma_f64 v[45:46], v[18:19], v[12:13], v[45:46]
	v_fma_f64 v[12:13], v[20:21], v[12:13], v[47:48]
	s_wait_dscnt 0x2
	v_fma_f64 v[47:48], v[18:19], v[22:23], v[49:50]
	v_fma_f64 v[22:23], v[20:21], v[22:23], v[51:52]
	ds_load_2addr_b64 v[18:21], v30 offset0:160 offset1:176
	s_wait_dscnt 0x0
	v_fma_f64 v[45:46], v[18:19], v[14:15], v[45:46]
	v_fma_f64 v[49:50], v[20:21], v[14:15], v[12:13]
	;; [unrolled: 1-line block ×4, first 2 shown]
	ds_load_2addr_b64 v[12:15], v30 offset0:192 offset1:208
	ds_load_2addr_b64 v[22:25], v30 offset0:224 offset1:240
	s_wait_loadcnt_dscnt 0x0
	s_barrier_signal -1
	s_barrier_wait -1
	global_inv scope:SCOPE_SE
	v_fma_f64 v[45:46], v[12:13], v[37:38], v[45:46]
	v_fma_f64 v[37:38], v[14:15], v[37:38], v[49:50]
	;; [unrolled: 1-line block ×4, first 2 shown]
	s_delay_alu instid0(VALU_DEP_4) | instskip(NEXT) | instid1(VALU_DEP_4)
	v_fma_f64 v[20:21], v[22:23], v[39:40], v[45:46]
	v_fma_f64 v[18:19], v[24:25], v[39:40], v[37:38]
	s_delay_alu instid0(VALU_DEP_4) | instskip(NEXT) | instid1(VALU_DEP_4)
	v_fma_f64 v[14:15], v[22:23], v[43:44], v[12:13]
	v_fma_f64 v[12:13], v[24:25], v[43:44], v[41:42]
	s_wait_alu 0xfffe
	s_cbranch_vccz .LBB496_15
.LBB496_9:                              ;   Parent Loop BB496_6 Depth=1
                                        ; =>  This Inner Loop Header: Depth=2
	v_mov_b32_e32 v22, 0
	v_mov_b32_e32 v23, 0
	s_and_saveexec_b32 s30, s0
	s_cbranch_execz .LBB496_13
; %bb.10:                               ;   in Loop: Header=BB496_9 Depth=2
	v_mov_b32_e32 v22, 0
	s_wait_alu 0xfffe
	v_dual_mov_b32 v23, 0 :: v_dual_add_nc_u32 v2, s22, v27
	s_mov_b32 s31, exec_lo
	s_delay_alu instid0(VALU_DEP_1)
	v_cmpx_gt_u64_e64 s[8:9], v[2:3]
	s_cbranch_execz .LBB496_12
; %bb.11:                               ;   in Loop: Header=BB496_9 Depth=2
	v_mad_co_u64_u32 v[22:23], null, s14, v2, 0
	s_delay_alu instid0(VALU_DEP_1) | instskip(NEXT) | instid1(VALU_DEP_1)
	v_mad_co_u64_u32 v[23:24], null, s15, v2, v[23:24]
	v_lshlrev_b64_e32 v[22:23], 3, v[22:23]
	s_delay_alu instid0(VALU_DEP_1) | instskip(SKIP_1) | instid1(VALU_DEP_2)
	v_add_co_u32 v22, vcc_lo, v33, v22
	s_wait_alu 0xfffd
	v_add_co_ci_u32_e64 v23, null, v34, v23, vcc_lo
	flat_load_b64 v[22:23], v[22:23]
.LBB496_12:                             ;   in Loop: Header=BB496_9 Depth=2
	s_or_b32 exec_lo, exec_lo, s31
.LBB496_13:                             ;   in Loop: Header=BB496_9 Depth=2
	s_delay_alu instid0(SALU_CYCLE_1)
	s_or_b32 exec_lo, exec_lo, s30
	s_wait_alu 0xfffe
	v_add_nc_u32_e32 v2, s22, v26
	v_mov_b32_e32 v24, 0
	v_mov_b32_e32 v25, 0
	s_wait_loadcnt_dscnt 0x0
	ds_store_b64 v28, v[22:23]
	v_cmp_gt_u64_e32 vcc_lo, s[8:9], v[2:3]
	s_and_b32 s31, vcc_lo, s1
	s_delay_alu instid0(SALU_CYCLE_1)
	s_and_saveexec_b32 s30, s31
	s_cbranch_execz .LBB496_8
; %bb.14:                               ;   in Loop: Header=BB496_9 Depth=2
	v_mad_co_u64_u32 v[22:23], null, s20, v2, 0
	s_delay_alu instid0(VALU_DEP_1) | instskip(NEXT) | instid1(VALU_DEP_1)
	v_mad_co_u64_u32 v[23:24], null, s21, v2, v[23:24]
	v_lshlrev_b64_e32 v[22:23], 3, v[22:23]
	s_delay_alu instid0(VALU_DEP_1) | instskip(SKIP_1) | instid1(VALU_DEP_2)
	v_add_co_u32 v22, vcc_lo, v35, v22
	s_wait_alu 0xfffd
	v_add_co_ci_u32_e64 v23, null, v36, v23, vcc_lo
	flat_load_b64 v[24:25], v[22:23]
	s_branch .LBB496_8
.LBB496_15:                             ;   in Loop: Header=BB496_6 Depth=1
	s_wait_loadcnt 0x0
	v_add_co_u32 v2, vcc_lo, v16, s16
	s_wait_alu 0xfffd
	v_add_co_ci_u32_e64 v22, null, s17, v17, vcc_lo
	s_delay_alu instid0(VALU_DEP_2) | instskip(SKIP_1) | instid1(VALU_DEP_2)
	v_add_co_u32 v23, vcc_lo, v2, v8
	s_wait_alu 0xfffd
	v_add_co_ci_u32_e64 v24, null, v22, v9, vcc_lo
	s_wait_alu 0xfffe
	s_and_saveexec_b32 s22, s28
	s_cbranch_execz .LBB496_19
; %bb.16:                               ;   in Loop: Header=BB496_6 Depth=1
	v_mul_f64_e32 v[16:17], s[10:11], v[20:21]
	s_and_b32 vcc_lo, exec_lo, s34
	s_wait_alu 0xfffe
	s_cbranch_vccz .LBB496_30
; %bb.17:                               ;   in Loop: Header=BB496_6 Depth=1
	v_lshlrev_b64_e32 v[20:21], 3, v[0:1]
	s_delay_alu instid0(VALU_DEP_1) | instskip(SKIP_1) | instid1(VALU_DEP_2)
	v_add_co_u32 v20, vcc_lo, v23, v20
	s_wait_alu 0xfffd
	v_add_co_ci_u32_e64 v21, null, v24, v21, vcc_lo
	flat_load_b64 v[33:34], v[20:21]
	s_wait_loadcnt_dscnt 0x0
	v_fma_f64 v[33:34], s[24:25], v[33:34], v[16:17]
	flat_store_b64 v[20:21], v[33:34]
	s_cbranch_execnz .LBB496_19
.LBB496_18:                             ;   in Loop: Header=BB496_6 Depth=1
	v_lshlrev_b64_e32 v[20:21], 3, v[0:1]
	s_delay_alu instid0(VALU_DEP_1) | instskip(SKIP_1) | instid1(VALU_DEP_2)
	v_add_co_u32 v20, vcc_lo, v23, v20
	s_wait_alu 0xfffd
	v_add_co_ci_u32_e64 v21, null, v24, v21, vcc_lo
	flat_store_b64 v[20:21], v[16:17]
.LBB496_19:                             ;   in Loop: Header=BB496_6 Depth=1
	s_wait_alu 0xfffe
	s_or_b32 exec_lo, exec_lo, s22
	s_and_saveexec_b32 s22, s29
	s_cbranch_execz .LBB496_23
; %bb.20:                               ;   in Loop: Header=BB496_6 Depth=1
	v_mul_f64_e32 v[16:17], s[10:11], v[18:19]
	s_and_not1_b32 vcc_lo, exec_lo, s34
	s_wait_alu 0xfffe
	s_cbranch_vccnz .LBB496_31
; %bb.21:                               ;   in Loop: Header=BB496_6 Depth=1
	v_lshlrev_b64_e32 v[18:19], 3, v[4:5]
	s_delay_alu instid0(VALU_DEP_1) | instskip(SKIP_1) | instid1(VALU_DEP_2)
	v_add_co_u32 v18, vcc_lo, v23, v18
	s_wait_alu 0xfffd
	v_add_co_ci_u32_e64 v19, null, v24, v19, vcc_lo
	flat_load_b64 v[20:21], v[18:19]
	s_wait_loadcnt_dscnt 0x0
	v_fma_f64 v[20:21], s[24:25], v[20:21], v[16:17]
	flat_store_b64 v[18:19], v[20:21]
	s_cbranch_execnz .LBB496_23
.LBB496_22:                             ;   in Loop: Header=BB496_6 Depth=1
	v_lshlrev_b64_e32 v[18:19], 3, v[4:5]
	s_delay_alu instid0(VALU_DEP_1) | instskip(SKIP_1) | instid1(VALU_DEP_2)
	v_add_co_u32 v18, vcc_lo, v23, v18
	s_wait_alu 0xfffd
	v_add_co_ci_u32_e64 v19, null, v24, v19, vcc_lo
	flat_store_b64 v[18:19], v[16:17]
.LBB496_23:                             ;   in Loop: Header=BB496_6 Depth=1
	s_wait_alu 0xfffe
	s_or_b32 exec_lo, exec_lo, s22
	v_add_co_u32 v2, vcc_lo, v2, v10
	s_wait_alu 0xfffd
	v_add_co_ci_u32_e64 v18, null, v22, v11, vcc_lo
	s_and_saveexec_b32 s22, s35
	s_cbranch_execz .LBB496_27
; %bb.24:                               ;   in Loop: Header=BB496_6 Depth=1
	v_mul_f64_e32 v[14:15], s[10:11], v[14:15]
	v_lshlrev_b64_e32 v[16:17], 3, v[0:1]
	s_and_not1_b32 vcc_lo, exec_lo, s34
	s_wait_alu 0xfffe
	s_cbranch_vccnz .LBB496_32
; %bb.25:                               ;   in Loop: Header=BB496_6 Depth=1
	s_delay_alu instid0(VALU_DEP_1)
	v_add_co_u32 v19, vcc_lo, v2, v16
	s_wait_alu 0xfffd
	v_add_co_ci_u32_e64 v20, null, v18, v17, vcc_lo
	flat_load_b64 v[21:22], v[19:20]
	s_wait_loadcnt_dscnt 0x0
	v_fma_f64 v[21:22], s[24:25], v[21:22], v[14:15]
	flat_store_b64 v[19:20], v[21:22]
	s_cbranch_execnz .LBB496_27
.LBB496_26:                             ;   in Loop: Header=BB496_6 Depth=1
	s_delay_alu instid0(VALU_DEP_1)
	v_add_co_u32 v16, vcc_lo, v2, v16
	s_wait_alu 0xfffd
	v_add_co_ci_u32_e64 v17, null, v18, v17, vcc_lo
	flat_store_b64 v[16:17], v[14:15]
.LBB496_27:                             ;   in Loop: Header=BB496_6 Depth=1
	s_wait_alu 0xfffe
	s_or_b32 exec_lo, exec_lo, s22
	s_and_saveexec_b32 s22, s36
	s_cbranch_execz .LBB496_5
; %bb.28:                               ;   in Loop: Header=BB496_6 Depth=1
	v_mul_f64_e32 v[12:13], s[10:11], v[12:13]
	v_lshlrev_b64_e32 v[14:15], 3, v[4:5]
	s_and_not1_b32 vcc_lo, exec_lo, s34
	s_wait_alu 0xfffe
	s_cbranch_vccnz .LBB496_33
; %bb.29:                               ;   in Loop: Header=BB496_6 Depth=1
	s_delay_alu instid0(VALU_DEP_1)
	v_add_co_u32 v16, vcc_lo, v2, v14
	s_wait_alu 0xfffd
	v_add_co_ci_u32_e64 v17, null, v18, v15, vcc_lo
	flat_load_b64 v[19:20], v[16:17]
	s_wait_loadcnt_dscnt 0x0
	v_fma_f64 v[19:20], s[24:25], v[19:20], v[12:13]
	flat_store_b64 v[16:17], v[19:20]
	s_cbranch_execnz .LBB496_5
	s_branch .LBB496_34
.LBB496_30:                             ;   in Loop: Header=BB496_6 Depth=1
	s_branch .LBB496_18
.LBB496_31:                             ;   in Loop: Header=BB496_6 Depth=1
	s_branch .LBB496_22
.LBB496_32:                             ;   in Loop: Header=BB496_6 Depth=1
	s_branch .LBB496_26
.LBB496_33:                             ;   in Loop: Header=BB496_6 Depth=1
.LBB496_34:                             ;   in Loop: Header=BB496_6 Depth=1
	s_delay_alu instid0(VALU_DEP_1)
	v_add_co_u32 v14, vcc_lo, v2, v14
	s_wait_alu 0xfffd
	v_add_co_ci_u32_e64 v15, null, v18, v15, vcc_lo
	flat_store_b64 v[14:15], v[12:13]
	s_branch .LBB496_5
.LBB496_35:
	s_endpgm
	.section	.rodata,"a",@progbits
	.p2align	6, 0x0
	.amdhsa_kernel _ZL29rocblas_internal_gemmt_kernelIlLi16ELi32ELi8ELc78ELc84ELc76ELb0ELb0EddPKPKdPKPdEviT_T9_T10_S7_lS9_S7_lS8_T11_S7_li
		.amdhsa_group_segment_fixed_size 4096
		.amdhsa_private_segment_fixed_size 0
		.amdhsa_kernarg_size 108
		.amdhsa_user_sgpr_count 2
		.amdhsa_user_sgpr_dispatch_ptr 0
		.amdhsa_user_sgpr_queue_ptr 0
		.amdhsa_user_sgpr_kernarg_segment_ptr 1
		.amdhsa_user_sgpr_dispatch_id 0
		.amdhsa_user_sgpr_private_segment_size 0
		.amdhsa_wavefront_size32 1
		.amdhsa_uses_dynamic_stack 0
		.amdhsa_enable_private_segment 0
		.amdhsa_system_sgpr_workgroup_id_x 1
		.amdhsa_system_sgpr_workgroup_id_y 1
		.amdhsa_system_sgpr_workgroup_id_z 1
		.amdhsa_system_sgpr_workgroup_info 0
		.amdhsa_system_vgpr_workitem_id 1
		.amdhsa_next_free_vgpr 53
		.amdhsa_next_free_sgpr 39
		.amdhsa_reserve_vcc 1
		.amdhsa_float_round_mode_32 0
		.amdhsa_float_round_mode_16_64 0
		.amdhsa_float_denorm_mode_32 3
		.amdhsa_float_denorm_mode_16_64 3
		.amdhsa_fp16_overflow 0
		.amdhsa_workgroup_processor_mode 1
		.amdhsa_memory_ordered 1
		.amdhsa_forward_progress 1
		.amdhsa_inst_pref_size 17
		.amdhsa_round_robin_scheduling 0
		.amdhsa_exception_fp_ieee_invalid_op 0
		.amdhsa_exception_fp_denorm_src 0
		.amdhsa_exception_fp_ieee_div_zero 0
		.amdhsa_exception_fp_ieee_overflow 0
		.amdhsa_exception_fp_ieee_underflow 0
		.amdhsa_exception_fp_ieee_inexact 0
		.amdhsa_exception_int_div_zero 0
	.end_amdhsa_kernel
	.section	.text._ZL29rocblas_internal_gemmt_kernelIlLi16ELi32ELi8ELc78ELc84ELc76ELb0ELb0EddPKPKdPKPdEviT_T9_T10_S7_lS9_S7_lS8_T11_S7_li,"axG",@progbits,_ZL29rocblas_internal_gemmt_kernelIlLi16ELi32ELi8ELc78ELc84ELc76ELb0ELb0EddPKPKdPKPdEviT_T9_T10_S7_lS9_S7_lS8_T11_S7_li,comdat
.Lfunc_end496:
	.size	_ZL29rocblas_internal_gemmt_kernelIlLi16ELi32ELi8ELc78ELc84ELc76ELb0ELb0EddPKPKdPKPdEviT_T9_T10_S7_lS9_S7_lS8_T11_S7_li, .Lfunc_end496-_ZL29rocblas_internal_gemmt_kernelIlLi16ELi32ELi8ELc78ELc84ELc76ELb0ELb0EddPKPKdPKPdEviT_T9_T10_S7_lS9_S7_lS8_T11_S7_li
                                        ; -- End function
	.set _ZL29rocblas_internal_gemmt_kernelIlLi16ELi32ELi8ELc78ELc84ELc76ELb0ELb0EddPKPKdPKPdEviT_T9_T10_S7_lS9_S7_lS8_T11_S7_li.num_vgpr, 53
	.set _ZL29rocblas_internal_gemmt_kernelIlLi16ELi32ELi8ELc78ELc84ELc76ELb0ELb0EddPKPKdPKPdEviT_T9_T10_S7_lS9_S7_lS8_T11_S7_li.num_agpr, 0
	.set _ZL29rocblas_internal_gemmt_kernelIlLi16ELi32ELi8ELc78ELc84ELc76ELb0ELb0EddPKPKdPKPdEviT_T9_T10_S7_lS9_S7_lS8_T11_S7_li.numbered_sgpr, 39
	.set _ZL29rocblas_internal_gemmt_kernelIlLi16ELi32ELi8ELc78ELc84ELc76ELb0ELb0EddPKPKdPKPdEviT_T9_T10_S7_lS9_S7_lS8_T11_S7_li.num_named_barrier, 0
	.set _ZL29rocblas_internal_gemmt_kernelIlLi16ELi32ELi8ELc78ELc84ELc76ELb0ELb0EddPKPKdPKPdEviT_T9_T10_S7_lS9_S7_lS8_T11_S7_li.private_seg_size, 0
	.set _ZL29rocblas_internal_gemmt_kernelIlLi16ELi32ELi8ELc78ELc84ELc76ELb0ELb0EddPKPKdPKPdEviT_T9_T10_S7_lS9_S7_lS8_T11_S7_li.uses_vcc, 1
	.set _ZL29rocblas_internal_gemmt_kernelIlLi16ELi32ELi8ELc78ELc84ELc76ELb0ELb0EddPKPKdPKPdEviT_T9_T10_S7_lS9_S7_lS8_T11_S7_li.uses_flat_scratch, 0
	.set _ZL29rocblas_internal_gemmt_kernelIlLi16ELi32ELi8ELc78ELc84ELc76ELb0ELb0EddPKPKdPKPdEviT_T9_T10_S7_lS9_S7_lS8_T11_S7_li.has_dyn_sized_stack, 0
	.set _ZL29rocblas_internal_gemmt_kernelIlLi16ELi32ELi8ELc78ELc84ELc76ELb0ELb0EddPKPKdPKPdEviT_T9_T10_S7_lS9_S7_lS8_T11_S7_li.has_recursion, 0
	.set _ZL29rocblas_internal_gemmt_kernelIlLi16ELi32ELi8ELc78ELc84ELc76ELb0ELb0EddPKPKdPKPdEviT_T9_T10_S7_lS9_S7_lS8_T11_S7_li.has_indirect_call, 0
	.section	.AMDGPU.csdata,"",@progbits
; Kernel info:
; codeLenInByte = 2096
; TotalNumSgprs: 41
; NumVgprs: 53
; ScratchSize: 0
; MemoryBound: 0
; FloatMode: 240
; IeeeMode: 1
; LDSByteSize: 4096 bytes/workgroup (compile time only)
; SGPRBlocks: 0
; VGPRBlocks: 6
; NumSGPRsForWavesPerEU: 41
; NumVGPRsForWavesPerEU: 53
; Occupancy: 16
; WaveLimiterHint : 1
; COMPUTE_PGM_RSRC2:SCRATCH_EN: 0
; COMPUTE_PGM_RSRC2:USER_SGPR: 2
; COMPUTE_PGM_RSRC2:TRAP_HANDLER: 0
; COMPUTE_PGM_RSRC2:TGID_X_EN: 1
; COMPUTE_PGM_RSRC2:TGID_Y_EN: 1
; COMPUTE_PGM_RSRC2:TGID_Z_EN: 1
; COMPUTE_PGM_RSRC2:TIDIG_COMP_CNT: 1
	.section	.text._ZL29rocblas_internal_gemmt_kernelIlLi16ELi32ELi8ELc78ELc67ELc76ELb0ELb0EddPKPKdPKPdEviT_T9_T10_S7_lS9_S7_lS8_T11_S7_li,"axG",@progbits,_ZL29rocblas_internal_gemmt_kernelIlLi16ELi32ELi8ELc78ELc67ELc76ELb0ELb0EddPKPKdPKPdEviT_T9_T10_S7_lS9_S7_lS8_T11_S7_li,comdat
	.globl	_ZL29rocblas_internal_gemmt_kernelIlLi16ELi32ELi8ELc78ELc67ELc76ELb0ELb0EddPKPKdPKPdEviT_T9_T10_S7_lS9_S7_lS8_T11_S7_li ; -- Begin function _ZL29rocblas_internal_gemmt_kernelIlLi16ELi32ELi8ELc78ELc67ELc76ELb0ELb0EddPKPKdPKPdEviT_T9_T10_S7_lS9_S7_lS8_T11_S7_li
	.p2align	8
	.type	_ZL29rocblas_internal_gemmt_kernelIlLi16ELi32ELi8ELc78ELc67ELc76ELb0ELb0EddPKPKdPKPdEviT_T9_T10_S7_lS9_S7_lS8_T11_S7_li,@function
_ZL29rocblas_internal_gemmt_kernelIlLi16ELi32ELi8ELc78ELc67ELc76ELb0ELb0EddPKPKdPKPdEviT_T9_T10_S7_lS9_S7_lS8_T11_S7_li: ; @_ZL29rocblas_internal_gemmt_kernelIlLi16ELi32ELi8ELc78ELc67ELc76ELb0ELb0EddPKPKdPKPdEviT_T9_T10_S7_lS9_S7_lS8_T11_S7_li
; %bb.0:
	s_clause 0x1
	s_load_b256 s[24:31], s[0:1], 0x48
	s_load_b512 s[8:23], s[0:1], 0x8
	s_wait_kmcnt 0x0
	v_cmp_neq_f64_e64 s2, s[24:25], 1.0
	s_and_b32 vcc_lo, exec_lo, s2
	s_cbranch_vccnz .LBB497_2
; %bb.1:
	v_cmp_neq_f64_e64 s2, s[10:11], 0
	s_cmp_lg_u64 s[8:9], 0
	s_cselect_b32 s3, -1, 0
	s_delay_alu instid0(SALU_CYCLE_1)
	s_and_b32 s2, s3, s2
.LBB497_2:
	s_delay_alu instid0(SALU_CYCLE_1)
	s_and_not1_b32 vcc_lo, exec_lo, s2
	s_cbranch_vccnz .LBB497_35
; %bb.3:
	s_load_b32 s33, s[0:1], 0x68
	s_lshr_b32 s6, ttmp7, 16
	s_wait_kmcnt 0x0
	s_cmp_ge_u32 s6, s33
	s_cbranch_scc1 .LBB497_35
; %bb.4:
	v_and_b32_e32 v4, 0x3ff, v0
	v_bfe_u32 v5, v0, 10, 10
	s_load_b32 s4, s[0:1], 0x0
	s_lshl_b32 s0, ttmp7, 5
	v_and_b32_e32 v26, 7, v0
	s_and_b32 s0, s0, 0x1fffe0
	v_lshl_add_u32 v0, v5, 4, v4
	v_add_nc_u32_e32 v12, s0, v5
	v_cmp_neq_f64_e64 s37, s[10:11], 0
	v_cmp_neq_f64_e64 s34, s[24:25], 0
	s_lshl_b32 s2, ttmp9, 5
	v_lshrrev_b32_e32 v27, 5, v0
	v_mad_co_u64_u32 v[8:9], null, s28, v12, 0
	v_and_b32_e32 v1, 31, v0
	v_lshrrev_b32_e32 v2, 3, v0
	v_add_nc_u32_e32 v14, 16, v12
	v_cmp_gt_i64_e64 s38, s[8:9], 0
	v_lshl_add_u32 v31, v5, 6, 0x800
	v_lshlrev_b32_e32 v0, 3, v1
	v_add_nc_u32_e32 v13, s0, v2
	v_mad_co_u64_u32 v[10:11], null, s28, v14, 0
	s_mov_b32 s7, 0
	v_lshl_or_b32 v28, v27, 8, v0
	v_mov_b32_e32 v0, v9
	v_or_b32_e32 v6, s2, v1
	v_lshlrev_b32_e32 v1, 3, v26
	s_wait_kmcnt 0x0
	v_cmp_gt_i32_e64 s1, s4, v13
	v_lshlrev_b32_e32 v32, 3, v13
	v_ashrrev_i32_e32 v7, 31, v6
	v_lshl_or_b32 v3, v2, 6, v1
	v_mad_co_u64_u32 v[1:2], null, s29, v12, v[0:1]
	v_cmp_gt_i32_e64 s0, s4, v6
	s_delay_alu instid0(VALU_DEP_4) | instskip(NEXT) | instid1(VALU_DEP_4)
	v_lshlrev_b64_e32 v[6:7], 3, v[6:7]
	v_add_nc_u32_e32 v29, 0x800, v3
	v_dual_mov_b32 v3, 0 :: v_dual_add_nc_u32 v0, s2, v4
	v_dual_mov_b32 v9, v1 :: v_dual_lshlrev_b32 v30, 3, v4
	s_delay_alu instid0(VALU_DEP_2) | instskip(SKIP_2) | instid1(VALU_DEP_4)
	v_dual_mov_b32 v1, v11 :: v_dual_add_nc_u32 v4, 16, v0
	v_cmp_le_i32_e32 vcc_lo, v12, v0
	v_cmp_gt_i32_e64 s2, s4, v0
	v_lshlrev_b64_e32 v[8:9], 3, v[8:9]
	s_and_b32 s37, s37, s38
	v_cmp_le_i32_e64 s3, v12, v4
	v_mad_co_u64_u32 v[11:12], null, s29, v14, v[1:2]
	v_cmp_gt_i32_e64 s4, s4, v4
	s_and_b32 s28, vcc_lo, s2
	v_cmp_le_i32_e32 vcc_lo, v14, v0
	v_cmp_le_i32_e64 s5, v14, v4
	v_ashrrev_i32_e32 v1, 31, v0
	v_ashrrev_i32_e32 v5, 31, v4
	v_lshlrev_b64_e32 v[10:11], 3, v[10:11]
	s_and_b32 s29, s3, s4
	s_and_b32 s35, vcc_lo, s2
	s_and_b32 s36, s5, s4
	s_lshl_b64 s[2:3], s[22:23], 3
	s_lshl_b64 s[4:5], s[16:17], 3
	;; [unrolled: 1-line block ×3, first 2 shown]
	s_branch .LBB497_6
.LBB497_5:                              ;   in Loop: Header=BB497_6 Depth=1
	s_wait_alu 0xfffe
	s_or_b32 exec_lo, exec_lo, s22
	s_add_co_i32 s6, s6, 0x10000
	s_delay_alu instid0(SALU_CYCLE_1)
	s_cmp_lt_u32 s6, s33
	s_cbranch_scc0 .LBB497_35
.LBB497_6:                              ; =>This Loop Header: Depth=1
                                        ;     Child Loop BB497_9 Depth 2
	s_lshl_b64 s[22:23], s[6:7], 3
	v_mov_b32_e32 v20, 0
	s_wait_alu 0xfffe
	s_add_nc_u64 s[30:31], s[26:27], s[22:23]
	v_mov_b32_e32 v14, 0
	global_load_b64 v[16:17], v3, s[30:31]
	v_dual_mov_b32 v21, 0 :: v_dual_mov_b32 v18, 0
	v_dual_mov_b32 v15, 0 :: v_dual_mov_b32 v12, 0
	v_mov_b32_e32 v19, 0
	v_mov_b32_e32 v13, 0
	s_and_not1_b32 vcc_lo, exec_lo, s37
	s_wait_alu 0xfffe
	s_cbranch_vccnz .LBB497_15
; %bb.7:                                ;   in Loop: Header=BB497_6 Depth=1
	s_add_nc_u64 s[30:31], s[12:13], s[22:23]
	s_add_nc_u64 s[22:23], s[18:19], s[22:23]
	s_clause 0x1
	global_load_b64 v[22:23], v3, s[30:31]
	global_load_b64 v[24:25], v3, s[22:23]
	v_mov_b32_e32 v12, 0
	v_dual_mov_b32 v18, 0 :: v_dual_mov_b32 v13, 0
	v_dual_mov_b32 v14, 0 :: v_dual_mov_b32 v19, 0
	v_dual_mov_b32 v20, 0 :: v_dual_mov_b32 v15, 0
	v_mov_b32_e32 v21, 0
	s_mov_b64 s[22:23], 0
	s_wait_loadcnt 0x1
	v_add_co_u32 v2, vcc_lo, v22, s4
	s_wait_alu 0xfffd
	v_add_co_ci_u32_e64 v22, null, s5, v23, vcc_lo
	s_wait_loadcnt 0x0
	v_add_co_u32 v23, vcc_lo, v24, s2
	s_wait_alu 0xfffd
	v_add_co_ci_u32_e64 v24, null, s3, v25, vcc_lo
	v_add_co_u32 v33, vcc_lo, v2, v6
	s_wait_alu 0xfffd
	v_add_co_ci_u32_e64 v34, null, v22, v7, vcc_lo
	;; [unrolled: 3-line block ×3, first 2 shown]
	s_branch .LBB497_9
.LBB497_8:                              ;   in Loop: Header=BB497_9 Depth=2
	s_or_b32 exec_lo, exec_lo, s30
	s_wait_loadcnt_dscnt 0x0
	ds_store_b64 v29, v[24:25]
	s_wait_dscnt 0x0
	s_barrier_signal -1
	s_barrier_wait -1
	global_inv scope:SCOPE_SE
	ds_load_b128 v[22:25], v31
	ds_load_2addr_b64 v[37:40], v30 offset1:16
	ds_load_b128 v[41:44], v31 offset:1024
	ds_load_b128 v[45:48], v31 offset:16
	;; [unrolled: 1-line block ×3, first 2 shown]
	s_add_nc_u64 s[22:23], s[22:23], 8
	s_wait_alu 0xfffe
	v_cmp_gt_i64_e64 s30, s[8:9], s[22:23]
	s_and_b32 vcc_lo, exec_lo, s30
	s_wait_dscnt 0x3
	v_fma_f64 v[20:21], v[37:38], v[22:23], v[20:21]
	v_fma_f64 v[18:19], v[39:40], v[22:23], v[18:19]
	s_wait_dscnt 0x2
	v_fma_f64 v[22:23], v[37:38], v[41:42], v[14:15]
	v_fma_f64 v[37:38], v[39:40], v[41:42], v[12:13]
	ds_load_2addr_b64 v[12:15], v30 offset0:32 offset1:48
	s_wait_dscnt 0x0
	v_fma_f64 v[20:21], v[12:13], v[24:25], v[20:21]
	v_fma_f64 v[18:19], v[14:15], v[24:25], v[18:19]
	v_fma_f64 v[22:23], v[12:13], v[43:44], v[22:23]
	v_fma_f64 v[24:25], v[14:15], v[43:44], v[37:38]
	ds_load_2addr_b64 v[12:15], v30 offset0:64 offset1:80
	s_wait_dscnt 0x0
	v_fma_f64 v[20:21], v[12:13], v[45:46], v[20:21]
	v_fma_f64 v[18:19], v[14:15], v[45:46], v[18:19]
	;; [unrolled: 6-line block ×3, first 2 shown]
	v_fma_f64 v[49:50], v[12:13], v[51:52], v[22:23]
	v_fma_f64 v[51:52], v[14:15], v[51:52], v[24:25]
	ds_load_b128 v[12:15], v31 offset:32
	ds_load_2addr_b64 v[18:21], v30 offset0:128 offset1:144
	ds_load_b128 v[22:25], v31 offset:1056
	ds_load_b128 v[37:40], v31 offset:48
	;; [unrolled: 1-line block ×3, first 2 shown]
	s_wait_dscnt 0x3
	v_fma_f64 v[45:46], v[18:19], v[12:13], v[45:46]
	v_fma_f64 v[12:13], v[20:21], v[12:13], v[47:48]
	s_wait_dscnt 0x2
	v_fma_f64 v[47:48], v[18:19], v[22:23], v[49:50]
	v_fma_f64 v[22:23], v[20:21], v[22:23], v[51:52]
	ds_load_2addr_b64 v[18:21], v30 offset0:160 offset1:176
	s_wait_dscnt 0x0
	v_fma_f64 v[45:46], v[18:19], v[14:15], v[45:46]
	v_fma_f64 v[49:50], v[20:21], v[14:15], v[12:13]
	;; [unrolled: 1-line block ×4, first 2 shown]
	ds_load_2addr_b64 v[12:15], v30 offset0:192 offset1:208
	ds_load_2addr_b64 v[22:25], v30 offset0:224 offset1:240
	s_wait_loadcnt_dscnt 0x0
	s_barrier_signal -1
	s_barrier_wait -1
	global_inv scope:SCOPE_SE
	v_fma_f64 v[45:46], v[12:13], v[37:38], v[45:46]
	v_fma_f64 v[37:38], v[14:15], v[37:38], v[49:50]
	;; [unrolled: 1-line block ×4, first 2 shown]
	s_delay_alu instid0(VALU_DEP_4) | instskip(NEXT) | instid1(VALU_DEP_4)
	v_fma_f64 v[20:21], v[22:23], v[39:40], v[45:46]
	v_fma_f64 v[18:19], v[24:25], v[39:40], v[37:38]
	s_delay_alu instid0(VALU_DEP_4) | instskip(NEXT) | instid1(VALU_DEP_4)
	v_fma_f64 v[14:15], v[22:23], v[43:44], v[12:13]
	v_fma_f64 v[12:13], v[24:25], v[43:44], v[41:42]
	s_wait_alu 0xfffe
	s_cbranch_vccz .LBB497_15
.LBB497_9:                              ;   Parent Loop BB497_6 Depth=1
                                        ; =>  This Inner Loop Header: Depth=2
	v_mov_b32_e32 v22, 0
	v_mov_b32_e32 v23, 0
	s_and_saveexec_b32 s30, s0
	s_cbranch_execz .LBB497_13
; %bb.10:                               ;   in Loop: Header=BB497_9 Depth=2
	v_mov_b32_e32 v22, 0
	s_wait_alu 0xfffe
	v_dual_mov_b32 v23, 0 :: v_dual_add_nc_u32 v2, s22, v27
	s_mov_b32 s31, exec_lo
	s_delay_alu instid0(VALU_DEP_1)
	v_cmpx_gt_u64_e64 s[8:9], v[2:3]
	s_cbranch_execz .LBB497_12
; %bb.11:                               ;   in Loop: Header=BB497_9 Depth=2
	v_mad_co_u64_u32 v[22:23], null, s14, v2, 0
	s_delay_alu instid0(VALU_DEP_1) | instskip(NEXT) | instid1(VALU_DEP_1)
	v_mad_co_u64_u32 v[23:24], null, s15, v2, v[23:24]
	v_lshlrev_b64_e32 v[22:23], 3, v[22:23]
	s_delay_alu instid0(VALU_DEP_1) | instskip(SKIP_1) | instid1(VALU_DEP_2)
	v_add_co_u32 v22, vcc_lo, v33, v22
	s_wait_alu 0xfffd
	v_add_co_ci_u32_e64 v23, null, v34, v23, vcc_lo
	flat_load_b64 v[22:23], v[22:23]
.LBB497_12:                             ;   in Loop: Header=BB497_9 Depth=2
	s_or_b32 exec_lo, exec_lo, s31
.LBB497_13:                             ;   in Loop: Header=BB497_9 Depth=2
	s_delay_alu instid0(SALU_CYCLE_1)
	s_or_b32 exec_lo, exec_lo, s30
	s_wait_alu 0xfffe
	v_add_nc_u32_e32 v2, s22, v26
	v_mov_b32_e32 v24, 0
	v_mov_b32_e32 v25, 0
	s_wait_loadcnt_dscnt 0x0
	ds_store_b64 v28, v[22:23]
	v_cmp_gt_u64_e32 vcc_lo, s[8:9], v[2:3]
	s_and_b32 s31, vcc_lo, s1
	s_delay_alu instid0(SALU_CYCLE_1)
	s_and_saveexec_b32 s30, s31
	s_cbranch_execz .LBB497_8
; %bb.14:                               ;   in Loop: Header=BB497_9 Depth=2
	v_mad_co_u64_u32 v[22:23], null, s20, v2, 0
	s_delay_alu instid0(VALU_DEP_1) | instskip(NEXT) | instid1(VALU_DEP_1)
	v_mad_co_u64_u32 v[23:24], null, s21, v2, v[23:24]
	v_lshlrev_b64_e32 v[22:23], 3, v[22:23]
	s_delay_alu instid0(VALU_DEP_1) | instskip(SKIP_1) | instid1(VALU_DEP_2)
	v_add_co_u32 v22, vcc_lo, v35, v22
	s_wait_alu 0xfffd
	v_add_co_ci_u32_e64 v23, null, v36, v23, vcc_lo
	flat_load_b64 v[24:25], v[22:23]
	s_branch .LBB497_8
.LBB497_15:                             ;   in Loop: Header=BB497_6 Depth=1
	s_wait_loadcnt 0x0
	v_add_co_u32 v2, vcc_lo, v16, s16
	s_wait_alu 0xfffd
	v_add_co_ci_u32_e64 v22, null, s17, v17, vcc_lo
	s_delay_alu instid0(VALU_DEP_2) | instskip(SKIP_1) | instid1(VALU_DEP_2)
	v_add_co_u32 v23, vcc_lo, v2, v8
	s_wait_alu 0xfffd
	v_add_co_ci_u32_e64 v24, null, v22, v9, vcc_lo
	s_wait_alu 0xfffe
	s_and_saveexec_b32 s22, s28
	s_cbranch_execz .LBB497_19
; %bb.16:                               ;   in Loop: Header=BB497_6 Depth=1
	v_mul_f64_e32 v[16:17], s[10:11], v[20:21]
	s_and_b32 vcc_lo, exec_lo, s34
	s_wait_alu 0xfffe
	s_cbranch_vccz .LBB497_30
; %bb.17:                               ;   in Loop: Header=BB497_6 Depth=1
	v_lshlrev_b64_e32 v[20:21], 3, v[0:1]
	s_delay_alu instid0(VALU_DEP_1) | instskip(SKIP_1) | instid1(VALU_DEP_2)
	v_add_co_u32 v20, vcc_lo, v23, v20
	s_wait_alu 0xfffd
	v_add_co_ci_u32_e64 v21, null, v24, v21, vcc_lo
	flat_load_b64 v[33:34], v[20:21]
	s_wait_loadcnt_dscnt 0x0
	v_fma_f64 v[33:34], s[24:25], v[33:34], v[16:17]
	flat_store_b64 v[20:21], v[33:34]
	s_cbranch_execnz .LBB497_19
.LBB497_18:                             ;   in Loop: Header=BB497_6 Depth=1
	v_lshlrev_b64_e32 v[20:21], 3, v[0:1]
	s_delay_alu instid0(VALU_DEP_1) | instskip(SKIP_1) | instid1(VALU_DEP_2)
	v_add_co_u32 v20, vcc_lo, v23, v20
	s_wait_alu 0xfffd
	v_add_co_ci_u32_e64 v21, null, v24, v21, vcc_lo
	flat_store_b64 v[20:21], v[16:17]
.LBB497_19:                             ;   in Loop: Header=BB497_6 Depth=1
	s_wait_alu 0xfffe
	s_or_b32 exec_lo, exec_lo, s22
	s_and_saveexec_b32 s22, s29
	s_cbranch_execz .LBB497_23
; %bb.20:                               ;   in Loop: Header=BB497_6 Depth=1
	v_mul_f64_e32 v[16:17], s[10:11], v[18:19]
	s_and_not1_b32 vcc_lo, exec_lo, s34
	s_wait_alu 0xfffe
	s_cbranch_vccnz .LBB497_31
; %bb.21:                               ;   in Loop: Header=BB497_6 Depth=1
	v_lshlrev_b64_e32 v[18:19], 3, v[4:5]
	s_delay_alu instid0(VALU_DEP_1) | instskip(SKIP_1) | instid1(VALU_DEP_2)
	v_add_co_u32 v18, vcc_lo, v23, v18
	s_wait_alu 0xfffd
	v_add_co_ci_u32_e64 v19, null, v24, v19, vcc_lo
	flat_load_b64 v[20:21], v[18:19]
	s_wait_loadcnt_dscnt 0x0
	v_fma_f64 v[20:21], s[24:25], v[20:21], v[16:17]
	flat_store_b64 v[18:19], v[20:21]
	s_cbranch_execnz .LBB497_23
.LBB497_22:                             ;   in Loop: Header=BB497_6 Depth=1
	v_lshlrev_b64_e32 v[18:19], 3, v[4:5]
	s_delay_alu instid0(VALU_DEP_1) | instskip(SKIP_1) | instid1(VALU_DEP_2)
	v_add_co_u32 v18, vcc_lo, v23, v18
	s_wait_alu 0xfffd
	v_add_co_ci_u32_e64 v19, null, v24, v19, vcc_lo
	flat_store_b64 v[18:19], v[16:17]
.LBB497_23:                             ;   in Loop: Header=BB497_6 Depth=1
	s_wait_alu 0xfffe
	s_or_b32 exec_lo, exec_lo, s22
	v_add_co_u32 v2, vcc_lo, v2, v10
	s_wait_alu 0xfffd
	v_add_co_ci_u32_e64 v18, null, v22, v11, vcc_lo
	s_and_saveexec_b32 s22, s35
	s_cbranch_execz .LBB497_27
; %bb.24:                               ;   in Loop: Header=BB497_6 Depth=1
	v_mul_f64_e32 v[14:15], s[10:11], v[14:15]
	v_lshlrev_b64_e32 v[16:17], 3, v[0:1]
	s_and_not1_b32 vcc_lo, exec_lo, s34
	s_wait_alu 0xfffe
	s_cbranch_vccnz .LBB497_32
; %bb.25:                               ;   in Loop: Header=BB497_6 Depth=1
	s_delay_alu instid0(VALU_DEP_1)
	v_add_co_u32 v19, vcc_lo, v2, v16
	s_wait_alu 0xfffd
	v_add_co_ci_u32_e64 v20, null, v18, v17, vcc_lo
	flat_load_b64 v[21:22], v[19:20]
	s_wait_loadcnt_dscnt 0x0
	v_fma_f64 v[21:22], s[24:25], v[21:22], v[14:15]
	flat_store_b64 v[19:20], v[21:22]
	s_cbranch_execnz .LBB497_27
.LBB497_26:                             ;   in Loop: Header=BB497_6 Depth=1
	s_delay_alu instid0(VALU_DEP_1)
	v_add_co_u32 v16, vcc_lo, v2, v16
	s_wait_alu 0xfffd
	v_add_co_ci_u32_e64 v17, null, v18, v17, vcc_lo
	flat_store_b64 v[16:17], v[14:15]
.LBB497_27:                             ;   in Loop: Header=BB497_6 Depth=1
	s_wait_alu 0xfffe
	s_or_b32 exec_lo, exec_lo, s22
	s_and_saveexec_b32 s22, s36
	s_cbranch_execz .LBB497_5
; %bb.28:                               ;   in Loop: Header=BB497_6 Depth=1
	v_mul_f64_e32 v[12:13], s[10:11], v[12:13]
	v_lshlrev_b64_e32 v[14:15], 3, v[4:5]
	s_and_not1_b32 vcc_lo, exec_lo, s34
	s_wait_alu 0xfffe
	s_cbranch_vccnz .LBB497_33
; %bb.29:                               ;   in Loop: Header=BB497_6 Depth=1
	s_delay_alu instid0(VALU_DEP_1)
	v_add_co_u32 v16, vcc_lo, v2, v14
	s_wait_alu 0xfffd
	v_add_co_ci_u32_e64 v17, null, v18, v15, vcc_lo
	flat_load_b64 v[19:20], v[16:17]
	s_wait_loadcnt_dscnt 0x0
	v_fma_f64 v[19:20], s[24:25], v[19:20], v[12:13]
	flat_store_b64 v[16:17], v[19:20]
	s_cbranch_execnz .LBB497_5
	s_branch .LBB497_34
.LBB497_30:                             ;   in Loop: Header=BB497_6 Depth=1
	s_branch .LBB497_18
.LBB497_31:                             ;   in Loop: Header=BB497_6 Depth=1
	s_branch .LBB497_22
.LBB497_32:                             ;   in Loop: Header=BB497_6 Depth=1
	s_branch .LBB497_26
.LBB497_33:                             ;   in Loop: Header=BB497_6 Depth=1
.LBB497_34:                             ;   in Loop: Header=BB497_6 Depth=1
	s_delay_alu instid0(VALU_DEP_1)
	v_add_co_u32 v14, vcc_lo, v2, v14
	s_wait_alu 0xfffd
	v_add_co_ci_u32_e64 v15, null, v18, v15, vcc_lo
	flat_store_b64 v[14:15], v[12:13]
	s_branch .LBB497_5
.LBB497_35:
	s_endpgm
	.section	.rodata,"a",@progbits
	.p2align	6, 0x0
	.amdhsa_kernel _ZL29rocblas_internal_gemmt_kernelIlLi16ELi32ELi8ELc78ELc67ELc76ELb0ELb0EddPKPKdPKPdEviT_T9_T10_S7_lS9_S7_lS8_T11_S7_li
		.amdhsa_group_segment_fixed_size 4096
		.amdhsa_private_segment_fixed_size 0
		.amdhsa_kernarg_size 108
		.amdhsa_user_sgpr_count 2
		.amdhsa_user_sgpr_dispatch_ptr 0
		.amdhsa_user_sgpr_queue_ptr 0
		.amdhsa_user_sgpr_kernarg_segment_ptr 1
		.amdhsa_user_sgpr_dispatch_id 0
		.amdhsa_user_sgpr_private_segment_size 0
		.amdhsa_wavefront_size32 1
		.amdhsa_uses_dynamic_stack 0
		.amdhsa_enable_private_segment 0
		.amdhsa_system_sgpr_workgroup_id_x 1
		.amdhsa_system_sgpr_workgroup_id_y 1
		.amdhsa_system_sgpr_workgroup_id_z 1
		.amdhsa_system_sgpr_workgroup_info 0
		.amdhsa_system_vgpr_workitem_id 1
		.amdhsa_next_free_vgpr 53
		.amdhsa_next_free_sgpr 39
		.amdhsa_reserve_vcc 1
		.amdhsa_float_round_mode_32 0
		.amdhsa_float_round_mode_16_64 0
		.amdhsa_float_denorm_mode_32 3
		.amdhsa_float_denorm_mode_16_64 3
		.amdhsa_fp16_overflow 0
		.amdhsa_workgroup_processor_mode 1
		.amdhsa_memory_ordered 1
		.amdhsa_forward_progress 1
		.amdhsa_inst_pref_size 17
		.amdhsa_round_robin_scheduling 0
		.amdhsa_exception_fp_ieee_invalid_op 0
		.amdhsa_exception_fp_denorm_src 0
		.amdhsa_exception_fp_ieee_div_zero 0
		.amdhsa_exception_fp_ieee_overflow 0
		.amdhsa_exception_fp_ieee_underflow 0
		.amdhsa_exception_fp_ieee_inexact 0
		.amdhsa_exception_int_div_zero 0
	.end_amdhsa_kernel
	.section	.text._ZL29rocblas_internal_gemmt_kernelIlLi16ELi32ELi8ELc78ELc67ELc76ELb0ELb0EddPKPKdPKPdEviT_T9_T10_S7_lS9_S7_lS8_T11_S7_li,"axG",@progbits,_ZL29rocblas_internal_gemmt_kernelIlLi16ELi32ELi8ELc78ELc67ELc76ELb0ELb0EddPKPKdPKPdEviT_T9_T10_S7_lS9_S7_lS8_T11_S7_li,comdat
.Lfunc_end497:
	.size	_ZL29rocblas_internal_gemmt_kernelIlLi16ELi32ELi8ELc78ELc67ELc76ELb0ELb0EddPKPKdPKPdEviT_T9_T10_S7_lS9_S7_lS8_T11_S7_li, .Lfunc_end497-_ZL29rocblas_internal_gemmt_kernelIlLi16ELi32ELi8ELc78ELc67ELc76ELb0ELb0EddPKPKdPKPdEviT_T9_T10_S7_lS9_S7_lS8_T11_S7_li
                                        ; -- End function
	.set _ZL29rocblas_internal_gemmt_kernelIlLi16ELi32ELi8ELc78ELc67ELc76ELb0ELb0EddPKPKdPKPdEviT_T9_T10_S7_lS9_S7_lS8_T11_S7_li.num_vgpr, 53
	.set _ZL29rocblas_internal_gemmt_kernelIlLi16ELi32ELi8ELc78ELc67ELc76ELb0ELb0EddPKPKdPKPdEviT_T9_T10_S7_lS9_S7_lS8_T11_S7_li.num_agpr, 0
	.set _ZL29rocblas_internal_gemmt_kernelIlLi16ELi32ELi8ELc78ELc67ELc76ELb0ELb0EddPKPKdPKPdEviT_T9_T10_S7_lS9_S7_lS8_T11_S7_li.numbered_sgpr, 39
	.set _ZL29rocblas_internal_gemmt_kernelIlLi16ELi32ELi8ELc78ELc67ELc76ELb0ELb0EddPKPKdPKPdEviT_T9_T10_S7_lS9_S7_lS8_T11_S7_li.num_named_barrier, 0
	.set _ZL29rocblas_internal_gemmt_kernelIlLi16ELi32ELi8ELc78ELc67ELc76ELb0ELb0EddPKPKdPKPdEviT_T9_T10_S7_lS9_S7_lS8_T11_S7_li.private_seg_size, 0
	.set _ZL29rocblas_internal_gemmt_kernelIlLi16ELi32ELi8ELc78ELc67ELc76ELb0ELb0EddPKPKdPKPdEviT_T9_T10_S7_lS9_S7_lS8_T11_S7_li.uses_vcc, 1
	.set _ZL29rocblas_internal_gemmt_kernelIlLi16ELi32ELi8ELc78ELc67ELc76ELb0ELb0EddPKPKdPKPdEviT_T9_T10_S7_lS9_S7_lS8_T11_S7_li.uses_flat_scratch, 0
	.set _ZL29rocblas_internal_gemmt_kernelIlLi16ELi32ELi8ELc78ELc67ELc76ELb0ELb0EddPKPKdPKPdEviT_T9_T10_S7_lS9_S7_lS8_T11_S7_li.has_dyn_sized_stack, 0
	.set _ZL29rocblas_internal_gemmt_kernelIlLi16ELi32ELi8ELc78ELc67ELc76ELb0ELb0EddPKPKdPKPdEviT_T9_T10_S7_lS9_S7_lS8_T11_S7_li.has_recursion, 0
	.set _ZL29rocblas_internal_gemmt_kernelIlLi16ELi32ELi8ELc78ELc67ELc76ELb0ELb0EddPKPKdPKPdEviT_T9_T10_S7_lS9_S7_lS8_T11_S7_li.has_indirect_call, 0
	.section	.AMDGPU.csdata,"",@progbits
; Kernel info:
; codeLenInByte = 2096
; TotalNumSgprs: 41
; NumVgprs: 53
; ScratchSize: 0
; MemoryBound: 0
; FloatMode: 240
; IeeeMode: 1
; LDSByteSize: 4096 bytes/workgroup (compile time only)
; SGPRBlocks: 0
; VGPRBlocks: 6
; NumSGPRsForWavesPerEU: 41
; NumVGPRsForWavesPerEU: 53
; Occupancy: 16
; WaveLimiterHint : 1
; COMPUTE_PGM_RSRC2:SCRATCH_EN: 0
; COMPUTE_PGM_RSRC2:USER_SGPR: 2
; COMPUTE_PGM_RSRC2:TRAP_HANDLER: 0
; COMPUTE_PGM_RSRC2:TGID_X_EN: 1
; COMPUTE_PGM_RSRC2:TGID_Y_EN: 1
; COMPUTE_PGM_RSRC2:TGID_Z_EN: 1
; COMPUTE_PGM_RSRC2:TIDIG_COMP_CNT: 1
	.section	.text._ZL29rocblas_internal_gemmt_kernelIlLi16ELi32ELi8ELc84ELc78ELc76ELb0ELb0EddPKPKdPKPdEviT_T9_T10_S7_lS9_S7_lS8_T11_S7_li,"axG",@progbits,_ZL29rocblas_internal_gemmt_kernelIlLi16ELi32ELi8ELc84ELc78ELc76ELb0ELb0EddPKPKdPKPdEviT_T9_T10_S7_lS9_S7_lS8_T11_S7_li,comdat
	.globl	_ZL29rocblas_internal_gemmt_kernelIlLi16ELi32ELi8ELc84ELc78ELc76ELb0ELb0EddPKPKdPKPdEviT_T9_T10_S7_lS9_S7_lS8_T11_S7_li ; -- Begin function _ZL29rocblas_internal_gemmt_kernelIlLi16ELi32ELi8ELc84ELc78ELc76ELb0ELb0EddPKPKdPKPdEviT_T9_T10_S7_lS9_S7_lS8_T11_S7_li
	.p2align	8
	.type	_ZL29rocblas_internal_gemmt_kernelIlLi16ELi32ELi8ELc84ELc78ELc76ELb0ELb0EddPKPKdPKPdEviT_T9_T10_S7_lS9_S7_lS8_T11_S7_li,@function
_ZL29rocblas_internal_gemmt_kernelIlLi16ELi32ELi8ELc84ELc78ELc76ELb0ELb0EddPKPKdPKPdEviT_T9_T10_S7_lS9_S7_lS8_T11_S7_li: ; @_ZL29rocblas_internal_gemmt_kernelIlLi16ELi32ELi8ELc84ELc78ELc76ELb0ELb0EddPKPKdPKPdEviT_T9_T10_S7_lS9_S7_lS8_T11_S7_li
; %bb.0:
	s_clause 0x1
	s_load_b256 s[24:31], s[0:1], 0x48
	s_load_b512 s[8:23], s[0:1], 0x8
	s_wait_kmcnt 0x0
	v_cmp_neq_f64_e64 s2, s[24:25], 1.0
	s_and_b32 vcc_lo, exec_lo, s2
	s_cbranch_vccnz .LBB498_2
; %bb.1:
	v_cmp_neq_f64_e64 s2, s[10:11], 0
	s_cmp_lg_u64 s[8:9], 0
	s_cselect_b32 s3, -1, 0
	s_delay_alu instid0(SALU_CYCLE_1)
	s_and_b32 s2, s3, s2
.LBB498_2:
	s_delay_alu instid0(SALU_CYCLE_1)
	s_and_not1_b32 vcc_lo, exec_lo, s2
	s_cbranch_vccnz .LBB498_35
; %bb.3:
	s_load_b32 s33, s[0:1], 0x68
	s_lshr_b32 s6, ttmp7, 16
	s_wait_kmcnt 0x0
	s_cmp_ge_u32 s6, s33
	s_cbranch_scc1 .LBB498_35
; %bb.4:
	v_and_b32_e32 v5, 0x3ff, v0
	v_bfe_u32 v14, v0, 10, 10
	s_load_b32 s4, s[0:1], 0x0
	s_lshl_b32 s0, ttmp7, 5
	s_lshl_b32 s2, ttmp9, 5
	s_and_b32 s0, s0, 0x1fffe0
	v_lshl_add_u32 v1, v14, 4, v5
	v_add_nc_u32_e32 v15, s0, v14
	s_ashr_i32 s1, s2, 31
	v_cmp_neq_f64_e64 s35, s[10:11], 0
	s_wait_alu 0xfffe
	s_mul_i32 s1, s14, s1
	v_lshrrev_b32_e32 v2, 3, v1
	v_mad_co_u64_u32 v[10:11], null, s28, v15, 0
	v_and_b32_e32 v28, 7, v0
	v_and_b32_e32 v0, 31, v1
	s_delay_alu instid0(VALU_DEP_4)
	v_add_nc_u32_e32 v4, s0, v2
	v_add_nc_u32_e32 v16, 16, v15
	v_lshrrev_b32_e32 v29, 5, v1
	v_cmp_gt_i64_e64 s36, s[8:9], 0
	v_or_b32_e32 v3, s2, v0
	v_mad_co_u64_u32 v[8:9], null, s20, v4, 0
	v_mad_co_u64_u32 v[12:13], null, s28, v16, 0
	s_delay_alu instid0(VALU_DEP_3)
	v_mul_lo_u32 v1, s15, v3
	v_mad_co_u64_u32 v[6:7], null, s14, v3, 0
	v_lshlrev_b32_e32 v0, 3, v0
	v_cmp_neq_f64_e64 s20, s[24:25], 0
	s_wait_kmcnt 0x0
	v_cmp_gt_i32_e64 s0, s4, v3
	v_lshl_add_u32 v33, v14, 6, 0x800
	s_mov_b32 s7, 0
	v_lshl_or_b32 v30, v29, 8, v0
	s_wait_alu 0xfffe
	v_add3_u32 v7, v7, s1, v1
	v_dual_mov_b32 v0, v9 :: v_dual_mov_b32 v1, v11
	v_lshlrev_b32_e32 v3, 3, v28
	v_cmp_gt_i32_e64 s1, s4, v4
	v_lshlrev_b32_e32 v32, 3, v5
	v_lshlrev_b64_e32 v[6:7], 3, v[6:7]
	s_lshl_b64 s[14:15], s[30:31], 3
	v_lshl_or_b32 v9, v2, 6, v3
	v_mad_co_u64_u32 v[2:3], null, s21, v4, v[0:1]
	v_add_nc_u32_e32 v0, s2, v5
	s_delay_alu instid0(VALU_DEP_3) | instskip(SKIP_1) | instid1(VALU_DEP_3)
	v_add_nc_u32_e32 v31, 0x800, v9
	s_and_b32 s35, s35, s36
	v_mad_co_u64_u32 v[3:4], null, s29, v15, v[1:2]
	s_delay_alu instid0(VALU_DEP_3) | instskip(SKIP_1) | instid1(VALU_DEP_2)
	v_dual_mov_b32 v9, v2 :: v_dual_add_nc_u32 v2, 16, v0
	v_mov_b32_e32 v1, v13
	v_lshlrev_b64_e32 v[8:9], 3, v[8:9]
	s_delay_alu instid0(VALU_DEP_4) | instskip(NEXT) | instid1(VALU_DEP_3)
	v_mov_b32_e32 v11, v3
	v_mad_co_u64_u32 v[4:5], null, s29, v16, v[1:2]
	v_mov_b32_e32 v5, 0
	v_cmp_le_i32_e32 vcc_lo, v15, v0
	v_cmp_gt_i32_e64 s2, s4, v0
	v_cmp_le_i32_e64 s3, v15, v2
	v_cmp_gt_i32_e64 s4, s4, v2
	v_lshlrev_b64_e32 v[10:11], 3, v[10:11]
	v_mov_b32_e32 v13, v4
	s_and_b32 s21, vcc_lo, s2
	v_cmp_le_i32_e32 vcc_lo, v16, v0
	v_cmp_le_i32_e64 s5, v16, v2
	v_ashrrev_i32_e32 v1, 31, v0
	v_lshlrev_b64_e32 v[12:13], 3, v[12:13]
	v_ashrrev_i32_e32 v3, 31, v2
	s_and_b32 s28, s3, s4
	s_and_b32 s29, vcc_lo, s2
	s_and_b32 s34, s5, s4
	s_lshl_b64 s[2:3], s[22:23], 3
	s_lshl_b64 s[4:5], s[16:17], 3
	s_branch .LBB498_6
.LBB498_5:                              ;   in Loop: Header=BB498_6 Depth=1
	s_wait_alu 0xfffe
	s_or_b32 exec_lo, exec_lo, s16
	s_add_co_i32 s6, s6, 0x10000
	s_delay_alu instid0(SALU_CYCLE_1)
	s_cmp_lt_u32 s6, s33
	s_cbranch_scc0 .LBB498_35
.LBB498_6:                              ; =>This Loop Header: Depth=1
                                        ;     Child Loop BB498_9 Depth 2
	s_lshl_b64 s[16:17], s[6:7], 3
	v_mov_b32_e32 v22, 0
	s_wait_alu 0xfffe
	s_add_nc_u64 s[22:23], s[26:27], s[16:17]
	v_mov_b32_e32 v16, 0
	global_load_b64 v[18:19], v5, s[22:23]
	v_dual_mov_b32 v23, 0 :: v_dual_mov_b32 v20, 0
	v_dual_mov_b32 v17, 0 :: v_dual_mov_b32 v14, 0
	v_mov_b32_e32 v21, 0
	v_mov_b32_e32 v15, 0
	s_and_not1_b32 vcc_lo, exec_lo, s35
	s_wait_alu 0xfffe
	s_cbranch_vccnz .LBB498_15
; %bb.7:                                ;   in Loop: Header=BB498_6 Depth=1
	s_add_nc_u64 s[22:23], s[12:13], s[16:17]
	s_add_nc_u64 s[16:17], s[18:19], s[16:17]
	s_clause 0x1
	global_load_b64 v[24:25], v5, s[22:23]
	global_load_b64 v[26:27], v5, s[16:17]
	v_mov_b32_e32 v14, 0
	v_dual_mov_b32 v20, 0 :: v_dual_mov_b32 v15, 0
	v_dual_mov_b32 v16, 0 :: v_dual_mov_b32 v21, 0
	;; [unrolled: 1-line block ×3, first 2 shown]
	v_mov_b32_e32 v23, 0
	s_mov_b64 s[16:17], 0
	s_wait_loadcnt 0x1
	v_add_co_u32 v4, vcc_lo, v24, s4
	s_wait_alu 0xfffd
	v_add_co_ci_u32_e64 v24, null, s5, v25, vcc_lo
	s_wait_loadcnt 0x0
	v_add_co_u32 v25, vcc_lo, v26, s2
	s_wait_alu 0xfffd
	v_add_co_ci_u32_e64 v26, null, s3, v27, vcc_lo
	v_add_co_u32 v34, vcc_lo, v4, v6
	s_wait_alu 0xfffd
	v_add_co_ci_u32_e64 v35, null, v24, v7, vcc_lo
	;; [unrolled: 3-line block ×3, first 2 shown]
	s_branch .LBB498_9
.LBB498_8:                              ;   in Loop: Header=BB498_9 Depth=2
	s_or_b32 exec_lo, exec_lo, s22
	s_wait_loadcnt_dscnt 0x0
	ds_store_b64 v31, v[26:27]
	s_wait_dscnt 0x0
	s_barrier_signal -1
	s_barrier_wait -1
	global_inv scope:SCOPE_SE
	ds_load_b128 v[24:27], v33
	ds_load_2addr_b64 v[38:41], v32 offset1:16
	ds_load_b128 v[42:45], v33 offset:1024
	ds_load_b128 v[46:49], v33 offset:16
	;; [unrolled: 1-line block ×3, first 2 shown]
	s_add_nc_u64 s[16:17], s[16:17], 8
	s_wait_alu 0xfffe
	v_cmp_gt_i64_e64 s22, s[8:9], s[16:17]
	s_and_b32 vcc_lo, exec_lo, s22
	s_wait_dscnt 0x3
	v_fma_f64 v[22:23], v[38:39], v[24:25], v[22:23]
	v_fma_f64 v[20:21], v[40:41], v[24:25], v[20:21]
	s_wait_dscnt 0x2
	v_fma_f64 v[24:25], v[38:39], v[42:43], v[16:17]
	v_fma_f64 v[38:39], v[40:41], v[42:43], v[14:15]
	ds_load_2addr_b64 v[14:17], v32 offset0:32 offset1:48
	s_wait_dscnt 0x0
	v_fma_f64 v[22:23], v[14:15], v[26:27], v[22:23]
	v_fma_f64 v[20:21], v[16:17], v[26:27], v[20:21]
	v_fma_f64 v[24:25], v[14:15], v[44:45], v[24:25]
	v_fma_f64 v[26:27], v[16:17], v[44:45], v[38:39]
	ds_load_2addr_b64 v[14:17], v32 offset0:64 offset1:80
	s_wait_dscnt 0x0
	v_fma_f64 v[22:23], v[14:15], v[46:47], v[22:23]
	v_fma_f64 v[20:21], v[16:17], v[46:47], v[20:21]
	v_fma_f64 v[24:25], v[14:15], v[50:51], v[24:25]
	v_fma_f64 v[26:27], v[16:17], v[50:51], v[26:27]
	ds_load_2addr_b64 v[14:17], v32 offset0:96 offset1:112
	s_wait_dscnt 0x0
	v_fma_f64 v[46:47], v[14:15], v[48:49], v[22:23]
	v_fma_f64 v[48:49], v[16:17], v[48:49], v[20:21]
	v_fma_f64 v[50:51], v[14:15], v[52:53], v[24:25]
	v_fma_f64 v[52:53], v[16:17], v[52:53], v[26:27]
	ds_load_b128 v[14:17], v33 offset:32
	ds_load_2addr_b64 v[20:23], v32 offset0:128 offset1:144
	ds_load_b128 v[24:27], v33 offset:1056
	ds_load_b128 v[38:41], v33 offset:48
	;; [unrolled: 1-line block ×3, first 2 shown]
	s_wait_dscnt 0x3
	v_fma_f64 v[46:47], v[20:21], v[14:15], v[46:47]
	v_fma_f64 v[14:15], v[22:23], v[14:15], v[48:49]
	s_wait_dscnt 0x2
	v_fma_f64 v[48:49], v[20:21], v[24:25], v[50:51]
	v_fma_f64 v[24:25], v[22:23], v[24:25], v[52:53]
	ds_load_2addr_b64 v[20:23], v32 offset0:160 offset1:176
	s_wait_dscnt 0x0
	v_fma_f64 v[46:47], v[20:21], v[16:17], v[46:47]
	v_fma_f64 v[50:51], v[22:23], v[16:17], v[14:15]
	;; [unrolled: 1-line block ×4, first 2 shown]
	ds_load_2addr_b64 v[14:17], v32 offset0:192 offset1:208
	ds_load_2addr_b64 v[24:27], v32 offset0:224 offset1:240
	s_wait_loadcnt_dscnt 0x0
	s_barrier_signal -1
	s_barrier_wait -1
	global_inv scope:SCOPE_SE
	v_fma_f64 v[46:47], v[14:15], v[38:39], v[46:47]
	v_fma_f64 v[38:39], v[16:17], v[38:39], v[50:51]
	;; [unrolled: 1-line block ×4, first 2 shown]
	s_delay_alu instid0(VALU_DEP_4) | instskip(NEXT) | instid1(VALU_DEP_4)
	v_fma_f64 v[22:23], v[24:25], v[40:41], v[46:47]
	v_fma_f64 v[20:21], v[26:27], v[40:41], v[38:39]
	s_delay_alu instid0(VALU_DEP_4) | instskip(NEXT) | instid1(VALU_DEP_4)
	v_fma_f64 v[16:17], v[24:25], v[44:45], v[14:15]
	v_fma_f64 v[14:15], v[26:27], v[44:45], v[42:43]
	s_wait_alu 0xfffe
	s_cbranch_vccz .LBB498_15
.LBB498_9:                              ;   Parent Loop BB498_6 Depth=1
                                        ; =>  This Inner Loop Header: Depth=2
	v_mov_b32_e32 v24, 0
	v_mov_b32_e32 v25, 0
	s_and_saveexec_b32 s22, s0
	s_cbranch_execz .LBB498_13
; %bb.10:                               ;   in Loop: Header=BB498_9 Depth=2
	v_mov_b32_e32 v24, 0
	s_wait_alu 0xfffe
	v_dual_mov_b32 v25, 0 :: v_dual_add_nc_u32 v4, s16, v29
	s_mov_b32 s23, exec_lo
	s_delay_alu instid0(VALU_DEP_1)
	v_cmpx_gt_u64_e64 s[8:9], v[4:5]
	s_cbranch_execz .LBB498_12
; %bb.11:                               ;   in Loop: Header=BB498_9 Depth=2
	v_lshlrev_b64_e32 v[24:25], 3, v[4:5]
	s_delay_alu instid0(VALU_DEP_1) | instskip(SKIP_1) | instid1(VALU_DEP_2)
	v_add_co_u32 v24, vcc_lo, v34, v24
	s_wait_alu 0xfffd
	v_add_co_ci_u32_e64 v25, null, v35, v25, vcc_lo
	flat_load_b64 v[24:25], v[24:25]
.LBB498_12:                             ;   in Loop: Header=BB498_9 Depth=2
	s_or_b32 exec_lo, exec_lo, s23
.LBB498_13:                             ;   in Loop: Header=BB498_9 Depth=2
	s_delay_alu instid0(SALU_CYCLE_1)
	s_or_b32 exec_lo, exec_lo, s22
	s_wait_alu 0xfffe
	v_add_nc_u32_e32 v4, s16, v28
	v_mov_b32_e32 v26, 0
	v_mov_b32_e32 v27, 0
	s_wait_loadcnt_dscnt 0x0
	ds_store_b64 v30, v[24:25]
	v_cmp_gt_u64_e32 vcc_lo, s[8:9], v[4:5]
	s_and_b32 s23, vcc_lo, s1
	s_delay_alu instid0(SALU_CYCLE_1)
	s_and_saveexec_b32 s22, s23
	s_cbranch_execz .LBB498_8
; %bb.14:                               ;   in Loop: Header=BB498_9 Depth=2
	v_lshlrev_b64_e32 v[24:25], 3, v[4:5]
	s_delay_alu instid0(VALU_DEP_1) | instskip(SKIP_1) | instid1(VALU_DEP_2)
	v_add_co_u32 v24, vcc_lo, v36, v24
	s_wait_alu 0xfffd
	v_add_co_ci_u32_e64 v25, null, v37, v25, vcc_lo
	flat_load_b64 v[26:27], v[24:25]
	s_branch .LBB498_8
.LBB498_15:                             ;   in Loop: Header=BB498_6 Depth=1
	s_wait_loadcnt 0x0
	s_wait_alu 0xfffe
	v_add_co_u32 v4, vcc_lo, v18, s14
	s_wait_alu 0xfffd
	v_add_co_ci_u32_e64 v24, null, s15, v19, vcc_lo
	s_delay_alu instid0(VALU_DEP_2) | instskip(SKIP_1) | instid1(VALU_DEP_2)
	v_add_co_u32 v25, vcc_lo, v4, v10
	s_wait_alu 0xfffd
	v_add_co_ci_u32_e64 v26, null, v24, v11, vcc_lo
	s_and_saveexec_b32 s16, s21
	s_cbranch_execz .LBB498_19
; %bb.16:                               ;   in Loop: Header=BB498_6 Depth=1
	v_mul_f64_e32 v[18:19], s[10:11], v[22:23]
	s_and_b32 vcc_lo, exec_lo, s20
	s_wait_alu 0xfffe
	s_cbranch_vccz .LBB498_30
; %bb.17:                               ;   in Loop: Header=BB498_6 Depth=1
	v_lshlrev_b64_e32 v[22:23], 3, v[0:1]
	s_delay_alu instid0(VALU_DEP_1) | instskip(SKIP_1) | instid1(VALU_DEP_2)
	v_add_co_u32 v22, vcc_lo, v25, v22
	s_wait_alu 0xfffd
	v_add_co_ci_u32_e64 v23, null, v26, v23, vcc_lo
	flat_load_b64 v[34:35], v[22:23]
	s_wait_loadcnt_dscnt 0x0
	v_fma_f64 v[34:35], s[24:25], v[34:35], v[18:19]
	flat_store_b64 v[22:23], v[34:35]
	s_cbranch_execnz .LBB498_19
.LBB498_18:                             ;   in Loop: Header=BB498_6 Depth=1
	v_lshlrev_b64_e32 v[22:23], 3, v[0:1]
	s_delay_alu instid0(VALU_DEP_1) | instskip(SKIP_1) | instid1(VALU_DEP_2)
	v_add_co_u32 v22, vcc_lo, v25, v22
	s_wait_alu 0xfffd
	v_add_co_ci_u32_e64 v23, null, v26, v23, vcc_lo
	flat_store_b64 v[22:23], v[18:19]
.LBB498_19:                             ;   in Loop: Header=BB498_6 Depth=1
	s_wait_alu 0xfffe
	s_or_b32 exec_lo, exec_lo, s16
	s_and_saveexec_b32 s16, s28
	s_cbranch_execz .LBB498_23
; %bb.20:                               ;   in Loop: Header=BB498_6 Depth=1
	v_mul_f64_e32 v[18:19], s[10:11], v[20:21]
	s_and_not1_b32 vcc_lo, exec_lo, s20
	s_wait_alu 0xfffe
	s_cbranch_vccnz .LBB498_31
; %bb.21:                               ;   in Loop: Header=BB498_6 Depth=1
	v_lshlrev_b64_e32 v[20:21], 3, v[2:3]
	s_delay_alu instid0(VALU_DEP_1) | instskip(SKIP_1) | instid1(VALU_DEP_2)
	v_add_co_u32 v20, vcc_lo, v25, v20
	s_wait_alu 0xfffd
	v_add_co_ci_u32_e64 v21, null, v26, v21, vcc_lo
	flat_load_b64 v[22:23], v[20:21]
	s_wait_loadcnt_dscnt 0x0
	v_fma_f64 v[22:23], s[24:25], v[22:23], v[18:19]
	flat_store_b64 v[20:21], v[22:23]
	s_cbranch_execnz .LBB498_23
.LBB498_22:                             ;   in Loop: Header=BB498_6 Depth=1
	v_lshlrev_b64_e32 v[20:21], 3, v[2:3]
	s_delay_alu instid0(VALU_DEP_1) | instskip(SKIP_1) | instid1(VALU_DEP_2)
	v_add_co_u32 v20, vcc_lo, v25, v20
	s_wait_alu 0xfffd
	v_add_co_ci_u32_e64 v21, null, v26, v21, vcc_lo
	flat_store_b64 v[20:21], v[18:19]
.LBB498_23:                             ;   in Loop: Header=BB498_6 Depth=1
	s_wait_alu 0xfffe
	s_or_b32 exec_lo, exec_lo, s16
	v_add_co_u32 v4, vcc_lo, v4, v12
	s_wait_alu 0xfffd
	v_add_co_ci_u32_e64 v20, null, v24, v13, vcc_lo
	s_and_saveexec_b32 s16, s29
	s_cbranch_execz .LBB498_27
; %bb.24:                               ;   in Loop: Header=BB498_6 Depth=1
	v_mul_f64_e32 v[16:17], s[10:11], v[16:17]
	v_lshlrev_b64_e32 v[18:19], 3, v[0:1]
	s_and_not1_b32 vcc_lo, exec_lo, s20
	s_wait_alu 0xfffe
	s_cbranch_vccnz .LBB498_32
; %bb.25:                               ;   in Loop: Header=BB498_6 Depth=1
	s_delay_alu instid0(VALU_DEP_1)
	v_add_co_u32 v21, vcc_lo, v4, v18
	s_wait_alu 0xfffd
	v_add_co_ci_u32_e64 v22, null, v20, v19, vcc_lo
	flat_load_b64 v[23:24], v[21:22]
	s_wait_loadcnt_dscnt 0x0
	v_fma_f64 v[23:24], s[24:25], v[23:24], v[16:17]
	flat_store_b64 v[21:22], v[23:24]
	s_cbranch_execnz .LBB498_27
.LBB498_26:                             ;   in Loop: Header=BB498_6 Depth=1
	s_delay_alu instid0(VALU_DEP_1)
	v_add_co_u32 v18, vcc_lo, v4, v18
	s_wait_alu 0xfffd
	v_add_co_ci_u32_e64 v19, null, v20, v19, vcc_lo
	flat_store_b64 v[18:19], v[16:17]
.LBB498_27:                             ;   in Loop: Header=BB498_6 Depth=1
	s_wait_alu 0xfffe
	s_or_b32 exec_lo, exec_lo, s16
	s_and_saveexec_b32 s16, s34
	s_cbranch_execz .LBB498_5
; %bb.28:                               ;   in Loop: Header=BB498_6 Depth=1
	v_mul_f64_e32 v[14:15], s[10:11], v[14:15]
	v_lshlrev_b64_e32 v[16:17], 3, v[2:3]
	s_and_not1_b32 vcc_lo, exec_lo, s20
	s_wait_alu 0xfffe
	s_cbranch_vccnz .LBB498_33
; %bb.29:                               ;   in Loop: Header=BB498_6 Depth=1
	s_delay_alu instid0(VALU_DEP_1)
	v_add_co_u32 v18, vcc_lo, v4, v16
	s_wait_alu 0xfffd
	v_add_co_ci_u32_e64 v19, null, v20, v17, vcc_lo
	flat_load_b64 v[21:22], v[18:19]
	s_wait_loadcnt_dscnt 0x0
	v_fma_f64 v[21:22], s[24:25], v[21:22], v[14:15]
	flat_store_b64 v[18:19], v[21:22]
	s_cbranch_execnz .LBB498_5
	s_branch .LBB498_34
.LBB498_30:                             ;   in Loop: Header=BB498_6 Depth=1
	s_branch .LBB498_18
.LBB498_31:                             ;   in Loop: Header=BB498_6 Depth=1
	s_branch .LBB498_22
.LBB498_32:                             ;   in Loop: Header=BB498_6 Depth=1
	s_branch .LBB498_26
.LBB498_33:                             ;   in Loop: Header=BB498_6 Depth=1
.LBB498_34:                             ;   in Loop: Header=BB498_6 Depth=1
	s_delay_alu instid0(VALU_DEP_1)
	v_add_co_u32 v16, vcc_lo, v4, v16
	s_wait_alu 0xfffd
	v_add_co_ci_u32_e64 v17, null, v20, v17, vcc_lo
	flat_store_b64 v[16:17], v[14:15]
	s_branch .LBB498_5
.LBB498_35:
	s_endpgm
	.section	.rodata,"a",@progbits
	.p2align	6, 0x0
	.amdhsa_kernel _ZL29rocblas_internal_gemmt_kernelIlLi16ELi32ELi8ELc84ELc78ELc76ELb0ELb0EddPKPKdPKPdEviT_T9_T10_S7_lS9_S7_lS8_T11_S7_li
		.amdhsa_group_segment_fixed_size 4096
		.amdhsa_private_segment_fixed_size 0
		.amdhsa_kernarg_size 108
		.amdhsa_user_sgpr_count 2
		.amdhsa_user_sgpr_dispatch_ptr 0
		.amdhsa_user_sgpr_queue_ptr 0
		.amdhsa_user_sgpr_kernarg_segment_ptr 1
		.amdhsa_user_sgpr_dispatch_id 0
		.amdhsa_user_sgpr_private_segment_size 0
		.amdhsa_wavefront_size32 1
		.amdhsa_uses_dynamic_stack 0
		.amdhsa_enable_private_segment 0
		.amdhsa_system_sgpr_workgroup_id_x 1
		.amdhsa_system_sgpr_workgroup_id_y 1
		.amdhsa_system_sgpr_workgroup_id_z 1
		.amdhsa_system_sgpr_workgroup_info 0
		.amdhsa_system_vgpr_workitem_id 1
		.amdhsa_next_free_vgpr 54
		.amdhsa_next_free_sgpr 37
		.amdhsa_reserve_vcc 1
		.amdhsa_float_round_mode_32 0
		.amdhsa_float_round_mode_16_64 0
		.amdhsa_float_denorm_mode_32 3
		.amdhsa_float_denorm_mode_16_64 3
		.amdhsa_fp16_overflow 0
		.amdhsa_workgroup_processor_mode 1
		.amdhsa_memory_ordered 1
		.amdhsa_forward_progress 1
		.amdhsa_inst_pref_size 17
		.amdhsa_round_robin_scheduling 0
		.amdhsa_exception_fp_ieee_invalid_op 0
		.amdhsa_exception_fp_denorm_src 0
		.amdhsa_exception_fp_ieee_div_zero 0
		.amdhsa_exception_fp_ieee_overflow 0
		.amdhsa_exception_fp_ieee_underflow 0
		.amdhsa_exception_fp_ieee_inexact 0
		.amdhsa_exception_int_div_zero 0
	.end_amdhsa_kernel
	.section	.text._ZL29rocblas_internal_gemmt_kernelIlLi16ELi32ELi8ELc84ELc78ELc76ELb0ELb0EddPKPKdPKPdEviT_T9_T10_S7_lS9_S7_lS8_T11_S7_li,"axG",@progbits,_ZL29rocblas_internal_gemmt_kernelIlLi16ELi32ELi8ELc84ELc78ELc76ELb0ELb0EddPKPKdPKPdEviT_T9_T10_S7_lS9_S7_lS8_T11_S7_li,comdat
.Lfunc_end498:
	.size	_ZL29rocblas_internal_gemmt_kernelIlLi16ELi32ELi8ELc84ELc78ELc76ELb0ELb0EddPKPKdPKPdEviT_T9_T10_S7_lS9_S7_lS8_T11_S7_li, .Lfunc_end498-_ZL29rocblas_internal_gemmt_kernelIlLi16ELi32ELi8ELc84ELc78ELc76ELb0ELb0EddPKPKdPKPdEviT_T9_T10_S7_lS9_S7_lS8_T11_S7_li
                                        ; -- End function
	.set _ZL29rocblas_internal_gemmt_kernelIlLi16ELi32ELi8ELc84ELc78ELc76ELb0ELb0EddPKPKdPKPdEviT_T9_T10_S7_lS9_S7_lS8_T11_S7_li.num_vgpr, 54
	.set _ZL29rocblas_internal_gemmt_kernelIlLi16ELi32ELi8ELc84ELc78ELc76ELb0ELb0EddPKPKdPKPdEviT_T9_T10_S7_lS9_S7_lS8_T11_S7_li.num_agpr, 0
	.set _ZL29rocblas_internal_gemmt_kernelIlLi16ELi32ELi8ELc84ELc78ELc76ELb0ELb0EddPKPKdPKPdEviT_T9_T10_S7_lS9_S7_lS8_T11_S7_li.numbered_sgpr, 37
	.set _ZL29rocblas_internal_gemmt_kernelIlLi16ELi32ELi8ELc84ELc78ELc76ELb0ELb0EddPKPKdPKPdEviT_T9_T10_S7_lS9_S7_lS8_T11_S7_li.num_named_barrier, 0
	.set _ZL29rocblas_internal_gemmt_kernelIlLi16ELi32ELi8ELc84ELc78ELc76ELb0ELb0EddPKPKdPKPdEviT_T9_T10_S7_lS9_S7_lS8_T11_S7_li.private_seg_size, 0
	.set _ZL29rocblas_internal_gemmt_kernelIlLi16ELi32ELi8ELc84ELc78ELc76ELb0ELb0EddPKPKdPKPdEviT_T9_T10_S7_lS9_S7_lS8_T11_S7_li.uses_vcc, 1
	.set _ZL29rocblas_internal_gemmt_kernelIlLi16ELi32ELi8ELc84ELc78ELc76ELb0ELb0EddPKPKdPKPdEviT_T9_T10_S7_lS9_S7_lS8_T11_S7_li.uses_flat_scratch, 0
	.set _ZL29rocblas_internal_gemmt_kernelIlLi16ELi32ELi8ELc84ELc78ELc76ELb0ELb0EddPKPKdPKPdEviT_T9_T10_S7_lS9_S7_lS8_T11_S7_li.has_dyn_sized_stack, 0
	.set _ZL29rocblas_internal_gemmt_kernelIlLi16ELi32ELi8ELc84ELc78ELc76ELb0ELb0EddPKPKdPKPdEviT_T9_T10_S7_lS9_S7_lS8_T11_S7_li.has_recursion, 0
	.set _ZL29rocblas_internal_gemmt_kernelIlLi16ELi32ELi8ELc84ELc78ELc76ELb0ELb0EddPKPKdPKPdEviT_T9_T10_S7_lS9_S7_lS8_T11_S7_li.has_indirect_call, 0
	.section	.AMDGPU.csdata,"",@progbits
; Kernel info:
; codeLenInByte = 2132
; TotalNumSgprs: 39
; NumVgprs: 54
; ScratchSize: 0
; MemoryBound: 0
; FloatMode: 240
; IeeeMode: 1
; LDSByteSize: 4096 bytes/workgroup (compile time only)
; SGPRBlocks: 0
; VGPRBlocks: 6
; NumSGPRsForWavesPerEU: 39
; NumVGPRsForWavesPerEU: 54
; Occupancy: 16
; WaveLimiterHint : 1
; COMPUTE_PGM_RSRC2:SCRATCH_EN: 0
; COMPUTE_PGM_RSRC2:USER_SGPR: 2
; COMPUTE_PGM_RSRC2:TRAP_HANDLER: 0
; COMPUTE_PGM_RSRC2:TGID_X_EN: 1
; COMPUTE_PGM_RSRC2:TGID_Y_EN: 1
; COMPUTE_PGM_RSRC2:TGID_Z_EN: 1
; COMPUTE_PGM_RSRC2:TIDIG_COMP_CNT: 1
	.section	.text._ZL29rocblas_internal_gemmt_kernelIlLi16ELi32ELi8ELc84ELc84ELc76ELb0ELb0EddPKPKdPKPdEviT_T9_T10_S7_lS9_S7_lS8_T11_S7_li,"axG",@progbits,_ZL29rocblas_internal_gemmt_kernelIlLi16ELi32ELi8ELc84ELc84ELc76ELb0ELb0EddPKPKdPKPdEviT_T9_T10_S7_lS9_S7_lS8_T11_S7_li,comdat
	.globl	_ZL29rocblas_internal_gemmt_kernelIlLi16ELi32ELi8ELc84ELc84ELc76ELb0ELb0EddPKPKdPKPdEviT_T9_T10_S7_lS9_S7_lS8_T11_S7_li ; -- Begin function _ZL29rocblas_internal_gemmt_kernelIlLi16ELi32ELi8ELc84ELc84ELc76ELb0ELb0EddPKPKdPKPdEviT_T9_T10_S7_lS9_S7_lS8_T11_S7_li
	.p2align	8
	.type	_ZL29rocblas_internal_gemmt_kernelIlLi16ELi32ELi8ELc84ELc84ELc76ELb0ELb0EddPKPKdPKPdEviT_T9_T10_S7_lS9_S7_lS8_T11_S7_li,@function
_ZL29rocblas_internal_gemmt_kernelIlLi16ELi32ELi8ELc84ELc84ELc76ELb0ELb0EddPKPKdPKPdEviT_T9_T10_S7_lS9_S7_lS8_T11_S7_li: ; @_ZL29rocblas_internal_gemmt_kernelIlLi16ELi32ELi8ELc84ELc84ELc76ELb0ELb0EddPKPKdPKPdEviT_T9_T10_S7_lS9_S7_lS8_T11_S7_li
; %bb.0:
	s_clause 0x1
	s_load_b256 s[24:31], s[0:1], 0x48
	s_load_b512 s[8:23], s[0:1], 0x8
	s_wait_kmcnt 0x0
	v_cmp_neq_f64_e64 s2, s[24:25], 1.0
	s_and_b32 vcc_lo, exec_lo, s2
	s_cbranch_vccnz .LBB499_2
; %bb.1:
	v_cmp_neq_f64_e64 s2, s[10:11], 0
	s_cmp_lg_u64 s[8:9], 0
	s_cselect_b32 s3, -1, 0
	s_delay_alu instid0(SALU_CYCLE_1)
	s_and_b32 s2, s3, s2
.LBB499_2:
	s_delay_alu instid0(SALU_CYCLE_1)
	s_and_not1_b32 vcc_lo, exec_lo, s2
	s_cbranch_vccnz .LBB499_35
; %bb.3:
	s_load_b32 s33, s[0:1], 0x68
	s_lshr_b32 s6, ttmp7, 16
	s_wait_kmcnt 0x0
	s_cmp_ge_u32 s6, s33
	s_cbranch_scc1 .LBB499_35
; %bb.4:
	v_and_b32_e32 v4, 0x3ff, v0
	v_bfe_u32 v5, v0, 10, 10
	s_load_b32 s4, s[0:1], 0x0
	s_lshl_b32 s0, ttmp7, 5
	v_and_b32_e32 v26, 7, v0
	s_and_b32 s0, s0, 0x1fffe0
	v_lshl_add_u32 v0, v5, 4, v4
	v_add_nc_u32_e32 v12, s0, v5
	s_lshl_b32 s2, ttmp9, 5
	v_cmp_neq_f64_e64 s37, s[10:11], 0
	s_ashr_i32 s1, s2, 31
	v_lshrrev_b32_e32 v27, 5, v0
	v_mad_co_u64_u32 v[8:9], null, s28, v12, 0
	v_and_b32_e32 v1, 31, v0
	v_lshrrev_b32_e32 v3, 3, v0
	s_wait_alu 0xfffe
	s_mul_i32 s3, s14, s1
	v_cmp_neq_f64_e64 s34, s[24:25], 0
	v_add_nc_u32_e32 v14, 16, v12
	v_or_b32_e32 v2, s2, v1
	v_add_nc_u32_e32 v13, s0, v3
	v_cmp_gt_i64_e64 s38, s[8:9], 0
	v_lshl_add_u32 v31, v5, 6, 0x800
	s_mov_b32 s7, 0
	v_mul_lo_u32 v0, s15, v2
	v_mad_co_u64_u32 v[6:7], null, s14, v2, 0
	s_wait_kmcnt 0x0
	v_cmp_gt_i32_e64 s0, s4, v2
	v_cmp_gt_i32_e64 s1, s4, v13
	v_lshlrev_b32_e32 v32, 3, v13
	s_lshl_b64 s[14:15], s[30:31], 3
	v_add3_u32 v7, v7, s3, v0
	v_dual_mov_b32 v0, v9 :: v_dual_lshlrev_b32 v1, 3, v1
	s_delay_alu instid0(VALU_DEP_2) | instskip(NEXT) | instid1(VALU_DEP_2)
	v_lshlrev_b64_e32 v[6:7], 3, v[6:7]
	v_lshl_or_b32 v28, v27, 8, v1
	s_delay_alu instid0(VALU_DEP_3) | instskip(SKIP_2) | instid1(VALU_DEP_1)
	v_mad_co_u64_u32 v[1:2], null, s29, v12, v[0:1]
	s_and_b32 s37, s37, s38
	v_dual_mov_b32 v9, v1 :: v_dual_lshlrev_b32 v10, 3, v26
	v_lshlrev_b64_e32 v[8:9], 3, v[8:9]
	s_delay_alu instid0(VALU_DEP_2) | instskip(SKIP_1) | instid1(VALU_DEP_2)
	v_lshl_or_b32 v3, v3, 6, v10
	v_mad_co_u64_u32 v[10:11], null, s28, v14, 0
	v_add_nc_u32_e32 v29, 0x800, v3
	v_dual_mov_b32 v3, 0 :: v_dual_add_nc_u32 v0, s2, v4
	s_delay_alu instid0(VALU_DEP_3) | instskip(NEXT) | instid1(VALU_DEP_2)
	v_dual_mov_b32 v1, v11 :: v_dual_lshlrev_b32 v30, 3, v4
	v_add_nc_u32_e32 v4, 16, v0
	v_cmp_le_i32_e32 vcc_lo, v12, v0
	v_cmp_gt_i32_e64 s2, s4, v0
	s_delay_alu instid0(VALU_DEP_3)
	v_cmp_le_i32_e64 s3, v12, v4
	v_mad_co_u64_u32 v[11:12], null, s29, v14, v[1:2]
	v_cmp_gt_i32_e64 s4, s4, v4
	s_and_b32 s28, vcc_lo, s2
	v_cmp_le_i32_e32 vcc_lo, v14, v0
	v_cmp_le_i32_e64 s5, v14, v4
	v_ashrrev_i32_e32 v1, 31, v0
	v_ashrrev_i32_e32 v5, 31, v4
	v_lshlrev_b64_e32 v[10:11], 3, v[10:11]
	s_and_b32 s29, s3, s4
	s_and_b32 s35, vcc_lo, s2
	s_and_b32 s36, s5, s4
	s_lshl_b64 s[2:3], s[22:23], 3
	s_lshl_b64 s[4:5], s[16:17], 3
	s_branch .LBB499_6
.LBB499_5:                              ;   in Loop: Header=BB499_6 Depth=1
	s_wait_alu 0xfffe
	s_or_b32 exec_lo, exec_lo, s16
	s_add_co_i32 s6, s6, 0x10000
	s_delay_alu instid0(SALU_CYCLE_1)
	s_cmp_lt_u32 s6, s33
	s_cbranch_scc0 .LBB499_35
.LBB499_6:                              ; =>This Loop Header: Depth=1
                                        ;     Child Loop BB499_9 Depth 2
	s_lshl_b64 s[16:17], s[6:7], 3
	v_mov_b32_e32 v20, 0
	s_wait_alu 0xfffe
	s_add_nc_u64 s[22:23], s[26:27], s[16:17]
	v_mov_b32_e32 v14, 0
	global_load_b64 v[16:17], v3, s[22:23]
	v_dual_mov_b32 v21, 0 :: v_dual_mov_b32 v18, 0
	v_dual_mov_b32 v15, 0 :: v_dual_mov_b32 v12, 0
	v_mov_b32_e32 v19, 0
	v_mov_b32_e32 v13, 0
	s_and_not1_b32 vcc_lo, exec_lo, s37
	s_wait_alu 0xfffe
	s_cbranch_vccnz .LBB499_15
; %bb.7:                                ;   in Loop: Header=BB499_6 Depth=1
	s_add_nc_u64 s[22:23], s[12:13], s[16:17]
	s_add_nc_u64 s[16:17], s[18:19], s[16:17]
	s_clause 0x1
	global_load_b64 v[22:23], v3, s[22:23]
	global_load_b64 v[24:25], v3, s[16:17]
	v_mov_b32_e32 v12, 0
	v_dual_mov_b32 v18, 0 :: v_dual_mov_b32 v13, 0
	v_dual_mov_b32 v14, 0 :: v_dual_mov_b32 v19, 0
	;; [unrolled: 1-line block ×3, first 2 shown]
	v_mov_b32_e32 v21, 0
	s_mov_b64 s[16:17], 0
	s_wait_loadcnt 0x1
	v_add_co_u32 v2, vcc_lo, v22, s4
	s_wait_alu 0xfffd
	v_add_co_ci_u32_e64 v22, null, s5, v23, vcc_lo
	s_wait_loadcnt 0x0
	v_add_co_u32 v23, vcc_lo, v24, s2
	s_wait_alu 0xfffd
	v_add_co_ci_u32_e64 v24, null, s3, v25, vcc_lo
	v_add_co_u32 v33, vcc_lo, v2, v6
	s_wait_alu 0xfffd
	v_add_co_ci_u32_e64 v34, null, v22, v7, vcc_lo
	v_add_co_u32 v35, vcc_lo, v23, v32
	s_wait_alu 0xfffd
	v_add_co_ci_u32_e64 v36, null, 0, v24, vcc_lo
	s_branch .LBB499_9
.LBB499_8:                              ;   in Loop: Header=BB499_9 Depth=2
	s_or_b32 exec_lo, exec_lo, s22
	s_wait_loadcnt_dscnt 0x0
	ds_store_b64 v29, v[24:25]
	s_wait_dscnt 0x0
	s_barrier_signal -1
	s_barrier_wait -1
	global_inv scope:SCOPE_SE
	ds_load_b128 v[22:25], v31
	ds_load_2addr_b64 v[37:40], v30 offset1:16
	ds_load_b128 v[41:44], v31 offset:1024
	ds_load_b128 v[45:48], v31 offset:16
	;; [unrolled: 1-line block ×3, first 2 shown]
	s_add_nc_u64 s[16:17], s[16:17], 8
	s_wait_alu 0xfffe
	v_cmp_gt_i64_e64 s22, s[8:9], s[16:17]
	s_and_b32 vcc_lo, exec_lo, s22
	s_wait_dscnt 0x3
	v_fma_f64 v[20:21], v[37:38], v[22:23], v[20:21]
	v_fma_f64 v[18:19], v[39:40], v[22:23], v[18:19]
	s_wait_dscnt 0x2
	v_fma_f64 v[22:23], v[37:38], v[41:42], v[14:15]
	v_fma_f64 v[37:38], v[39:40], v[41:42], v[12:13]
	ds_load_2addr_b64 v[12:15], v30 offset0:32 offset1:48
	s_wait_dscnt 0x0
	v_fma_f64 v[20:21], v[12:13], v[24:25], v[20:21]
	v_fma_f64 v[18:19], v[14:15], v[24:25], v[18:19]
	v_fma_f64 v[22:23], v[12:13], v[43:44], v[22:23]
	v_fma_f64 v[24:25], v[14:15], v[43:44], v[37:38]
	ds_load_2addr_b64 v[12:15], v30 offset0:64 offset1:80
	s_wait_dscnt 0x0
	v_fma_f64 v[20:21], v[12:13], v[45:46], v[20:21]
	v_fma_f64 v[18:19], v[14:15], v[45:46], v[18:19]
	;; [unrolled: 6-line block ×3, first 2 shown]
	v_fma_f64 v[49:50], v[12:13], v[51:52], v[22:23]
	v_fma_f64 v[51:52], v[14:15], v[51:52], v[24:25]
	ds_load_b128 v[12:15], v31 offset:32
	ds_load_2addr_b64 v[18:21], v30 offset0:128 offset1:144
	ds_load_b128 v[22:25], v31 offset:1056
	ds_load_b128 v[37:40], v31 offset:48
	;; [unrolled: 1-line block ×3, first 2 shown]
	s_wait_dscnt 0x3
	v_fma_f64 v[45:46], v[18:19], v[12:13], v[45:46]
	v_fma_f64 v[12:13], v[20:21], v[12:13], v[47:48]
	s_wait_dscnt 0x2
	v_fma_f64 v[47:48], v[18:19], v[22:23], v[49:50]
	v_fma_f64 v[22:23], v[20:21], v[22:23], v[51:52]
	ds_load_2addr_b64 v[18:21], v30 offset0:160 offset1:176
	s_wait_dscnt 0x0
	v_fma_f64 v[45:46], v[18:19], v[14:15], v[45:46]
	v_fma_f64 v[49:50], v[20:21], v[14:15], v[12:13]
	;; [unrolled: 1-line block ×4, first 2 shown]
	ds_load_2addr_b64 v[12:15], v30 offset0:192 offset1:208
	ds_load_2addr_b64 v[22:25], v30 offset0:224 offset1:240
	s_wait_loadcnt_dscnt 0x0
	s_barrier_signal -1
	s_barrier_wait -1
	global_inv scope:SCOPE_SE
	v_fma_f64 v[45:46], v[12:13], v[37:38], v[45:46]
	v_fma_f64 v[37:38], v[14:15], v[37:38], v[49:50]
	;; [unrolled: 1-line block ×4, first 2 shown]
	s_delay_alu instid0(VALU_DEP_4) | instskip(NEXT) | instid1(VALU_DEP_4)
	v_fma_f64 v[20:21], v[22:23], v[39:40], v[45:46]
	v_fma_f64 v[18:19], v[24:25], v[39:40], v[37:38]
	s_delay_alu instid0(VALU_DEP_4) | instskip(NEXT) | instid1(VALU_DEP_4)
	v_fma_f64 v[14:15], v[22:23], v[43:44], v[12:13]
	v_fma_f64 v[12:13], v[24:25], v[43:44], v[41:42]
	s_wait_alu 0xfffe
	s_cbranch_vccz .LBB499_15
.LBB499_9:                              ;   Parent Loop BB499_6 Depth=1
                                        ; =>  This Inner Loop Header: Depth=2
	v_mov_b32_e32 v22, 0
	v_mov_b32_e32 v23, 0
	s_and_saveexec_b32 s22, s0
	s_cbranch_execz .LBB499_13
; %bb.10:                               ;   in Loop: Header=BB499_9 Depth=2
	v_mov_b32_e32 v22, 0
	s_wait_alu 0xfffe
	v_dual_mov_b32 v23, 0 :: v_dual_add_nc_u32 v2, s16, v27
	s_mov_b32 s23, exec_lo
	s_delay_alu instid0(VALU_DEP_1)
	v_cmpx_gt_u64_e64 s[8:9], v[2:3]
	s_cbranch_execz .LBB499_12
; %bb.11:                               ;   in Loop: Header=BB499_9 Depth=2
	v_lshlrev_b64_e32 v[22:23], 3, v[2:3]
	s_delay_alu instid0(VALU_DEP_1) | instskip(SKIP_1) | instid1(VALU_DEP_2)
	v_add_co_u32 v22, vcc_lo, v33, v22
	s_wait_alu 0xfffd
	v_add_co_ci_u32_e64 v23, null, v34, v23, vcc_lo
	flat_load_b64 v[22:23], v[22:23]
.LBB499_12:                             ;   in Loop: Header=BB499_9 Depth=2
	s_or_b32 exec_lo, exec_lo, s23
.LBB499_13:                             ;   in Loop: Header=BB499_9 Depth=2
	s_delay_alu instid0(SALU_CYCLE_1)
	s_or_b32 exec_lo, exec_lo, s22
	s_wait_alu 0xfffe
	v_add_nc_u32_e32 v2, s16, v26
	v_mov_b32_e32 v24, 0
	v_mov_b32_e32 v25, 0
	s_wait_loadcnt_dscnt 0x0
	ds_store_b64 v28, v[22:23]
	v_cmp_gt_u64_e32 vcc_lo, s[8:9], v[2:3]
	s_and_b32 s23, vcc_lo, s1
	s_delay_alu instid0(SALU_CYCLE_1)
	s_and_saveexec_b32 s22, s23
	s_cbranch_execz .LBB499_8
; %bb.14:                               ;   in Loop: Header=BB499_9 Depth=2
	v_mad_co_u64_u32 v[22:23], null, s20, v2, 0
	s_delay_alu instid0(VALU_DEP_1) | instskip(NEXT) | instid1(VALU_DEP_1)
	v_mad_co_u64_u32 v[23:24], null, s21, v2, v[23:24]
	v_lshlrev_b64_e32 v[22:23], 3, v[22:23]
	s_delay_alu instid0(VALU_DEP_1) | instskip(SKIP_1) | instid1(VALU_DEP_2)
	v_add_co_u32 v22, vcc_lo, v35, v22
	s_wait_alu 0xfffd
	v_add_co_ci_u32_e64 v23, null, v36, v23, vcc_lo
	flat_load_b64 v[24:25], v[22:23]
	s_branch .LBB499_8
.LBB499_15:                             ;   in Loop: Header=BB499_6 Depth=1
	s_wait_loadcnt 0x0
	s_wait_alu 0xfffe
	v_add_co_u32 v2, vcc_lo, v16, s14
	s_wait_alu 0xfffd
	v_add_co_ci_u32_e64 v22, null, s15, v17, vcc_lo
	s_delay_alu instid0(VALU_DEP_2) | instskip(SKIP_1) | instid1(VALU_DEP_2)
	v_add_co_u32 v23, vcc_lo, v2, v8
	s_wait_alu 0xfffd
	v_add_co_ci_u32_e64 v24, null, v22, v9, vcc_lo
	s_and_saveexec_b32 s16, s28
	s_cbranch_execz .LBB499_19
; %bb.16:                               ;   in Loop: Header=BB499_6 Depth=1
	v_mul_f64_e32 v[16:17], s[10:11], v[20:21]
	s_and_b32 vcc_lo, exec_lo, s34
	s_wait_alu 0xfffe
	s_cbranch_vccz .LBB499_30
; %bb.17:                               ;   in Loop: Header=BB499_6 Depth=1
	v_lshlrev_b64_e32 v[20:21], 3, v[0:1]
	s_delay_alu instid0(VALU_DEP_1) | instskip(SKIP_1) | instid1(VALU_DEP_2)
	v_add_co_u32 v20, vcc_lo, v23, v20
	s_wait_alu 0xfffd
	v_add_co_ci_u32_e64 v21, null, v24, v21, vcc_lo
	flat_load_b64 v[33:34], v[20:21]
	s_wait_loadcnt_dscnt 0x0
	v_fma_f64 v[33:34], s[24:25], v[33:34], v[16:17]
	flat_store_b64 v[20:21], v[33:34]
	s_cbranch_execnz .LBB499_19
.LBB499_18:                             ;   in Loop: Header=BB499_6 Depth=1
	v_lshlrev_b64_e32 v[20:21], 3, v[0:1]
	s_delay_alu instid0(VALU_DEP_1) | instskip(SKIP_1) | instid1(VALU_DEP_2)
	v_add_co_u32 v20, vcc_lo, v23, v20
	s_wait_alu 0xfffd
	v_add_co_ci_u32_e64 v21, null, v24, v21, vcc_lo
	flat_store_b64 v[20:21], v[16:17]
.LBB499_19:                             ;   in Loop: Header=BB499_6 Depth=1
	s_wait_alu 0xfffe
	s_or_b32 exec_lo, exec_lo, s16
	s_and_saveexec_b32 s16, s29
	s_cbranch_execz .LBB499_23
; %bb.20:                               ;   in Loop: Header=BB499_6 Depth=1
	v_mul_f64_e32 v[16:17], s[10:11], v[18:19]
	s_and_not1_b32 vcc_lo, exec_lo, s34
	s_wait_alu 0xfffe
	s_cbranch_vccnz .LBB499_31
; %bb.21:                               ;   in Loop: Header=BB499_6 Depth=1
	v_lshlrev_b64_e32 v[18:19], 3, v[4:5]
	s_delay_alu instid0(VALU_DEP_1) | instskip(SKIP_1) | instid1(VALU_DEP_2)
	v_add_co_u32 v18, vcc_lo, v23, v18
	s_wait_alu 0xfffd
	v_add_co_ci_u32_e64 v19, null, v24, v19, vcc_lo
	flat_load_b64 v[20:21], v[18:19]
	s_wait_loadcnt_dscnt 0x0
	v_fma_f64 v[20:21], s[24:25], v[20:21], v[16:17]
	flat_store_b64 v[18:19], v[20:21]
	s_cbranch_execnz .LBB499_23
.LBB499_22:                             ;   in Loop: Header=BB499_6 Depth=1
	v_lshlrev_b64_e32 v[18:19], 3, v[4:5]
	s_delay_alu instid0(VALU_DEP_1) | instskip(SKIP_1) | instid1(VALU_DEP_2)
	v_add_co_u32 v18, vcc_lo, v23, v18
	s_wait_alu 0xfffd
	v_add_co_ci_u32_e64 v19, null, v24, v19, vcc_lo
	flat_store_b64 v[18:19], v[16:17]
.LBB499_23:                             ;   in Loop: Header=BB499_6 Depth=1
	s_wait_alu 0xfffe
	s_or_b32 exec_lo, exec_lo, s16
	v_add_co_u32 v2, vcc_lo, v2, v10
	s_wait_alu 0xfffd
	v_add_co_ci_u32_e64 v18, null, v22, v11, vcc_lo
	s_and_saveexec_b32 s16, s35
	s_cbranch_execz .LBB499_27
; %bb.24:                               ;   in Loop: Header=BB499_6 Depth=1
	v_mul_f64_e32 v[14:15], s[10:11], v[14:15]
	v_lshlrev_b64_e32 v[16:17], 3, v[0:1]
	s_and_not1_b32 vcc_lo, exec_lo, s34
	s_wait_alu 0xfffe
	s_cbranch_vccnz .LBB499_32
; %bb.25:                               ;   in Loop: Header=BB499_6 Depth=1
	s_delay_alu instid0(VALU_DEP_1)
	v_add_co_u32 v19, vcc_lo, v2, v16
	s_wait_alu 0xfffd
	v_add_co_ci_u32_e64 v20, null, v18, v17, vcc_lo
	flat_load_b64 v[21:22], v[19:20]
	s_wait_loadcnt_dscnt 0x0
	v_fma_f64 v[21:22], s[24:25], v[21:22], v[14:15]
	flat_store_b64 v[19:20], v[21:22]
	s_cbranch_execnz .LBB499_27
.LBB499_26:                             ;   in Loop: Header=BB499_6 Depth=1
	s_delay_alu instid0(VALU_DEP_1)
	v_add_co_u32 v16, vcc_lo, v2, v16
	s_wait_alu 0xfffd
	v_add_co_ci_u32_e64 v17, null, v18, v17, vcc_lo
	flat_store_b64 v[16:17], v[14:15]
.LBB499_27:                             ;   in Loop: Header=BB499_6 Depth=1
	s_wait_alu 0xfffe
	s_or_b32 exec_lo, exec_lo, s16
	s_and_saveexec_b32 s16, s36
	s_cbranch_execz .LBB499_5
; %bb.28:                               ;   in Loop: Header=BB499_6 Depth=1
	v_mul_f64_e32 v[12:13], s[10:11], v[12:13]
	v_lshlrev_b64_e32 v[14:15], 3, v[4:5]
	s_and_not1_b32 vcc_lo, exec_lo, s34
	s_wait_alu 0xfffe
	s_cbranch_vccnz .LBB499_33
; %bb.29:                               ;   in Loop: Header=BB499_6 Depth=1
	s_delay_alu instid0(VALU_DEP_1)
	v_add_co_u32 v16, vcc_lo, v2, v14
	s_wait_alu 0xfffd
	v_add_co_ci_u32_e64 v17, null, v18, v15, vcc_lo
	flat_load_b64 v[19:20], v[16:17]
	s_wait_loadcnt_dscnt 0x0
	v_fma_f64 v[19:20], s[24:25], v[19:20], v[12:13]
	flat_store_b64 v[16:17], v[19:20]
	s_cbranch_execnz .LBB499_5
	s_branch .LBB499_34
.LBB499_30:                             ;   in Loop: Header=BB499_6 Depth=1
	s_branch .LBB499_18
.LBB499_31:                             ;   in Loop: Header=BB499_6 Depth=1
	s_branch .LBB499_22
.LBB499_32:                             ;   in Loop: Header=BB499_6 Depth=1
	s_branch .LBB499_26
.LBB499_33:                             ;   in Loop: Header=BB499_6 Depth=1
.LBB499_34:                             ;   in Loop: Header=BB499_6 Depth=1
	s_delay_alu instid0(VALU_DEP_1)
	v_add_co_u32 v14, vcc_lo, v2, v14
	s_wait_alu 0xfffd
	v_add_co_ci_u32_e64 v15, null, v18, v15, vcc_lo
	flat_store_b64 v[14:15], v[12:13]
	s_branch .LBB499_5
.LBB499_35:
	s_endpgm
	.section	.rodata,"a",@progbits
	.p2align	6, 0x0
	.amdhsa_kernel _ZL29rocblas_internal_gemmt_kernelIlLi16ELi32ELi8ELc84ELc84ELc76ELb0ELb0EddPKPKdPKPdEviT_T9_T10_S7_lS9_S7_lS8_T11_S7_li
		.amdhsa_group_segment_fixed_size 4096
		.amdhsa_private_segment_fixed_size 0
		.amdhsa_kernarg_size 108
		.amdhsa_user_sgpr_count 2
		.amdhsa_user_sgpr_dispatch_ptr 0
		.amdhsa_user_sgpr_queue_ptr 0
		.amdhsa_user_sgpr_kernarg_segment_ptr 1
		.amdhsa_user_sgpr_dispatch_id 0
		.amdhsa_user_sgpr_private_segment_size 0
		.amdhsa_wavefront_size32 1
		.amdhsa_uses_dynamic_stack 0
		.amdhsa_enable_private_segment 0
		.amdhsa_system_sgpr_workgroup_id_x 1
		.amdhsa_system_sgpr_workgroup_id_y 1
		.amdhsa_system_sgpr_workgroup_id_z 1
		.amdhsa_system_sgpr_workgroup_info 0
		.amdhsa_system_vgpr_workitem_id 1
		.amdhsa_next_free_vgpr 53
		.amdhsa_next_free_sgpr 39
		.amdhsa_reserve_vcc 1
		.amdhsa_float_round_mode_32 0
		.amdhsa_float_round_mode_16_64 0
		.amdhsa_float_denorm_mode_32 3
		.amdhsa_float_denorm_mode_16_64 3
		.amdhsa_fp16_overflow 0
		.amdhsa_workgroup_processor_mode 1
		.amdhsa_memory_ordered 1
		.amdhsa_forward_progress 1
		.amdhsa_inst_pref_size 17
		.amdhsa_round_robin_scheduling 0
		.amdhsa_exception_fp_ieee_invalid_op 0
		.amdhsa_exception_fp_denorm_src 0
		.amdhsa_exception_fp_ieee_div_zero 0
		.amdhsa_exception_fp_ieee_overflow 0
		.amdhsa_exception_fp_ieee_underflow 0
		.amdhsa_exception_fp_ieee_inexact 0
		.amdhsa_exception_int_div_zero 0
	.end_amdhsa_kernel
	.section	.text._ZL29rocblas_internal_gemmt_kernelIlLi16ELi32ELi8ELc84ELc84ELc76ELb0ELb0EddPKPKdPKPdEviT_T9_T10_S7_lS9_S7_lS8_T11_S7_li,"axG",@progbits,_ZL29rocblas_internal_gemmt_kernelIlLi16ELi32ELi8ELc84ELc84ELc76ELb0ELb0EddPKPKdPKPdEviT_T9_T10_S7_lS9_S7_lS8_T11_S7_li,comdat
.Lfunc_end499:
	.size	_ZL29rocblas_internal_gemmt_kernelIlLi16ELi32ELi8ELc84ELc84ELc76ELb0ELb0EddPKPKdPKPdEviT_T9_T10_S7_lS9_S7_lS8_T11_S7_li, .Lfunc_end499-_ZL29rocblas_internal_gemmt_kernelIlLi16ELi32ELi8ELc84ELc84ELc76ELb0ELb0EddPKPKdPKPdEviT_T9_T10_S7_lS9_S7_lS8_T11_S7_li
                                        ; -- End function
	.set _ZL29rocblas_internal_gemmt_kernelIlLi16ELi32ELi8ELc84ELc84ELc76ELb0ELb0EddPKPKdPKPdEviT_T9_T10_S7_lS9_S7_lS8_T11_S7_li.num_vgpr, 53
	.set _ZL29rocblas_internal_gemmt_kernelIlLi16ELi32ELi8ELc84ELc84ELc76ELb0ELb0EddPKPKdPKPdEviT_T9_T10_S7_lS9_S7_lS8_T11_S7_li.num_agpr, 0
	.set _ZL29rocblas_internal_gemmt_kernelIlLi16ELi32ELi8ELc84ELc84ELc76ELb0ELb0EddPKPKdPKPdEviT_T9_T10_S7_lS9_S7_lS8_T11_S7_li.numbered_sgpr, 39
	.set _ZL29rocblas_internal_gemmt_kernelIlLi16ELi32ELi8ELc84ELc84ELc76ELb0ELb0EddPKPKdPKPdEviT_T9_T10_S7_lS9_S7_lS8_T11_S7_li.num_named_barrier, 0
	.set _ZL29rocblas_internal_gemmt_kernelIlLi16ELi32ELi8ELc84ELc84ELc76ELb0ELb0EddPKPKdPKPdEviT_T9_T10_S7_lS9_S7_lS8_T11_S7_li.private_seg_size, 0
	.set _ZL29rocblas_internal_gemmt_kernelIlLi16ELi32ELi8ELc84ELc84ELc76ELb0ELb0EddPKPKdPKPdEviT_T9_T10_S7_lS9_S7_lS8_T11_S7_li.uses_vcc, 1
	.set _ZL29rocblas_internal_gemmt_kernelIlLi16ELi32ELi8ELc84ELc84ELc76ELb0ELb0EddPKPKdPKPdEviT_T9_T10_S7_lS9_S7_lS8_T11_S7_li.uses_flat_scratch, 0
	.set _ZL29rocblas_internal_gemmt_kernelIlLi16ELi32ELi8ELc84ELc84ELc76ELb0ELb0EddPKPKdPKPdEviT_T9_T10_S7_lS9_S7_lS8_T11_S7_li.has_dyn_sized_stack, 0
	.set _ZL29rocblas_internal_gemmt_kernelIlLi16ELi32ELi8ELc84ELc84ELc76ELb0ELb0EddPKPKdPKPdEviT_T9_T10_S7_lS9_S7_lS8_T11_S7_li.has_recursion, 0
	.set _ZL29rocblas_internal_gemmt_kernelIlLi16ELi32ELi8ELc84ELc84ELc76ELb0ELb0EddPKPKdPKPdEviT_T9_T10_S7_lS9_S7_lS8_T11_S7_li.has_indirect_call, 0
	.section	.AMDGPU.csdata,"",@progbits
; Kernel info:
; codeLenInByte = 2120
; TotalNumSgprs: 41
; NumVgprs: 53
; ScratchSize: 0
; MemoryBound: 0
; FloatMode: 240
; IeeeMode: 1
; LDSByteSize: 4096 bytes/workgroup (compile time only)
; SGPRBlocks: 0
; VGPRBlocks: 6
; NumSGPRsForWavesPerEU: 41
; NumVGPRsForWavesPerEU: 53
; Occupancy: 16
; WaveLimiterHint : 1
; COMPUTE_PGM_RSRC2:SCRATCH_EN: 0
; COMPUTE_PGM_RSRC2:USER_SGPR: 2
; COMPUTE_PGM_RSRC2:TRAP_HANDLER: 0
; COMPUTE_PGM_RSRC2:TGID_X_EN: 1
; COMPUTE_PGM_RSRC2:TGID_Y_EN: 1
; COMPUTE_PGM_RSRC2:TGID_Z_EN: 1
; COMPUTE_PGM_RSRC2:TIDIG_COMP_CNT: 1
	.section	.text._ZL29rocblas_internal_gemmt_kernelIlLi16ELi32ELi8ELc84ELc67ELc76ELb0ELb0EddPKPKdPKPdEviT_T9_T10_S7_lS9_S7_lS8_T11_S7_li,"axG",@progbits,_ZL29rocblas_internal_gemmt_kernelIlLi16ELi32ELi8ELc84ELc67ELc76ELb0ELb0EddPKPKdPKPdEviT_T9_T10_S7_lS9_S7_lS8_T11_S7_li,comdat
	.globl	_ZL29rocblas_internal_gemmt_kernelIlLi16ELi32ELi8ELc84ELc67ELc76ELb0ELb0EddPKPKdPKPdEviT_T9_T10_S7_lS9_S7_lS8_T11_S7_li ; -- Begin function _ZL29rocblas_internal_gemmt_kernelIlLi16ELi32ELi8ELc84ELc67ELc76ELb0ELb0EddPKPKdPKPdEviT_T9_T10_S7_lS9_S7_lS8_T11_S7_li
	.p2align	8
	.type	_ZL29rocblas_internal_gemmt_kernelIlLi16ELi32ELi8ELc84ELc67ELc76ELb0ELb0EddPKPKdPKPdEviT_T9_T10_S7_lS9_S7_lS8_T11_S7_li,@function
_ZL29rocblas_internal_gemmt_kernelIlLi16ELi32ELi8ELc84ELc67ELc76ELb0ELb0EddPKPKdPKPdEviT_T9_T10_S7_lS9_S7_lS8_T11_S7_li: ; @_ZL29rocblas_internal_gemmt_kernelIlLi16ELi32ELi8ELc84ELc67ELc76ELb0ELb0EddPKPKdPKPdEviT_T9_T10_S7_lS9_S7_lS8_T11_S7_li
; %bb.0:
	s_clause 0x1
	s_load_b256 s[24:31], s[0:1], 0x48
	s_load_b512 s[8:23], s[0:1], 0x8
	s_wait_kmcnt 0x0
	v_cmp_neq_f64_e64 s2, s[24:25], 1.0
	s_and_b32 vcc_lo, exec_lo, s2
	s_cbranch_vccnz .LBB500_2
; %bb.1:
	v_cmp_neq_f64_e64 s2, s[10:11], 0
	s_cmp_lg_u64 s[8:9], 0
	s_cselect_b32 s3, -1, 0
	s_delay_alu instid0(SALU_CYCLE_1)
	s_and_b32 s2, s3, s2
.LBB500_2:
	s_delay_alu instid0(SALU_CYCLE_1)
	s_and_not1_b32 vcc_lo, exec_lo, s2
	s_cbranch_vccnz .LBB500_35
; %bb.3:
	s_load_b32 s33, s[0:1], 0x68
	s_lshr_b32 s6, ttmp7, 16
	s_wait_kmcnt 0x0
	s_cmp_ge_u32 s6, s33
	s_cbranch_scc1 .LBB500_35
; %bb.4:
	v_and_b32_e32 v4, 0x3ff, v0
	v_bfe_u32 v5, v0, 10, 10
	s_load_b32 s4, s[0:1], 0x0
	s_lshl_b32 s0, ttmp7, 5
	v_and_b32_e32 v26, 7, v0
	s_and_b32 s0, s0, 0x1fffe0
	v_lshl_add_u32 v0, v5, 4, v4
	v_add_nc_u32_e32 v12, s0, v5
	s_lshl_b32 s2, ttmp9, 5
	v_cmp_neq_f64_e64 s37, s[10:11], 0
	s_ashr_i32 s1, s2, 31
	v_lshrrev_b32_e32 v27, 5, v0
	v_mad_co_u64_u32 v[8:9], null, s28, v12, 0
	v_and_b32_e32 v1, 31, v0
	v_lshrrev_b32_e32 v3, 3, v0
	s_wait_alu 0xfffe
	s_mul_i32 s3, s14, s1
	v_cmp_neq_f64_e64 s34, s[24:25], 0
	v_add_nc_u32_e32 v14, 16, v12
	v_or_b32_e32 v2, s2, v1
	v_add_nc_u32_e32 v13, s0, v3
	v_cmp_gt_i64_e64 s38, s[8:9], 0
	v_lshl_add_u32 v31, v5, 6, 0x800
	s_mov_b32 s7, 0
	v_mul_lo_u32 v0, s15, v2
	v_mad_co_u64_u32 v[6:7], null, s14, v2, 0
	s_wait_kmcnt 0x0
	v_cmp_gt_i32_e64 s0, s4, v2
	v_cmp_gt_i32_e64 s1, s4, v13
	v_lshlrev_b32_e32 v32, 3, v13
	s_lshl_b64 s[14:15], s[30:31], 3
	v_add3_u32 v7, v7, s3, v0
	v_dual_mov_b32 v0, v9 :: v_dual_lshlrev_b32 v1, 3, v1
	s_delay_alu instid0(VALU_DEP_2) | instskip(NEXT) | instid1(VALU_DEP_2)
	v_lshlrev_b64_e32 v[6:7], 3, v[6:7]
	v_lshl_or_b32 v28, v27, 8, v1
	s_delay_alu instid0(VALU_DEP_3) | instskip(SKIP_2) | instid1(VALU_DEP_1)
	v_mad_co_u64_u32 v[1:2], null, s29, v12, v[0:1]
	s_and_b32 s37, s37, s38
	v_dual_mov_b32 v9, v1 :: v_dual_lshlrev_b32 v10, 3, v26
	v_lshlrev_b64_e32 v[8:9], 3, v[8:9]
	s_delay_alu instid0(VALU_DEP_2) | instskip(SKIP_1) | instid1(VALU_DEP_2)
	v_lshl_or_b32 v3, v3, 6, v10
	v_mad_co_u64_u32 v[10:11], null, s28, v14, 0
	v_add_nc_u32_e32 v29, 0x800, v3
	v_dual_mov_b32 v3, 0 :: v_dual_add_nc_u32 v0, s2, v4
	s_delay_alu instid0(VALU_DEP_3) | instskip(NEXT) | instid1(VALU_DEP_2)
	v_dual_mov_b32 v1, v11 :: v_dual_lshlrev_b32 v30, 3, v4
	v_add_nc_u32_e32 v4, 16, v0
	v_cmp_le_i32_e32 vcc_lo, v12, v0
	v_cmp_gt_i32_e64 s2, s4, v0
	s_delay_alu instid0(VALU_DEP_3)
	v_cmp_le_i32_e64 s3, v12, v4
	v_mad_co_u64_u32 v[11:12], null, s29, v14, v[1:2]
	v_cmp_gt_i32_e64 s4, s4, v4
	s_and_b32 s28, vcc_lo, s2
	v_cmp_le_i32_e32 vcc_lo, v14, v0
	v_cmp_le_i32_e64 s5, v14, v4
	v_ashrrev_i32_e32 v1, 31, v0
	v_ashrrev_i32_e32 v5, 31, v4
	v_lshlrev_b64_e32 v[10:11], 3, v[10:11]
	s_and_b32 s29, s3, s4
	s_and_b32 s35, vcc_lo, s2
	s_and_b32 s36, s5, s4
	s_lshl_b64 s[2:3], s[22:23], 3
	s_lshl_b64 s[4:5], s[16:17], 3
	s_branch .LBB500_6
.LBB500_5:                              ;   in Loop: Header=BB500_6 Depth=1
	s_wait_alu 0xfffe
	s_or_b32 exec_lo, exec_lo, s16
	s_add_co_i32 s6, s6, 0x10000
	s_delay_alu instid0(SALU_CYCLE_1)
	s_cmp_lt_u32 s6, s33
	s_cbranch_scc0 .LBB500_35
.LBB500_6:                              ; =>This Loop Header: Depth=1
                                        ;     Child Loop BB500_9 Depth 2
	s_lshl_b64 s[16:17], s[6:7], 3
	v_mov_b32_e32 v20, 0
	s_wait_alu 0xfffe
	s_add_nc_u64 s[22:23], s[26:27], s[16:17]
	v_mov_b32_e32 v14, 0
	global_load_b64 v[16:17], v3, s[22:23]
	v_dual_mov_b32 v21, 0 :: v_dual_mov_b32 v18, 0
	v_dual_mov_b32 v15, 0 :: v_dual_mov_b32 v12, 0
	v_mov_b32_e32 v19, 0
	v_mov_b32_e32 v13, 0
	s_and_not1_b32 vcc_lo, exec_lo, s37
	s_wait_alu 0xfffe
	s_cbranch_vccnz .LBB500_15
; %bb.7:                                ;   in Loop: Header=BB500_6 Depth=1
	s_add_nc_u64 s[22:23], s[12:13], s[16:17]
	s_add_nc_u64 s[16:17], s[18:19], s[16:17]
	s_clause 0x1
	global_load_b64 v[22:23], v3, s[22:23]
	global_load_b64 v[24:25], v3, s[16:17]
	v_mov_b32_e32 v12, 0
	v_dual_mov_b32 v18, 0 :: v_dual_mov_b32 v13, 0
	v_dual_mov_b32 v14, 0 :: v_dual_mov_b32 v19, 0
	;; [unrolled: 1-line block ×3, first 2 shown]
	v_mov_b32_e32 v21, 0
	s_mov_b64 s[16:17], 0
	s_wait_loadcnt 0x1
	v_add_co_u32 v2, vcc_lo, v22, s4
	s_wait_alu 0xfffd
	v_add_co_ci_u32_e64 v22, null, s5, v23, vcc_lo
	s_wait_loadcnt 0x0
	v_add_co_u32 v23, vcc_lo, v24, s2
	s_wait_alu 0xfffd
	v_add_co_ci_u32_e64 v24, null, s3, v25, vcc_lo
	v_add_co_u32 v33, vcc_lo, v2, v6
	s_wait_alu 0xfffd
	v_add_co_ci_u32_e64 v34, null, v22, v7, vcc_lo
	;; [unrolled: 3-line block ×3, first 2 shown]
	s_branch .LBB500_9
.LBB500_8:                              ;   in Loop: Header=BB500_9 Depth=2
	s_or_b32 exec_lo, exec_lo, s22
	s_wait_loadcnt_dscnt 0x0
	ds_store_b64 v29, v[24:25]
	s_wait_dscnt 0x0
	s_barrier_signal -1
	s_barrier_wait -1
	global_inv scope:SCOPE_SE
	ds_load_b128 v[22:25], v31
	ds_load_2addr_b64 v[37:40], v30 offset1:16
	ds_load_b128 v[41:44], v31 offset:1024
	ds_load_b128 v[45:48], v31 offset:16
	;; [unrolled: 1-line block ×3, first 2 shown]
	s_add_nc_u64 s[16:17], s[16:17], 8
	s_wait_alu 0xfffe
	v_cmp_gt_i64_e64 s22, s[8:9], s[16:17]
	s_and_b32 vcc_lo, exec_lo, s22
	s_wait_dscnt 0x3
	v_fma_f64 v[20:21], v[37:38], v[22:23], v[20:21]
	v_fma_f64 v[18:19], v[39:40], v[22:23], v[18:19]
	s_wait_dscnt 0x2
	v_fma_f64 v[22:23], v[37:38], v[41:42], v[14:15]
	v_fma_f64 v[37:38], v[39:40], v[41:42], v[12:13]
	ds_load_2addr_b64 v[12:15], v30 offset0:32 offset1:48
	s_wait_dscnt 0x0
	v_fma_f64 v[20:21], v[12:13], v[24:25], v[20:21]
	v_fma_f64 v[18:19], v[14:15], v[24:25], v[18:19]
	v_fma_f64 v[22:23], v[12:13], v[43:44], v[22:23]
	v_fma_f64 v[24:25], v[14:15], v[43:44], v[37:38]
	ds_load_2addr_b64 v[12:15], v30 offset0:64 offset1:80
	s_wait_dscnt 0x0
	v_fma_f64 v[20:21], v[12:13], v[45:46], v[20:21]
	v_fma_f64 v[18:19], v[14:15], v[45:46], v[18:19]
	v_fma_f64 v[22:23], v[12:13], v[49:50], v[22:23]
	v_fma_f64 v[24:25], v[14:15], v[49:50], v[24:25]
	ds_load_2addr_b64 v[12:15], v30 offset0:96 offset1:112
	s_wait_dscnt 0x0
	v_fma_f64 v[45:46], v[12:13], v[47:48], v[20:21]
	v_fma_f64 v[47:48], v[14:15], v[47:48], v[18:19]
	v_fma_f64 v[49:50], v[12:13], v[51:52], v[22:23]
	v_fma_f64 v[51:52], v[14:15], v[51:52], v[24:25]
	ds_load_b128 v[12:15], v31 offset:32
	ds_load_2addr_b64 v[18:21], v30 offset0:128 offset1:144
	ds_load_b128 v[22:25], v31 offset:1056
	ds_load_b128 v[37:40], v31 offset:48
	;; [unrolled: 1-line block ×3, first 2 shown]
	s_wait_dscnt 0x3
	v_fma_f64 v[45:46], v[18:19], v[12:13], v[45:46]
	v_fma_f64 v[12:13], v[20:21], v[12:13], v[47:48]
	s_wait_dscnt 0x2
	v_fma_f64 v[47:48], v[18:19], v[22:23], v[49:50]
	v_fma_f64 v[22:23], v[20:21], v[22:23], v[51:52]
	ds_load_2addr_b64 v[18:21], v30 offset0:160 offset1:176
	s_wait_dscnt 0x0
	v_fma_f64 v[45:46], v[18:19], v[14:15], v[45:46]
	v_fma_f64 v[49:50], v[20:21], v[14:15], v[12:13]
	;; [unrolled: 1-line block ×4, first 2 shown]
	ds_load_2addr_b64 v[12:15], v30 offset0:192 offset1:208
	ds_load_2addr_b64 v[22:25], v30 offset0:224 offset1:240
	s_wait_loadcnt_dscnt 0x0
	s_barrier_signal -1
	s_barrier_wait -1
	global_inv scope:SCOPE_SE
	v_fma_f64 v[45:46], v[12:13], v[37:38], v[45:46]
	v_fma_f64 v[37:38], v[14:15], v[37:38], v[49:50]
	;; [unrolled: 1-line block ×4, first 2 shown]
	s_delay_alu instid0(VALU_DEP_4) | instskip(NEXT) | instid1(VALU_DEP_4)
	v_fma_f64 v[20:21], v[22:23], v[39:40], v[45:46]
	v_fma_f64 v[18:19], v[24:25], v[39:40], v[37:38]
	s_delay_alu instid0(VALU_DEP_4) | instskip(NEXT) | instid1(VALU_DEP_4)
	v_fma_f64 v[14:15], v[22:23], v[43:44], v[12:13]
	v_fma_f64 v[12:13], v[24:25], v[43:44], v[41:42]
	s_wait_alu 0xfffe
	s_cbranch_vccz .LBB500_15
.LBB500_9:                              ;   Parent Loop BB500_6 Depth=1
                                        ; =>  This Inner Loop Header: Depth=2
	v_mov_b32_e32 v22, 0
	v_mov_b32_e32 v23, 0
	s_and_saveexec_b32 s22, s0
	s_cbranch_execz .LBB500_13
; %bb.10:                               ;   in Loop: Header=BB500_9 Depth=2
	v_mov_b32_e32 v22, 0
	s_wait_alu 0xfffe
	v_dual_mov_b32 v23, 0 :: v_dual_add_nc_u32 v2, s16, v27
	s_mov_b32 s23, exec_lo
	s_delay_alu instid0(VALU_DEP_1)
	v_cmpx_gt_u64_e64 s[8:9], v[2:3]
	s_cbranch_execz .LBB500_12
; %bb.11:                               ;   in Loop: Header=BB500_9 Depth=2
	v_lshlrev_b64_e32 v[22:23], 3, v[2:3]
	s_delay_alu instid0(VALU_DEP_1) | instskip(SKIP_1) | instid1(VALU_DEP_2)
	v_add_co_u32 v22, vcc_lo, v33, v22
	s_wait_alu 0xfffd
	v_add_co_ci_u32_e64 v23, null, v34, v23, vcc_lo
	flat_load_b64 v[22:23], v[22:23]
.LBB500_12:                             ;   in Loop: Header=BB500_9 Depth=2
	s_or_b32 exec_lo, exec_lo, s23
.LBB500_13:                             ;   in Loop: Header=BB500_9 Depth=2
	s_delay_alu instid0(SALU_CYCLE_1)
	s_or_b32 exec_lo, exec_lo, s22
	s_wait_alu 0xfffe
	v_add_nc_u32_e32 v2, s16, v26
	v_mov_b32_e32 v24, 0
	v_mov_b32_e32 v25, 0
	s_wait_loadcnt_dscnt 0x0
	ds_store_b64 v28, v[22:23]
	v_cmp_gt_u64_e32 vcc_lo, s[8:9], v[2:3]
	s_and_b32 s23, vcc_lo, s1
	s_delay_alu instid0(SALU_CYCLE_1)
	s_and_saveexec_b32 s22, s23
	s_cbranch_execz .LBB500_8
; %bb.14:                               ;   in Loop: Header=BB500_9 Depth=2
	v_mad_co_u64_u32 v[22:23], null, s20, v2, 0
	s_delay_alu instid0(VALU_DEP_1) | instskip(NEXT) | instid1(VALU_DEP_1)
	v_mad_co_u64_u32 v[23:24], null, s21, v2, v[23:24]
	v_lshlrev_b64_e32 v[22:23], 3, v[22:23]
	s_delay_alu instid0(VALU_DEP_1) | instskip(SKIP_1) | instid1(VALU_DEP_2)
	v_add_co_u32 v22, vcc_lo, v35, v22
	s_wait_alu 0xfffd
	v_add_co_ci_u32_e64 v23, null, v36, v23, vcc_lo
	flat_load_b64 v[24:25], v[22:23]
	s_branch .LBB500_8
.LBB500_15:                             ;   in Loop: Header=BB500_6 Depth=1
	s_wait_loadcnt 0x0
	s_wait_alu 0xfffe
	v_add_co_u32 v2, vcc_lo, v16, s14
	s_wait_alu 0xfffd
	v_add_co_ci_u32_e64 v22, null, s15, v17, vcc_lo
	s_delay_alu instid0(VALU_DEP_2) | instskip(SKIP_1) | instid1(VALU_DEP_2)
	v_add_co_u32 v23, vcc_lo, v2, v8
	s_wait_alu 0xfffd
	v_add_co_ci_u32_e64 v24, null, v22, v9, vcc_lo
	s_and_saveexec_b32 s16, s28
	s_cbranch_execz .LBB500_19
; %bb.16:                               ;   in Loop: Header=BB500_6 Depth=1
	v_mul_f64_e32 v[16:17], s[10:11], v[20:21]
	s_and_b32 vcc_lo, exec_lo, s34
	s_wait_alu 0xfffe
	s_cbranch_vccz .LBB500_30
; %bb.17:                               ;   in Loop: Header=BB500_6 Depth=1
	v_lshlrev_b64_e32 v[20:21], 3, v[0:1]
	s_delay_alu instid0(VALU_DEP_1) | instskip(SKIP_1) | instid1(VALU_DEP_2)
	v_add_co_u32 v20, vcc_lo, v23, v20
	s_wait_alu 0xfffd
	v_add_co_ci_u32_e64 v21, null, v24, v21, vcc_lo
	flat_load_b64 v[33:34], v[20:21]
	s_wait_loadcnt_dscnt 0x0
	v_fma_f64 v[33:34], s[24:25], v[33:34], v[16:17]
	flat_store_b64 v[20:21], v[33:34]
	s_cbranch_execnz .LBB500_19
.LBB500_18:                             ;   in Loop: Header=BB500_6 Depth=1
	v_lshlrev_b64_e32 v[20:21], 3, v[0:1]
	s_delay_alu instid0(VALU_DEP_1) | instskip(SKIP_1) | instid1(VALU_DEP_2)
	v_add_co_u32 v20, vcc_lo, v23, v20
	s_wait_alu 0xfffd
	v_add_co_ci_u32_e64 v21, null, v24, v21, vcc_lo
	flat_store_b64 v[20:21], v[16:17]
.LBB500_19:                             ;   in Loop: Header=BB500_6 Depth=1
	s_wait_alu 0xfffe
	s_or_b32 exec_lo, exec_lo, s16
	s_and_saveexec_b32 s16, s29
	s_cbranch_execz .LBB500_23
; %bb.20:                               ;   in Loop: Header=BB500_6 Depth=1
	v_mul_f64_e32 v[16:17], s[10:11], v[18:19]
	s_and_not1_b32 vcc_lo, exec_lo, s34
	s_wait_alu 0xfffe
	s_cbranch_vccnz .LBB500_31
; %bb.21:                               ;   in Loop: Header=BB500_6 Depth=1
	v_lshlrev_b64_e32 v[18:19], 3, v[4:5]
	s_delay_alu instid0(VALU_DEP_1) | instskip(SKIP_1) | instid1(VALU_DEP_2)
	v_add_co_u32 v18, vcc_lo, v23, v18
	s_wait_alu 0xfffd
	v_add_co_ci_u32_e64 v19, null, v24, v19, vcc_lo
	flat_load_b64 v[20:21], v[18:19]
	s_wait_loadcnt_dscnt 0x0
	v_fma_f64 v[20:21], s[24:25], v[20:21], v[16:17]
	flat_store_b64 v[18:19], v[20:21]
	s_cbranch_execnz .LBB500_23
.LBB500_22:                             ;   in Loop: Header=BB500_6 Depth=1
	v_lshlrev_b64_e32 v[18:19], 3, v[4:5]
	s_delay_alu instid0(VALU_DEP_1) | instskip(SKIP_1) | instid1(VALU_DEP_2)
	v_add_co_u32 v18, vcc_lo, v23, v18
	s_wait_alu 0xfffd
	v_add_co_ci_u32_e64 v19, null, v24, v19, vcc_lo
	flat_store_b64 v[18:19], v[16:17]
.LBB500_23:                             ;   in Loop: Header=BB500_6 Depth=1
	s_wait_alu 0xfffe
	s_or_b32 exec_lo, exec_lo, s16
	v_add_co_u32 v2, vcc_lo, v2, v10
	s_wait_alu 0xfffd
	v_add_co_ci_u32_e64 v18, null, v22, v11, vcc_lo
	s_and_saveexec_b32 s16, s35
	s_cbranch_execz .LBB500_27
; %bb.24:                               ;   in Loop: Header=BB500_6 Depth=1
	v_mul_f64_e32 v[14:15], s[10:11], v[14:15]
	v_lshlrev_b64_e32 v[16:17], 3, v[0:1]
	s_and_not1_b32 vcc_lo, exec_lo, s34
	s_wait_alu 0xfffe
	s_cbranch_vccnz .LBB500_32
; %bb.25:                               ;   in Loop: Header=BB500_6 Depth=1
	s_delay_alu instid0(VALU_DEP_1)
	v_add_co_u32 v19, vcc_lo, v2, v16
	s_wait_alu 0xfffd
	v_add_co_ci_u32_e64 v20, null, v18, v17, vcc_lo
	flat_load_b64 v[21:22], v[19:20]
	s_wait_loadcnt_dscnt 0x0
	v_fma_f64 v[21:22], s[24:25], v[21:22], v[14:15]
	flat_store_b64 v[19:20], v[21:22]
	s_cbranch_execnz .LBB500_27
.LBB500_26:                             ;   in Loop: Header=BB500_6 Depth=1
	s_delay_alu instid0(VALU_DEP_1)
	v_add_co_u32 v16, vcc_lo, v2, v16
	s_wait_alu 0xfffd
	v_add_co_ci_u32_e64 v17, null, v18, v17, vcc_lo
	flat_store_b64 v[16:17], v[14:15]
.LBB500_27:                             ;   in Loop: Header=BB500_6 Depth=1
	s_wait_alu 0xfffe
	s_or_b32 exec_lo, exec_lo, s16
	s_and_saveexec_b32 s16, s36
	s_cbranch_execz .LBB500_5
; %bb.28:                               ;   in Loop: Header=BB500_6 Depth=1
	v_mul_f64_e32 v[12:13], s[10:11], v[12:13]
	v_lshlrev_b64_e32 v[14:15], 3, v[4:5]
	s_and_not1_b32 vcc_lo, exec_lo, s34
	s_wait_alu 0xfffe
	s_cbranch_vccnz .LBB500_33
; %bb.29:                               ;   in Loop: Header=BB500_6 Depth=1
	s_delay_alu instid0(VALU_DEP_1)
	v_add_co_u32 v16, vcc_lo, v2, v14
	s_wait_alu 0xfffd
	v_add_co_ci_u32_e64 v17, null, v18, v15, vcc_lo
	flat_load_b64 v[19:20], v[16:17]
	s_wait_loadcnt_dscnt 0x0
	v_fma_f64 v[19:20], s[24:25], v[19:20], v[12:13]
	flat_store_b64 v[16:17], v[19:20]
	s_cbranch_execnz .LBB500_5
	s_branch .LBB500_34
.LBB500_30:                             ;   in Loop: Header=BB500_6 Depth=1
	s_branch .LBB500_18
.LBB500_31:                             ;   in Loop: Header=BB500_6 Depth=1
	s_branch .LBB500_22
.LBB500_32:                             ;   in Loop: Header=BB500_6 Depth=1
	s_branch .LBB500_26
.LBB500_33:                             ;   in Loop: Header=BB500_6 Depth=1
.LBB500_34:                             ;   in Loop: Header=BB500_6 Depth=1
	s_delay_alu instid0(VALU_DEP_1)
	v_add_co_u32 v14, vcc_lo, v2, v14
	s_wait_alu 0xfffd
	v_add_co_ci_u32_e64 v15, null, v18, v15, vcc_lo
	flat_store_b64 v[14:15], v[12:13]
	s_branch .LBB500_5
.LBB500_35:
	s_endpgm
	.section	.rodata,"a",@progbits
	.p2align	6, 0x0
	.amdhsa_kernel _ZL29rocblas_internal_gemmt_kernelIlLi16ELi32ELi8ELc84ELc67ELc76ELb0ELb0EddPKPKdPKPdEviT_T9_T10_S7_lS9_S7_lS8_T11_S7_li
		.amdhsa_group_segment_fixed_size 4096
		.amdhsa_private_segment_fixed_size 0
		.amdhsa_kernarg_size 108
		.amdhsa_user_sgpr_count 2
		.amdhsa_user_sgpr_dispatch_ptr 0
		.amdhsa_user_sgpr_queue_ptr 0
		.amdhsa_user_sgpr_kernarg_segment_ptr 1
		.amdhsa_user_sgpr_dispatch_id 0
		.amdhsa_user_sgpr_private_segment_size 0
		.amdhsa_wavefront_size32 1
		.amdhsa_uses_dynamic_stack 0
		.amdhsa_enable_private_segment 0
		.amdhsa_system_sgpr_workgroup_id_x 1
		.amdhsa_system_sgpr_workgroup_id_y 1
		.amdhsa_system_sgpr_workgroup_id_z 1
		.amdhsa_system_sgpr_workgroup_info 0
		.amdhsa_system_vgpr_workitem_id 1
		.amdhsa_next_free_vgpr 53
		.amdhsa_next_free_sgpr 39
		.amdhsa_reserve_vcc 1
		.amdhsa_float_round_mode_32 0
		.amdhsa_float_round_mode_16_64 0
		.amdhsa_float_denorm_mode_32 3
		.amdhsa_float_denorm_mode_16_64 3
		.amdhsa_fp16_overflow 0
		.amdhsa_workgroup_processor_mode 1
		.amdhsa_memory_ordered 1
		.amdhsa_forward_progress 1
		.amdhsa_inst_pref_size 17
		.amdhsa_round_robin_scheduling 0
		.amdhsa_exception_fp_ieee_invalid_op 0
		.amdhsa_exception_fp_denorm_src 0
		.amdhsa_exception_fp_ieee_div_zero 0
		.amdhsa_exception_fp_ieee_overflow 0
		.amdhsa_exception_fp_ieee_underflow 0
		.amdhsa_exception_fp_ieee_inexact 0
		.amdhsa_exception_int_div_zero 0
	.end_amdhsa_kernel
	.section	.text._ZL29rocblas_internal_gemmt_kernelIlLi16ELi32ELi8ELc84ELc67ELc76ELb0ELb0EddPKPKdPKPdEviT_T9_T10_S7_lS9_S7_lS8_T11_S7_li,"axG",@progbits,_ZL29rocblas_internal_gemmt_kernelIlLi16ELi32ELi8ELc84ELc67ELc76ELb0ELb0EddPKPKdPKPdEviT_T9_T10_S7_lS9_S7_lS8_T11_S7_li,comdat
.Lfunc_end500:
	.size	_ZL29rocblas_internal_gemmt_kernelIlLi16ELi32ELi8ELc84ELc67ELc76ELb0ELb0EddPKPKdPKPdEviT_T9_T10_S7_lS9_S7_lS8_T11_S7_li, .Lfunc_end500-_ZL29rocblas_internal_gemmt_kernelIlLi16ELi32ELi8ELc84ELc67ELc76ELb0ELb0EddPKPKdPKPdEviT_T9_T10_S7_lS9_S7_lS8_T11_S7_li
                                        ; -- End function
	.set _ZL29rocblas_internal_gemmt_kernelIlLi16ELi32ELi8ELc84ELc67ELc76ELb0ELb0EddPKPKdPKPdEviT_T9_T10_S7_lS9_S7_lS8_T11_S7_li.num_vgpr, 53
	.set _ZL29rocblas_internal_gemmt_kernelIlLi16ELi32ELi8ELc84ELc67ELc76ELb0ELb0EddPKPKdPKPdEviT_T9_T10_S7_lS9_S7_lS8_T11_S7_li.num_agpr, 0
	.set _ZL29rocblas_internal_gemmt_kernelIlLi16ELi32ELi8ELc84ELc67ELc76ELb0ELb0EddPKPKdPKPdEviT_T9_T10_S7_lS9_S7_lS8_T11_S7_li.numbered_sgpr, 39
	.set _ZL29rocblas_internal_gemmt_kernelIlLi16ELi32ELi8ELc84ELc67ELc76ELb0ELb0EddPKPKdPKPdEviT_T9_T10_S7_lS9_S7_lS8_T11_S7_li.num_named_barrier, 0
	.set _ZL29rocblas_internal_gemmt_kernelIlLi16ELi32ELi8ELc84ELc67ELc76ELb0ELb0EddPKPKdPKPdEviT_T9_T10_S7_lS9_S7_lS8_T11_S7_li.private_seg_size, 0
	.set _ZL29rocblas_internal_gemmt_kernelIlLi16ELi32ELi8ELc84ELc67ELc76ELb0ELb0EddPKPKdPKPdEviT_T9_T10_S7_lS9_S7_lS8_T11_S7_li.uses_vcc, 1
	.set _ZL29rocblas_internal_gemmt_kernelIlLi16ELi32ELi8ELc84ELc67ELc76ELb0ELb0EddPKPKdPKPdEviT_T9_T10_S7_lS9_S7_lS8_T11_S7_li.uses_flat_scratch, 0
	.set _ZL29rocblas_internal_gemmt_kernelIlLi16ELi32ELi8ELc84ELc67ELc76ELb0ELb0EddPKPKdPKPdEviT_T9_T10_S7_lS9_S7_lS8_T11_S7_li.has_dyn_sized_stack, 0
	.set _ZL29rocblas_internal_gemmt_kernelIlLi16ELi32ELi8ELc84ELc67ELc76ELb0ELb0EddPKPKdPKPdEviT_T9_T10_S7_lS9_S7_lS8_T11_S7_li.has_recursion, 0
	.set _ZL29rocblas_internal_gemmt_kernelIlLi16ELi32ELi8ELc84ELc67ELc76ELb0ELb0EddPKPKdPKPdEviT_T9_T10_S7_lS9_S7_lS8_T11_S7_li.has_indirect_call, 0
	.section	.AMDGPU.csdata,"",@progbits
; Kernel info:
; codeLenInByte = 2120
; TotalNumSgprs: 41
; NumVgprs: 53
; ScratchSize: 0
; MemoryBound: 0
; FloatMode: 240
; IeeeMode: 1
; LDSByteSize: 4096 bytes/workgroup (compile time only)
; SGPRBlocks: 0
; VGPRBlocks: 6
; NumSGPRsForWavesPerEU: 41
; NumVGPRsForWavesPerEU: 53
; Occupancy: 16
; WaveLimiterHint : 1
; COMPUTE_PGM_RSRC2:SCRATCH_EN: 0
; COMPUTE_PGM_RSRC2:USER_SGPR: 2
; COMPUTE_PGM_RSRC2:TRAP_HANDLER: 0
; COMPUTE_PGM_RSRC2:TGID_X_EN: 1
; COMPUTE_PGM_RSRC2:TGID_Y_EN: 1
; COMPUTE_PGM_RSRC2:TGID_Z_EN: 1
; COMPUTE_PGM_RSRC2:TIDIG_COMP_CNT: 1
	.section	.text._ZL29rocblas_internal_gemmt_kernelIlLi16ELi32ELi8ELc67ELc78ELc76ELb0ELb0EddPKPKdPKPdEviT_T9_T10_S7_lS9_S7_lS8_T11_S7_li,"axG",@progbits,_ZL29rocblas_internal_gemmt_kernelIlLi16ELi32ELi8ELc67ELc78ELc76ELb0ELb0EddPKPKdPKPdEviT_T9_T10_S7_lS9_S7_lS8_T11_S7_li,comdat
	.globl	_ZL29rocblas_internal_gemmt_kernelIlLi16ELi32ELi8ELc67ELc78ELc76ELb0ELb0EddPKPKdPKPdEviT_T9_T10_S7_lS9_S7_lS8_T11_S7_li ; -- Begin function _ZL29rocblas_internal_gemmt_kernelIlLi16ELi32ELi8ELc67ELc78ELc76ELb0ELb0EddPKPKdPKPdEviT_T9_T10_S7_lS9_S7_lS8_T11_S7_li
	.p2align	8
	.type	_ZL29rocblas_internal_gemmt_kernelIlLi16ELi32ELi8ELc67ELc78ELc76ELb0ELb0EddPKPKdPKPdEviT_T9_T10_S7_lS9_S7_lS8_T11_S7_li,@function
_ZL29rocblas_internal_gemmt_kernelIlLi16ELi32ELi8ELc67ELc78ELc76ELb0ELb0EddPKPKdPKPdEviT_T9_T10_S7_lS9_S7_lS8_T11_S7_li: ; @_ZL29rocblas_internal_gemmt_kernelIlLi16ELi32ELi8ELc67ELc78ELc76ELb0ELb0EddPKPKdPKPdEviT_T9_T10_S7_lS9_S7_lS8_T11_S7_li
; %bb.0:
	s_clause 0x1
	s_load_b256 s[24:31], s[0:1], 0x48
	s_load_b512 s[8:23], s[0:1], 0x8
	s_wait_kmcnt 0x0
	v_cmp_neq_f64_e64 s2, s[24:25], 1.0
	s_and_b32 vcc_lo, exec_lo, s2
	s_cbranch_vccnz .LBB501_2
; %bb.1:
	v_cmp_neq_f64_e64 s2, s[10:11], 0
	s_cmp_lg_u64 s[8:9], 0
	s_cselect_b32 s3, -1, 0
	s_delay_alu instid0(SALU_CYCLE_1)
	s_and_b32 s2, s3, s2
.LBB501_2:
	s_delay_alu instid0(SALU_CYCLE_1)
	s_and_not1_b32 vcc_lo, exec_lo, s2
	s_cbranch_vccnz .LBB501_35
; %bb.3:
	s_load_b32 s33, s[0:1], 0x68
	s_lshr_b32 s6, ttmp7, 16
	s_wait_kmcnt 0x0
	s_cmp_ge_u32 s6, s33
	s_cbranch_scc1 .LBB501_35
; %bb.4:
	v_and_b32_e32 v5, 0x3ff, v0
	v_bfe_u32 v14, v0, 10, 10
	s_load_b32 s4, s[0:1], 0x0
	s_lshl_b32 s0, ttmp7, 5
	s_lshl_b32 s2, ttmp9, 5
	s_and_b32 s0, s0, 0x1fffe0
	v_lshl_add_u32 v1, v14, 4, v5
	v_add_nc_u32_e32 v15, s0, v14
	s_ashr_i32 s1, s2, 31
	v_cmp_neq_f64_e64 s35, s[10:11], 0
	s_wait_alu 0xfffe
	s_mul_i32 s1, s14, s1
	v_lshrrev_b32_e32 v2, 3, v1
	v_mad_co_u64_u32 v[10:11], null, s28, v15, 0
	v_and_b32_e32 v28, 7, v0
	v_and_b32_e32 v0, 31, v1
	s_delay_alu instid0(VALU_DEP_4)
	v_add_nc_u32_e32 v4, s0, v2
	v_add_nc_u32_e32 v16, 16, v15
	v_lshrrev_b32_e32 v29, 5, v1
	v_cmp_gt_i64_e64 s36, s[8:9], 0
	v_or_b32_e32 v3, s2, v0
	v_mad_co_u64_u32 v[8:9], null, s20, v4, 0
	v_mad_co_u64_u32 v[12:13], null, s28, v16, 0
	s_delay_alu instid0(VALU_DEP_3)
	v_mul_lo_u32 v1, s15, v3
	v_mad_co_u64_u32 v[6:7], null, s14, v3, 0
	v_lshlrev_b32_e32 v0, 3, v0
	v_cmp_neq_f64_e64 s20, s[24:25], 0
	s_wait_kmcnt 0x0
	v_cmp_gt_i32_e64 s0, s4, v3
	v_lshl_add_u32 v33, v14, 6, 0x800
	s_mov_b32 s7, 0
	v_lshl_or_b32 v30, v29, 8, v0
	s_wait_alu 0xfffe
	v_add3_u32 v7, v7, s1, v1
	v_dual_mov_b32 v0, v9 :: v_dual_mov_b32 v1, v11
	v_lshlrev_b32_e32 v3, 3, v28
	v_cmp_gt_i32_e64 s1, s4, v4
	v_lshlrev_b32_e32 v32, 3, v5
	v_lshlrev_b64_e32 v[6:7], 3, v[6:7]
	s_lshl_b64 s[14:15], s[30:31], 3
	v_lshl_or_b32 v9, v2, 6, v3
	v_mad_co_u64_u32 v[2:3], null, s21, v4, v[0:1]
	v_add_nc_u32_e32 v0, s2, v5
	s_delay_alu instid0(VALU_DEP_3) | instskip(SKIP_1) | instid1(VALU_DEP_3)
	v_add_nc_u32_e32 v31, 0x800, v9
	s_and_b32 s35, s35, s36
	v_mad_co_u64_u32 v[3:4], null, s29, v15, v[1:2]
	s_delay_alu instid0(VALU_DEP_3) | instskip(SKIP_1) | instid1(VALU_DEP_2)
	v_dual_mov_b32 v9, v2 :: v_dual_add_nc_u32 v2, 16, v0
	v_mov_b32_e32 v1, v13
	v_lshlrev_b64_e32 v[8:9], 3, v[8:9]
	s_delay_alu instid0(VALU_DEP_4) | instskip(NEXT) | instid1(VALU_DEP_3)
	v_mov_b32_e32 v11, v3
	v_mad_co_u64_u32 v[4:5], null, s29, v16, v[1:2]
	v_mov_b32_e32 v5, 0
	v_cmp_le_i32_e32 vcc_lo, v15, v0
	v_cmp_gt_i32_e64 s2, s4, v0
	v_cmp_le_i32_e64 s3, v15, v2
	v_cmp_gt_i32_e64 s4, s4, v2
	v_lshlrev_b64_e32 v[10:11], 3, v[10:11]
	v_mov_b32_e32 v13, v4
	s_and_b32 s21, vcc_lo, s2
	v_cmp_le_i32_e32 vcc_lo, v16, v0
	v_cmp_le_i32_e64 s5, v16, v2
	v_ashrrev_i32_e32 v1, 31, v0
	v_lshlrev_b64_e32 v[12:13], 3, v[12:13]
	v_ashrrev_i32_e32 v3, 31, v2
	s_and_b32 s28, s3, s4
	s_and_b32 s29, vcc_lo, s2
	s_and_b32 s34, s5, s4
	s_lshl_b64 s[2:3], s[22:23], 3
	s_lshl_b64 s[4:5], s[16:17], 3
	s_branch .LBB501_6
.LBB501_5:                              ;   in Loop: Header=BB501_6 Depth=1
	s_wait_alu 0xfffe
	s_or_b32 exec_lo, exec_lo, s16
	s_add_co_i32 s6, s6, 0x10000
	s_delay_alu instid0(SALU_CYCLE_1)
	s_cmp_lt_u32 s6, s33
	s_cbranch_scc0 .LBB501_35
.LBB501_6:                              ; =>This Loop Header: Depth=1
                                        ;     Child Loop BB501_9 Depth 2
	s_lshl_b64 s[16:17], s[6:7], 3
	v_mov_b32_e32 v22, 0
	s_wait_alu 0xfffe
	s_add_nc_u64 s[22:23], s[26:27], s[16:17]
	v_mov_b32_e32 v16, 0
	global_load_b64 v[18:19], v5, s[22:23]
	v_dual_mov_b32 v23, 0 :: v_dual_mov_b32 v20, 0
	v_dual_mov_b32 v17, 0 :: v_dual_mov_b32 v14, 0
	v_mov_b32_e32 v21, 0
	v_mov_b32_e32 v15, 0
	s_and_not1_b32 vcc_lo, exec_lo, s35
	s_wait_alu 0xfffe
	s_cbranch_vccnz .LBB501_15
; %bb.7:                                ;   in Loop: Header=BB501_6 Depth=1
	s_add_nc_u64 s[22:23], s[12:13], s[16:17]
	s_add_nc_u64 s[16:17], s[18:19], s[16:17]
	s_clause 0x1
	global_load_b64 v[24:25], v5, s[22:23]
	global_load_b64 v[26:27], v5, s[16:17]
	v_mov_b32_e32 v14, 0
	v_dual_mov_b32 v20, 0 :: v_dual_mov_b32 v15, 0
	v_dual_mov_b32 v16, 0 :: v_dual_mov_b32 v21, 0
	v_dual_mov_b32 v22, 0 :: v_dual_mov_b32 v17, 0
	v_mov_b32_e32 v23, 0
	s_mov_b64 s[16:17], 0
	s_wait_loadcnt 0x1
	v_add_co_u32 v4, vcc_lo, v24, s4
	s_wait_alu 0xfffd
	v_add_co_ci_u32_e64 v24, null, s5, v25, vcc_lo
	s_wait_loadcnt 0x0
	v_add_co_u32 v25, vcc_lo, v26, s2
	s_wait_alu 0xfffd
	v_add_co_ci_u32_e64 v26, null, s3, v27, vcc_lo
	v_add_co_u32 v34, vcc_lo, v4, v6
	s_wait_alu 0xfffd
	v_add_co_ci_u32_e64 v35, null, v24, v7, vcc_lo
	;; [unrolled: 3-line block ×3, first 2 shown]
	s_branch .LBB501_9
.LBB501_8:                              ;   in Loop: Header=BB501_9 Depth=2
	s_or_b32 exec_lo, exec_lo, s22
	s_wait_loadcnt_dscnt 0x0
	ds_store_b64 v31, v[26:27]
	s_wait_dscnt 0x0
	s_barrier_signal -1
	s_barrier_wait -1
	global_inv scope:SCOPE_SE
	ds_load_b128 v[24:27], v33
	ds_load_2addr_b64 v[38:41], v32 offset1:16
	ds_load_b128 v[42:45], v33 offset:1024
	ds_load_b128 v[46:49], v33 offset:16
	;; [unrolled: 1-line block ×3, first 2 shown]
	s_add_nc_u64 s[16:17], s[16:17], 8
	s_wait_alu 0xfffe
	v_cmp_gt_i64_e64 s22, s[8:9], s[16:17]
	s_and_b32 vcc_lo, exec_lo, s22
	s_wait_dscnt 0x3
	v_fma_f64 v[22:23], v[38:39], v[24:25], v[22:23]
	v_fma_f64 v[20:21], v[40:41], v[24:25], v[20:21]
	s_wait_dscnt 0x2
	v_fma_f64 v[24:25], v[38:39], v[42:43], v[16:17]
	v_fma_f64 v[38:39], v[40:41], v[42:43], v[14:15]
	ds_load_2addr_b64 v[14:17], v32 offset0:32 offset1:48
	s_wait_dscnt 0x0
	v_fma_f64 v[22:23], v[14:15], v[26:27], v[22:23]
	v_fma_f64 v[20:21], v[16:17], v[26:27], v[20:21]
	v_fma_f64 v[24:25], v[14:15], v[44:45], v[24:25]
	v_fma_f64 v[26:27], v[16:17], v[44:45], v[38:39]
	ds_load_2addr_b64 v[14:17], v32 offset0:64 offset1:80
	s_wait_dscnt 0x0
	v_fma_f64 v[22:23], v[14:15], v[46:47], v[22:23]
	v_fma_f64 v[20:21], v[16:17], v[46:47], v[20:21]
	;; [unrolled: 6-line block ×3, first 2 shown]
	v_fma_f64 v[50:51], v[14:15], v[52:53], v[24:25]
	v_fma_f64 v[52:53], v[16:17], v[52:53], v[26:27]
	ds_load_b128 v[14:17], v33 offset:32
	ds_load_2addr_b64 v[20:23], v32 offset0:128 offset1:144
	ds_load_b128 v[24:27], v33 offset:1056
	ds_load_b128 v[38:41], v33 offset:48
	;; [unrolled: 1-line block ×3, first 2 shown]
	s_wait_dscnt 0x3
	v_fma_f64 v[46:47], v[20:21], v[14:15], v[46:47]
	v_fma_f64 v[14:15], v[22:23], v[14:15], v[48:49]
	s_wait_dscnt 0x2
	v_fma_f64 v[48:49], v[20:21], v[24:25], v[50:51]
	v_fma_f64 v[24:25], v[22:23], v[24:25], v[52:53]
	ds_load_2addr_b64 v[20:23], v32 offset0:160 offset1:176
	s_wait_dscnt 0x0
	v_fma_f64 v[46:47], v[20:21], v[16:17], v[46:47]
	v_fma_f64 v[50:51], v[22:23], v[16:17], v[14:15]
	;; [unrolled: 1-line block ×4, first 2 shown]
	ds_load_2addr_b64 v[14:17], v32 offset0:192 offset1:208
	ds_load_2addr_b64 v[24:27], v32 offset0:224 offset1:240
	s_wait_loadcnt_dscnt 0x0
	s_barrier_signal -1
	s_barrier_wait -1
	global_inv scope:SCOPE_SE
	v_fma_f64 v[46:47], v[14:15], v[38:39], v[46:47]
	v_fma_f64 v[38:39], v[16:17], v[38:39], v[50:51]
	;; [unrolled: 1-line block ×4, first 2 shown]
	s_delay_alu instid0(VALU_DEP_4) | instskip(NEXT) | instid1(VALU_DEP_4)
	v_fma_f64 v[22:23], v[24:25], v[40:41], v[46:47]
	v_fma_f64 v[20:21], v[26:27], v[40:41], v[38:39]
	s_delay_alu instid0(VALU_DEP_4) | instskip(NEXT) | instid1(VALU_DEP_4)
	v_fma_f64 v[16:17], v[24:25], v[44:45], v[14:15]
	v_fma_f64 v[14:15], v[26:27], v[44:45], v[42:43]
	s_wait_alu 0xfffe
	s_cbranch_vccz .LBB501_15
.LBB501_9:                              ;   Parent Loop BB501_6 Depth=1
                                        ; =>  This Inner Loop Header: Depth=2
	v_mov_b32_e32 v24, 0
	v_mov_b32_e32 v25, 0
	s_and_saveexec_b32 s22, s0
	s_cbranch_execz .LBB501_13
; %bb.10:                               ;   in Loop: Header=BB501_9 Depth=2
	v_mov_b32_e32 v24, 0
	s_wait_alu 0xfffe
	v_dual_mov_b32 v25, 0 :: v_dual_add_nc_u32 v4, s16, v29
	s_mov_b32 s23, exec_lo
	s_delay_alu instid0(VALU_DEP_1)
	v_cmpx_gt_u64_e64 s[8:9], v[4:5]
	s_cbranch_execz .LBB501_12
; %bb.11:                               ;   in Loop: Header=BB501_9 Depth=2
	v_lshlrev_b64_e32 v[24:25], 3, v[4:5]
	s_delay_alu instid0(VALU_DEP_1) | instskip(SKIP_1) | instid1(VALU_DEP_2)
	v_add_co_u32 v24, vcc_lo, v34, v24
	s_wait_alu 0xfffd
	v_add_co_ci_u32_e64 v25, null, v35, v25, vcc_lo
	flat_load_b64 v[24:25], v[24:25]
.LBB501_12:                             ;   in Loop: Header=BB501_9 Depth=2
	s_or_b32 exec_lo, exec_lo, s23
.LBB501_13:                             ;   in Loop: Header=BB501_9 Depth=2
	s_delay_alu instid0(SALU_CYCLE_1)
	s_or_b32 exec_lo, exec_lo, s22
	s_wait_alu 0xfffe
	v_add_nc_u32_e32 v4, s16, v28
	v_mov_b32_e32 v26, 0
	v_mov_b32_e32 v27, 0
	s_wait_loadcnt_dscnt 0x0
	ds_store_b64 v30, v[24:25]
	v_cmp_gt_u64_e32 vcc_lo, s[8:9], v[4:5]
	s_and_b32 s23, vcc_lo, s1
	s_delay_alu instid0(SALU_CYCLE_1)
	s_and_saveexec_b32 s22, s23
	s_cbranch_execz .LBB501_8
; %bb.14:                               ;   in Loop: Header=BB501_9 Depth=2
	v_lshlrev_b64_e32 v[24:25], 3, v[4:5]
	s_delay_alu instid0(VALU_DEP_1) | instskip(SKIP_1) | instid1(VALU_DEP_2)
	v_add_co_u32 v24, vcc_lo, v36, v24
	s_wait_alu 0xfffd
	v_add_co_ci_u32_e64 v25, null, v37, v25, vcc_lo
	flat_load_b64 v[26:27], v[24:25]
	s_branch .LBB501_8
.LBB501_15:                             ;   in Loop: Header=BB501_6 Depth=1
	s_wait_loadcnt 0x0
	s_wait_alu 0xfffe
	v_add_co_u32 v4, vcc_lo, v18, s14
	s_wait_alu 0xfffd
	v_add_co_ci_u32_e64 v24, null, s15, v19, vcc_lo
	s_delay_alu instid0(VALU_DEP_2) | instskip(SKIP_1) | instid1(VALU_DEP_2)
	v_add_co_u32 v25, vcc_lo, v4, v10
	s_wait_alu 0xfffd
	v_add_co_ci_u32_e64 v26, null, v24, v11, vcc_lo
	s_and_saveexec_b32 s16, s21
	s_cbranch_execz .LBB501_19
; %bb.16:                               ;   in Loop: Header=BB501_6 Depth=1
	v_mul_f64_e32 v[18:19], s[10:11], v[22:23]
	s_and_b32 vcc_lo, exec_lo, s20
	s_wait_alu 0xfffe
	s_cbranch_vccz .LBB501_30
; %bb.17:                               ;   in Loop: Header=BB501_6 Depth=1
	v_lshlrev_b64_e32 v[22:23], 3, v[0:1]
	s_delay_alu instid0(VALU_DEP_1) | instskip(SKIP_1) | instid1(VALU_DEP_2)
	v_add_co_u32 v22, vcc_lo, v25, v22
	s_wait_alu 0xfffd
	v_add_co_ci_u32_e64 v23, null, v26, v23, vcc_lo
	flat_load_b64 v[34:35], v[22:23]
	s_wait_loadcnt_dscnt 0x0
	v_fma_f64 v[34:35], s[24:25], v[34:35], v[18:19]
	flat_store_b64 v[22:23], v[34:35]
	s_cbranch_execnz .LBB501_19
.LBB501_18:                             ;   in Loop: Header=BB501_6 Depth=1
	v_lshlrev_b64_e32 v[22:23], 3, v[0:1]
	s_delay_alu instid0(VALU_DEP_1) | instskip(SKIP_1) | instid1(VALU_DEP_2)
	v_add_co_u32 v22, vcc_lo, v25, v22
	s_wait_alu 0xfffd
	v_add_co_ci_u32_e64 v23, null, v26, v23, vcc_lo
	flat_store_b64 v[22:23], v[18:19]
.LBB501_19:                             ;   in Loop: Header=BB501_6 Depth=1
	s_wait_alu 0xfffe
	s_or_b32 exec_lo, exec_lo, s16
	s_and_saveexec_b32 s16, s28
	s_cbranch_execz .LBB501_23
; %bb.20:                               ;   in Loop: Header=BB501_6 Depth=1
	v_mul_f64_e32 v[18:19], s[10:11], v[20:21]
	s_and_not1_b32 vcc_lo, exec_lo, s20
	s_wait_alu 0xfffe
	s_cbranch_vccnz .LBB501_31
; %bb.21:                               ;   in Loop: Header=BB501_6 Depth=1
	v_lshlrev_b64_e32 v[20:21], 3, v[2:3]
	s_delay_alu instid0(VALU_DEP_1) | instskip(SKIP_1) | instid1(VALU_DEP_2)
	v_add_co_u32 v20, vcc_lo, v25, v20
	s_wait_alu 0xfffd
	v_add_co_ci_u32_e64 v21, null, v26, v21, vcc_lo
	flat_load_b64 v[22:23], v[20:21]
	s_wait_loadcnt_dscnt 0x0
	v_fma_f64 v[22:23], s[24:25], v[22:23], v[18:19]
	flat_store_b64 v[20:21], v[22:23]
	s_cbranch_execnz .LBB501_23
.LBB501_22:                             ;   in Loop: Header=BB501_6 Depth=1
	v_lshlrev_b64_e32 v[20:21], 3, v[2:3]
	s_delay_alu instid0(VALU_DEP_1) | instskip(SKIP_1) | instid1(VALU_DEP_2)
	v_add_co_u32 v20, vcc_lo, v25, v20
	s_wait_alu 0xfffd
	v_add_co_ci_u32_e64 v21, null, v26, v21, vcc_lo
	flat_store_b64 v[20:21], v[18:19]
.LBB501_23:                             ;   in Loop: Header=BB501_6 Depth=1
	s_wait_alu 0xfffe
	s_or_b32 exec_lo, exec_lo, s16
	v_add_co_u32 v4, vcc_lo, v4, v12
	s_wait_alu 0xfffd
	v_add_co_ci_u32_e64 v20, null, v24, v13, vcc_lo
	s_and_saveexec_b32 s16, s29
	s_cbranch_execz .LBB501_27
; %bb.24:                               ;   in Loop: Header=BB501_6 Depth=1
	v_mul_f64_e32 v[16:17], s[10:11], v[16:17]
	v_lshlrev_b64_e32 v[18:19], 3, v[0:1]
	s_and_not1_b32 vcc_lo, exec_lo, s20
	s_wait_alu 0xfffe
	s_cbranch_vccnz .LBB501_32
; %bb.25:                               ;   in Loop: Header=BB501_6 Depth=1
	s_delay_alu instid0(VALU_DEP_1)
	v_add_co_u32 v21, vcc_lo, v4, v18
	s_wait_alu 0xfffd
	v_add_co_ci_u32_e64 v22, null, v20, v19, vcc_lo
	flat_load_b64 v[23:24], v[21:22]
	s_wait_loadcnt_dscnt 0x0
	v_fma_f64 v[23:24], s[24:25], v[23:24], v[16:17]
	flat_store_b64 v[21:22], v[23:24]
	s_cbranch_execnz .LBB501_27
.LBB501_26:                             ;   in Loop: Header=BB501_6 Depth=1
	s_delay_alu instid0(VALU_DEP_1)
	v_add_co_u32 v18, vcc_lo, v4, v18
	s_wait_alu 0xfffd
	v_add_co_ci_u32_e64 v19, null, v20, v19, vcc_lo
	flat_store_b64 v[18:19], v[16:17]
.LBB501_27:                             ;   in Loop: Header=BB501_6 Depth=1
	s_wait_alu 0xfffe
	s_or_b32 exec_lo, exec_lo, s16
	s_and_saveexec_b32 s16, s34
	s_cbranch_execz .LBB501_5
; %bb.28:                               ;   in Loop: Header=BB501_6 Depth=1
	v_mul_f64_e32 v[14:15], s[10:11], v[14:15]
	v_lshlrev_b64_e32 v[16:17], 3, v[2:3]
	s_and_not1_b32 vcc_lo, exec_lo, s20
	s_wait_alu 0xfffe
	s_cbranch_vccnz .LBB501_33
; %bb.29:                               ;   in Loop: Header=BB501_6 Depth=1
	s_delay_alu instid0(VALU_DEP_1)
	v_add_co_u32 v18, vcc_lo, v4, v16
	s_wait_alu 0xfffd
	v_add_co_ci_u32_e64 v19, null, v20, v17, vcc_lo
	flat_load_b64 v[21:22], v[18:19]
	s_wait_loadcnt_dscnt 0x0
	v_fma_f64 v[21:22], s[24:25], v[21:22], v[14:15]
	flat_store_b64 v[18:19], v[21:22]
	s_cbranch_execnz .LBB501_5
	s_branch .LBB501_34
.LBB501_30:                             ;   in Loop: Header=BB501_6 Depth=1
	s_branch .LBB501_18
.LBB501_31:                             ;   in Loop: Header=BB501_6 Depth=1
	s_branch .LBB501_22
.LBB501_32:                             ;   in Loop: Header=BB501_6 Depth=1
	s_branch .LBB501_26
.LBB501_33:                             ;   in Loop: Header=BB501_6 Depth=1
.LBB501_34:                             ;   in Loop: Header=BB501_6 Depth=1
	s_delay_alu instid0(VALU_DEP_1)
	v_add_co_u32 v16, vcc_lo, v4, v16
	s_wait_alu 0xfffd
	v_add_co_ci_u32_e64 v17, null, v20, v17, vcc_lo
	flat_store_b64 v[16:17], v[14:15]
	s_branch .LBB501_5
.LBB501_35:
	s_endpgm
	.section	.rodata,"a",@progbits
	.p2align	6, 0x0
	.amdhsa_kernel _ZL29rocblas_internal_gemmt_kernelIlLi16ELi32ELi8ELc67ELc78ELc76ELb0ELb0EddPKPKdPKPdEviT_T9_T10_S7_lS9_S7_lS8_T11_S7_li
		.amdhsa_group_segment_fixed_size 4096
		.amdhsa_private_segment_fixed_size 0
		.amdhsa_kernarg_size 108
		.amdhsa_user_sgpr_count 2
		.amdhsa_user_sgpr_dispatch_ptr 0
		.amdhsa_user_sgpr_queue_ptr 0
		.amdhsa_user_sgpr_kernarg_segment_ptr 1
		.amdhsa_user_sgpr_dispatch_id 0
		.amdhsa_user_sgpr_private_segment_size 0
		.amdhsa_wavefront_size32 1
		.amdhsa_uses_dynamic_stack 0
		.amdhsa_enable_private_segment 0
		.amdhsa_system_sgpr_workgroup_id_x 1
		.amdhsa_system_sgpr_workgroup_id_y 1
		.amdhsa_system_sgpr_workgroup_id_z 1
		.amdhsa_system_sgpr_workgroup_info 0
		.amdhsa_system_vgpr_workitem_id 1
		.amdhsa_next_free_vgpr 54
		.amdhsa_next_free_sgpr 37
		.amdhsa_reserve_vcc 1
		.amdhsa_float_round_mode_32 0
		.amdhsa_float_round_mode_16_64 0
		.amdhsa_float_denorm_mode_32 3
		.amdhsa_float_denorm_mode_16_64 3
		.amdhsa_fp16_overflow 0
		.amdhsa_workgroup_processor_mode 1
		.amdhsa_memory_ordered 1
		.amdhsa_forward_progress 1
		.amdhsa_inst_pref_size 17
		.amdhsa_round_robin_scheduling 0
		.amdhsa_exception_fp_ieee_invalid_op 0
		.amdhsa_exception_fp_denorm_src 0
		.amdhsa_exception_fp_ieee_div_zero 0
		.amdhsa_exception_fp_ieee_overflow 0
		.amdhsa_exception_fp_ieee_underflow 0
		.amdhsa_exception_fp_ieee_inexact 0
		.amdhsa_exception_int_div_zero 0
	.end_amdhsa_kernel
	.section	.text._ZL29rocblas_internal_gemmt_kernelIlLi16ELi32ELi8ELc67ELc78ELc76ELb0ELb0EddPKPKdPKPdEviT_T9_T10_S7_lS9_S7_lS8_T11_S7_li,"axG",@progbits,_ZL29rocblas_internal_gemmt_kernelIlLi16ELi32ELi8ELc67ELc78ELc76ELb0ELb0EddPKPKdPKPdEviT_T9_T10_S7_lS9_S7_lS8_T11_S7_li,comdat
.Lfunc_end501:
	.size	_ZL29rocblas_internal_gemmt_kernelIlLi16ELi32ELi8ELc67ELc78ELc76ELb0ELb0EddPKPKdPKPdEviT_T9_T10_S7_lS9_S7_lS8_T11_S7_li, .Lfunc_end501-_ZL29rocblas_internal_gemmt_kernelIlLi16ELi32ELi8ELc67ELc78ELc76ELb0ELb0EddPKPKdPKPdEviT_T9_T10_S7_lS9_S7_lS8_T11_S7_li
                                        ; -- End function
	.set _ZL29rocblas_internal_gemmt_kernelIlLi16ELi32ELi8ELc67ELc78ELc76ELb0ELb0EddPKPKdPKPdEviT_T9_T10_S7_lS9_S7_lS8_T11_S7_li.num_vgpr, 54
	.set _ZL29rocblas_internal_gemmt_kernelIlLi16ELi32ELi8ELc67ELc78ELc76ELb0ELb0EddPKPKdPKPdEviT_T9_T10_S7_lS9_S7_lS8_T11_S7_li.num_agpr, 0
	.set _ZL29rocblas_internal_gemmt_kernelIlLi16ELi32ELi8ELc67ELc78ELc76ELb0ELb0EddPKPKdPKPdEviT_T9_T10_S7_lS9_S7_lS8_T11_S7_li.numbered_sgpr, 37
	.set _ZL29rocblas_internal_gemmt_kernelIlLi16ELi32ELi8ELc67ELc78ELc76ELb0ELb0EddPKPKdPKPdEviT_T9_T10_S7_lS9_S7_lS8_T11_S7_li.num_named_barrier, 0
	.set _ZL29rocblas_internal_gemmt_kernelIlLi16ELi32ELi8ELc67ELc78ELc76ELb0ELb0EddPKPKdPKPdEviT_T9_T10_S7_lS9_S7_lS8_T11_S7_li.private_seg_size, 0
	.set _ZL29rocblas_internal_gemmt_kernelIlLi16ELi32ELi8ELc67ELc78ELc76ELb0ELb0EddPKPKdPKPdEviT_T9_T10_S7_lS9_S7_lS8_T11_S7_li.uses_vcc, 1
	.set _ZL29rocblas_internal_gemmt_kernelIlLi16ELi32ELi8ELc67ELc78ELc76ELb0ELb0EddPKPKdPKPdEviT_T9_T10_S7_lS9_S7_lS8_T11_S7_li.uses_flat_scratch, 0
	.set _ZL29rocblas_internal_gemmt_kernelIlLi16ELi32ELi8ELc67ELc78ELc76ELb0ELb0EddPKPKdPKPdEviT_T9_T10_S7_lS9_S7_lS8_T11_S7_li.has_dyn_sized_stack, 0
	.set _ZL29rocblas_internal_gemmt_kernelIlLi16ELi32ELi8ELc67ELc78ELc76ELb0ELb0EddPKPKdPKPdEviT_T9_T10_S7_lS9_S7_lS8_T11_S7_li.has_recursion, 0
	.set _ZL29rocblas_internal_gemmt_kernelIlLi16ELi32ELi8ELc67ELc78ELc76ELb0ELb0EddPKPKdPKPdEviT_T9_T10_S7_lS9_S7_lS8_T11_S7_li.has_indirect_call, 0
	.section	.AMDGPU.csdata,"",@progbits
; Kernel info:
; codeLenInByte = 2132
; TotalNumSgprs: 39
; NumVgprs: 54
; ScratchSize: 0
; MemoryBound: 0
; FloatMode: 240
; IeeeMode: 1
; LDSByteSize: 4096 bytes/workgroup (compile time only)
; SGPRBlocks: 0
; VGPRBlocks: 6
; NumSGPRsForWavesPerEU: 39
; NumVGPRsForWavesPerEU: 54
; Occupancy: 16
; WaveLimiterHint : 1
; COMPUTE_PGM_RSRC2:SCRATCH_EN: 0
; COMPUTE_PGM_RSRC2:USER_SGPR: 2
; COMPUTE_PGM_RSRC2:TRAP_HANDLER: 0
; COMPUTE_PGM_RSRC2:TGID_X_EN: 1
; COMPUTE_PGM_RSRC2:TGID_Y_EN: 1
; COMPUTE_PGM_RSRC2:TGID_Z_EN: 1
; COMPUTE_PGM_RSRC2:TIDIG_COMP_CNT: 1
	.section	.text._ZL29rocblas_internal_gemmt_kernelIlLi16ELi32ELi8ELc67ELc84ELc76ELb0ELb0EddPKPKdPKPdEviT_T9_T10_S7_lS9_S7_lS8_T11_S7_li,"axG",@progbits,_ZL29rocblas_internal_gemmt_kernelIlLi16ELi32ELi8ELc67ELc84ELc76ELb0ELb0EddPKPKdPKPdEviT_T9_T10_S7_lS9_S7_lS8_T11_S7_li,comdat
	.globl	_ZL29rocblas_internal_gemmt_kernelIlLi16ELi32ELi8ELc67ELc84ELc76ELb0ELb0EddPKPKdPKPdEviT_T9_T10_S7_lS9_S7_lS8_T11_S7_li ; -- Begin function _ZL29rocblas_internal_gemmt_kernelIlLi16ELi32ELi8ELc67ELc84ELc76ELb0ELb0EddPKPKdPKPdEviT_T9_T10_S7_lS9_S7_lS8_T11_S7_li
	.p2align	8
	.type	_ZL29rocblas_internal_gemmt_kernelIlLi16ELi32ELi8ELc67ELc84ELc76ELb0ELb0EddPKPKdPKPdEviT_T9_T10_S7_lS9_S7_lS8_T11_S7_li,@function
_ZL29rocblas_internal_gemmt_kernelIlLi16ELi32ELi8ELc67ELc84ELc76ELb0ELb0EddPKPKdPKPdEviT_T9_T10_S7_lS9_S7_lS8_T11_S7_li: ; @_ZL29rocblas_internal_gemmt_kernelIlLi16ELi32ELi8ELc67ELc84ELc76ELb0ELb0EddPKPKdPKPdEviT_T9_T10_S7_lS9_S7_lS8_T11_S7_li
; %bb.0:
	s_clause 0x1
	s_load_b256 s[24:31], s[0:1], 0x48
	s_load_b512 s[8:23], s[0:1], 0x8
	s_wait_kmcnt 0x0
	v_cmp_neq_f64_e64 s2, s[24:25], 1.0
	s_and_b32 vcc_lo, exec_lo, s2
	s_cbranch_vccnz .LBB502_2
; %bb.1:
	v_cmp_neq_f64_e64 s2, s[10:11], 0
	s_cmp_lg_u64 s[8:9], 0
	s_cselect_b32 s3, -1, 0
	s_delay_alu instid0(SALU_CYCLE_1)
	s_and_b32 s2, s3, s2
.LBB502_2:
	s_delay_alu instid0(SALU_CYCLE_1)
	s_and_not1_b32 vcc_lo, exec_lo, s2
	s_cbranch_vccnz .LBB502_35
; %bb.3:
	s_load_b32 s33, s[0:1], 0x68
	s_lshr_b32 s6, ttmp7, 16
	s_wait_kmcnt 0x0
	s_cmp_ge_u32 s6, s33
	s_cbranch_scc1 .LBB502_35
; %bb.4:
	v_and_b32_e32 v4, 0x3ff, v0
	v_bfe_u32 v5, v0, 10, 10
	s_load_b32 s4, s[0:1], 0x0
	s_lshl_b32 s0, ttmp7, 5
	v_and_b32_e32 v26, 7, v0
	s_and_b32 s0, s0, 0x1fffe0
	v_lshl_add_u32 v0, v5, 4, v4
	v_add_nc_u32_e32 v12, s0, v5
	s_lshl_b32 s2, ttmp9, 5
	v_cmp_neq_f64_e64 s37, s[10:11], 0
	s_ashr_i32 s1, s2, 31
	v_lshrrev_b32_e32 v27, 5, v0
	v_mad_co_u64_u32 v[8:9], null, s28, v12, 0
	v_and_b32_e32 v1, 31, v0
	v_lshrrev_b32_e32 v3, 3, v0
	s_wait_alu 0xfffe
	s_mul_i32 s3, s14, s1
	v_cmp_neq_f64_e64 s34, s[24:25], 0
	v_add_nc_u32_e32 v14, 16, v12
	v_or_b32_e32 v2, s2, v1
	v_add_nc_u32_e32 v13, s0, v3
	v_cmp_gt_i64_e64 s38, s[8:9], 0
	v_lshl_add_u32 v31, v5, 6, 0x800
	s_mov_b32 s7, 0
	v_mul_lo_u32 v0, s15, v2
	v_mad_co_u64_u32 v[6:7], null, s14, v2, 0
	s_wait_kmcnt 0x0
	v_cmp_gt_i32_e64 s0, s4, v2
	v_cmp_gt_i32_e64 s1, s4, v13
	v_lshlrev_b32_e32 v32, 3, v13
	s_lshl_b64 s[14:15], s[30:31], 3
	v_add3_u32 v7, v7, s3, v0
	v_dual_mov_b32 v0, v9 :: v_dual_lshlrev_b32 v1, 3, v1
	s_delay_alu instid0(VALU_DEP_2) | instskip(NEXT) | instid1(VALU_DEP_2)
	v_lshlrev_b64_e32 v[6:7], 3, v[6:7]
	v_lshl_or_b32 v28, v27, 8, v1
	s_delay_alu instid0(VALU_DEP_3) | instskip(SKIP_2) | instid1(VALU_DEP_1)
	v_mad_co_u64_u32 v[1:2], null, s29, v12, v[0:1]
	s_and_b32 s37, s37, s38
	v_dual_mov_b32 v9, v1 :: v_dual_lshlrev_b32 v10, 3, v26
	v_lshlrev_b64_e32 v[8:9], 3, v[8:9]
	s_delay_alu instid0(VALU_DEP_2) | instskip(SKIP_1) | instid1(VALU_DEP_2)
	v_lshl_or_b32 v3, v3, 6, v10
	v_mad_co_u64_u32 v[10:11], null, s28, v14, 0
	v_add_nc_u32_e32 v29, 0x800, v3
	v_dual_mov_b32 v3, 0 :: v_dual_add_nc_u32 v0, s2, v4
	s_delay_alu instid0(VALU_DEP_3) | instskip(NEXT) | instid1(VALU_DEP_2)
	v_dual_mov_b32 v1, v11 :: v_dual_lshlrev_b32 v30, 3, v4
	v_add_nc_u32_e32 v4, 16, v0
	v_cmp_le_i32_e32 vcc_lo, v12, v0
	v_cmp_gt_i32_e64 s2, s4, v0
	s_delay_alu instid0(VALU_DEP_3)
	v_cmp_le_i32_e64 s3, v12, v4
	v_mad_co_u64_u32 v[11:12], null, s29, v14, v[1:2]
	v_cmp_gt_i32_e64 s4, s4, v4
	s_and_b32 s28, vcc_lo, s2
	v_cmp_le_i32_e32 vcc_lo, v14, v0
	v_cmp_le_i32_e64 s5, v14, v4
	v_ashrrev_i32_e32 v1, 31, v0
	v_ashrrev_i32_e32 v5, 31, v4
	v_lshlrev_b64_e32 v[10:11], 3, v[10:11]
	s_and_b32 s29, s3, s4
	s_and_b32 s35, vcc_lo, s2
	s_and_b32 s36, s5, s4
	s_lshl_b64 s[2:3], s[22:23], 3
	s_lshl_b64 s[4:5], s[16:17], 3
	s_branch .LBB502_6
.LBB502_5:                              ;   in Loop: Header=BB502_6 Depth=1
	s_wait_alu 0xfffe
	s_or_b32 exec_lo, exec_lo, s16
	s_add_co_i32 s6, s6, 0x10000
	s_delay_alu instid0(SALU_CYCLE_1)
	s_cmp_lt_u32 s6, s33
	s_cbranch_scc0 .LBB502_35
.LBB502_6:                              ; =>This Loop Header: Depth=1
                                        ;     Child Loop BB502_9 Depth 2
	s_lshl_b64 s[16:17], s[6:7], 3
	v_mov_b32_e32 v20, 0
	s_wait_alu 0xfffe
	s_add_nc_u64 s[22:23], s[26:27], s[16:17]
	v_mov_b32_e32 v14, 0
	global_load_b64 v[16:17], v3, s[22:23]
	v_dual_mov_b32 v21, 0 :: v_dual_mov_b32 v18, 0
	v_dual_mov_b32 v15, 0 :: v_dual_mov_b32 v12, 0
	v_mov_b32_e32 v19, 0
	v_mov_b32_e32 v13, 0
	s_and_not1_b32 vcc_lo, exec_lo, s37
	s_wait_alu 0xfffe
	s_cbranch_vccnz .LBB502_15
; %bb.7:                                ;   in Loop: Header=BB502_6 Depth=1
	s_add_nc_u64 s[22:23], s[12:13], s[16:17]
	s_add_nc_u64 s[16:17], s[18:19], s[16:17]
	s_clause 0x1
	global_load_b64 v[22:23], v3, s[22:23]
	global_load_b64 v[24:25], v3, s[16:17]
	v_mov_b32_e32 v12, 0
	v_dual_mov_b32 v18, 0 :: v_dual_mov_b32 v13, 0
	v_dual_mov_b32 v14, 0 :: v_dual_mov_b32 v19, 0
	;; [unrolled: 1-line block ×3, first 2 shown]
	v_mov_b32_e32 v21, 0
	s_mov_b64 s[16:17], 0
	s_wait_loadcnt 0x1
	v_add_co_u32 v2, vcc_lo, v22, s4
	s_wait_alu 0xfffd
	v_add_co_ci_u32_e64 v22, null, s5, v23, vcc_lo
	s_wait_loadcnt 0x0
	v_add_co_u32 v23, vcc_lo, v24, s2
	s_wait_alu 0xfffd
	v_add_co_ci_u32_e64 v24, null, s3, v25, vcc_lo
	v_add_co_u32 v33, vcc_lo, v2, v6
	s_wait_alu 0xfffd
	v_add_co_ci_u32_e64 v34, null, v22, v7, vcc_lo
	;; [unrolled: 3-line block ×3, first 2 shown]
	s_branch .LBB502_9
.LBB502_8:                              ;   in Loop: Header=BB502_9 Depth=2
	s_or_b32 exec_lo, exec_lo, s22
	s_wait_loadcnt_dscnt 0x0
	ds_store_b64 v29, v[24:25]
	s_wait_dscnt 0x0
	s_barrier_signal -1
	s_barrier_wait -1
	global_inv scope:SCOPE_SE
	ds_load_b128 v[22:25], v31
	ds_load_2addr_b64 v[37:40], v30 offset1:16
	ds_load_b128 v[41:44], v31 offset:1024
	ds_load_b128 v[45:48], v31 offset:16
	;; [unrolled: 1-line block ×3, first 2 shown]
	s_add_nc_u64 s[16:17], s[16:17], 8
	s_wait_alu 0xfffe
	v_cmp_gt_i64_e64 s22, s[8:9], s[16:17]
	s_and_b32 vcc_lo, exec_lo, s22
	s_wait_dscnt 0x3
	v_fma_f64 v[20:21], v[37:38], v[22:23], v[20:21]
	v_fma_f64 v[18:19], v[39:40], v[22:23], v[18:19]
	s_wait_dscnt 0x2
	v_fma_f64 v[22:23], v[37:38], v[41:42], v[14:15]
	v_fma_f64 v[37:38], v[39:40], v[41:42], v[12:13]
	ds_load_2addr_b64 v[12:15], v30 offset0:32 offset1:48
	s_wait_dscnt 0x0
	v_fma_f64 v[20:21], v[12:13], v[24:25], v[20:21]
	v_fma_f64 v[18:19], v[14:15], v[24:25], v[18:19]
	v_fma_f64 v[22:23], v[12:13], v[43:44], v[22:23]
	v_fma_f64 v[24:25], v[14:15], v[43:44], v[37:38]
	ds_load_2addr_b64 v[12:15], v30 offset0:64 offset1:80
	s_wait_dscnt 0x0
	v_fma_f64 v[20:21], v[12:13], v[45:46], v[20:21]
	v_fma_f64 v[18:19], v[14:15], v[45:46], v[18:19]
	v_fma_f64 v[22:23], v[12:13], v[49:50], v[22:23]
	v_fma_f64 v[24:25], v[14:15], v[49:50], v[24:25]
	ds_load_2addr_b64 v[12:15], v30 offset0:96 offset1:112
	s_wait_dscnt 0x0
	v_fma_f64 v[45:46], v[12:13], v[47:48], v[20:21]
	v_fma_f64 v[47:48], v[14:15], v[47:48], v[18:19]
	v_fma_f64 v[49:50], v[12:13], v[51:52], v[22:23]
	v_fma_f64 v[51:52], v[14:15], v[51:52], v[24:25]
	ds_load_b128 v[12:15], v31 offset:32
	ds_load_2addr_b64 v[18:21], v30 offset0:128 offset1:144
	ds_load_b128 v[22:25], v31 offset:1056
	ds_load_b128 v[37:40], v31 offset:48
	;; [unrolled: 1-line block ×3, first 2 shown]
	s_wait_dscnt 0x3
	v_fma_f64 v[45:46], v[18:19], v[12:13], v[45:46]
	v_fma_f64 v[12:13], v[20:21], v[12:13], v[47:48]
	s_wait_dscnt 0x2
	v_fma_f64 v[47:48], v[18:19], v[22:23], v[49:50]
	v_fma_f64 v[22:23], v[20:21], v[22:23], v[51:52]
	ds_load_2addr_b64 v[18:21], v30 offset0:160 offset1:176
	s_wait_dscnt 0x0
	v_fma_f64 v[45:46], v[18:19], v[14:15], v[45:46]
	v_fma_f64 v[49:50], v[20:21], v[14:15], v[12:13]
	;; [unrolled: 1-line block ×4, first 2 shown]
	ds_load_2addr_b64 v[12:15], v30 offset0:192 offset1:208
	ds_load_2addr_b64 v[22:25], v30 offset0:224 offset1:240
	s_wait_loadcnt_dscnt 0x0
	s_barrier_signal -1
	s_barrier_wait -1
	global_inv scope:SCOPE_SE
	v_fma_f64 v[45:46], v[12:13], v[37:38], v[45:46]
	v_fma_f64 v[37:38], v[14:15], v[37:38], v[49:50]
	;; [unrolled: 1-line block ×4, first 2 shown]
	s_delay_alu instid0(VALU_DEP_4) | instskip(NEXT) | instid1(VALU_DEP_4)
	v_fma_f64 v[20:21], v[22:23], v[39:40], v[45:46]
	v_fma_f64 v[18:19], v[24:25], v[39:40], v[37:38]
	s_delay_alu instid0(VALU_DEP_4) | instskip(NEXT) | instid1(VALU_DEP_4)
	v_fma_f64 v[14:15], v[22:23], v[43:44], v[12:13]
	v_fma_f64 v[12:13], v[24:25], v[43:44], v[41:42]
	s_wait_alu 0xfffe
	s_cbranch_vccz .LBB502_15
.LBB502_9:                              ;   Parent Loop BB502_6 Depth=1
                                        ; =>  This Inner Loop Header: Depth=2
	v_mov_b32_e32 v22, 0
	v_mov_b32_e32 v23, 0
	s_and_saveexec_b32 s22, s0
	s_cbranch_execz .LBB502_13
; %bb.10:                               ;   in Loop: Header=BB502_9 Depth=2
	v_mov_b32_e32 v22, 0
	s_wait_alu 0xfffe
	v_dual_mov_b32 v23, 0 :: v_dual_add_nc_u32 v2, s16, v27
	s_mov_b32 s23, exec_lo
	s_delay_alu instid0(VALU_DEP_1)
	v_cmpx_gt_u64_e64 s[8:9], v[2:3]
	s_cbranch_execz .LBB502_12
; %bb.11:                               ;   in Loop: Header=BB502_9 Depth=2
	v_lshlrev_b64_e32 v[22:23], 3, v[2:3]
	s_delay_alu instid0(VALU_DEP_1) | instskip(SKIP_1) | instid1(VALU_DEP_2)
	v_add_co_u32 v22, vcc_lo, v33, v22
	s_wait_alu 0xfffd
	v_add_co_ci_u32_e64 v23, null, v34, v23, vcc_lo
	flat_load_b64 v[22:23], v[22:23]
.LBB502_12:                             ;   in Loop: Header=BB502_9 Depth=2
	s_or_b32 exec_lo, exec_lo, s23
.LBB502_13:                             ;   in Loop: Header=BB502_9 Depth=2
	s_delay_alu instid0(SALU_CYCLE_1)
	s_or_b32 exec_lo, exec_lo, s22
	s_wait_alu 0xfffe
	v_add_nc_u32_e32 v2, s16, v26
	v_mov_b32_e32 v24, 0
	v_mov_b32_e32 v25, 0
	s_wait_loadcnt_dscnt 0x0
	ds_store_b64 v28, v[22:23]
	v_cmp_gt_u64_e32 vcc_lo, s[8:9], v[2:3]
	s_and_b32 s23, vcc_lo, s1
	s_delay_alu instid0(SALU_CYCLE_1)
	s_and_saveexec_b32 s22, s23
	s_cbranch_execz .LBB502_8
; %bb.14:                               ;   in Loop: Header=BB502_9 Depth=2
	v_mad_co_u64_u32 v[22:23], null, s20, v2, 0
	s_delay_alu instid0(VALU_DEP_1) | instskip(NEXT) | instid1(VALU_DEP_1)
	v_mad_co_u64_u32 v[23:24], null, s21, v2, v[23:24]
	v_lshlrev_b64_e32 v[22:23], 3, v[22:23]
	s_delay_alu instid0(VALU_DEP_1) | instskip(SKIP_1) | instid1(VALU_DEP_2)
	v_add_co_u32 v22, vcc_lo, v35, v22
	s_wait_alu 0xfffd
	v_add_co_ci_u32_e64 v23, null, v36, v23, vcc_lo
	flat_load_b64 v[24:25], v[22:23]
	s_branch .LBB502_8
.LBB502_15:                             ;   in Loop: Header=BB502_6 Depth=1
	s_wait_loadcnt 0x0
	s_wait_alu 0xfffe
	v_add_co_u32 v2, vcc_lo, v16, s14
	s_wait_alu 0xfffd
	v_add_co_ci_u32_e64 v22, null, s15, v17, vcc_lo
	s_delay_alu instid0(VALU_DEP_2) | instskip(SKIP_1) | instid1(VALU_DEP_2)
	v_add_co_u32 v23, vcc_lo, v2, v8
	s_wait_alu 0xfffd
	v_add_co_ci_u32_e64 v24, null, v22, v9, vcc_lo
	s_and_saveexec_b32 s16, s28
	s_cbranch_execz .LBB502_19
; %bb.16:                               ;   in Loop: Header=BB502_6 Depth=1
	v_mul_f64_e32 v[16:17], s[10:11], v[20:21]
	s_and_b32 vcc_lo, exec_lo, s34
	s_wait_alu 0xfffe
	s_cbranch_vccz .LBB502_30
; %bb.17:                               ;   in Loop: Header=BB502_6 Depth=1
	v_lshlrev_b64_e32 v[20:21], 3, v[0:1]
	s_delay_alu instid0(VALU_DEP_1) | instskip(SKIP_1) | instid1(VALU_DEP_2)
	v_add_co_u32 v20, vcc_lo, v23, v20
	s_wait_alu 0xfffd
	v_add_co_ci_u32_e64 v21, null, v24, v21, vcc_lo
	flat_load_b64 v[33:34], v[20:21]
	s_wait_loadcnt_dscnt 0x0
	v_fma_f64 v[33:34], s[24:25], v[33:34], v[16:17]
	flat_store_b64 v[20:21], v[33:34]
	s_cbranch_execnz .LBB502_19
.LBB502_18:                             ;   in Loop: Header=BB502_6 Depth=1
	v_lshlrev_b64_e32 v[20:21], 3, v[0:1]
	s_delay_alu instid0(VALU_DEP_1) | instskip(SKIP_1) | instid1(VALU_DEP_2)
	v_add_co_u32 v20, vcc_lo, v23, v20
	s_wait_alu 0xfffd
	v_add_co_ci_u32_e64 v21, null, v24, v21, vcc_lo
	flat_store_b64 v[20:21], v[16:17]
.LBB502_19:                             ;   in Loop: Header=BB502_6 Depth=1
	s_wait_alu 0xfffe
	s_or_b32 exec_lo, exec_lo, s16
	s_and_saveexec_b32 s16, s29
	s_cbranch_execz .LBB502_23
; %bb.20:                               ;   in Loop: Header=BB502_6 Depth=1
	v_mul_f64_e32 v[16:17], s[10:11], v[18:19]
	s_and_not1_b32 vcc_lo, exec_lo, s34
	s_wait_alu 0xfffe
	s_cbranch_vccnz .LBB502_31
; %bb.21:                               ;   in Loop: Header=BB502_6 Depth=1
	v_lshlrev_b64_e32 v[18:19], 3, v[4:5]
	s_delay_alu instid0(VALU_DEP_1) | instskip(SKIP_1) | instid1(VALU_DEP_2)
	v_add_co_u32 v18, vcc_lo, v23, v18
	s_wait_alu 0xfffd
	v_add_co_ci_u32_e64 v19, null, v24, v19, vcc_lo
	flat_load_b64 v[20:21], v[18:19]
	s_wait_loadcnt_dscnt 0x0
	v_fma_f64 v[20:21], s[24:25], v[20:21], v[16:17]
	flat_store_b64 v[18:19], v[20:21]
	s_cbranch_execnz .LBB502_23
.LBB502_22:                             ;   in Loop: Header=BB502_6 Depth=1
	v_lshlrev_b64_e32 v[18:19], 3, v[4:5]
	s_delay_alu instid0(VALU_DEP_1) | instskip(SKIP_1) | instid1(VALU_DEP_2)
	v_add_co_u32 v18, vcc_lo, v23, v18
	s_wait_alu 0xfffd
	v_add_co_ci_u32_e64 v19, null, v24, v19, vcc_lo
	flat_store_b64 v[18:19], v[16:17]
.LBB502_23:                             ;   in Loop: Header=BB502_6 Depth=1
	s_wait_alu 0xfffe
	s_or_b32 exec_lo, exec_lo, s16
	v_add_co_u32 v2, vcc_lo, v2, v10
	s_wait_alu 0xfffd
	v_add_co_ci_u32_e64 v18, null, v22, v11, vcc_lo
	s_and_saveexec_b32 s16, s35
	s_cbranch_execz .LBB502_27
; %bb.24:                               ;   in Loop: Header=BB502_6 Depth=1
	v_mul_f64_e32 v[14:15], s[10:11], v[14:15]
	v_lshlrev_b64_e32 v[16:17], 3, v[0:1]
	s_and_not1_b32 vcc_lo, exec_lo, s34
	s_wait_alu 0xfffe
	s_cbranch_vccnz .LBB502_32
; %bb.25:                               ;   in Loop: Header=BB502_6 Depth=1
	s_delay_alu instid0(VALU_DEP_1)
	v_add_co_u32 v19, vcc_lo, v2, v16
	s_wait_alu 0xfffd
	v_add_co_ci_u32_e64 v20, null, v18, v17, vcc_lo
	flat_load_b64 v[21:22], v[19:20]
	s_wait_loadcnt_dscnt 0x0
	v_fma_f64 v[21:22], s[24:25], v[21:22], v[14:15]
	flat_store_b64 v[19:20], v[21:22]
	s_cbranch_execnz .LBB502_27
.LBB502_26:                             ;   in Loop: Header=BB502_6 Depth=1
	s_delay_alu instid0(VALU_DEP_1)
	v_add_co_u32 v16, vcc_lo, v2, v16
	s_wait_alu 0xfffd
	v_add_co_ci_u32_e64 v17, null, v18, v17, vcc_lo
	flat_store_b64 v[16:17], v[14:15]
.LBB502_27:                             ;   in Loop: Header=BB502_6 Depth=1
	s_wait_alu 0xfffe
	s_or_b32 exec_lo, exec_lo, s16
	s_and_saveexec_b32 s16, s36
	s_cbranch_execz .LBB502_5
; %bb.28:                               ;   in Loop: Header=BB502_6 Depth=1
	v_mul_f64_e32 v[12:13], s[10:11], v[12:13]
	v_lshlrev_b64_e32 v[14:15], 3, v[4:5]
	s_and_not1_b32 vcc_lo, exec_lo, s34
	s_wait_alu 0xfffe
	s_cbranch_vccnz .LBB502_33
; %bb.29:                               ;   in Loop: Header=BB502_6 Depth=1
	s_delay_alu instid0(VALU_DEP_1)
	v_add_co_u32 v16, vcc_lo, v2, v14
	s_wait_alu 0xfffd
	v_add_co_ci_u32_e64 v17, null, v18, v15, vcc_lo
	flat_load_b64 v[19:20], v[16:17]
	s_wait_loadcnt_dscnt 0x0
	v_fma_f64 v[19:20], s[24:25], v[19:20], v[12:13]
	flat_store_b64 v[16:17], v[19:20]
	s_cbranch_execnz .LBB502_5
	s_branch .LBB502_34
.LBB502_30:                             ;   in Loop: Header=BB502_6 Depth=1
	s_branch .LBB502_18
.LBB502_31:                             ;   in Loop: Header=BB502_6 Depth=1
	s_branch .LBB502_22
.LBB502_32:                             ;   in Loop: Header=BB502_6 Depth=1
	s_branch .LBB502_26
.LBB502_33:                             ;   in Loop: Header=BB502_6 Depth=1
.LBB502_34:                             ;   in Loop: Header=BB502_6 Depth=1
	s_delay_alu instid0(VALU_DEP_1)
	v_add_co_u32 v14, vcc_lo, v2, v14
	s_wait_alu 0xfffd
	v_add_co_ci_u32_e64 v15, null, v18, v15, vcc_lo
	flat_store_b64 v[14:15], v[12:13]
	s_branch .LBB502_5
.LBB502_35:
	s_endpgm
	.section	.rodata,"a",@progbits
	.p2align	6, 0x0
	.amdhsa_kernel _ZL29rocblas_internal_gemmt_kernelIlLi16ELi32ELi8ELc67ELc84ELc76ELb0ELb0EddPKPKdPKPdEviT_T9_T10_S7_lS9_S7_lS8_T11_S7_li
		.amdhsa_group_segment_fixed_size 4096
		.amdhsa_private_segment_fixed_size 0
		.amdhsa_kernarg_size 108
		.amdhsa_user_sgpr_count 2
		.amdhsa_user_sgpr_dispatch_ptr 0
		.amdhsa_user_sgpr_queue_ptr 0
		.amdhsa_user_sgpr_kernarg_segment_ptr 1
		.amdhsa_user_sgpr_dispatch_id 0
		.amdhsa_user_sgpr_private_segment_size 0
		.amdhsa_wavefront_size32 1
		.amdhsa_uses_dynamic_stack 0
		.amdhsa_enable_private_segment 0
		.amdhsa_system_sgpr_workgroup_id_x 1
		.amdhsa_system_sgpr_workgroup_id_y 1
		.amdhsa_system_sgpr_workgroup_id_z 1
		.amdhsa_system_sgpr_workgroup_info 0
		.amdhsa_system_vgpr_workitem_id 1
		.amdhsa_next_free_vgpr 53
		.amdhsa_next_free_sgpr 39
		.amdhsa_reserve_vcc 1
		.amdhsa_float_round_mode_32 0
		.amdhsa_float_round_mode_16_64 0
		.amdhsa_float_denorm_mode_32 3
		.amdhsa_float_denorm_mode_16_64 3
		.amdhsa_fp16_overflow 0
		.amdhsa_workgroup_processor_mode 1
		.amdhsa_memory_ordered 1
		.amdhsa_forward_progress 1
		.amdhsa_inst_pref_size 17
		.amdhsa_round_robin_scheduling 0
		.amdhsa_exception_fp_ieee_invalid_op 0
		.amdhsa_exception_fp_denorm_src 0
		.amdhsa_exception_fp_ieee_div_zero 0
		.amdhsa_exception_fp_ieee_overflow 0
		.amdhsa_exception_fp_ieee_underflow 0
		.amdhsa_exception_fp_ieee_inexact 0
		.amdhsa_exception_int_div_zero 0
	.end_amdhsa_kernel
	.section	.text._ZL29rocblas_internal_gemmt_kernelIlLi16ELi32ELi8ELc67ELc84ELc76ELb0ELb0EddPKPKdPKPdEviT_T9_T10_S7_lS9_S7_lS8_T11_S7_li,"axG",@progbits,_ZL29rocblas_internal_gemmt_kernelIlLi16ELi32ELi8ELc67ELc84ELc76ELb0ELb0EddPKPKdPKPdEviT_T9_T10_S7_lS9_S7_lS8_T11_S7_li,comdat
.Lfunc_end502:
	.size	_ZL29rocblas_internal_gemmt_kernelIlLi16ELi32ELi8ELc67ELc84ELc76ELb0ELb0EddPKPKdPKPdEviT_T9_T10_S7_lS9_S7_lS8_T11_S7_li, .Lfunc_end502-_ZL29rocblas_internal_gemmt_kernelIlLi16ELi32ELi8ELc67ELc84ELc76ELb0ELb0EddPKPKdPKPdEviT_T9_T10_S7_lS9_S7_lS8_T11_S7_li
                                        ; -- End function
	.set _ZL29rocblas_internal_gemmt_kernelIlLi16ELi32ELi8ELc67ELc84ELc76ELb0ELb0EddPKPKdPKPdEviT_T9_T10_S7_lS9_S7_lS8_T11_S7_li.num_vgpr, 53
	.set _ZL29rocblas_internal_gemmt_kernelIlLi16ELi32ELi8ELc67ELc84ELc76ELb0ELb0EddPKPKdPKPdEviT_T9_T10_S7_lS9_S7_lS8_T11_S7_li.num_agpr, 0
	.set _ZL29rocblas_internal_gemmt_kernelIlLi16ELi32ELi8ELc67ELc84ELc76ELb0ELb0EddPKPKdPKPdEviT_T9_T10_S7_lS9_S7_lS8_T11_S7_li.numbered_sgpr, 39
	.set _ZL29rocblas_internal_gemmt_kernelIlLi16ELi32ELi8ELc67ELc84ELc76ELb0ELb0EddPKPKdPKPdEviT_T9_T10_S7_lS9_S7_lS8_T11_S7_li.num_named_barrier, 0
	.set _ZL29rocblas_internal_gemmt_kernelIlLi16ELi32ELi8ELc67ELc84ELc76ELb0ELb0EddPKPKdPKPdEviT_T9_T10_S7_lS9_S7_lS8_T11_S7_li.private_seg_size, 0
	.set _ZL29rocblas_internal_gemmt_kernelIlLi16ELi32ELi8ELc67ELc84ELc76ELb0ELb0EddPKPKdPKPdEviT_T9_T10_S7_lS9_S7_lS8_T11_S7_li.uses_vcc, 1
	.set _ZL29rocblas_internal_gemmt_kernelIlLi16ELi32ELi8ELc67ELc84ELc76ELb0ELb0EddPKPKdPKPdEviT_T9_T10_S7_lS9_S7_lS8_T11_S7_li.uses_flat_scratch, 0
	.set _ZL29rocblas_internal_gemmt_kernelIlLi16ELi32ELi8ELc67ELc84ELc76ELb0ELb0EddPKPKdPKPdEviT_T9_T10_S7_lS9_S7_lS8_T11_S7_li.has_dyn_sized_stack, 0
	.set _ZL29rocblas_internal_gemmt_kernelIlLi16ELi32ELi8ELc67ELc84ELc76ELb0ELb0EddPKPKdPKPdEviT_T9_T10_S7_lS9_S7_lS8_T11_S7_li.has_recursion, 0
	.set _ZL29rocblas_internal_gemmt_kernelIlLi16ELi32ELi8ELc67ELc84ELc76ELb0ELb0EddPKPKdPKPdEviT_T9_T10_S7_lS9_S7_lS8_T11_S7_li.has_indirect_call, 0
	.section	.AMDGPU.csdata,"",@progbits
; Kernel info:
; codeLenInByte = 2120
; TotalNumSgprs: 41
; NumVgprs: 53
; ScratchSize: 0
; MemoryBound: 0
; FloatMode: 240
; IeeeMode: 1
; LDSByteSize: 4096 bytes/workgroup (compile time only)
; SGPRBlocks: 0
; VGPRBlocks: 6
; NumSGPRsForWavesPerEU: 41
; NumVGPRsForWavesPerEU: 53
; Occupancy: 16
; WaveLimiterHint : 1
; COMPUTE_PGM_RSRC2:SCRATCH_EN: 0
; COMPUTE_PGM_RSRC2:USER_SGPR: 2
; COMPUTE_PGM_RSRC2:TRAP_HANDLER: 0
; COMPUTE_PGM_RSRC2:TGID_X_EN: 1
; COMPUTE_PGM_RSRC2:TGID_Y_EN: 1
; COMPUTE_PGM_RSRC2:TGID_Z_EN: 1
; COMPUTE_PGM_RSRC2:TIDIG_COMP_CNT: 1
	.section	.text._ZL29rocblas_internal_gemmt_kernelIlLi16ELi32ELi8ELc67ELc67ELc76ELb0ELb0EddPKPKdPKPdEviT_T9_T10_S7_lS9_S7_lS8_T11_S7_li,"axG",@progbits,_ZL29rocblas_internal_gemmt_kernelIlLi16ELi32ELi8ELc67ELc67ELc76ELb0ELb0EddPKPKdPKPdEviT_T9_T10_S7_lS9_S7_lS8_T11_S7_li,comdat
	.globl	_ZL29rocblas_internal_gemmt_kernelIlLi16ELi32ELi8ELc67ELc67ELc76ELb0ELb0EddPKPKdPKPdEviT_T9_T10_S7_lS9_S7_lS8_T11_S7_li ; -- Begin function _ZL29rocblas_internal_gemmt_kernelIlLi16ELi32ELi8ELc67ELc67ELc76ELb0ELb0EddPKPKdPKPdEviT_T9_T10_S7_lS9_S7_lS8_T11_S7_li
	.p2align	8
	.type	_ZL29rocblas_internal_gemmt_kernelIlLi16ELi32ELi8ELc67ELc67ELc76ELb0ELb0EddPKPKdPKPdEviT_T9_T10_S7_lS9_S7_lS8_T11_S7_li,@function
_ZL29rocblas_internal_gemmt_kernelIlLi16ELi32ELi8ELc67ELc67ELc76ELb0ELb0EddPKPKdPKPdEviT_T9_T10_S7_lS9_S7_lS8_T11_S7_li: ; @_ZL29rocblas_internal_gemmt_kernelIlLi16ELi32ELi8ELc67ELc67ELc76ELb0ELb0EddPKPKdPKPdEviT_T9_T10_S7_lS9_S7_lS8_T11_S7_li
; %bb.0:
	s_clause 0x1
	s_load_b256 s[24:31], s[0:1], 0x48
	s_load_b512 s[8:23], s[0:1], 0x8
	s_wait_kmcnt 0x0
	v_cmp_neq_f64_e64 s2, s[24:25], 1.0
	s_and_b32 vcc_lo, exec_lo, s2
	s_cbranch_vccnz .LBB503_2
; %bb.1:
	v_cmp_neq_f64_e64 s2, s[10:11], 0
	s_cmp_lg_u64 s[8:9], 0
	s_cselect_b32 s3, -1, 0
	s_delay_alu instid0(SALU_CYCLE_1)
	s_and_b32 s2, s3, s2
.LBB503_2:
	s_delay_alu instid0(SALU_CYCLE_1)
	s_and_not1_b32 vcc_lo, exec_lo, s2
	s_cbranch_vccnz .LBB503_35
; %bb.3:
	s_load_b32 s33, s[0:1], 0x68
	s_lshr_b32 s6, ttmp7, 16
	s_wait_kmcnt 0x0
	s_cmp_ge_u32 s6, s33
	s_cbranch_scc1 .LBB503_35
; %bb.4:
	v_and_b32_e32 v4, 0x3ff, v0
	v_bfe_u32 v5, v0, 10, 10
	s_load_b32 s4, s[0:1], 0x0
	s_lshl_b32 s0, ttmp7, 5
	v_and_b32_e32 v26, 7, v0
	s_and_b32 s0, s0, 0x1fffe0
	v_lshl_add_u32 v0, v5, 4, v4
	v_add_nc_u32_e32 v12, s0, v5
	s_lshl_b32 s2, ttmp9, 5
	v_cmp_neq_f64_e64 s37, s[10:11], 0
	s_ashr_i32 s1, s2, 31
	v_lshrrev_b32_e32 v27, 5, v0
	v_mad_co_u64_u32 v[8:9], null, s28, v12, 0
	v_and_b32_e32 v1, 31, v0
	v_lshrrev_b32_e32 v3, 3, v0
	s_wait_alu 0xfffe
	s_mul_i32 s3, s14, s1
	v_cmp_neq_f64_e64 s34, s[24:25], 0
	v_add_nc_u32_e32 v14, 16, v12
	v_or_b32_e32 v2, s2, v1
	v_add_nc_u32_e32 v13, s0, v3
	v_cmp_gt_i64_e64 s38, s[8:9], 0
	v_lshl_add_u32 v31, v5, 6, 0x800
	s_mov_b32 s7, 0
	v_mul_lo_u32 v0, s15, v2
	v_mad_co_u64_u32 v[6:7], null, s14, v2, 0
	s_wait_kmcnt 0x0
	v_cmp_gt_i32_e64 s0, s4, v2
	v_cmp_gt_i32_e64 s1, s4, v13
	v_lshlrev_b32_e32 v32, 3, v13
	s_lshl_b64 s[14:15], s[30:31], 3
	v_add3_u32 v7, v7, s3, v0
	v_dual_mov_b32 v0, v9 :: v_dual_lshlrev_b32 v1, 3, v1
	s_delay_alu instid0(VALU_DEP_2) | instskip(NEXT) | instid1(VALU_DEP_2)
	v_lshlrev_b64_e32 v[6:7], 3, v[6:7]
	v_lshl_or_b32 v28, v27, 8, v1
	s_delay_alu instid0(VALU_DEP_3) | instskip(SKIP_2) | instid1(VALU_DEP_1)
	v_mad_co_u64_u32 v[1:2], null, s29, v12, v[0:1]
	s_and_b32 s37, s37, s38
	v_dual_mov_b32 v9, v1 :: v_dual_lshlrev_b32 v10, 3, v26
	v_lshlrev_b64_e32 v[8:9], 3, v[8:9]
	s_delay_alu instid0(VALU_DEP_2) | instskip(SKIP_1) | instid1(VALU_DEP_2)
	v_lshl_or_b32 v3, v3, 6, v10
	v_mad_co_u64_u32 v[10:11], null, s28, v14, 0
	v_add_nc_u32_e32 v29, 0x800, v3
	v_dual_mov_b32 v3, 0 :: v_dual_add_nc_u32 v0, s2, v4
	s_delay_alu instid0(VALU_DEP_3) | instskip(NEXT) | instid1(VALU_DEP_2)
	v_dual_mov_b32 v1, v11 :: v_dual_lshlrev_b32 v30, 3, v4
	v_add_nc_u32_e32 v4, 16, v0
	v_cmp_le_i32_e32 vcc_lo, v12, v0
	v_cmp_gt_i32_e64 s2, s4, v0
	s_delay_alu instid0(VALU_DEP_3)
	v_cmp_le_i32_e64 s3, v12, v4
	v_mad_co_u64_u32 v[11:12], null, s29, v14, v[1:2]
	v_cmp_gt_i32_e64 s4, s4, v4
	s_and_b32 s28, vcc_lo, s2
	v_cmp_le_i32_e32 vcc_lo, v14, v0
	v_cmp_le_i32_e64 s5, v14, v4
	v_ashrrev_i32_e32 v1, 31, v0
	v_ashrrev_i32_e32 v5, 31, v4
	v_lshlrev_b64_e32 v[10:11], 3, v[10:11]
	s_and_b32 s29, s3, s4
	s_and_b32 s35, vcc_lo, s2
	s_and_b32 s36, s5, s4
	s_lshl_b64 s[2:3], s[22:23], 3
	s_lshl_b64 s[4:5], s[16:17], 3
	s_branch .LBB503_6
.LBB503_5:                              ;   in Loop: Header=BB503_6 Depth=1
	s_wait_alu 0xfffe
	s_or_b32 exec_lo, exec_lo, s16
	s_add_co_i32 s6, s6, 0x10000
	s_delay_alu instid0(SALU_CYCLE_1)
	s_cmp_lt_u32 s6, s33
	s_cbranch_scc0 .LBB503_35
.LBB503_6:                              ; =>This Loop Header: Depth=1
                                        ;     Child Loop BB503_9 Depth 2
	s_lshl_b64 s[16:17], s[6:7], 3
	v_mov_b32_e32 v20, 0
	s_wait_alu 0xfffe
	s_add_nc_u64 s[22:23], s[26:27], s[16:17]
	v_mov_b32_e32 v14, 0
	global_load_b64 v[16:17], v3, s[22:23]
	v_dual_mov_b32 v21, 0 :: v_dual_mov_b32 v18, 0
	v_dual_mov_b32 v15, 0 :: v_dual_mov_b32 v12, 0
	v_mov_b32_e32 v19, 0
	v_mov_b32_e32 v13, 0
	s_and_not1_b32 vcc_lo, exec_lo, s37
	s_wait_alu 0xfffe
	s_cbranch_vccnz .LBB503_15
; %bb.7:                                ;   in Loop: Header=BB503_6 Depth=1
	s_add_nc_u64 s[22:23], s[12:13], s[16:17]
	s_add_nc_u64 s[16:17], s[18:19], s[16:17]
	s_clause 0x1
	global_load_b64 v[22:23], v3, s[22:23]
	global_load_b64 v[24:25], v3, s[16:17]
	v_mov_b32_e32 v12, 0
	v_dual_mov_b32 v18, 0 :: v_dual_mov_b32 v13, 0
	v_dual_mov_b32 v14, 0 :: v_dual_mov_b32 v19, 0
	;; [unrolled: 1-line block ×3, first 2 shown]
	v_mov_b32_e32 v21, 0
	s_mov_b64 s[16:17], 0
	s_wait_loadcnt 0x1
	v_add_co_u32 v2, vcc_lo, v22, s4
	s_wait_alu 0xfffd
	v_add_co_ci_u32_e64 v22, null, s5, v23, vcc_lo
	s_wait_loadcnt 0x0
	v_add_co_u32 v23, vcc_lo, v24, s2
	s_wait_alu 0xfffd
	v_add_co_ci_u32_e64 v24, null, s3, v25, vcc_lo
	v_add_co_u32 v33, vcc_lo, v2, v6
	s_wait_alu 0xfffd
	v_add_co_ci_u32_e64 v34, null, v22, v7, vcc_lo
	;; [unrolled: 3-line block ×3, first 2 shown]
	s_branch .LBB503_9
.LBB503_8:                              ;   in Loop: Header=BB503_9 Depth=2
	s_or_b32 exec_lo, exec_lo, s22
	s_wait_loadcnt_dscnt 0x0
	ds_store_b64 v29, v[24:25]
	s_wait_dscnt 0x0
	s_barrier_signal -1
	s_barrier_wait -1
	global_inv scope:SCOPE_SE
	ds_load_b128 v[22:25], v31
	ds_load_2addr_b64 v[37:40], v30 offset1:16
	ds_load_b128 v[41:44], v31 offset:1024
	ds_load_b128 v[45:48], v31 offset:16
	ds_load_b128 v[49:52], v31 offset:1040
	s_add_nc_u64 s[16:17], s[16:17], 8
	s_wait_alu 0xfffe
	v_cmp_gt_i64_e64 s22, s[8:9], s[16:17]
	s_and_b32 vcc_lo, exec_lo, s22
	s_wait_dscnt 0x3
	v_fma_f64 v[20:21], v[37:38], v[22:23], v[20:21]
	v_fma_f64 v[18:19], v[39:40], v[22:23], v[18:19]
	s_wait_dscnt 0x2
	v_fma_f64 v[22:23], v[37:38], v[41:42], v[14:15]
	v_fma_f64 v[37:38], v[39:40], v[41:42], v[12:13]
	ds_load_2addr_b64 v[12:15], v30 offset0:32 offset1:48
	s_wait_dscnt 0x0
	v_fma_f64 v[20:21], v[12:13], v[24:25], v[20:21]
	v_fma_f64 v[18:19], v[14:15], v[24:25], v[18:19]
	v_fma_f64 v[22:23], v[12:13], v[43:44], v[22:23]
	v_fma_f64 v[24:25], v[14:15], v[43:44], v[37:38]
	ds_load_2addr_b64 v[12:15], v30 offset0:64 offset1:80
	s_wait_dscnt 0x0
	v_fma_f64 v[20:21], v[12:13], v[45:46], v[20:21]
	v_fma_f64 v[18:19], v[14:15], v[45:46], v[18:19]
	;; [unrolled: 6-line block ×3, first 2 shown]
	v_fma_f64 v[49:50], v[12:13], v[51:52], v[22:23]
	v_fma_f64 v[51:52], v[14:15], v[51:52], v[24:25]
	ds_load_b128 v[12:15], v31 offset:32
	ds_load_2addr_b64 v[18:21], v30 offset0:128 offset1:144
	ds_load_b128 v[22:25], v31 offset:1056
	ds_load_b128 v[37:40], v31 offset:48
	ds_load_b128 v[41:44], v31 offset:1072
	s_wait_dscnt 0x3
	v_fma_f64 v[45:46], v[18:19], v[12:13], v[45:46]
	v_fma_f64 v[12:13], v[20:21], v[12:13], v[47:48]
	s_wait_dscnt 0x2
	v_fma_f64 v[47:48], v[18:19], v[22:23], v[49:50]
	v_fma_f64 v[22:23], v[20:21], v[22:23], v[51:52]
	ds_load_2addr_b64 v[18:21], v30 offset0:160 offset1:176
	s_wait_dscnt 0x0
	v_fma_f64 v[45:46], v[18:19], v[14:15], v[45:46]
	v_fma_f64 v[49:50], v[20:21], v[14:15], v[12:13]
	;; [unrolled: 1-line block ×4, first 2 shown]
	ds_load_2addr_b64 v[12:15], v30 offset0:192 offset1:208
	ds_load_2addr_b64 v[22:25], v30 offset0:224 offset1:240
	s_wait_loadcnt_dscnt 0x0
	s_barrier_signal -1
	s_barrier_wait -1
	global_inv scope:SCOPE_SE
	v_fma_f64 v[45:46], v[12:13], v[37:38], v[45:46]
	v_fma_f64 v[37:38], v[14:15], v[37:38], v[49:50]
	;; [unrolled: 1-line block ×4, first 2 shown]
	s_delay_alu instid0(VALU_DEP_4) | instskip(NEXT) | instid1(VALU_DEP_4)
	v_fma_f64 v[20:21], v[22:23], v[39:40], v[45:46]
	v_fma_f64 v[18:19], v[24:25], v[39:40], v[37:38]
	s_delay_alu instid0(VALU_DEP_4) | instskip(NEXT) | instid1(VALU_DEP_4)
	v_fma_f64 v[14:15], v[22:23], v[43:44], v[12:13]
	v_fma_f64 v[12:13], v[24:25], v[43:44], v[41:42]
	s_wait_alu 0xfffe
	s_cbranch_vccz .LBB503_15
.LBB503_9:                              ;   Parent Loop BB503_6 Depth=1
                                        ; =>  This Inner Loop Header: Depth=2
	v_mov_b32_e32 v22, 0
	v_mov_b32_e32 v23, 0
	s_and_saveexec_b32 s22, s0
	s_cbranch_execz .LBB503_13
; %bb.10:                               ;   in Loop: Header=BB503_9 Depth=2
	v_mov_b32_e32 v22, 0
	s_wait_alu 0xfffe
	v_dual_mov_b32 v23, 0 :: v_dual_add_nc_u32 v2, s16, v27
	s_mov_b32 s23, exec_lo
	s_delay_alu instid0(VALU_DEP_1)
	v_cmpx_gt_u64_e64 s[8:9], v[2:3]
	s_cbranch_execz .LBB503_12
; %bb.11:                               ;   in Loop: Header=BB503_9 Depth=2
	v_lshlrev_b64_e32 v[22:23], 3, v[2:3]
	s_delay_alu instid0(VALU_DEP_1) | instskip(SKIP_1) | instid1(VALU_DEP_2)
	v_add_co_u32 v22, vcc_lo, v33, v22
	s_wait_alu 0xfffd
	v_add_co_ci_u32_e64 v23, null, v34, v23, vcc_lo
	flat_load_b64 v[22:23], v[22:23]
.LBB503_12:                             ;   in Loop: Header=BB503_9 Depth=2
	s_or_b32 exec_lo, exec_lo, s23
.LBB503_13:                             ;   in Loop: Header=BB503_9 Depth=2
	s_delay_alu instid0(SALU_CYCLE_1)
	s_or_b32 exec_lo, exec_lo, s22
	s_wait_alu 0xfffe
	v_add_nc_u32_e32 v2, s16, v26
	v_mov_b32_e32 v24, 0
	v_mov_b32_e32 v25, 0
	s_wait_loadcnt_dscnt 0x0
	ds_store_b64 v28, v[22:23]
	v_cmp_gt_u64_e32 vcc_lo, s[8:9], v[2:3]
	s_and_b32 s23, vcc_lo, s1
	s_delay_alu instid0(SALU_CYCLE_1)
	s_and_saveexec_b32 s22, s23
	s_cbranch_execz .LBB503_8
; %bb.14:                               ;   in Loop: Header=BB503_9 Depth=2
	v_mad_co_u64_u32 v[22:23], null, s20, v2, 0
	s_delay_alu instid0(VALU_DEP_1) | instskip(NEXT) | instid1(VALU_DEP_1)
	v_mad_co_u64_u32 v[23:24], null, s21, v2, v[23:24]
	v_lshlrev_b64_e32 v[22:23], 3, v[22:23]
	s_delay_alu instid0(VALU_DEP_1) | instskip(SKIP_1) | instid1(VALU_DEP_2)
	v_add_co_u32 v22, vcc_lo, v35, v22
	s_wait_alu 0xfffd
	v_add_co_ci_u32_e64 v23, null, v36, v23, vcc_lo
	flat_load_b64 v[24:25], v[22:23]
	s_branch .LBB503_8
.LBB503_15:                             ;   in Loop: Header=BB503_6 Depth=1
	s_wait_loadcnt 0x0
	s_wait_alu 0xfffe
	v_add_co_u32 v2, vcc_lo, v16, s14
	s_wait_alu 0xfffd
	v_add_co_ci_u32_e64 v22, null, s15, v17, vcc_lo
	s_delay_alu instid0(VALU_DEP_2) | instskip(SKIP_1) | instid1(VALU_DEP_2)
	v_add_co_u32 v23, vcc_lo, v2, v8
	s_wait_alu 0xfffd
	v_add_co_ci_u32_e64 v24, null, v22, v9, vcc_lo
	s_and_saveexec_b32 s16, s28
	s_cbranch_execz .LBB503_19
; %bb.16:                               ;   in Loop: Header=BB503_6 Depth=1
	v_mul_f64_e32 v[16:17], s[10:11], v[20:21]
	s_and_b32 vcc_lo, exec_lo, s34
	s_wait_alu 0xfffe
	s_cbranch_vccz .LBB503_30
; %bb.17:                               ;   in Loop: Header=BB503_6 Depth=1
	v_lshlrev_b64_e32 v[20:21], 3, v[0:1]
	s_delay_alu instid0(VALU_DEP_1) | instskip(SKIP_1) | instid1(VALU_DEP_2)
	v_add_co_u32 v20, vcc_lo, v23, v20
	s_wait_alu 0xfffd
	v_add_co_ci_u32_e64 v21, null, v24, v21, vcc_lo
	flat_load_b64 v[33:34], v[20:21]
	s_wait_loadcnt_dscnt 0x0
	v_fma_f64 v[33:34], s[24:25], v[33:34], v[16:17]
	flat_store_b64 v[20:21], v[33:34]
	s_cbranch_execnz .LBB503_19
.LBB503_18:                             ;   in Loop: Header=BB503_6 Depth=1
	v_lshlrev_b64_e32 v[20:21], 3, v[0:1]
	s_delay_alu instid0(VALU_DEP_1) | instskip(SKIP_1) | instid1(VALU_DEP_2)
	v_add_co_u32 v20, vcc_lo, v23, v20
	s_wait_alu 0xfffd
	v_add_co_ci_u32_e64 v21, null, v24, v21, vcc_lo
	flat_store_b64 v[20:21], v[16:17]
.LBB503_19:                             ;   in Loop: Header=BB503_6 Depth=1
	s_wait_alu 0xfffe
	s_or_b32 exec_lo, exec_lo, s16
	s_and_saveexec_b32 s16, s29
	s_cbranch_execz .LBB503_23
; %bb.20:                               ;   in Loop: Header=BB503_6 Depth=1
	v_mul_f64_e32 v[16:17], s[10:11], v[18:19]
	s_and_not1_b32 vcc_lo, exec_lo, s34
	s_wait_alu 0xfffe
	s_cbranch_vccnz .LBB503_31
; %bb.21:                               ;   in Loop: Header=BB503_6 Depth=1
	v_lshlrev_b64_e32 v[18:19], 3, v[4:5]
	s_delay_alu instid0(VALU_DEP_1) | instskip(SKIP_1) | instid1(VALU_DEP_2)
	v_add_co_u32 v18, vcc_lo, v23, v18
	s_wait_alu 0xfffd
	v_add_co_ci_u32_e64 v19, null, v24, v19, vcc_lo
	flat_load_b64 v[20:21], v[18:19]
	s_wait_loadcnt_dscnt 0x0
	v_fma_f64 v[20:21], s[24:25], v[20:21], v[16:17]
	flat_store_b64 v[18:19], v[20:21]
	s_cbranch_execnz .LBB503_23
.LBB503_22:                             ;   in Loop: Header=BB503_6 Depth=1
	v_lshlrev_b64_e32 v[18:19], 3, v[4:5]
	s_delay_alu instid0(VALU_DEP_1) | instskip(SKIP_1) | instid1(VALU_DEP_2)
	v_add_co_u32 v18, vcc_lo, v23, v18
	s_wait_alu 0xfffd
	v_add_co_ci_u32_e64 v19, null, v24, v19, vcc_lo
	flat_store_b64 v[18:19], v[16:17]
.LBB503_23:                             ;   in Loop: Header=BB503_6 Depth=1
	s_wait_alu 0xfffe
	s_or_b32 exec_lo, exec_lo, s16
	v_add_co_u32 v2, vcc_lo, v2, v10
	s_wait_alu 0xfffd
	v_add_co_ci_u32_e64 v18, null, v22, v11, vcc_lo
	s_and_saveexec_b32 s16, s35
	s_cbranch_execz .LBB503_27
; %bb.24:                               ;   in Loop: Header=BB503_6 Depth=1
	v_mul_f64_e32 v[14:15], s[10:11], v[14:15]
	v_lshlrev_b64_e32 v[16:17], 3, v[0:1]
	s_and_not1_b32 vcc_lo, exec_lo, s34
	s_wait_alu 0xfffe
	s_cbranch_vccnz .LBB503_32
; %bb.25:                               ;   in Loop: Header=BB503_6 Depth=1
	s_delay_alu instid0(VALU_DEP_1)
	v_add_co_u32 v19, vcc_lo, v2, v16
	s_wait_alu 0xfffd
	v_add_co_ci_u32_e64 v20, null, v18, v17, vcc_lo
	flat_load_b64 v[21:22], v[19:20]
	s_wait_loadcnt_dscnt 0x0
	v_fma_f64 v[21:22], s[24:25], v[21:22], v[14:15]
	flat_store_b64 v[19:20], v[21:22]
	s_cbranch_execnz .LBB503_27
.LBB503_26:                             ;   in Loop: Header=BB503_6 Depth=1
	s_delay_alu instid0(VALU_DEP_1)
	v_add_co_u32 v16, vcc_lo, v2, v16
	s_wait_alu 0xfffd
	v_add_co_ci_u32_e64 v17, null, v18, v17, vcc_lo
	flat_store_b64 v[16:17], v[14:15]
.LBB503_27:                             ;   in Loop: Header=BB503_6 Depth=1
	s_wait_alu 0xfffe
	s_or_b32 exec_lo, exec_lo, s16
	s_and_saveexec_b32 s16, s36
	s_cbranch_execz .LBB503_5
; %bb.28:                               ;   in Loop: Header=BB503_6 Depth=1
	v_mul_f64_e32 v[12:13], s[10:11], v[12:13]
	v_lshlrev_b64_e32 v[14:15], 3, v[4:5]
	s_and_not1_b32 vcc_lo, exec_lo, s34
	s_wait_alu 0xfffe
	s_cbranch_vccnz .LBB503_33
; %bb.29:                               ;   in Loop: Header=BB503_6 Depth=1
	s_delay_alu instid0(VALU_DEP_1)
	v_add_co_u32 v16, vcc_lo, v2, v14
	s_wait_alu 0xfffd
	v_add_co_ci_u32_e64 v17, null, v18, v15, vcc_lo
	flat_load_b64 v[19:20], v[16:17]
	s_wait_loadcnt_dscnt 0x0
	v_fma_f64 v[19:20], s[24:25], v[19:20], v[12:13]
	flat_store_b64 v[16:17], v[19:20]
	s_cbranch_execnz .LBB503_5
	s_branch .LBB503_34
.LBB503_30:                             ;   in Loop: Header=BB503_6 Depth=1
	s_branch .LBB503_18
.LBB503_31:                             ;   in Loop: Header=BB503_6 Depth=1
	s_branch .LBB503_22
.LBB503_32:                             ;   in Loop: Header=BB503_6 Depth=1
	s_branch .LBB503_26
.LBB503_33:                             ;   in Loop: Header=BB503_6 Depth=1
.LBB503_34:                             ;   in Loop: Header=BB503_6 Depth=1
	s_delay_alu instid0(VALU_DEP_1)
	v_add_co_u32 v14, vcc_lo, v2, v14
	s_wait_alu 0xfffd
	v_add_co_ci_u32_e64 v15, null, v18, v15, vcc_lo
	flat_store_b64 v[14:15], v[12:13]
	s_branch .LBB503_5
.LBB503_35:
	s_endpgm
	.section	.rodata,"a",@progbits
	.p2align	6, 0x0
	.amdhsa_kernel _ZL29rocblas_internal_gemmt_kernelIlLi16ELi32ELi8ELc67ELc67ELc76ELb0ELb0EddPKPKdPKPdEviT_T9_T10_S7_lS9_S7_lS8_T11_S7_li
		.amdhsa_group_segment_fixed_size 4096
		.amdhsa_private_segment_fixed_size 0
		.amdhsa_kernarg_size 108
		.amdhsa_user_sgpr_count 2
		.amdhsa_user_sgpr_dispatch_ptr 0
		.amdhsa_user_sgpr_queue_ptr 0
		.amdhsa_user_sgpr_kernarg_segment_ptr 1
		.amdhsa_user_sgpr_dispatch_id 0
		.amdhsa_user_sgpr_private_segment_size 0
		.amdhsa_wavefront_size32 1
		.amdhsa_uses_dynamic_stack 0
		.amdhsa_enable_private_segment 0
		.amdhsa_system_sgpr_workgroup_id_x 1
		.amdhsa_system_sgpr_workgroup_id_y 1
		.amdhsa_system_sgpr_workgroup_id_z 1
		.amdhsa_system_sgpr_workgroup_info 0
		.amdhsa_system_vgpr_workitem_id 1
		.amdhsa_next_free_vgpr 53
		.amdhsa_next_free_sgpr 39
		.amdhsa_reserve_vcc 1
		.amdhsa_float_round_mode_32 0
		.amdhsa_float_round_mode_16_64 0
		.amdhsa_float_denorm_mode_32 3
		.amdhsa_float_denorm_mode_16_64 3
		.amdhsa_fp16_overflow 0
		.amdhsa_workgroup_processor_mode 1
		.amdhsa_memory_ordered 1
		.amdhsa_forward_progress 1
		.amdhsa_inst_pref_size 17
		.amdhsa_round_robin_scheduling 0
		.amdhsa_exception_fp_ieee_invalid_op 0
		.amdhsa_exception_fp_denorm_src 0
		.amdhsa_exception_fp_ieee_div_zero 0
		.amdhsa_exception_fp_ieee_overflow 0
		.amdhsa_exception_fp_ieee_underflow 0
		.amdhsa_exception_fp_ieee_inexact 0
		.amdhsa_exception_int_div_zero 0
	.end_amdhsa_kernel
	.section	.text._ZL29rocblas_internal_gemmt_kernelIlLi16ELi32ELi8ELc67ELc67ELc76ELb0ELb0EddPKPKdPKPdEviT_T9_T10_S7_lS9_S7_lS8_T11_S7_li,"axG",@progbits,_ZL29rocblas_internal_gemmt_kernelIlLi16ELi32ELi8ELc67ELc67ELc76ELb0ELb0EddPKPKdPKPdEviT_T9_T10_S7_lS9_S7_lS8_T11_S7_li,comdat
.Lfunc_end503:
	.size	_ZL29rocblas_internal_gemmt_kernelIlLi16ELi32ELi8ELc67ELc67ELc76ELb0ELb0EddPKPKdPKPdEviT_T9_T10_S7_lS9_S7_lS8_T11_S7_li, .Lfunc_end503-_ZL29rocblas_internal_gemmt_kernelIlLi16ELi32ELi8ELc67ELc67ELc76ELb0ELb0EddPKPKdPKPdEviT_T9_T10_S7_lS9_S7_lS8_T11_S7_li
                                        ; -- End function
	.set _ZL29rocblas_internal_gemmt_kernelIlLi16ELi32ELi8ELc67ELc67ELc76ELb0ELb0EddPKPKdPKPdEviT_T9_T10_S7_lS9_S7_lS8_T11_S7_li.num_vgpr, 53
	.set _ZL29rocblas_internal_gemmt_kernelIlLi16ELi32ELi8ELc67ELc67ELc76ELb0ELb0EddPKPKdPKPdEviT_T9_T10_S7_lS9_S7_lS8_T11_S7_li.num_agpr, 0
	.set _ZL29rocblas_internal_gemmt_kernelIlLi16ELi32ELi8ELc67ELc67ELc76ELb0ELb0EddPKPKdPKPdEviT_T9_T10_S7_lS9_S7_lS8_T11_S7_li.numbered_sgpr, 39
	.set _ZL29rocblas_internal_gemmt_kernelIlLi16ELi32ELi8ELc67ELc67ELc76ELb0ELb0EddPKPKdPKPdEviT_T9_T10_S7_lS9_S7_lS8_T11_S7_li.num_named_barrier, 0
	.set _ZL29rocblas_internal_gemmt_kernelIlLi16ELi32ELi8ELc67ELc67ELc76ELb0ELb0EddPKPKdPKPdEviT_T9_T10_S7_lS9_S7_lS8_T11_S7_li.private_seg_size, 0
	.set _ZL29rocblas_internal_gemmt_kernelIlLi16ELi32ELi8ELc67ELc67ELc76ELb0ELb0EddPKPKdPKPdEviT_T9_T10_S7_lS9_S7_lS8_T11_S7_li.uses_vcc, 1
	.set _ZL29rocblas_internal_gemmt_kernelIlLi16ELi32ELi8ELc67ELc67ELc76ELb0ELb0EddPKPKdPKPdEviT_T9_T10_S7_lS9_S7_lS8_T11_S7_li.uses_flat_scratch, 0
	.set _ZL29rocblas_internal_gemmt_kernelIlLi16ELi32ELi8ELc67ELc67ELc76ELb0ELb0EddPKPKdPKPdEviT_T9_T10_S7_lS9_S7_lS8_T11_S7_li.has_dyn_sized_stack, 0
	.set _ZL29rocblas_internal_gemmt_kernelIlLi16ELi32ELi8ELc67ELc67ELc76ELb0ELb0EddPKPKdPKPdEviT_T9_T10_S7_lS9_S7_lS8_T11_S7_li.has_recursion, 0
	.set _ZL29rocblas_internal_gemmt_kernelIlLi16ELi32ELi8ELc67ELc67ELc76ELb0ELb0EddPKPKdPKPdEviT_T9_T10_S7_lS9_S7_lS8_T11_S7_li.has_indirect_call, 0
	.section	.AMDGPU.csdata,"",@progbits
; Kernel info:
; codeLenInByte = 2120
; TotalNumSgprs: 41
; NumVgprs: 53
; ScratchSize: 0
; MemoryBound: 0
; FloatMode: 240
; IeeeMode: 1
; LDSByteSize: 4096 bytes/workgroup (compile time only)
; SGPRBlocks: 0
; VGPRBlocks: 6
; NumSGPRsForWavesPerEU: 41
; NumVGPRsForWavesPerEU: 53
; Occupancy: 16
; WaveLimiterHint : 1
; COMPUTE_PGM_RSRC2:SCRATCH_EN: 0
; COMPUTE_PGM_RSRC2:USER_SGPR: 2
; COMPUTE_PGM_RSRC2:TRAP_HANDLER: 0
; COMPUTE_PGM_RSRC2:TGID_X_EN: 1
; COMPUTE_PGM_RSRC2:TGID_Y_EN: 1
; COMPUTE_PGM_RSRC2:TGID_Z_EN: 1
; COMPUTE_PGM_RSRC2:TIDIG_COMP_CNT: 1
	.section	.text._ZL29rocblas_internal_gemmt_kernelIlLi16ELi32ELi8ELc78ELc78ELc85ELb0ELb0E19rocblas_complex_numIfEPKS1_PKS3_PKPS1_EviT_T9_T10_S9_lSB_S9_lSA_T11_S9_li,"axG",@progbits,_ZL29rocblas_internal_gemmt_kernelIlLi16ELi32ELi8ELc78ELc78ELc85ELb0ELb0E19rocblas_complex_numIfEPKS1_PKS3_PKPS1_EviT_T9_T10_S9_lSB_S9_lSA_T11_S9_li,comdat
	.globl	_ZL29rocblas_internal_gemmt_kernelIlLi16ELi32ELi8ELc78ELc78ELc85ELb0ELb0E19rocblas_complex_numIfEPKS1_PKS3_PKPS1_EviT_T9_T10_S9_lSB_S9_lSA_T11_S9_li ; -- Begin function _ZL29rocblas_internal_gemmt_kernelIlLi16ELi32ELi8ELc78ELc78ELc85ELb0ELb0E19rocblas_complex_numIfEPKS1_PKS3_PKPS1_EviT_T9_T10_S9_lSB_S9_lSA_T11_S9_li
	.p2align	8
	.type	_ZL29rocblas_internal_gemmt_kernelIlLi16ELi32ELi8ELc78ELc78ELc85ELb0ELb0E19rocblas_complex_numIfEPKS1_PKS3_PKPS1_EviT_T9_T10_S9_lSB_S9_lSA_T11_S9_li,@function
_ZL29rocblas_internal_gemmt_kernelIlLi16ELi32ELi8ELc78ELc78ELc85ELb0ELb0E19rocblas_complex_numIfEPKS1_PKS3_PKPS1_EviT_T9_T10_S9_lSB_S9_lSA_T11_S9_li: ; @_ZL29rocblas_internal_gemmt_kernelIlLi16ELi32ELi8ELc78ELc78ELc85ELb0ELb0E19rocblas_complex_numIfEPKS1_PKS3_PKPS1_EviT_T9_T10_S9_lSB_S9_lSA_T11_S9_li
; %bb.0:
	s_load_b256 s[24:31], s[0:1], 0x48
	s_wait_kmcnt 0x0
	s_load_b64 s[6:7], s[24:25], 0x0
	s_load_b512 s[8:23], s[0:1], 0x8
	s_wait_kmcnt 0x0
	s_cmp_eq_f32 s6, 1.0
	s_load_b64 s[10:11], s[10:11], 0x0
	s_cselect_b32 s2, -1, 0
	s_and_b32 s3, s7, 0x7fffffff
	s_delay_alu instid0(SALU_CYCLE_1) | instskip(SKIP_1) | instid1(SALU_CYCLE_1)
	s_cmp_eq_u32 s3, 0
	s_cselect_b32 s3, -1, 0
	s_and_b32 s4, s2, s3
	s_mov_b32 s2, 0
	s_and_not1_b32 vcc_lo, exec_lo, s4
	s_mov_b32 s4, -1
	s_cbranch_vccnz .LBB504_4
; %bb.1:
	s_cmp_lg_u64 s[8:9], 0
	s_cbranch_scc0 .LBB504_3
; %bb.2:
	s_wait_kmcnt 0x0
	s_cmp_neq_f32 s10, 0
	s_cselect_b32 s2, -1, 0
	s_cmp_neq_f32 s11, 0
	s_cselect_b32 s4, -1, 0
	s_delay_alu instid0(SALU_CYCLE_1)
	s_or_b32 s2, s2, s4
.LBB504_3:
	s_delay_alu instid0(SALU_CYCLE_1)
	s_mov_b32 s4, s2
.LBB504_4:
	s_delay_alu instid0(SALU_CYCLE_1)
	s_and_b32 vcc_lo, exec_lo, s4
	s_cbranch_vccz .LBB504_42
; %bb.5:
	s_load_b32 s33, s[0:1], 0x68
	s_lshr_b32 s24, ttmp7, 16
	s_wait_kmcnt 0x0
	s_cmp_ge_u32 s24, s33
	s_cbranch_scc1 .LBB504_42
; %bb.6:
	v_bfe_u32 v11, v0, 10, 10
	s_load_b32 s4, s[0:1], 0x0
	s_lshl_b32 s1, ttmp7, 5
	v_and_b32_e32 v1, 0x3ff, v0
	s_and_b32 s1, s1, 0x1fffe0
	s_lshl_b32 s0, ttmp9, 5
	v_add_nc_u32_e32 v13, s1, v11
	s_cmp_neq_f32 s10, 0
	v_lshlrev_b32_e32 v19, 3, v1
	v_add_nc_u32_e32 v10, s0, v1
	v_lshl_add_u32 v23, v11, 6, 0x800
	v_mad_co_u64_u32 v[6:7], null, s28, v13, 0
	v_and_b32_e32 v18, 7, v0
	v_lshl_add_u32 v0, v11, 4, v1
	v_cmp_gt_i64_e64 s36, s[8:9], 0
	s_mov_b32 s25, 0
	v_lshrrev_b32_e32 v3, 3, v0
	v_lshrrev_b32_e32 v20, 5, v0
	v_and_b32_e32 v1, 31, v0
	s_delay_alu instid0(VALU_DEP_3) | instskip(SKIP_1) | instid1(VALU_DEP_2)
	v_add_nc_u32_e32 v9, s1, v3
	s_cselect_b32 s1, -1, 0
	v_or_b32_e32 v2, s0, v1
	s_cmp_neq_f32 s11, 0
	s_delay_alu instid0(VALU_DEP_2)
	v_mad_co_u64_u32 v[4:5], null, s20, v9, 0
	s_wait_kmcnt 0x0
	v_cmp_gt_i32_e32 vcc_lo, s4, v9
	s_cselect_b32 s2, -1, 0
	v_cmp_gt_i32_e64 s0, s4, v2
	s_wait_alu 0xfffe
	s_or_b32 s20, s1, s2
	v_cmp_gt_i32_e64 s1, s4, v13
	s_cmp_neq_f32 s6, 0
	v_dual_mov_b32 v0, v5 :: v_dual_lshlrev_b32 v5, 3, v1
	v_cmp_le_i32_e64 s34, s4, v2
	s_delay_alu instid0(VALU_DEP_2) | instskip(SKIP_1) | instid1(VALU_DEP_4)
	v_mad_co_u64_u32 v[0:1], null, s21, v9, v[0:1]
	v_dual_mov_b32 v1, v7 :: v_dual_lshlrev_b32 v8, 3, v18
	v_lshl_or_b32 v21, v20, 8, v5
	s_cselect_b32 s21, -1, 0
	s_xor_b32 s37, s3, -1
	s_wait_alu 0xfffe
	s_and_b32 s36, s20, s36
	s_delay_alu instid0(VALU_DEP_3)
	v_mov_b32_e32 v5, v0
	v_mad_co_u64_u32 v[0:1], null, s29, v13, v[1:2]
	v_add_nc_u32_e32 v14, 16, v13
	v_lshl_or_b32 v8, v3, 6, v8
	v_ashrrev_i32_e32 v3, 31, v2
	v_lshlrev_b64_e32 v[4:5], 3, v[4:5]
	s_delay_alu instid0(VALU_DEP_3) | instskip(SKIP_2) | instid1(VALU_DEP_3)
	v_dual_mov_b32 v7, v0 :: v_dual_add_nc_u32 v22, 0x800, v8
	v_mad_co_u64_u32 v[8:9], null, s28, v14, 0
	v_cmp_gt_i32_e64 s3, s4, v14
	v_lshlrev_b64_e32 v[6:7], 3, v[6:7]
	s_delay_alu instid0(VALU_DEP_3)
	v_mov_b32_e32 v1, v9
	v_cmp_le_i32_e64 s2, v10, v13
	v_add_nc_u32_e32 v12, 16, v10
	v_ashrrev_i32_e32 v11, 31, v10
	v_cmp_le_i32_e64 s4, v10, v14
	v_mad_co_u64_u32 v[0:1], null, s29, v14, v[1:2]
	s_and_b32 s28, s1, s2
	v_mov_b32_e32 v1, 0
	v_cmp_le_i32_e64 s2, v12, v13
	v_ashrrev_i32_e32 v13, 31, v12
	v_cmp_le_i32_e64 s5, v12, v14
	v_lshlrev_b64_e32 v[2:3], 3, v[2:3]
	v_mov_b32_e32 v9, v0
	v_lshlrev_b64_e32 v[10:11], 3, v[10:11]
	v_lshlrev_b64_e32 v[12:13], 3, v[12:13]
	s_and_b32 s1, s1, s2
	s_and_b32 s29, s3, s4
	v_lshlrev_b64_e32 v[8:9], 3, v[8:9]
	s_and_b32 s35, s3, s5
	s_lshl_b64 s[2:3], s[22:23], 3
	s_or_b32 s22, s21, s37
	s_lshl_b64 s[4:5], s[16:17], 3
	s_xor_b32 s23, vcc_lo, -1
	s_lshl_b64 s[16:17], s[30:31], 3
                                        ; implicit-def: $vgpr14_vgpr15
	s_branch .LBB504_8
.LBB504_7:                              ;   in Loop: Header=BB504_8 Depth=1
	s_wait_alu 0xfffe
	s_or_b32 exec_lo, exec_lo, s20
	s_add_co_i32 s24, s24, 0x10000
	s_delay_alu instid0(SALU_CYCLE_1)
	s_cmp_lt_u32 s24, s33
	s_cbranch_scc0 .LBB504_42
.LBB504_8:                              ; =>This Loop Header: Depth=1
                                        ;     Child Loop BB504_11 Depth 2
	s_lshl_b64 s[20:21], s[24:25], 3
	s_and_not1_b32 vcc_lo, exec_lo, s36
	s_wait_alu 0xfffe
	s_add_nc_u64 s[30:31], s[26:27], s[20:21]
	global_load_b64 v[16:17], v1, s[30:31]
	s_cbranch_vccnz .LBB504_21
; %bb.9:                                ;   in Loop: Header=BB504_8 Depth=1
	s_add_nc_u64 s[30:31], s[12:13], s[20:21]
	s_add_nc_u64 s[20:21], s[18:19], s[20:21]
	s_clause 0x1
	global_load_b64 v[24:25], v1, s[30:31]
	global_load_b64 v[26:27], v1, s[20:21]
	v_dual_mov_b32 v28, 0 :: v_dual_mov_b32 v29, 0
	v_dual_mov_b32 v31, 0 :: v_dual_mov_b32 v30, 0
	;; [unrolled: 1-line block ×4, first 2 shown]
	s_mov_b64 s[20:21], 0
	s_wait_loadcnt 0x1
	v_add_co_u32 v0, vcc_lo, v24, s4
	s_wait_alu 0xfffd
	v_add_co_ci_u32_e64 v25, null, s5, v25, vcc_lo
	s_wait_loadcnt 0x0
	v_add_co_u32 v26, vcc_lo, v26, s2
	s_wait_alu 0xfffd
	v_add_co_ci_u32_e64 v27, null, s3, v27, vcc_lo
	v_add_co_u32 v24, vcc_lo, v0, v2
	s_wait_alu 0xfffd
	v_add_co_ci_u32_e64 v25, null, v25, v3, vcc_lo
	;; [unrolled: 3-line block ×3, first 2 shown]
	s_branch .LBB504_11
.LBB504_10:                             ;   in Loop: Header=BB504_11 Depth=2
	s_or_b32 exec_lo, exec_lo, s30
	s_wait_dscnt 0x0
	s_barrier_signal -1
	s_barrier_wait -1
	global_inv scope:SCOPE_SE
	ds_load_b128 v[36:39], v23
	ds_load_2addr_b64 v[40:43], v19 offset1:16
	ds_load_b128 v[44:47], v23 offset:1024
	ds_load_b128 v[48:51], v23 offset:16
	;; [unrolled: 1-line block ×4, first 2 shown]
	ds_load_2addr_b64 v[60:63], v19 offset0:32 offset1:48
	ds_load_b128 v[64:67], v23 offset:1040
	s_add_nc_u64 s[20:21], s[20:21], 8
	s_wait_alu 0xfffe
	v_cmp_gt_i64_e64 s30, s[8:9], s[20:21]
	s_and_b32 vcc_lo, exec_lo, s30
	s_wait_dscnt 0x6
	v_mul_f32_e32 v0, v37, v41
	v_dual_mul_f32 v68, v36, v41 :: v_dual_mul_f32 v69, v37, v43
	s_wait_dscnt 0x5
	v_dual_mul_f32 v70, v36, v43 :: v_dual_mul_f32 v71, v45, v41
	v_dual_mul_f32 v41, v44, v41 :: v_dual_mul_f32 v72, v45, v43
	v_mul_f32_e32 v43, v44, v43
	v_fma_f32 v0, v36, v40, -v0
	v_fma_f32 v36, v36, v42, -v69
	v_fmac_f32_e32 v70, v37, v42
	v_fmac_f32_e32 v41, v45, v40
	;; [unrolled: 1-line block ×3, first 2 shown]
	v_fma_f32 v37, v44, v40, -v71
	v_fma_f32 v40, v44, v42, -v72
	v_dual_add_f32 v0, v34, v0 :: v_dual_fmac_f32 v43, v45, v42
	s_delay_alu instid0(VALU_DEP_4) | instskip(NEXT) | instid1(VALU_DEP_4)
	v_add_f32_e32 v34, v35, v68
	v_dual_add_f32 v35, v32, v36 :: v_dual_add_f32 v36, v30, v37
	v_add_f32_e32 v37, v31, v41
	s_wait_dscnt 0x1
	v_dual_mul_f32 v41, v39, v61 :: v_dual_add_f32 v40, v29, v40
	ds_load_2addr_b64 v[29:32], v19 offset0:64 offset1:80
	v_dual_add_f32 v33, v33, v70 :: v_dual_mul_f32 v44, v39, v63
	v_fma_f32 v41, v38, v60, -v41
	v_add_f32_e32 v28, v28, v43
	s_delay_alu instid0(VALU_DEP_2) | instskip(NEXT) | instid1(VALU_DEP_1)
	v_dual_mul_f32 v43, v38, v63 :: v_dual_add_f32 v0, v0, v41
	v_dual_mul_f32 v42, v38, v61 :: v_dual_fmac_f32 v43, v39, v62
	v_fma_f32 v38, v38, v62, -v44
	v_mul_f32_e32 v41, v47, v61
	s_delay_alu instid0(VALU_DEP_3) | instskip(SKIP_1) | instid1(VALU_DEP_4)
	v_fmac_f32_e32 v42, v39, v60
	v_mul_f32_e32 v39, v47, v63
	v_add_f32_e32 v38, v35, v38
	s_delay_alu instid0(VALU_DEP_4) | instskip(NEXT) | instid1(VALU_DEP_4)
	v_fma_f32 v35, v46, v60, -v41
	v_dual_add_f32 v41, v33, v43 :: v_dual_add_f32 v42, v34, v42
	v_mul_f32_e32 v43, v46, v63
	v_mul_f32_e32 v34, v46, v61
	v_fma_f32 v33, v46, v62, -v39
	s_wait_dscnt 0x0
	v_mul_f32_e32 v39, v48, v30
	v_fmac_f32_e32 v43, v47, v62
	v_fmac_f32_e32 v34, v47, v60
	v_dual_add_f32 v44, v36, v35 :: v_dual_mul_f32 v35, v49, v30
	s_delay_alu instid0(VALU_DEP_3) | instskip(NEXT) | instid1(VALU_DEP_3)
	v_dual_mul_f32 v46, v49, v32 :: v_dual_add_f32 v43, v28, v43
	v_add_f32_e32 v37, v37, v34
	v_dual_fmac_f32 v39, v49, v29 :: v_dual_mul_f32 v28, v48, v32
	v_add_f32_e32 v40, v40, v33
	v_fma_f32 v45, v48, v29, -v35
	ds_load_2addr_b64 v[33:36], v19 offset0:96 offset1:112
	v_add_f32_e32 v39, v42, v39
	v_fmac_f32_e32 v28, v49, v31
	v_add_f32_e32 v0, v0, v45
	v_fma_f32 v45, v48, v31, -v46
	s_delay_alu instid0(VALU_DEP_1) | instskip(SKIP_2) | instid1(VALU_DEP_2)
	v_dual_add_f32 v41, v41, v28 :: v_dual_add_f32 v38, v38, v45
	v_mul_f32_e32 v45, v65, v32
	v_mul_f32_e32 v32, v64, v32
	v_fma_f32 v28, v64, v31, -v45
	v_mul_f32_e32 v42, v65, v30
	s_delay_alu instid0(VALU_DEP_3)
	v_fmac_f32_e32 v32, v65, v31
	s_wait_dscnt 0x0
	v_dual_mul_f32 v30, v64, v30 :: v_dual_mul_f32 v49, v67, v36
	v_add_f32_e32 v45, v40, v28
	v_fma_f32 v42, v64, v29, -v42
	v_dual_mul_f32 v40, v50, v34 :: v_dual_add_f32 v43, v43, v32
	s_delay_alu instid0(VALU_DEP_4) | instskip(SKIP_1) | instid1(VALU_DEP_3)
	v_fmac_f32_e32 v30, v65, v29
	v_mul_f32_e32 v32, v50, v36
	v_fmac_f32_e32 v40, v51, v33
	v_add_f32_e32 v42, v44, v42
	s_delay_alu instid0(VALU_DEP_4)
	v_add_f32_e32 v44, v37, v30
	ds_load_2addr_b64 v[28:31], v19 offset0:128 offset1:144
	v_mul_f32_e32 v37, v51, v34
	v_mul_f32_e32 v46, v51, v36
	v_fmac_f32_e32 v32, v51, v35
	v_mul_f32_e32 v36, v66, v36
	s_delay_alu instid0(VALU_DEP_4) | instskip(NEXT) | instid1(VALU_DEP_1)
	v_fma_f32 v37, v50, v33, -v37
	v_dual_add_f32 v0, v0, v37 :: v_dual_mul_f32 v37, v67, v34
	v_mul_f32_e32 v34, v66, v34
	s_delay_alu instid0(VALU_DEP_2)
	v_fma_f32 v48, v66, v33, -v37
	s_wait_dscnt 0x0
	v_mul_f32_e32 v51, v52, v29
	v_fma_f32 v46, v50, v35, -v46
	v_add_f32_e32 v50, v41, v32
	v_fma_f32 v32, v66, v35, -v49
	s_delay_alu instid0(VALU_DEP_4) | instskip(NEXT) | instid1(VALU_DEP_4)
	v_fmac_f32_e32 v51, v53, v28
	v_dual_add_f32 v47, v39, v40 :: v_dual_add_f32 v46, v38, v46
	ds_load_b128 v[37:40], v23 offset:1056
	v_fmac_f32_e32 v34, v67, v33
	v_mul_f32_e32 v33, v53, v29
	v_dual_add_f32 v45, v45, v32 :: v_dual_fmac_f32 v36, v67, v35
	v_dual_add_f32 v47, v47, v51 :: v_dual_add_f32 v48, v42, v48
	s_delay_alu instid0(VALU_DEP_4) | instskip(NEXT) | instid1(VALU_DEP_4)
	v_add_f32_e32 v49, v44, v34
	v_fma_f32 v41, v52, v28, -v33
	ds_load_2addr_b64 v[32:35], v19 offset0:160 offset1:176
	v_mul_f32_e32 v42, v53, v31
	v_add_f32_e32 v36, v43, v36
	v_add_f32_e32 v0, v0, v41
	s_delay_alu instid0(VALU_DEP_3)
	v_fma_f32 v60, v52, v30, -v42
	v_mul_f32_e32 v52, v52, v31
	ds_load_b128 v[41:44], v23 offset:1072
	s_wait_dscnt 0x2
	v_mul_f32_e32 v61, v38, v29
	v_mul_f32_e32 v29, v37, v29
	v_dual_fmac_f32 v52, v53, v30 :: v_dual_mul_f32 v53, v38, v31
	s_delay_alu instid0(VALU_DEP_3) | instskip(NEXT) | instid1(VALU_DEP_3)
	v_fma_f32 v51, v37, v28, -v61
	v_fmac_f32_e32 v29, v38, v28
	s_delay_alu instid0(VALU_DEP_3) | instskip(SKIP_2) | instid1(VALU_DEP_4)
	v_add_f32_e32 v50, v50, v52
	v_mul_f32_e32 v52, v37, v31
	v_fma_f32 v28, v37, v30, -v53
	v_add_f32_e32 v37, v49, v29
	s_wait_dscnt 0x1
	s_delay_alu instid0(VALU_DEP_3) | instskip(NEXT) | instid1(VALU_DEP_3)
	v_dual_mul_f32 v49, v55, v33 :: v_dual_fmac_f32 v52, v38, v30
	v_add_f32_e32 v45, v45, v28
	ds_load_2addr_b64 v[28:31], v19 offset0:192 offset1:208
	v_mul_f32_e32 v38, v54, v33
	v_fma_f32 v49, v54, v32, -v49
	v_add_f32_e32 v46, v46, v60
	s_delay_alu instid0(VALU_DEP_3) | instskip(NEXT) | instid1(VALU_DEP_1)
	v_fmac_f32_e32 v38, v55, v32
	v_dual_add_f32 v0, v0, v49 :: v_dual_add_f32 v47, v47, v38
	v_add_f32_e32 v48, v48, v51
	v_dual_mul_f32 v51, v55, v35 :: v_dual_mul_f32 v38, v40, v33
	v_mul_f32_e32 v33, v39, v33
	s_delay_alu instid0(VALU_DEP_2) | instskip(NEXT) | instid1(VALU_DEP_3)
	v_fma_f32 v49, v54, v34, -v51
	v_fma_f32 v38, v39, v32, -v38
	s_delay_alu instid0(VALU_DEP_3) | instskip(NEXT) | instid1(VALU_DEP_3)
	v_dual_fmac_f32 v33, v40, v32 :: v_dual_mul_f32 v32, v39, v35
	v_dual_add_f32 v46, v46, v49 :: v_dual_mul_f32 v49, v40, v35
	s_delay_alu instid0(VALU_DEP_2) | instskip(SKIP_1) | instid1(VALU_DEP_4)
	v_dual_add_f32 v52, v36, v52 :: v_dual_add_f32 v33, v37, v33
	v_mul_f32_e32 v36, v54, v35
	v_fmac_f32_e32 v32, v40, v34
	s_delay_alu instid0(VALU_DEP_4) | instskip(SKIP_1) | instid1(VALU_DEP_3)
	v_fma_f32 v35, v39, v34, -v49
	s_wait_dscnt 0x0
	v_dual_mul_f32 v49, v42, v29 :: v_dual_fmac_f32 v36, v55, v34
	s_delay_alu instid0(VALU_DEP_2) | instskip(SKIP_1) | instid1(VALU_DEP_2)
	v_dual_add_f32 v34, v45, v35 :: v_dual_mul_f32 v35, v56, v29
	v_mul_f32_e32 v45, v57, v31
	v_dual_fmac_f32 v35, v57, v28 :: v_dual_add_f32 v48, v48, v38
	s_delay_alu instid0(VALU_DEP_2) | instskip(NEXT) | instid1(VALU_DEP_2)
	v_fma_f32 v45, v56, v30, -v45
	v_dual_add_f32 v35, v47, v35 :: v_dual_add_f32 v50, v50, v36
	v_mul_f32_e32 v36, v57, v29
	v_mul_f32_e32 v29, v41, v29
	;; [unrolled: 1-line block ×3, first 2 shown]
	v_add_f32_e32 v45, v46, v45
	v_fma_f32 v46, v41, v28, -v49
	v_fma_f32 v40, v56, v28, -v36
	ds_load_2addr_b64 v[36:39], v19 offset0:224 offset1:240
	v_fmac_f32_e32 v29, v42, v28
	v_add_f32_e32 v32, v52, v32
	s_wait_loadcnt_dscnt 0x0
	s_barrier_signal -1
	s_barrier_wait -1
	v_dual_add_f32 v29, v33, v29 :: v_dual_add_f32 v0, v0, v40
	v_mul_f32_e32 v40, v56, v31
	v_mul_f32_e32 v31, v41, v31
	v_fma_f32 v41, v41, v30, -v47
	global_inv scope:SCOPE_SE
	v_fmac_f32_e32 v40, v57, v30
	v_fmac_f32_e32 v31, v42, v30
	s_delay_alu instid0(VALU_DEP_1) | instskip(SKIP_3) | instid1(VALU_DEP_3)
	v_dual_add_f32 v41, v34, v41 :: v_dual_add_f32 v42, v32, v31
	v_mul_f32_e32 v33, v59, v37
	v_mul_f32_e32 v34, v59, v39
	;; [unrolled: 1-line block ×3, first 2 shown]
	v_fma_f32 v33, v58, v36, -v33
	s_delay_alu instid0(VALU_DEP_3) | instskip(NEXT) | instid1(VALU_DEP_2)
	v_fma_f32 v32, v58, v38, -v34
	v_dual_fmac_f32 v31, v59, v38 :: v_dual_add_f32 v34, v0, v33
	v_mul_f32_e32 v0, v44, v37
	s_delay_alu instid0(VALU_DEP_3)
	v_dual_add_f32 v32, v45, v32 :: v_dual_mul_f32 v45, v44, v39
	v_add_f32_e32 v28, v50, v40
	v_mul_f32_e32 v30, v58, v37
	v_dual_add_f32 v40, v48, v46 :: v_dual_mul_f32 v37, v43, v37
	v_fma_f32 v0, v43, v36, -v0
	v_mul_f32_e32 v39, v43, v39
	s_delay_alu instid0(VALU_DEP_4) | instskip(NEXT) | instid1(VALU_DEP_4)
	v_dual_add_f32 v33, v28, v31 :: v_dual_fmac_f32 v30, v59, v36
	v_fmac_f32_e32 v37, v44, v36
	s_delay_alu instid0(VALU_DEP_3) | instskip(NEXT) | instid1(VALU_DEP_3)
	v_fmac_f32_e32 v39, v44, v38
	v_dual_add_f32 v35, v35, v30 :: v_dual_add_f32 v30, v40, v0
	v_fma_f32 v0, v43, v38, -v45
	s_delay_alu instid0(VALU_DEP_3) | instskip(NEXT) | instid1(VALU_DEP_2)
	v_dual_add_f32 v31, v29, v37 :: v_dual_add_f32 v28, v42, v39
	v_add_f32_e32 v29, v41, v0
	s_wait_alu 0xfffe
	s_cbranch_vccz .LBB504_22
.LBB504_11:                             ;   Parent Loop BB504_8 Depth=1
                                        ; =>  This Inner Loop Header: Depth=2
	s_mov_b32 s30, 0
	s_mov_b32 s37, s34
	s_and_saveexec_b32 s31, s0
	s_cbranch_execnz .LBB504_19
; %bb.12:                               ;   in Loop: Header=BB504_11 Depth=2
	s_or_b32 exec_lo, exec_lo, s31
	s_and_saveexec_b32 s31, s37
	s_delay_alu instid0(SALU_CYCLE_1)
	s_xor_b32 s31, exec_lo, s31
	s_cbranch_execnz .LBB504_20
.LBB504_13:                             ;   in Loop: Header=BB504_11 Depth=2
	s_or_b32 exec_lo, exec_lo, s31
	s_and_saveexec_b32 s31, s30
	s_cbranch_execz .LBB504_15
.LBB504_14:                             ;   in Loop: Header=BB504_11 Depth=2
	v_mul_lo_u32 v0, s15, v14
	v_mul_lo_u32 v38, s14, v15
	v_mad_co_u64_u32 v[36:37], null, s14, v14, 0
	s_delay_alu instid0(VALU_DEP_1) | instskip(NEXT) | instid1(VALU_DEP_1)
	v_add3_u32 v37, v37, v38, v0
	v_lshlrev_b64_e32 v[36:37], 3, v[36:37]
	s_delay_alu instid0(VALU_DEP_1) | instskip(SKIP_1) | instid1(VALU_DEP_2)
	v_add_co_u32 v36, vcc_lo, v24, v36
	s_wait_alu 0xfffd
	v_add_co_ci_u32_e64 v37, null, v25, v37, vcc_lo
	flat_load_b64 v[36:37], v[36:37]
	s_wait_loadcnt_dscnt 0x0
	ds_store_b64 v21, v[36:37]
.LBB504_15:                             ;   in Loop: Header=BB504_11 Depth=2
	s_or_b32 exec_lo, exec_lo, s31
	s_wait_alu 0xfffe
	v_add_nc_u32_e32 v0, s20, v18
	s_delay_alu instid0(VALU_DEP_1) | instskip(SKIP_1) | instid1(SALU_CYCLE_1)
	v_cmp_le_u64_e32 vcc_lo, s[8:9], v[0:1]
	s_or_b32 s30, vcc_lo, s23
	s_and_saveexec_b32 s31, s30
	s_delay_alu instid0(SALU_CYCLE_1)
	s_xor_b32 s30, exec_lo, s31
; %bb.16:                               ;   in Loop: Header=BB504_11 Depth=2
	v_mov_b32_e32 v0, v1
	ds_store_b64 v22, v[0:1]
; %bb.17:                               ;   in Loop: Header=BB504_11 Depth=2
	s_and_not1_saveexec_b32 s30, s30
	s_cbranch_execz .LBB504_10
; %bb.18:                               ;   in Loop: Header=BB504_11 Depth=2
	v_lshlrev_b64_e32 v[36:37], 3, v[0:1]
	s_delay_alu instid0(VALU_DEP_1) | instskip(SKIP_1) | instid1(VALU_DEP_2)
	v_add_co_u32 v36, vcc_lo, v26, v36
	s_wait_alu 0xfffd
	v_add_co_ci_u32_e64 v37, null, v27, v37, vcc_lo
	flat_load_b64 v[36:37], v[36:37]
	s_wait_loadcnt_dscnt 0x0
	ds_store_b64 v22, v[36:37]
	s_branch .LBB504_10
.LBB504_19:                             ;   in Loop: Header=BB504_11 Depth=2
	s_wait_alu 0xfffe
	v_add_nc_u32_e32 v0, s20, v20
	v_mov_b32_e32 v15, v1
	s_and_not1_b32 s37, s34, exec_lo
	s_mov_b32 s30, exec_lo
	s_delay_alu instid0(VALU_DEP_2) | instskip(SKIP_2) | instid1(SALU_CYCLE_1)
	v_cmp_le_u64_e32 vcc_lo, s[8:9], v[0:1]
	v_mov_b32_e32 v14, v0
	s_and_b32 s38, vcc_lo, exec_lo
	s_or_b32 s37, s37, s38
	s_or_b32 exec_lo, exec_lo, s31
	s_and_saveexec_b32 s31, s37
	s_delay_alu instid0(SALU_CYCLE_1)
	s_xor_b32 s31, exec_lo, s31
	s_cbranch_execz .LBB504_13
.LBB504_20:                             ;   in Loop: Header=BB504_11 Depth=2
	v_mov_b32_e32 v0, v1
	s_and_not1_b32 s30, s30, exec_lo
	ds_store_b64 v21, v[0:1]
	s_or_b32 exec_lo, exec_lo, s31
	s_and_saveexec_b32 s31, s30
	s_cbranch_execnz .LBB504_14
	s_branch .LBB504_15
.LBB504_21:                             ;   in Loop: Header=BB504_8 Depth=1
	v_dual_mov_b32 v34, v1 :: v_dual_mov_b32 v35, v1
	v_dual_mov_b32 v32, v1 :: v_dual_mov_b32 v33, v1
	;; [unrolled: 1-line block ×4, first 2 shown]
.LBB504_22:                             ;   in Loop: Header=BB504_8 Depth=1
	s_wait_loadcnt 0x0
	v_add_co_u32 v0, vcc_lo, v16, s16
	s_wait_alu 0xfffd
	v_add_co_ci_u32_e64 v24, null, s17, v17, vcc_lo
	s_delay_alu instid0(VALU_DEP_2) | instskip(SKIP_1) | instid1(VALU_DEP_2)
	v_add_co_u32 v25, vcc_lo, v0, v6
	s_wait_alu 0xfffd
	v_add_co_ci_u32_e64 v26, null, v24, v7, vcc_lo
	s_and_saveexec_b32 s20, s28
	s_cbranch_execz .LBB504_27
; %bb.23:                               ;   in Loop: Header=BB504_8 Depth=1
	v_mul_f32_e32 v17, s10, v35
	v_mul_f32_e32 v16, s11, v35
	s_and_b32 vcc_lo, exec_lo, s22
	s_mov_b32 s21, -1
	s_delay_alu instid0(VALU_DEP_2) | instskip(NEXT) | instid1(VALU_DEP_2)
	v_fmac_f32_e32 v17, s11, v34
	v_fma_f32 v16, v34, s10, -v16
	s_wait_alu 0xfffe
	s_cbranch_vccz .LBB504_25
; %bb.24:                               ;   in Loop: Header=BB504_8 Depth=1
	v_add_co_u32 v34, vcc_lo, v25, v10
	s_wait_alu 0xfffd
	v_add_co_ci_u32_e64 v35, null, v26, v11, vcc_lo
	s_mov_b32 s21, 0
	flat_load_b64 v[36:37], v[34:35]
	s_wait_loadcnt_dscnt 0x0
	v_mul_f32_e32 v27, s7, v37
	s_delay_alu instid0(VALU_DEP_1) | instskip(SKIP_1) | instid1(VALU_DEP_1)
	v_fma_f32 v27, v36, s6, -v27
	v_mul_f32_e32 v37, s6, v37
	v_dual_fmac_f32 v37, s7, v36 :: v_dual_add_f32 v36, v16, v27
	s_delay_alu instid0(VALU_DEP_1)
	v_add_f32_e32 v37, v17, v37
	flat_store_b64 v[34:35], v[36:37]
.LBB504_25:                             ;   in Loop: Header=BB504_8 Depth=1
	s_wait_alu 0xfffe
	s_and_not1_b32 vcc_lo, exec_lo, s21
	s_wait_alu 0xfffe
	s_cbranch_vccnz .LBB504_27
; %bb.26:                               ;   in Loop: Header=BB504_8 Depth=1
	v_add_co_u32 v34, vcc_lo, v25, v10
	s_wait_alu 0xfffd
	v_add_co_ci_u32_e64 v35, null, v26, v11, vcc_lo
	flat_store_b64 v[34:35], v[16:17]
.LBB504_27:                             ;   in Loop: Header=BB504_8 Depth=1
	s_wait_alu 0xfffe
	s_or_b32 exec_lo, exec_lo, s20
	s_and_saveexec_b32 s20, s1
	s_cbranch_execz .LBB504_32
; %bb.28:                               ;   in Loop: Header=BB504_8 Depth=1
	v_mul_f32_e32 v17, s10, v33
	v_mul_f32_e32 v16, s11, v33
	s_and_not1_b32 vcc_lo, exec_lo, s22
	s_mov_b32 s21, -1
	s_delay_alu instid0(VALU_DEP_2) | instskip(NEXT) | instid1(VALU_DEP_2)
	v_fmac_f32_e32 v17, s11, v32
	v_fma_f32 v16, v32, s10, -v16
	s_wait_alu 0xfffe
	s_cbranch_vccnz .LBB504_30
; %bb.29:                               ;   in Loop: Header=BB504_8 Depth=1
	v_add_co_u32 v32, vcc_lo, v25, v12
	s_wait_alu 0xfffd
	v_add_co_ci_u32_e64 v33, null, v26, v13, vcc_lo
	s_mov_b32 s21, 0
	flat_load_b64 v[34:35], v[32:33]
	s_wait_loadcnt_dscnt 0x0
	v_mul_f32_e32 v27, s7, v35
	v_mul_f32_e32 v35, s6, v35
	s_delay_alu instid0(VALU_DEP_2) | instskip(NEXT) | instid1(VALU_DEP_1)
	v_fma_f32 v27, v34, s6, -v27
	v_dual_fmac_f32 v35, s7, v34 :: v_dual_add_f32 v34, v16, v27
	s_delay_alu instid0(VALU_DEP_1)
	v_add_f32_e32 v35, v17, v35
	flat_store_b64 v[32:33], v[34:35]
.LBB504_30:                             ;   in Loop: Header=BB504_8 Depth=1
	s_wait_alu 0xfffe
	s_and_not1_b32 vcc_lo, exec_lo, s21
	s_wait_alu 0xfffe
	s_cbranch_vccnz .LBB504_32
; %bb.31:                               ;   in Loop: Header=BB504_8 Depth=1
	v_add_co_u32 v25, vcc_lo, v25, v12
	s_wait_alu 0xfffd
	v_add_co_ci_u32_e64 v26, null, v26, v13, vcc_lo
	flat_store_b64 v[25:26], v[16:17]
.LBB504_32:                             ;   in Loop: Header=BB504_8 Depth=1
	s_wait_alu 0xfffe
	s_or_b32 exec_lo, exec_lo, s20
	v_add_co_u32 v0, vcc_lo, v0, v8
	s_wait_alu 0xfffd
	v_add_co_ci_u32_e64 v24, null, v24, v9, vcc_lo
	s_and_saveexec_b32 s20, s29
	s_cbranch_execz .LBB504_37
; %bb.33:                               ;   in Loop: Header=BB504_8 Depth=1
	v_mul_f32_e32 v17, s10, v31
	v_mul_f32_e32 v16, s11, v31
	s_and_not1_b32 vcc_lo, exec_lo, s22
	s_mov_b32 s21, -1
	s_delay_alu instid0(VALU_DEP_2) | instskip(NEXT) | instid1(VALU_DEP_2)
	v_fmac_f32_e32 v17, s11, v30
	v_fma_f32 v16, v30, s10, -v16
	s_wait_alu 0xfffe
	s_cbranch_vccnz .LBB504_35
; %bb.34:                               ;   in Loop: Header=BB504_8 Depth=1
	v_add_co_u32 v25, vcc_lo, v0, v10
	s_wait_alu 0xfffd
	v_add_co_ci_u32_e64 v26, null, v24, v11, vcc_lo
	s_mov_b32 s21, 0
	flat_load_b64 v[30:31], v[25:26]
	s_wait_loadcnt_dscnt 0x0
	v_mul_f32_e32 v27, s7, v31
	v_mul_f32_e32 v31, s6, v31
	s_delay_alu instid0(VALU_DEP_2) | instskip(NEXT) | instid1(VALU_DEP_1)
	v_fma_f32 v27, v30, s6, -v27
	v_dual_fmac_f32 v31, s7, v30 :: v_dual_add_f32 v30, v16, v27
	s_delay_alu instid0(VALU_DEP_1)
	v_add_f32_e32 v31, v17, v31
	flat_store_b64 v[25:26], v[30:31]
.LBB504_35:                             ;   in Loop: Header=BB504_8 Depth=1
	s_wait_alu 0xfffe
	s_and_not1_b32 vcc_lo, exec_lo, s21
	s_wait_alu 0xfffe
	s_cbranch_vccnz .LBB504_37
; %bb.36:                               ;   in Loop: Header=BB504_8 Depth=1
	v_add_co_u32 v25, vcc_lo, v0, v10
	s_wait_alu 0xfffd
	v_add_co_ci_u32_e64 v26, null, v24, v11, vcc_lo
	flat_store_b64 v[25:26], v[16:17]
.LBB504_37:                             ;   in Loop: Header=BB504_8 Depth=1
	s_wait_alu 0xfffe
	s_or_b32 exec_lo, exec_lo, s20
	s_and_saveexec_b32 s20, s35
	s_cbranch_execz .LBB504_7
; %bb.38:                               ;   in Loop: Header=BB504_8 Depth=1
	v_mul_f32_e32 v17, s10, v28
	v_mul_f32_e32 v16, s11, v28
	s_and_not1_b32 vcc_lo, exec_lo, s22
	s_mov_b32 s21, -1
	s_delay_alu instid0(VALU_DEP_2) | instskip(NEXT) | instid1(VALU_DEP_2)
	v_fmac_f32_e32 v17, s11, v29
	v_fma_f32 v16, v29, s10, -v16
	s_wait_alu 0xfffe
	s_cbranch_vccnz .LBB504_40
; %bb.39:                               ;   in Loop: Header=BB504_8 Depth=1
	v_add_co_u32 v25, vcc_lo, v0, v12
	s_wait_alu 0xfffd
	v_add_co_ci_u32_e64 v26, null, v24, v13, vcc_lo
	s_mov_b32 s21, 0
	flat_load_b64 v[27:28], v[25:26]
	s_wait_loadcnt_dscnt 0x0
	v_mul_f32_e32 v29, s7, v28
	v_mul_f32_e32 v28, s6, v28
	s_delay_alu instid0(VALU_DEP_1) | instskip(NEXT) | instid1(VALU_DEP_3)
	v_fmac_f32_e32 v28, s7, v27
	v_fma_f32 v29, v27, s6, -v29
	s_delay_alu instid0(VALU_DEP_1)
	v_dual_add_f32 v28, v17, v28 :: v_dual_add_f32 v27, v16, v29
	flat_store_b64 v[25:26], v[27:28]
.LBB504_40:                             ;   in Loop: Header=BB504_8 Depth=1
	s_wait_alu 0xfffe
	s_and_not1_b32 vcc_lo, exec_lo, s21
	s_wait_alu 0xfffe
	s_cbranch_vccnz .LBB504_7
; %bb.41:                               ;   in Loop: Header=BB504_8 Depth=1
	v_add_co_u32 v25, vcc_lo, v0, v12
	s_wait_alu 0xfffd
	v_add_co_ci_u32_e64 v26, null, v24, v13, vcc_lo
	flat_store_b64 v[25:26], v[16:17]
	s_branch .LBB504_7
.LBB504_42:
	s_endpgm
	.section	.rodata,"a",@progbits
	.p2align	6, 0x0
	.amdhsa_kernel _ZL29rocblas_internal_gemmt_kernelIlLi16ELi32ELi8ELc78ELc78ELc85ELb0ELb0E19rocblas_complex_numIfEPKS1_PKS3_PKPS1_EviT_T9_T10_S9_lSB_S9_lSA_T11_S9_li
		.amdhsa_group_segment_fixed_size 4096
		.amdhsa_private_segment_fixed_size 0
		.amdhsa_kernarg_size 108
		.amdhsa_user_sgpr_count 2
		.amdhsa_user_sgpr_dispatch_ptr 0
		.amdhsa_user_sgpr_queue_ptr 0
		.amdhsa_user_sgpr_kernarg_segment_ptr 1
		.amdhsa_user_sgpr_dispatch_id 0
		.amdhsa_user_sgpr_private_segment_size 0
		.amdhsa_wavefront_size32 1
		.amdhsa_uses_dynamic_stack 0
		.amdhsa_enable_private_segment 0
		.amdhsa_system_sgpr_workgroup_id_x 1
		.amdhsa_system_sgpr_workgroup_id_y 1
		.amdhsa_system_sgpr_workgroup_id_z 1
		.amdhsa_system_sgpr_workgroup_info 0
		.amdhsa_system_vgpr_workitem_id 1
		.amdhsa_next_free_vgpr 73
		.amdhsa_next_free_sgpr 39
		.amdhsa_reserve_vcc 1
		.amdhsa_float_round_mode_32 0
		.amdhsa_float_round_mode_16_64 0
		.amdhsa_float_denorm_mode_32 3
		.amdhsa_float_denorm_mode_16_64 3
		.amdhsa_fp16_overflow 0
		.amdhsa_workgroup_processor_mode 1
		.amdhsa_memory_ordered 1
		.amdhsa_forward_progress 1
		.amdhsa_inst_pref_size 26
		.amdhsa_round_robin_scheduling 0
		.amdhsa_exception_fp_ieee_invalid_op 0
		.amdhsa_exception_fp_denorm_src 0
		.amdhsa_exception_fp_ieee_div_zero 0
		.amdhsa_exception_fp_ieee_overflow 0
		.amdhsa_exception_fp_ieee_underflow 0
		.amdhsa_exception_fp_ieee_inexact 0
		.amdhsa_exception_int_div_zero 0
	.end_amdhsa_kernel
	.section	.text._ZL29rocblas_internal_gemmt_kernelIlLi16ELi32ELi8ELc78ELc78ELc85ELb0ELb0E19rocblas_complex_numIfEPKS1_PKS3_PKPS1_EviT_T9_T10_S9_lSB_S9_lSA_T11_S9_li,"axG",@progbits,_ZL29rocblas_internal_gemmt_kernelIlLi16ELi32ELi8ELc78ELc78ELc85ELb0ELb0E19rocblas_complex_numIfEPKS1_PKS3_PKPS1_EviT_T9_T10_S9_lSB_S9_lSA_T11_S9_li,comdat
.Lfunc_end504:
	.size	_ZL29rocblas_internal_gemmt_kernelIlLi16ELi32ELi8ELc78ELc78ELc85ELb0ELb0E19rocblas_complex_numIfEPKS1_PKS3_PKPS1_EviT_T9_T10_S9_lSB_S9_lSA_T11_S9_li, .Lfunc_end504-_ZL29rocblas_internal_gemmt_kernelIlLi16ELi32ELi8ELc78ELc78ELc85ELb0ELb0E19rocblas_complex_numIfEPKS1_PKS3_PKPS1_EviT_T9_T10_S9_lSB_S9_lSA_T11_S9_li
                                        ; -- End function
	.set _ZL29rocblas_internal_gemmt_kernelIlLi16ELi32ELi8ELc78ELc78ELc85ELb0ELb0E19rocblas_complex_numIfEPKS1_PKS3_PKPS1_EviT_T9_T10_S9_lSB_S9_lSA_T11_S9_li.num_vgpr, 73
	.set _ZL29rocblas_internal_gemmt_kernelIlLi16ELi32ELi8ELc78ELc78ELc85ELb0ELb0E19rocblas_complex_numIfEPKS1_PKS3_PKPS1_EviT_T9_T10_S9_lSB_S9_lSA_T11_S9_li.num_agpr, 0
	.set _ZL29rocblas_internal_gemmt_kernelIlLi16ELi32ELi8ELc78ELc78ELc85ELb0ELb0E19rocblas_complex_numIfEPKS1_PKS3_PKPS1_EviT_T9_T10_S9_lSB_S9_lSA_T11_S9_li.numbered_sgpr, 39
	.set _ZL29rocblas_internal_gemmt_kernelIlLi16ELi32ELi8ELc78ELc78ELc85ELb0ELb0E19rocblas_complex_numIfEPKS1_PKS3_PKPS1_EviT_T9_T10_S9_lSB_S9_lSA_T11_S9_li.num_named_barrier, 0
	.set _ZL29rocblas_internal_gemmt_kernelIlLi16ELi32ELi8ELc78ELc78ELc85ELb0ELb0E19rocblas_complex_numIfEPKS1_PKS3_PKPS1_EviT_T9_T10_S9_lSB_S9_lSA_T11_S9_li.private_seg_size, 0
	.set _ZL29rocblas_internal_gemmt_kernelIlLi16ELi32ELi8ELc78ELc78ELc85ELb0ELb0E19rocblas_complex_numIfEPKS1_PKS3_PKPS1_EviT_T9_T10_S9_lSB_S9_lSA_T11_S9_li.uses_vcc, 1
	.set _ZL29rocblas_internal_gemmt_kernelIlLi16ELi32ELi8ELc78ELc78ELc85ELb0ELb0E19rocblas_complex_numIfEPKS1_PKS3_PKPS1_EviT_T9_T10_S9_lSB_S9_lSA_T11_S9_li.uses_flat_scratch, 0
	.set _ZL29rocblas_internal_gemmt_kernelIlLi16ELi32ELi8ELc78ELc78ELc85ELb0ELb0E19rocblas_complex_numIfEPKS1_PKS3_PKPS1_EviT_T9_T10_S9_lSB_S9_lSA_T11_S9_li.has_dyn_sized_stack, 0
	.set _ZL29rocblas_internal_gemmt_kernelIlLi16ELi32ELi8ELc78ELc78ELc85ELb0ELb0E19rocblas_complex_numIfEPKS1_PKS3_PKPS1_EviT_T9_T10_S9_lSB_S9_lSA_T11_S9_li.has_recursion, 0
	.set _ZL29rocblas_internal_gemmt_kernelIlLi16ELi32ELi8ELc78ELc78ELc85ELb0ELb0E19rocblas_complex_numIfEPKS1_PKS3_PKPS1_EviT_T9_T10_S9_lSB_S9_lSA_T11_S9_li.has_indirect_call, 0
	.section	.AMDGPU.csdata,"",@progbits
; Kernel info:
; codeLenInByte = 3300
; TotalNumSgprs: 41
; NumVgprs: 73
; ScratchSize: 0
; MemoryBound: 0
; FloatMode: 240
; IeeeMode: 1
; LDSByteSize: 4096 bytes/workgroup (compile time only)
; SGPRBlocks: 0
; VGPRBlocks: 9
; NumSGPRsForWavesPerEU: 41
; NumVGPRsForWavesPerEU: 73
; Occupancy: 16
; WaveLimiterHint : 1
; COMPUTE_PGM_RSRC2:SCRATCH_EN: 0
; COMPUTE_PGM_RSRC2:USER_SGPR: 2
; COMPUTE_PGM_RSRC2:TRAP_HANDLER: 0
; COMPUTE_PGM_RSRC2:TGID_X_EN: 1
; COMPUTE_PGM_RSRC2:TGID_Y_EN: 1
; COMPUTE_PGM_RSRC2:TGID_Z_EN: 1
; COMPUTE_PGM_RSRC2:TIDIG_COMP_CNT: 1
	.section	.text._ZL29rocblas_internal_gemmt_kernelIlLi16ELi32ELi8ELc78ELc84ELc85ELb0ELb0E19rocblas_complex_numIfEPKS1_PKS3_PKPS1_EviT_T9_T10_S9_lSB_S9_lSA_T11_S9_li,"axG",@progbits,_ZL29rocblas_internal_gemmt_kernelIlLi16ELi32ELi8ELc78ELc84ELc85ELb0ELb0E19rocblas_complex_numIfEPKS1_PKS3_PKPS1_EviT_T9_T10_S9_lSB_S9_lSA_T11_S9_li,comdat
	.globl	_ZL29rocblas_internal_gemmt_kernelIlLi16ELi32ELi8ELc78ELc84ELc85ELb0ELb0E19rocblas_complex_numIfEPKS1_PKS3_PKPS1_EviT_T9_T10_S9_lSB_S9_lSA_T11_S9_li ; -- Begin function _ZL29rocblas_internal_gemmt_kernelIlLi16ELi32ELi8ELc78ELc84ELc85ELb0ELb0E19rocblas_complex_numIfEPKS1_PKS3_PKPS1_EviT_T9_T10_S9_lSB_S9_lSA_T11_S9_li
	.p2align	8
	.type	_ZL29rocblas_internal_gemmt_kernelIlLi16ELi32ELi8ELc78ELc84ELc85ELb0ELb0E19rocblas_complex_numIfEPKS1_PKS3_PKPS1_EviT_T9_T10_S9_lSB_S9_lSA_T11_S9_li,@function
_ZL29rocblas_internal_gemmt_kernelIlLi16ELi32ELi8ELc78ELc84ELc85ELb0ELb0E19rocblas_complex_numIfEPKS1_PKS3_PKPS1_EviT_T9_T10_S9_lSB_S9_lSA_T11_S9_li: ; @_ZL29rocblas_internal_gemmt_kernelIlLi16ELi32ELi8ELc78ELc84ELc85ELb0ELb0E19rocblas_complex_numIfEPKS1_PKS3_PKPS1_EviT_T9_T10_S9_lSB_S9_lSA_T11_S9_li
; %bb.0:
	s_load_b256 s[24:31], s[0:1], 0x48
	s_wait_kmcnt 0x0
	s_load_b64 s[6:7], s[24:25], 0x0
	s_load_b512 s[8:23], s[0:1], 0x8
	s_wait_kmcnt 0x0
	s_cmp_eq_f32 s6, 1.0
	s_load_b64 s[10:11], s[10:11], 0x0
	s_cselect_b32 s2, -1, 0
	s_and_b32 s3, s7, 0x7fffffff
	s_delay_alu instid0(SALU_CYCLE_1) | instskip(SKIP_1) | instid1(SALU_CYCLE_1)
	s_cmp_eq_u32 s3, 0
	s_cselect_b32 s3, -1, 0
	s_and_b32 s4, s2, s3
	s_mov_b32 s2, 0
	s_and_not1_b32 vcc_lo, exec_lo, s4
	s_mov_b32 s4, -1
	s_cbranch_vccnz .LBB505_4
; %bb.1:
	s_cmp_lg_u64 s[8:9], 0
	s_cbranch_scc0 .LBB505_3
; %bb.2:
	s_wait_kmcnt 0x0
	s_cmp_neq_f32 s10, 0
	s_cselect_b32 s2, -1, 0
	s_cmp_neq_f32 s11, 0
	s_cselect_b32 s4, -1, 0
	s_delay_alu instid0(SALU_CYCLE_1)
	s_or_b32 s2, s2, s4
.LBB505_3:
	s_delay_alu instid0(SALU_CYCLE_1)
	s_mov_b32 s4, s2
.LBB505_4:
	s_delay_alu instid0(SALU_CYCLE_1)
	s_and_b32 vcc_lo, exec_lo, s4
	s_cbranch_vccz .LBB505_42
; %bb.5:
	s_load_b32 s33, s[0:1], 0x68
	s_lshr_b32 s24, ttmp7, 16
	s_wait_kmcnt 0x0
	s_cmp_ge_u32 s24, s33
	s_cbranch_scc1 .LBB505_42
; %bb.6:
	v_and_b32_e32 v6, 0x3ff, v0
	v_bfe_u32 v11, v0, 10, 10
	s_load_b32 s4, s[0:1], 0x0
	s_lshl_b32 s0, ttmp7, 5
	v_and_b32_e32 v16, 7, v0
	s_and_b32 s2, s0, 0x1fffe0
	v_lshl_add_u32 v1, v11, 4, v6
	v_add_nc_u32_e32 v15, s2, v11
	s_lshl_b32 s1, ttmp9, 5
	s_cmp_neq_f32 s10, 0
	v_lshl_add_u32 v21, v11, 6, 0x800
	v_and_b32_e32 v0, 31, v1
	v_lshrrev_b32_e32 v3, 3, v1
	v_lshrrev_b32_e32 v17, 5, v1
	v_mad_co_u64_u32 v[4:5], null, s28, v15, 0
	s_delay_alu instid0(VALU_DEP_4)
	v_or_b32_e32 v2, s1, v0
	v_lshlrev_b32_e32 v0, 3, v0
	v_lshlrev_b32_e32 v1, 3, v16
	v_add_nc_u32_e32 v22, 16, v15
	s_cselect_b32 s0, -1, 0
	s_cmp_neq_f32 s11, 0
	v_lshl_or_b32 v18, v17, 8, v0
	v_lshl_or_b32 v0, v3, 6, v1
	v_dual_mov_b32 v1, 0 :: v_dual_lshlrev_b32 v20, 3, v6
	v_add_nc_u32_e32 v8, s1, v6
	v_mad_co_u64_u32 v[6:7], null, s28, v22, 0
	s_delay_alu instid0(VALU_DEP_4)
	v_dual_mov_b32 v0, v5 :: v_dual_add_nc_u32 v19, 0x800, v0
	s_cselect_b32 s5, -1, 0
	v_add_nc_u32_e32 v14, s2, v3
	s_wait_alu 0xfffe
	s_or_b32 s36, s0, s5
	v_ashrrev_i32_e32 v3, 31, v2
	v_mad_co_u64_u32 v[9:10], null, s29, v15, v[0:1]
	v_mov_b32_e32 v0, v7
	v_add_nc_u32_e32 v10, 16, v8
	s_wait_kmcnt 0x0
	v_cmp_gt_i32_e64 s1, s4, v15
	v_cmp_le_i32_e64 s2, v8, v15
	s_cmp_neq_f32 s6, 0
	v_mad_co_u64_u32 v[12:13], null, s29, v22, v[0:1]
	v_mov_b32_e32 v5, v9
	v_ashrrev_i32_e32 v9, 31, v8
	v_ashrrev_i32_e32 v11, 31, v10
	v_cmp_gt_i64_e64 s37, s[8:9], 0
	v_cmp_gt_i32_e64 s0, s4, v2
	v_cmp_le_i32_e64 s34, s4, v2
	v_mov_b32_e32 v7, v12
	v_cmp_gt_i32_e32 vcc_lo, s4, v14
	s_cselect_b32 s38, -1, 0
	s_xor_b32 s39, s3, -1
	s_and_b32 s28, s1, s2
	v_cmp_le_i32_e64 s2, v10, v15
	v_cmp_gt_i32_e64 s3, s4, v22
	v_cmp_le_i32_e64 s4, v8, v22
	v_cmp_le_i32_e64 s5, v10, v22
	v_lshlrev_b64_e32 v[2:3], 3, v[2:3]
	v_lshlrev_b64_e32 v[4:5], 3, v[4:5]
	;; [unrolled: 1-line block ×5, first 2 shown]
	v_lshlrev_b32_e32 v22, 3, v14
	s_mov_b32 s25, 0
	s_and_b32 s1, s1, s2
	s_and_b32 s29, s3, s4
	;; [unrolled: 1-line block ×4, first 2 shown]
	s_lshl_b64 s[2:3], s[22:23], 3
	s_or_b32 s37, s38, s39
	s_lshl_b64 s[4:5], s[16:17], 3
	s_xor_b32 s38, vcc_lo, -1
	s_lshl_b64 s[16:17], s[30:31], 3
                                        ; implicit-def: $vgpr12_vgpr13
	s_branch .LBB505_8
.LBB505_7:                              ;   in Loop: Header=BB505_8 Depth=1
	s_wait_alu 0xfffe
	s_or_b32 exec_lo, exec_lo, s22
	s_add_co_i32 s24, s24, 0x10000
	s_delay_alu instid0(SALU_CYCLE_1)
	s_cmp_lt_u32 s24, s33
	s_cbranch_scc0 .LBB505_42
.LBB505_8:                              ; =>This Loop Header: Depth=1
                                        ;     Child Loop BB505_11 Depth 2
	s_lshl_b64 s[22:23], s[24:25], 3
	s_and_not1_b32 vcc_lo, exec_lo, s36
	s_wait_alu 0xfffe
	s_add_nc_u64 s[30:31], s[26:27], s[22:23]
	global_load_b64 v[14:15], v1, s[30:31]
	s_cbranch_vccnz .LBB505_21
; %bb.9:                                ;   in Loop: Header=BB505_8 Depth=1
	s_add_nc_u64 s[30:31], s[12:13], s[22:23]
	s_add_nc_u64 s[22:23], s[18:19], s[22:23]
	s_clause 0x1
	global_load_b64 v[23:24], v1, s[30:31]
	global_load_b64 v[25:26], v1, s[22:23]
	v_dual_mov_b32 v27, 0 :: v_dual_mov_b32 v28, 0
	v_dual_mov_b32 v30, 0 :: v_dual_mov_b32 v29, 0
	;; [unrolled: 1-line block ×4, first 2 shown]
	s_mov_b64 s[22:23], 0
	s_wait_loadcnt 0x1
	v_add_co_u32 v0, vcc_lo, v23, s4
	s_wait_alu 0xfffd
	v_add_co_ci_u32_e64 v24, null, s5, v24, vcc_lo
	s_wait_loadcnt 0x0
	v_add_co_u32 v25, vcc_lo, v25, s2
	s_wait_alu 0xfffd
	v_add_co_ci_u32_e64 v26, null, s3, v26, vcc_lo
	v_add_co_u32 v23, vcc_lo, v0, v2
	s_wait_alu 0xfffd
	v_add_co_ci_u32_e64 v24, null, v24, v3, vcc_lo
	;; [unrolled: 3-line block ×3, first 2 shown]
	s_branch .LBB505_11
.LBB505_10:                             ;   in Loop: Header=BB505_11 Depth=2
	s_or_b32 exec_lo, exec_lo, s30
	s_wait_dscnt 0x0
	s_barrier_signal -1
	s_barrier_wait -1
	global_inv scope:SCOPE_SE
	ds_load_b128 v[35:38], v21
	ds_load_2addr_b64 v[39:42], v20 offset1:16
	ds_load_b128 v[43:46], v21 offset:1024
	ds_load_b128 v[47:50], v21 offset:16
	;; [unrolled: 1-line block ×4, first 2 shown]
	ds_load_2addr_b64 v[59:62], v20 offset0:32 offset1:48
	ds_load_b128 v[63:66], v21 offset:1040
	s_add_nc_u64 s[22:23], s[22:23], 8
	s_wait_alu 0xfffe
	v_cmp_gt_i64_e64 s30, s[8:9], s[22:23]
	s_and_b32 vcc_lo, exec_lo, s30
	s_wait_dscnt 0x6
	v_dual_mul_f32 v0, v36, v40 :: v_dual_mul_f32 v69, v35, v42
	v_dual_mul_f32 v67, v35, v40 :: v_dual_mul_f32 v68, v36, v42
	s_wait_dscnt 0x5
	v_mul_f32_e32 v71, v44, v42
	s_delay_alu instid0(VALU_DEP_3) | instskip(SKIP_3) | instid1(VALU_DEP_4)
	v_fma_f32 v0, v35, v39, -v0
	v_dual_mul_f32 v42, v43, v42 :: v_dual_fmac_f32 v69, v36, v41
	v_fmac_f32_e32 v67, v36, v39
	v_fma_f32 v35, v35, v41, -v68
	v_add_f32_e32 v0, v33, v0
	v_mul_f32_e32 v70, v44, v40
	s_delay_alu instid0(VALU_DEP_4) | instskip(NEXT) | instid1(VALU_DEP_4)
	v_dual_mul_f32 v40, v43, v40 :: v_dual_add_f32 v33, v34, v67
	v_add_f32_e32 v34, v31, v35
	v_fmac_f32_e32 v42, v44, v41
	s_delay_alu instid0(VALU_DEP_4) | instskip(NEXT) | instid1(VALU_DEP_4)
	v_fma_f32 v36, v43, v39, -v70
	v_fmac_f32_e32 v40, v44, v39
	v_fma_f32 v39, v43, v41, -v71
	s_wait_dscnt 0x1
	v_dual_mul_f32 v41, v37, v60 :: v_dual_add_f32 v32, v32, v69
	v_mul_f32_e32 v43, v38, v62
	v_add_f32_e32 v35, v29, v36
	v_dual_add_f32 v36, v30, v40 :: v_dual_add_f32 v39, v28, v39
	ds_load_2addr_b64 v[28:31], v20 offset0:64 offset1:80
	v_fmac_f32_e32 v41, v38, v59
	v_dual_mul_f32 v40, v38, v60 :: v_dual_add_f32 v27, v27, v42
	v_mul_f32_e32 v42, v37, v62
	s_delay_alu instid0(VALU_DEP_3) | instskip(NEXT) | instid1(VALU_DEP_3)
	v_add_f32_e32 v41, v33, v41
	v_fma_f32 v40, v37, v59, -v40
	v_fma_f32 v37, v37, v61, -v43
	v_mul_f32_e32 v33, v45, v60
	s_delay_alu instid0(VALU_DEP_3) | instskip(SKIP_1) | instid1(VALU_DEP_4)
	v_add_f32_e32 v0, v0, v40
	v_mul_f32_e32 v40, v46, v60
	v_add_f32_e32 v37, v34, v37
	v_fmac_f32_e32 v42, v38, v61
	v_mul_f32_e32 v38, v46, v62
	v_fmac_f32_e32 v33, v46, v59
	v_fma_f32 v34, v45, v59, -v40
	s_delay_alu instid0(VALU_DEP_4) | instskip(SKIP_4) | instid1(VALU_DEP_3)
	v_add_f32_e32 v40, v32, v42
	v_mul_f32_e32 v42, v45, v62
	v_fma_f32 v32, v45, v61, -v38
	s_wait_dscnt 0x0
	v_dual_add_f32 v43, v35, v34 :: v_dual_mul_f32 v34, v48, v29
	v_dual_mul_f32 v45, v48, v31 :: v_dual_fmac_f32 v42, v46, v61
	v_mul_f32_e32 v38, v47, v29
	v_add_f32_e32 v39, v39, v32
	s_delay_alu instid0(VALU_DEP_3) | instskip(SKIP_3) | instid1(VALU_DEP_3)
	v_add_f32_e32 v42, v27, v42
	v_mul_f32_e32 v27, v47, v31
	v_fma_f32 v44, v47, v28, -v34
	v_fmac_f32_e32 v38, v48, v28
	v_fmac_f32_e32 v27, v48, v30
	s_delay_alu instid0(VALU_DEP_3)
	v_add_f32_e32 v0, v0, v44
	v_fma_f32 v44, v47, v30, -v45
	v_add_f32_e32 v36, v36, v33
	ds_load_2addr_b64 v[32:35], v20 offset0:96 offset1:112
	v_dual_add_f32 v38, v41, v38 :: v_dual_mul_f32 v41, v64, v29
	v_mul_f32_e32 v29, v63, v29
	v_dual_add_f32 v37, v37, v44 :: v_dual_mul_f32 v44, v64, v31
	v_mul_f32_e32 v31, v63, v31
	s_delay_alu instid0(VALU_DEP_4) | instskip(NEXT) | instid1(VALU_DEP_4)
	v_fma_f32 v41, v63, v28, -v41
	v_fmac_f32_e32 v29, v64, v28
	v_add_f32_e32 v40, v40, v27
	v_fma_f32 v27, v63, v30, -v44
	v_fmac_f32_e32 v31, v64, v30
	v_add_f32_e32 v41, v43, v41
	s_delay_alu instid0(VALU_DEP_3) | instskip(SKIP_4) | instid1(VALU_DEP_2)
	v_dual_add_f32 v43, v36, v29 :: v_dual_add_f32 v44, v39, v27
	ds_load_2addr_b64 v[27:30], v20 offset0:128 offset1:144
	s_wait_dscnt 0x1
	v_mul_f32_e32 v36, v50, v33
	v_dual_mul_f32 v39, v49, v33 :: v_dual_mul_f32 v48, v66, v35
	v_fma_f32 v36, v49, v32, -v36
	v_mul_f32_e32 v45, v50, v35
	s_delay_alu instid0(VALU_DEP_3) | instskip(NEXT) | instid1(VALU_DEP_3)
	v_fmac_f32_e32 v39, v50, v32
	v_add_f32_e32 v0, v0, v36
	s_delay_alu instid0(VALU_DEP_3) | instskip(SKIP_3) | instid1(VALU_DEP_4)
	v_fma_f32 v45, v49, v34, -v45
	v_add_f32_e32 v42, v42, v31
	v_dual_mul_f32 v31, v49, v35 :: v_dual_mul_f32 v36, v66, v33
	v_dual_add_f32 v46, v38, v39 :: v_dual_mul_f32 v33, v65, v33
	v_add_f32_e32 v45, v37, v45
	s_delay_alu instid0(VALU_DEP_3) | instskip(NEXT) | instid1(VALU_DEP_4)
	v_fmac_f32_e32 v31, v50, v34
	v_fma_f32 v47, v65, v32, -v36
	ds_load_b128 v[36:39], v21 offset:1056
	v_fmac_f32_e32 v33, v66, v32
	s_wait_dscnt 0x1
	v_mul_f32_e32 v32, v52, v28
	v_add_f32_e32 v49, v40, v31
	v_dual_mul_f32 v35, v65, v35 :: v_dual_mul_f32 v50, v51, v28
	s_delay_alu instid0(VALU_DEP_3)
	v_fma_f32 v40, v51, v27, -v32
	v_add_f32_e32 v47, v41, v47
	v_mul_f32_e32 v41, v52, v30
	v_fma_f32 v31, v65, v34, -v48
	v_dual_fmac_f32 v35, v66, v34 :: v_dual_fmac_f32 v50, v52, v27
	v_add_f32_e32 v0, v0, v40
	s_delay_alu instid0(VALU_DEP_4) | instskip(NEXT) | instid1(VALU_DEP_4)
	v_fma_f32 v59, v51, v29, -v41
	v_add_f32_e32 v44, v44, v31
	v_add_f32_e32 v48, v43, v33
	ds_load_2addr_b64 v[31:34], v20 offset0:160 offset1:176
	v_add_f32_e32 v35, v42, v35
	ds_load_b128 v[40:43], v21 offset:1072
	s_wait_dscnt 0x2
	v_dual_mul_f32 v51, v51, v30 :: v_dual_mul_f32 v60, v37, v28
	v_mul_f32_e32 v28, v36, v28
	s_delay_alu instid0(VALU_DEP_2) | instskip(SKIP_1) | instid1(VALU_DEP_3)
	v_dual_add_f32 v46, v46, v50 :: v_dual_fmac_f32 v51, v52, v29
	v_mul_f32_e32 v52, v37, v30
	v_fmac_f32_e32 v28, v37, v27
	v_fma_f32 v50, v36, v27, -v60
	s_delay_alu instid0(VALU_DEP_4) | instskip(SKIP_2) | instid1(VALU_DEP_2)
	v_add_f32_e32 v49, v49, v51
	v_mul_f32_e32 v51, v36, v30
	v_add_f32_e32 v45, v45, v59
	v_fmac_f32_e32 v51, v37, v29
	s_wait_dscnt 0x1
	v_mul_f32_e32 v37, v53, v32
	s_delay_alu instid0(VALU_DEP_1) | instskip(SKIP_4) | instid1(VALU_DEP_4)
	v_fmac_f32_e32 v37, v54, v31
	v_fma_f32 v27, v36, v29, -v52
	v_add_f32_e32 v36, v48, v28
	v_dual_mul_f32 v48, v54, v32 :: v_dual_add_f32 v47, v47, v50
	v_mul_f32_e32 v50, v54, v34
	v_add_f32_e32 v44, v44, v27
	ds_load_2addr_b64 v[27:30], v20 offset0:192 offset1:208
	v_fma_f32 v48, v53, v31, -v48
	v_add_f32_e32 v51, v35, v51
	v_dual_mul_f32 v35, v53, v34 :: v_dual_add_f32 v46, v46, v37
	v_mul_f32_e32 v37, v39, v32
	s_delay_alu instid0(VALU_DEP_4) | instskip(SKIP_4) | instid1(VALU_DEP_4)
	v_add_f32_e32 v0, v0, v48
	v_fma_f32 v48, v53, v33, -v50
	v_mul_f32_e32 v32, v38, v32
	v_fmac_f32_e32 v35, v54, v33
	v_fma_f32 v37, v38, v31, -v37
	v_dual_add_f32 v45, v45, v48 :: v_dual_mul_f32 v48, v39, v34
	s_delay_alu instid0(VALU_DEP_4) | instskip(NEXT) | instid1(VALU_DEP_4)
	v_dual_fmac_f32 v32, v39, v31 :: v_dual_mul_f32 v31, v38, v34
	v_add_f32_e32 v49, v49, v35
	s_delay_alu instid0(VALU_DEP_3) | instskip(NEXT) | instid1(VALU_DEP_3)
	v_fma_f32 v34, v38, v33, -v48
	v_dual_add_f32 v32, v36, v32 :: v_dual_fmac_f32 v31, v39, v33
	s_wait_dscnt 0x0
	s_delay_alu instid0(VALU_DEP_2) | instskip(SKIP_1) | instid1(VALU_DEP_3)
	v_dual_mul_f32 v48, v41, v28 :: v_dual_add_f32 v33, v44, v34
	v_mul_f32_e32 v34, v55, v28
	v_dual_mul_f32 v44, v56, v30 :: v_dual_add_f32 v31, v51, v31
	s_delay_alu instid0(VALU_DEP_2) | instskip(SKIP_1) | instid1(VALU_DEP_3)
	v_fmac_f32_e32 v34, v56, v27
	v_mul_f32_e32 v35, v56, v28
	v_fma_f32 v44, v55, v29, -v44
	v_mul_f32_e32 v28, v40, v28
	s_delay_alu instid0(VALU_DEP_4) | instskip(NEXT) | instid1(VALU_DEP_4)
	v_add_f32_e32 v34, v46, v34
	v_fma_f32 v39, v55, v27, -v35
	v_add_f32_e32 v47, v47, v37
	ds_load_2addr_b64 v[35:38], v20 offset0:224 offset1:240
	v_add_f32_e32 v44, v45, v44
	v_mul_f32_e32 v46, v41, v30
	v_dual_add_f32 v0, v0, v39 :: v_dual_mul_f32 v39, v55, v30
	v_fma_f32 v45, v40, v27, -v48
	v_fmac_f32_e32 v28, v41, v27
	v_mul_f32_e32 v30, v40, v30
	v_fma_f32 v40, v40, v29, -v46
	v_fmac_f32_e32 v39, v56, v29
	s_wait_loadcnt_dscnt 0x0
	s_barrier_signal -1
	v_fmac_f32_e32 v30, v41, v29
	v_add_f32_e32 v40, v33, v40
	v_add_f32_e32 v27, v49, v39
	v_dual_add_f32 v39, v47, v45 :: v_dual_add_f32 v28, v32, v28
	s_barrier_wait -1
	global_inv scope:SCOPE_SE
	v_mul_f32_e32 v29, v57, v36
	v_mul_f32_e32 v33, v58, v38
	s_delay_alu instid0(VALU_DEP_2) | instskip(SKIP_1) | instid1(VALU_DEP_3)
	v_fmac_f32_e32 v29, v58, v35
	v_dual_mul_f32 v32, v58, v36 :: v_dual_add_f32 v41, v31, v30
	v_fma_f32 v31, v57, v37, -v33
	s_delay_alu instid0(VALU_DEP_2) | instskip(NEXT) | instid1(VALU_DEP_2)
	v_fma_f32 v32, v57, v35, -v32
	v_dual_mul_f32 v30, v57, v38 :: v_dual_add_f32 v31, v44, v31
	v_mul_f32_e32 v44, v43, v38
	s_delay_alu instid0(VALU_DEP_3) | instskip(NEXT) | instid1(VALU_DEP_3)
	v_dual_mul_f32 v38, v42, v38 :: v_dual_add_f32 v33, v0, v32
	v_fmac_f32_e32 v30, v58, v37
	s_delay_alu instid0(VALU_DEP_2) | instskip(SKIP_2) | instid1(VALU_DEP_4)
	v_fmac_f32_e32 v38, v43, v37
	v_mul_f32_e32 v0, v43, v36
	v_mul_f32_e32 v36, v42, v36
	v_add_f32_e32 v32, v27, v30
	s_delay_alu instid0(VALU_DEP_4) | instskip(NEXT) | instid1(VALU_DEP_4)
	v_add_f32_e32 v27, v41, v38
	v_fma_f32 v0, v42, v35, -v0
	v_add_f32_e32 v34, v34, v29
	v_fmac_f32_e32 v36, v43, v35
	s_delay_alu instid0(VALU_DEP_3) | instskip(SKIP_1) | instid1(VALU_DEP_3)
	v_add_f32_e32 v29, v39, v0
	v_fma_f32 v0, v42, v37, -v44
	v_add_f32_e32 v30, v28, v36
	s_delay_alu instid0(VALU_DEP_2)
	v_add_f32_e32 v28, v40, v0
	s_wait_alu 0xfffe
	s_cbranch_vccz .LBB505_22
.LBB505_11:                             ;   Parent Loop BB505_8 Depth=1
                                        ; =>  This Inner Loop Header: Depth=2
	s_mov_b32 s30, 0
	s_mov_b32 s39, s34
	s_and_saveexec_b32 s31, s0
	s_cbranch_execnz .LBB505_19
; %bb.12:                               ;   in Loop: Header=BB505_11 Depth=2
	s_or_b32 exec_lo, exec_lo, s31
	s_and_saveexec_b32 s31, s39
	s_delay_alu instid0(SALU_CYCLE_1)
	s_xor_b32 s31, exec_lo, s31
	s_cbranch_execnz .LBB505_20
.LBB505_13:                             ;   in Loop: Header=BB505_11 Depth=2
	s_or_b32 exec_lo, exec_lo, s31
	s_and_saveexec_b32 s31, s30
	s_cbranch_execz .LBB505_15
.LBB505_14:                             ;   in Loop: Header=BB505_11 Depth=2
	v_mul_lo_u32 v0, s15, v12
	v_mul_lo_u32 v37, s14, v13
	v_mad_co_u64_u32 v[35:36], null, s14, v12, 0
	s_delay_alu instid0(VALU_DEP_1) | instskip(NEXT) | instid1(VALU_DEP_1)
	v_add3_u32 v36, v36, v37, v0
	v_lshlrev_b64_e32 v[35:36], 3, v[35:36]
	s_delay_alu instid0(VALU_DEP_1) | instskip(SKIP_1) | instid1(VALU_DEP_2)
	v_add_co_u32 v35, vcc_lo, v23, v35
	s_wait_alu 0xfffd
	v_add_co_ci_u32_e64 v36, null, v24, v36, vcc_lo
	flat_load_b64 v[35:36], v[35:36]
	s_wait_loadcnt_dscnt 0x0
	ds_store_b64 v18, v[35:36]
.LBB505_15:                             ;   in Loop: Header=BB505_11 Depth=2
	s_or_b32 exec_lo, exec_lo, s31
	s_wait_alu 0xfffe
	v_add_nc_u32_e32 v0, s22, v16
	s_delay_alu instid0(VALU_DEP_1) | instskip(SKIP_1) | instid1(SALU_CYCLE_1)
	v_cmp_le_u64_e32 vcc_lo, s[8:9], v[0:1]
	s_or_b32 s30, vcc_lo, s38
	s_and_saveexec_b32 s31, s30
	s_delay_alu instid0(SALU_CYCLE_1)
	s_xor_b32 s30, exec_lo, s31
; %bb.16:                               ;   in Loop: Header=BB505_11 Depth=2
	v_mov_b32_e32 v0, v1
	ds_store_b64 v19, v[0:1]
; %bb.17:                               ;   in Loop: Header=BB505_11 Depth=2
	s_and_not1_saveexec_b32 s30, s30
	s_cbranch_execz .LBB505_10
; %bb.18:                               ;   in Loop: Header=BB505_11 Depth=2
	v_mad_co_u64_u32 v[35:36], null, s20, v0, 0
	s_delay_alu instid0(VALU_DEP_1) | instskip(NEXT) | instid1(VALU_DEP_1)
	v_mad_co_u64_u32 v[36:37], null, s21, v0, v[36:37]
	v_lshlrev_b64_e32 v[35:36], 3, v[35:36]
	s_delay_alu instid0(VALU_DEP_1) | instskip(SKIP_1) | instid1(VALU_DEP_2)
	v_add_co_u32 v35, vcc_lo, v25, v35
	s_wait_alu 0xfffd
	v_add_co_ci_u32_e64 v36, null, v26, v36, vcc_lo
	flat_load_b64 v[35:36], v[35:36]
	s_wait_loadcnt_dscnt 0x0
	ds_store_b64 v19, v[35:36]
	s_branch .LBB505_10
.LBB505_19:                             ;   in Loop: Header=BB505_11 Depth=2
	s_wait_alu 0xfffe
	v_add_nc_u32_e32 v0, s22, v17
	v_mov_b32_e32 v13, v1
	s_and_not1_b32 s39, s34, exec_lo
	s_mov_b32 s30, exec_lo
	s_delay_alu instid0(VALU_DEP_2) | instskip(SKIP_2) | instid1(SALU_CYCLE_1)
	v_cmp_le_u64_e32 vcc_lo, s[8:9], v[0:1]
	v_mov_b32_e32 v12, v0
	s_and_b32 s40, vcc_lo, exec_lo
	s_or_b32 s39, s39, s40
	s_or_b32 exec_lo, exec_lo, s31
	s_and_saveexec_b32 s31, s39
	s_delay_alu instid0(SALU_CYCLE_1)
	s_xor_b32 s31, exec_lo, s31
	s_cbranch_execz .LBB505_13
.LBB505_20:                             ;   in Loop: Header=BB505_11 Depth=2
	v_mov_b32_e32 v0, v1
	s_and_not1_b32 s30, s30, exec_lo
	ds_store_b64 v18, v[0:1]
	s_or_b32 exec_lo, exec_lo, s31
	s_and_saveexec_b32 s31, s30
	s_cbranch_execnz .LBB505_14
	s_branch .LBB505_15
.LBB505_21:                             ;   in Loop: Header=BB505_8 Depth=1
	v_dual_mov_b32 v33, v1 :: v_dual_mov_b32 v34, v1
	v_dual_mov_b32 v31, v1 :: v_dual_mov_b32 v32, v1
	;; [unrolled: 1-line block ×4, first 2 shown]
.LBB505_22:                             ;   in Loop: Header=BB505_8 Depth=1
	s_wait_loadcnt 0x0
	v_add_co_u32 v0, vcc_lo, v14, s16
	s_wait_alu 0xfffd
	v_add_co_ci_u32_e64 v23, null, s17, v15, vcc_lo
	s_delay_alu instid0(VALU_DEP_2) | instskip(SKIP_1) | instid1(VALU_DEP_2)
	v_add_co_u32 v24, vcc_lo, v0, v4
	s_wait_alu 0xfffd
	v_add_co_ci_u32_e64 v25, null, v23, v5, vcc_lo
	s_wait_alu 0xfffe
	s_and_saveexec_b32 s22, s28
	s_cbranch_execz .LBB505_27
; %bb.23:                               ;   in Loop: Header=BB505_8 Depth=1
	v_mul_f32_e32 v15, s10, v34
	v_mul_f32_e32 v14, s11, v34
	s_and_b32 vcc_lo, exec_lo, s37
	s_mov_b32 s23, -1
	s_delay_alu instid0(VALU_DEP_2) | instskip(NEXT) | instid1(VALU_DEP_2)
	v_fmac_f32_e32 v15, s11, v33
	v_fma_f32 v14, v33, s10, -v14
	s_wait_alu 0xfffe
	s_cbranch_vccz .LBB505_25
; %bb.24:                               ;   in Loop: Header=BB505_8 Depth=1
	v_add_co_u32 v33, vcc_lo, v24, v8
	s_wait_alu 0xfffd
	v_add_co_ci_u32_e64 v34, null, v25, v9, vcc_lo
	s_mov_b32 s23, 0
	flat_load_b64 v[35:36], v[33:34]
	s_wait_loadcnt_dscnt 0x0
	v_mul_f32_e32 v26, s7, v36
	s_delay_alu instid0(VALU_DEP_1) | instskip(SKIP_1) | instid1(VALU_DEP_1)
	v_fma_f32 v26, v35, s6, -v26
	v_mul_f32_e32 v36, s6, v36
	v_dual_fmac_f32 v36, s7, v35 :: v_dual_add_f32 v35, v14, v26
	s_delay_alu instid0(VALU_DEP_1)
	v_add_f32_e32 v36, v15, v36
	flat_store_b64 v[33:34], v[35:36]
.LBB505_25:                             ;   in Loop: Header=BB505_8 Depth=1
	s_wait_alu 0xfffe
	s_and_not1_b32 vcc_lo, exec_lo, s23
	s_wait_alu 0xfffe
	s_cbranch_vccnz .LBB505_27
; %bb.26:                               ;   in Loop: Header=BB505_8 Depth=1
	v_add_co_u32 v33, vcc_lo, v24, v8
	s_wait_alu 0xfffd
	v_add_co_ci_u32_e64 v34, null, v25, v9, vcc_lo
	flat_store_b64 v[33:34], v[14:15]
.LBB505_27:                             ;   in Loop: Header=BB505_8 Depth=1
	s_wait_alu 0xfffe
	s_or_b32 exec_lo, exec_lo, s22
	s_and_saveexec_b32 s22, s1
	s_cbranch_execz .LBB505_32
; %bb.28:                               ;   in Loop: Header=BB505_8 Depth=1
	v_mul_f32_e32 v15, s10, v32
	v_mul_f32_e32 v14, s11, v32
	s_and_not1_b32 vcc_lo, exec_lo, s37
	s_mov_b32 s23, -1
	s_delay_alu instid0(VALU_DEP_2) | instskip(NEXT) | instid1(VALU_DEP_2)
	v_fmac_f32_e32 v15, s11, v31
	v_fma_f32 v14, v31, s10, -v14
	s_wait_alu 0xfffe
	s_cbranch_vccnz .LBB505_30
; %bb.29:                               ;   in Loop: Header=BB505_8 Depth=1
	v_add_co_u32 v31, vcc_lo, v24, v10
	s_wait_alu 0xfffd
	v_add_co_ci_u32_e64 v32, null, v25, v11, vcc_lo
	s_mov_b32 s23, 0
	flat_load_b64 v[33:34], v[31:32]
	s_wait_loadcnt_dscnt 0x0
	v_mul_f32_e32 v26, s7, v34
	v_mul_f32_e32 v34, s6, v34
	s_delay_alu instid0(VALU_DEP_2) | instskip(NEXT) | instid1(VALU_DEP_1)
	v_fma_f32 v26, v33, s6, -v26
	v_dual_fmac_f32 v34, s7, v33 :: v_dual_add_f32 v33, v14, v26
	s_delay_alu instid0(VALU_DEP_1)
	v_add_f32_e32 v34, v15, v34
	flat_store_b64 v[31:32], v[33:34]
.LBB505_30:                             ;   in Loop: Header=BB505_8 Depth=1
	s_wait_alu 0xfffe
	s_and_not1_b32 vcc_lo, exec_lo, s23
	s_wait_alu 0xfffe
	s_cbranch_vccnz .LBB505_32
; %bb.31:                               ;   in Loop: Header=BB505_8 Depth=1
	v_add_co_u32 v24, vcc_lo, v24, v10
	s_wait_alu 0xfffd
	v_add_co_ci_u32_e64 v25, null, v25, v11, vcc_lo
	flat_store_b64 v[24:25], v[14:15]
.LBB505_32:                             ;   in Loop: Header=BB505_8 Depth=1
	s_wait_alu 0xfffe
	s_or_b32 exec_lo, exec_lo, s22
	v_add_co_u32 v0, vcc_lo, v0, v6
	s_wait_alu 0xfffd
	v_add_co_ci_u32_e64 v23, null, v23, v7, vcc_lo
	s_and_saveexec_b32 s22, s29
	s_cbranch_execz .LBB505_37
; %bb.33:                               ;   in Loop: Header=BB505_8 Depth=1
	v_mul_f32_e32 v15, s10, v30
	v_mul_f32_e32 v14, s11, v30
	s_and_not1_b32 vcc_lo, exec_lo, s37
	s_mov_b32 s23, -1
	s_delay_alu instid0(VALU_DEP_2) | instskip(NEXT) | instid1(VALU_DEP_2)
	v_fmac_f32_e32 v15, s11, v29
	v_fma_f32 v14, v29, s10, -v14
	s_wait_alu 0xfffe
	s_cbranch_vccnz .LBB505_35
; %bb.34:                               ;   in Loop: Header=BB505_8 Depth=1
	v_add_co_u32 v24, vcc_lo, v0, v8
	s_wait_alu 0xfffd
	v_add_co_ci_u32_e64 v25, null, v23, v9, vcc_lo
	s_mov_b32 s23, 0
	flat_load_b64 v[29:30], v[24:25]
	s_wait_loadcnt_dscnt 0x0
	v_mul_f32_e32 v26, s7, v30
	v_mul_f32_e32 v30, s6, v30
	s_delay_alu instid0(VALU_DEP_2) | instskip(NEXT) | instid1(VALU_DEP_1)
	v_fma_f32 v26, v29, s6, -v26
	v_dual_fmac_f32 v30, s7, v29 :: v_dual_add_f32 v29, v14, v26
	s_delay_alu instid0(VALU_DEP_1)
	v_add_f32_e32 v30, v15, v30
	flat_store_b64 v[24:25], v[29:30]
.LBB505_35:                             ;   in Loop: Header=BB505_8 Depth=1
	s_wait_alu 0xfffe
	s_and_not1_b32 vcc_lo, exec_lo, s23
	s_wait_alu 0xfffe
	s_cbranch_vccnz .LBB505_37
; %bb.36:                               ;   in Loop: Header=BB505_8 Depth=1
	v_add_co_u32 v24, vcc_lo, v0, v8
	s_wait_alu 0xfffd
	v_add_co_ci_u32_e64 v25, null, v23, v9, vcc_lo
	flat_store_b64 v[24:25], v[14:15]
.LBB505_37:                             ;   in Loop: Header=BB505_8 Depth=1
	s_wait_alu 0xfffe
	s_or_b32 exec_lo, exec_lo, s22
	s_and_saveexec_b32 s22, s35
	s_cbranch_execz .LBB505_7
; %bb.38:                               ;   in Loop: Header=BB505_8 Depth=1
	v_mul_f32_e32 v15, s10, v27
	v_mul_f32_e32 v14, s11, v27
	s_and_not1_b32 vcc_lo, exec_lo, s37
	s_mov_b32 s23, -1
	s_delay_alu instid0(VALU_DEP_2) | instskip(NEXT) | instid1(VALU_DEP_2)
	v_fmac_f32_e32 v15, s11, v28
	v_fma_f32 v14, v28, s10, -v14
	s_wait_alu 0xfffe
	s_cbranch_vccnz .LBB505_40
; %bb.39:                               ;   in Loop: Header=BB505_8 Depth=1
	v_add_co_u32 v24, vcc_lo, v0, v10
	s_wait_alu 0xfffd
	v_add_co_ci_u32_e64 v25, null, v23, v11, vcc_lo
	s_mov_b32 s23, 0
	flat_load_b64 v[26:27], v[24:25]
	s_wait_loadcnt_dscnt 0x0
	v_mul_f32_e32 v28, s7, v27
	v_mul_f32_e32 v27, s6, v27
	s_delay_alu instid0(VALU_DEP_1) | instskip(NEXT) | instid1(VALU_DEP_3)
	v_fmac_f32_e32 v27, s7, v26
	v_fma_f32 v28, v26, s6, -v28
	s_delay_alu instid0(VALU_DEP_1)
	v_dual_add_f32 v27, v15, v27 :: v_dual_add_f32 v26, v14, v28
	flat_store_b64 v[24:25], v[26:27]
.LBB505_40:                             ;   in Loop: Header=BB505_8 Depth=1
	s_wait_alu 0xfffe
	s_and_not1_b32 vcc_lo, exec_lo, s23
	s_wait_alu 0xfffe
	s_cbranch_vccnz .LBB505_7
; %bb.41:                               ;   in Loop: Header=BB505_8 Depth=1
	v_add_co_u32 v24, vcc_lo, v0, v10
	s_wait_alu 0xfffd
	v_add_co_ci_u32_e64 v25, null, v23, v11, vcc_lo
	flat_store_b64 v[24:25], v[14:15]
	s_branch .LBB505_7
.LBB505_42:
	s_endpgm
	.section	.rodata,"a",@progbits
	.p2align	6, 0x0
	.amdhsa_kernel _ZL29rocblas_internal_gemmt_kernelIlLi16ELi32ELi8ELc78ELc84ELc85ELb0ELb0E19rocblas_complex_numIfEPKS1_PKS3_PKPS1_EviT_T9_T10_S9_lSB_S9_lSA_T11_S9_li
		.amdhsa_group_segment_fixed_size 4096
		.amdhsa_private_segment_fixed_size 0
		.amdhsa_kernarg_size 108
		.amdhsa_user_sgpr_count 2
		.amdhsa_user_sgpr_dispatch_ptr 0
		.amdhsa_user_sgpr_queue_ptr 0
		.amdhsa_user_sgpr_kernarg_segment_ptr 1
		.amdhsa_user_sgpr_dispatch_id 0
		.amdhsa_user_sgpr_private_segment_size 0
		.amdhsa_wavefront_size32 1
		.amdhsa_uses_dynamic_stack 0
		.amdhsa_enable_private_segment 0
		.amdhsa_system_sgpr_workgroup_id_x 1
		.amdhsa_system_sgpr_workgroup_id_y 1
		.amdhsa_system_sgpr_workgroup_id_z 1
		.amdhsa_system_sgpr_workgroup_info 0
		.amdhsa_system_vgpr_workitem_id 1
		.amdhsa_next_free_vgpr 72
		.amdhsa_next_free_sgpr 41
		.amdhsa_reserve_vcc 1
		.amdhsa_float_round_mode_32 0
		.amdhsa_float_round_mode_16_64 0
		.amdhsa_float_denorm_mode_32 3
		.amdhsa_float_denorm_mode_16_64 3
		.amdhsa_fp16_overflow 0
		.amdhsa_workgroup_processor_mode 1
		.amdhsa_memory_ordered 1
		.amdhsa_forward_progress 1
		.amdhsa_inst_pref_size 26
		.amdhsa_round_robin_scheduling 0
		.amdhsa_exception_fp_ieee_invalid_op 0
		.amdhsa_exception_fp_denorm_src 0
		.amdhsa_exception_fp_ieee_div_zero 0
		.amdhsa_exception_fp_ieee_overflow 0
		.amdhsa_exception_fp_ieee_underflow 0
		.amdhsa_exception_fp_ieee_inexact 0
		.amdhsa_exception_int_div_zero 0
	.end_amdhsa_kernel
	.section	.text._ZL29rocblas_internal_gemmt_kernelIlLi16ELi32ELi8ELc78ELc84ELc85ELb0ELb0E19rocblas_complex_numIfEPKS1_PKS3_PKPS1_EviT_T9_T10_S9_lSB_S9_lSA_T11_S9_li,"axG",@progbits,_ZL29rocblas_internal_gemmt_kernelIlLi16ELi32ELi8ELc78ELc84ELc85ELb0ELb0E19rocblas_complex_numIfEPKS1_PKS3_PKPS1_EviT_T9_T10_S9_lSB_S9_lSA_T11_S9_li,comdat
.Lfunc_end505:
	.size	_ZL29rocblas_internal_gemmt_kernelIlLi16ELi32ELi8ELc78ELc84ELc85ELb0ELb0E19rocblas_complex_numIfEPKS1_PKS3_PKPS1_EviT_T9_T10_S9_lSB_S9_lSA_T11_S9_li, .Lfunc_end505-_ZL29rocblas_internal_gemmt_kernelIlLi16ELi32ELi8ELc78ELc84ELc85ELb0ELb0E19rocblas_complex_numIfEPKS1_PKS3_PKPS1_EviT_T9_T10_S9_lSB_S9_lSA_T11_S9_li
                                        ; -- End function
	.set _ZL29rocblas_internal_gemmt_kernelIlLi16ELi32ELi8ELc78ELc84ELc85ELb0ELb0E19rocblas_complex_numIfEPKS1_PKS3_PKPS1_EviT_T9_T10_S9_lSB_S9_lSA_T11_S9_li.num_vgpr, 72
	.set _ZL29rocblas_internal_gemmt_kernelIlLi16ELi32ELi8ELc78ELc84ELc85ELb0ELb0E19rocblas_complex_numIfEPKS1_PKS3_PKPS1_EviT_T9_T10_S9_lSB_S9_lSA_T11_S9_li.num_agpr, 0
	.set _ZL29rocblas_internal_gemmt_kernelIlLi16ELi32ELi8ELc78ELc84ELc85ELb0ELb0E19rocblas_complex_numIfEPKS1_PKS3_PKPS1_EviT_T9_T10_S9_lSB_S9_lSA_T11_S9_li.numbered_sgpr, 41
	.set _ZL29rocblas_internal_gemmt_kernelIlLi16ELi32ELi8ELc78ELc84ELc85ELb0ELb0E19rocblas_complex_numIfEPKS1_PKS3_PKPS1_EviT_T9_T10_S9_lSB_S9_lSA_T11_S9_li.num_named_barrier, 0
	.set _ZL29rocblas_internal_gemmt_kernelIlLi16ELi32ELi8ELc78ELc84ELc85ELb0ELb0E19rocblas_complex_numIfEPKS1_PKS3_PKPS1_EviT_T9_T10_S9_lSB_S9_lSA_T11_S9_li.private_seg_size, 0
	.set _ZL29rocblas_internal_gemmt_kernelIlLi16ELi32ELi8ELc78ELc84ELc85ELb0ELb0E19rocblas_complex_numIfEPKS1_PKS3_PKPS1_EviT_T9_T10_S9_lSB_S9_lSA_T11_S9_li.uses_vcc, 1
	.set _ZL29rocblas_internal_gemmt_kernelIlLi16ELi32ELi8ELc78ELc84ELc85ELb0ELb0E19rocblas_complex_numIfEPKS1_PKS3_PKPS1_EviT_T9_T10_S9_lSB_S9_lSA_T11_S9_li.uses_flat_scratch, 0
	.set _ZL29rocblas_internal_gemmt_kernelIlLi16ELi32ELi8ELc78ELc84ELc85ELb0ELb0E19rocblas_complex_numIfEPKS1_PKS3_PKPS1_EviT_T9_T10_S9_lSB_S9_lSA_T11_S9_li.has_dyn_sized_stack, 0
	.set _ZL29rocblas_internal_gemmt_kernelIlLi16ELi32ELi8ELc78ELc84ELc85ELb0ELb0E19rocblas_complex_numIfEPKS1_PKS3_PKPS1_EviT_T9_T10_S9_lSB_S9_lSA_T11_S9_li.has_recursion, 0
	.set _ZL29rocblas_internal_gemmt_kernelIlLi16ELi32ELi8ELc78ELc84ELc85ELb0ELb0E19rocblas_complex_numIfEPKS1_PKS3_PKPS1_EviT_T9_T10_S9_lSB_S9_lSA_T11_S9_li.has_indirect_call, 0
	.section	.AMDGPU.csdata,"",@progbits
; Kernel info:
; codeLenInByte = 3284
; TotalNumSgprs: 43
; NumVgprs: 72
; ScratchSize: 0
; MemoryBound: 0
; FloatMode: 240
; IeeeMode: 1
; LDSByteSize: 4096 bytes/workgroup (compile time only)
; SGPRBlocks: 0
; VGPRBlocks: 8
; NumSGPRsForWavesPerEU: 43
; NumVGPRsForWavesPerEU: 72
; Occupancy: 16
; WaveLimiterHint : 1
; COMPUTE_PGM_RSRC2:SCRATCH_EN: 0
; COMPUTE_PGM_RSRC2:USER_SGPR: 2
; COMPUTE_PGM_RSRC2:TRAP_HANDLER: 0
; COMPUTE_PGM_RSRC2:TGID_X_EN: 1
; COMPUTE_PGM_RSRC2:TGID_Y_EN: 1
; COMPUTE_PGM_RSRC2:TGID_Z_EN: 1
; COMPUTE_PGM_RSRC2:TIDIG_COMP_CNT: 1
	.section	.text._ZL29rocblas_internal_gemmt_kernelIlLi16ELi32ELi8ELc78ELc67ELc85ELb0ELb1E19rocblas_complex_numIfEPKS1_PKS3_PKPS1_EviT_T9_T10_S9_lSB_S9_lSA_T11_S9_li,"axG",@progbits,_ZL29rocblas_internal_gemmt_kernelIlLi16ELi32ELi8ELc78ELc67ELc85ELb0ELb1E19rocblas_complex_numIfEPKS1_PKS3_PKPS1_EviT_T9_T10_S9_lSB_S9_lSA_T11_S9_li,comdat
	.globl	_ZL29rocblas_internal_gemmt_kernelIlLi16ELi32ELi8ELc78ELc67ELc85ELb0ELb1E19rocblas_complex_numIfEPKS1_PKS3_PKPS1_EviT_T9_T10_S9_lSB_S9_lSA_T11_S9_li ; -- Begin function _ZL29rocblas_internal_gemmt_kernelIlLi16ELi32ELi8ELc78ELc67ELc85ELb0ELb1E19rocblas_complex_numIfEPKS1_PKS3_PKPS1_EviT_T9_T10_S9_lSB_S9_lSA_T11_S9_li
	.p2align	8
	.type	_ZL29rocblas_internal_gemmt_kernelIlLi16ELi32ELi8ELc78ELc67ELc85ELb0ELb1E19rocblas_complex_numIfEPKS1_PKS3_PKPS1_EviT_T9_T10_S9_lSB_S9_lSA_T11_S9_li,@function
_ZL29rocblas_internal_gemmt_kernelIlLi16ELi32ELi8ELc78ELc67ELc85ELb0ELb1E19rocblas_complex_numIfEPKS1_PKS3_PKPS1_EviT_T9_T10_S9_lSB_S9_lSA_T11_S9_li: ; @_ZL29rocblas_internal_gemmt_kernelIlLi16ELi32ELi8ELc78ELc67ELc85ELb0ELb1E19rocblas_complex_numIfEPKS1_PKS3_PKPS1_EviT_T9_T10_S9_lSB_S9_lSA_T11_S9_li
; %bb.0:
	s_load_b256 s[24:31], s[0:1], 0x48
	s_wait_kmcnt 0x0
	s_load_b64 s[6:7], s[24:25], 0x0
	s_load_b512 s[8:23], s[0:1], 0x8
	s_wait_kmcnt 0x0
	s_cmp_eq_f32 s6, 1.0
	s_load_b64 s[10:11], s[10:11], 0x0
	s_cselect_b32 s2, -1, 0
	s_and_b32 s3, s7, 0x7fffffff
	s_delay_alu instid0(SALU_CYCLE_1) | instskip(SKIP_1) | instid1(SALU_CYCLE_1)
	s_cmp_eq_u32 s3, 0
	s_cselect_b32 s3, -1, 0
	s_and_b32 s4, s2, s3
	s_mov_b32 s2, 0
	s_and_not1_b32 vcc_lo, exec_lo, s4
	s_mov_b32 s4, -1
	s_cbranch_vccnz .LBB506_4
; %bb.1:
	s_cmp_lg_u64 s[8:9], 0
	s_cbranch_scc0 .LBB506_3
; %bb.2:
	s_wait_kmcnt 0x0
	s_cmp_neq_f32 s10, 0
	s_cselect_b32 s2, -1, 0
	s_cmp_neq_f32 s11, 0
	s_cselect_b32 s4, -1, 0
	s_delay_alu instid0(SALU_CYCLE_1)
	s_or_b32 s2, s2, s4
.LBB506_3:
	s_delay_alu instid0(SALU_CYCLE_1)
	s_mov_b32 s4, s2
.LBB506_4:
	s_delay_alu instid0(SALU_CYCLE_1)
	s_and_b32 vcc_lo, exec_lo, s4
	s_cbranch_vccz .LBB506_42
; %bb.5:
	s_load_b32 s33, s[0:1], 0x68
	s_lshr_b32 s24, ttmp7, 16
	s_wait_kmcnt 0x0
	s_cmp_ge_u32 s24, s33
	s_cbranch_scc1 .LBB506_42
; %bb.6:
	v_and_b32_e32 v6, 0x3ff, v0
	v_bfe_u32 v11, v0, 10, 10
	s_load_b32 s4, s[0:1], 0x0
	s_lshl_b32 s0, ttmp7, 5
	v_and_b32_e32 v16, 7, v0
	s_and_b32 s2, s0, 0x1fffe0
	v_lshl_add_u32 v1, v11, 4, v6
	v_add_nc_u32_e32 v15, s2, v11
	s_lshl_b32 s1, ttmp9, 5
	s_cmp_neq_f32 s10, 0
	v_lshl_add_u32 v21, v11, 6, 0x800
	v_and_b32_e32 v0, 31, v1
	v_lshrrev_b32_e32 v3, 3, v1
	v_lshrrev_b32_e32 v17, 5, v1
	v_mad_co_u64_u32 v[4:5], null, s28, v15, 0
	s_delay_alu instid0(VALU_DEP_4)
	v_or_b32_e32 v2, s1, v0
	v_lshlrev_b32_e32 v0, 3, v0
	v_lshlrev_b32_e32 v1, 3, v16
	v_add_nc_u32_e32 v22, 16, v15
	s_cselect_b32 s0, -1, 0
	s_cmp_neq_f32 s11, 0
	v_lshl_or_b32 v18, v17, 8, v0
	v_lshl_or_b32 v0, v3, 6, v1
	v_dual_mov_b32 v1, 0 :: v_dual_lshlrev_b32 v20, 3, v6
	v_add_nc_u32_e32 v8, s1, v6
	v_mad_co_u64_u32 v[6:7], null, s28, v22, 0
	s_delay_alu instid0(VALU_DEP_4)
	v_dual_mov_b32 v0, v5 :: v_dual_add_nc_u32 v19, 0x800, v0
	s_cselect_b32 s5, -1, 0
	v_add_nc_u32_e32 v14, s2, v3
	s_wait_alu 0xfffe
	s_or_b32 s36, s0, s5
	v_ashrrev_i32_e32 v3, 31, v2
	v_mad_co_u64_u32 v[9:10], null, s29, v15, v[0:1]
	v_mov_b32_e32 v0, v7
	v_add_nc_u32_e32 v10, 16, v8
	s_wait_kmcnt 0x0
	v_cmp_gt_i32_e64 s1, s4, v15
	v_cmp_le_i32_e64 s2, v8, v15
	s_cmp_neq_f32 s6, 0
	v_mad_co_u64_u32 v[12:13], null, s29, v22, v[0:1]
	v_mov_b32_e32 v5, v9
	v_ashrrev_i32_e32 v9, 31, v8
	v_ashrrev_i32_e32 v11, 31, v10
	v_cmp_gt_i64_e64 s37, s[8:9], 0
	v_cmp_gt_i32_e64 s0, s4, v2
	v_cmp_le_i32_e64 s34, s4, v2
	v_mov_b32_e32 v7, v12
	v_cmp_gt_i32_e32 vcc_lo, s4, v14
	s_cselect_b32 s38, -1, 0
	s_xor_b32 s39, s3, -1
	s_and_b32 s28, s1, s2
	v_cmp_le_i32_e64 s2, v10, v15
	v_cmp_gt_i32_e64 s3, s4, v22
	v_cmp_le_i32_e64 s4, v8, v22
	v_cmp_le_i32_e64 s5, v10, v22
	v_lshlrev_b64_e32 v[2:3], 3, v[2:3]
	v_lshlrev_b64_e32 v[4:5], 3, v[4:5]
	;; [unrolled: 1-line block ×5, first 2 shown]
	v_lshlrev_b32_e32 v22, 3, v14
	s_mov_b32 s25, 0
	s_and_b32 s1, s1, s2
	s_and_b32 s29, s3, s4
	;; [unrolled: 1-line block ×4, first 2 shown]
	s_lshl_b64 s[2:3], s[22:23], 3
	s_or_b32 s37, s38, s39
	s_lshl_b64 s[4:5], s[16:17], 3
	s_xor_b32 s38, vcc_lo, -1
	s_lshl_b64 s[16:17], s[30:31], 3
                                        ; implicit-def: $vgpr12_vgpr13
	s_branch .LBB506_8
.LBB506_7:                              ;   in Loop: Header=BB506_8 Depth=1
	s_wait_alu 0xfffe
	s_or_b32 exec_lo, exec_lo, s22
	s_add_co_i32 s24, s24, 0x10000
	s_delay_alu instid0(SALU_CYCLE_1)
	s_cmp_lt_u32 s24, s33
	s_cbranch_scc0 .LBB506_42
.LBB506_8:                              ; =>This Loop Header: Depth=1
                                        ;     Child Loop BB506_11 Depth 2
	s_lshl_b64 s[22:23], s[24:25], 3
	s_and_not1_b32 vcc_lo, exec_lo, s36
	s_wait_alu 0xfffe
	s_add_nc_u64 s[30:31], s[26:27], s[22:23]
	global_load_b64 v[14:15], v1, s[30:31]
	s_cbranch_vccnz .LBB506_21
; %bb.9:                                ;   in Loop: Header=BB506_8 Depth=1
	s_add_nc_u64 s[30:31], s[12:13], s[22:23]
	s_add_nc_u64 s[22:23], s[18:19], s[22:23]
	s_clause 0x1
	global_load_b64 v[23:24], v1, s[30:31]
	global_load_b64 v[25:26], v1, s[22:23]
	v_dual_mov_b32 v27, 0 :: v_dual_mov_b32 v28, 0
	v_dual_mov_b32 v30, 0 :: v_dual_mov_b32 v29, 0
	;; [unrolled: 1-line block ×4, first 2 shown]
	s_mov_b64 s[22:23], 0
	s_wait_loadcnt 0x1
	v_add_co_u32 v0, vcc_lo, v23, s4
	s_wait_alu 0xfffd
	v_add_co_ci_u32_e64 v24, null, s5, v24, vcc_lo
	s_wait_loadcnt 0x0
	v_add_co_u32 v25, vcc_lo, v25, s2
	s_wait_alu 0xfffd
	v_add_co_ci_u32_e64 v26, null, s3, v26, vcc_lo
	v_add_co_u32 v23, vcc_lo, v0, v2
	s_wait_alu 0xfffd
	v_add_co_ci_u32_e64 v24, null, v24, v3, vcc_lo
	;; [unrolled: 3-line block ×3, first 2 shown]
	s_branch .LBB506_11
.LBB506_10:                             ;   in Loop: Header=BB506_11 Depth=2
	s_or_b32 exec_lo, exec_lo, s30
	ds_store_b32 v19, v35 offset:4
	s_wait_dscnt 0x0
	s_barrier_signal -1
	s_barrier_wait -1
	global_inv scope:SCOPE_SE
	ds_load_b128 v[35:38], v21
	ds_load_2addr_b64 v[39:42], v20 offset1:16
	ds_load_b128 v[43:46], v21 offset:1024
	ds_load_b128 v[47:50], v21 offset:16
	;; [unrolled: 1-line block ×4, first 2 shown]
	ds_load_2addr_b64 v[59:62], v20 offset0:32 offset1:48
	ds_load_b128 v[63:66], v21 offset:1040
	s_add_nc_u64 s[22:23], s[22:23], 8
	s_wait_alu 0xfffe
	v_cmp_gt_i64_e64 s30, s[8:9], s[22:23]
	s_and_b32 vcc_lo, exec_lo, s30
	s_wait_dscnt 0x6
	v_dual_mul_f32 v0, v36, v40 :: v_dual_mul_f32 v69, v35, v42
	v_dual_mul_f32 v67, v35, v40 :: v_dual_mul_f32 v68, v36, v42
	s_wait_dscnt 0x5
	v_mul_f32_e32 v71, v44, v42
	s_delay_alu instid0(VALU_DEP_3) | instskip(SKIP_3) | instid1(VALU_DEP_4)
	v_fma_f32 v0, v35, v39, -v0
	v_dual_mul_f32 v42, v43, v42 :: v_dual_fmac_f32 v69, v36, v41
	v_fmac_f32_e32 v67, v36, v39
	v_fma_f32 v35, v35, v41, -v68
	v_add_f32_e32 v0, v33, v0
	v_mul_f32_e32 v70, v44, v40
	s_delay_alu instid0(VALU_DEP_4) | instskip(NEXT) | instid1(VALU_DEP_4)
	v_dual_mul_f32 v40, v43, v40 :: v_dual_add_f32 v33, v34, v67
	v_add_f32_e32 v34, v31, v35
	v_fma_f32 v31, v43, v41, -v71
	s_delay_alu instid0(VALU_DEP_4) | instskip(NEXT) | instid1(VALU_DEP_4)
	v_fma_f32 v36, v43, v39, -v70
	v_fmac_f32_e32 v40, v44, v39
	s_wait_dscnt 0x1
	v_dual_add_f32 v32, v32, v69 :: v_dual_mul_f32 v39, v38, v60
	v_dual_fmac_f32 v42, v44, v41 :: v_dual_mul_f32 v43, v38, v62
	v_add_f32_e32 v35, v29, v36
	v_add_f32_e32 v36, v30, v40
	v_dual_add_f32 v40, v28, v31 :: v_dual_mul_f32 v41, v37, v60
	ds_load_2addr_b64 v[28:31], v20 offset0:64 offset1:80
	v_fma_f32 v39, v37, v59, -v39
	v_add_f32_e32 v27, v27, v42
	v_dual_mul_f32 v42, v37, v62 :: v_dual_fmac_f32 v41, v38, v59
	v_fma_f32 v37, v37, v61, -v43
	s_delay_alu instid0(VALU_DEP_4) | instskip(NEXT) | instid1(VALU_DEP_3)
	v_dual_add_f32 v0, v0, v39 :: v_dual_mul_f32 v39, v46, v60
	v_fmac_f32_e32 v42, v38, v61
	s_delay_alu instid0(VALU_DEP_4)
	v_add_f32_e32 v41, v33, v41
	v_mul_f32_e32 v33, v45, v60
	v_add_f32_e32 v37, v34, v37
	v_fma_f32 v34, v45, v59, -v39
	v_mul_f32_e32 v38, v46, v62
	v_add_f32_e32 v39, v32, v42
	v_dual_mul_f32 v42, v45, v62 :: v_dual_fmac_f32 v33, v46, v59
	s_delay_alu instid0(VALU_DEP_4) | instskip(NEXT) | instid1(VALU_DEP_4)
	v_add_f32_e32 v43, v35, v34
	v_fma_f32 v32, v45, v61, -v38
	s_wait_dscnt 0x0
	v_mul_f32_e32 v34, v48, v29
	v_dual_fmac_f32 v42, v46, v61 :: v_dual_mul_f32 v45, v48, v31
	s_delay_alu instid0(VALU_DEP_3) | instskip(SKIP_1) | instid1(VALU_DEP_4)
	v_add_f32_e32 v40, v40, v32
	v_add_f32_e32 v36, v36, v33
	v_fma_f32 v44, v47, v28, -v34
	s_delay_alu instid0(VALU_DEP_4)
	v_add_f32_e32 v42, v27, v42
	v_mul_f32_e32 v27, v47, v31
	v_mul_f32_e32 v38, v47, v29
	ds_load_2addr_b64 v[32:35], v20 offset0:96 offset1:112
	v_add_f32_e32 v0, v0, v44
	v_fma_f32 v44, v47, v30, -v45
	v_fmac_f32_e32 v27, v48, v30
	v_fmac_f32_e32 v38, v48, v28
	s_delay_alu instid0(VALU_DEP_3) | instskip(NEXT) | instid1(VALU_DEP_2)
	v_dual_add_f32 v37, v37, v44 :: v_dual_mul_f32 v44, v64, v31
	v_dual_add_f32 v38, v41, v38 :: v_dual_mul_f32 v41, v64, v29
	v_mul_f32_e32 v29, v63, v29
	v_mul_f32_e32 v31, v63, v31
	v_add_f32_e32 v45, v39, v27
	v_fma_f32 v27, v63, v30, -v44
	v_fma_f32 v41, v63, v28, -v41
	v_fmac_f32_e32 v29, v64, v28
	v_fmac_f32_e32 v31, v64, v30
	s_delay_alu instid0(VALU_DEP_3) | instskip(SKIP_1) | instid1(VALU_DEP_3)
	v_dual_add_f32 v40, v40, v27 :: v_dual_add_f32 v41, v43, v41
	s_wait_dscnt 0x0
	v_dual_add_f32 v43, v36, v29 :: v_dual_mul_f32 v44, v50, v35
	ds_load_2addr_b64 v[27:30], v20 offset0:128 offset1:144
	v_mul_f32_e32 v36, v50, v33
	v_mul_f32_e32 v48, v66, v35
	v_fma_f32 v44, v49, v34, -v44
	s_delay_alu instid0(VALU_DEP_3) | instskip(NEXT) | instid1(VALU_DEP_1)
	v_fma_f32 v36, v49, v32, -v36
	v_add_f32_e32 v0, v0, v36
	v_mul_f32_e32 v36, v66, v33
	v_dual_mul_f32 v39, v49, v33 :: v_dual_add_f32 v42, v42, v31
	v_mul_f32_e32 v31, v49, v35
	v_mul_f32_e32 v33, v65, v33
	s_delay_alu instid0(VALU_DEP_4) | instskip(NEXT) | instid1(VALU_DEP_2)
	v_fma_f32 v47, v65, v32, -v36
	v_fmac_f32_e32 v33, v66, v32
	v_fmac_f32_e32 v39, v50, v32
	s_wait_dscnt 0x0
	v_dual_mul_f32 v32, v52, v28 :: v_dual_fmac_f32 v31, v50, v34
	s_delay_alu instid0(VALU_DEP_1) | instskip(SKIP_1) | instid1(VALU_DEP_2)
	v_dual_mul_f32 v50, v51, v28 :: v_dual_add_f32 v45, v45, v31
	v_fma_f32 v31, v65, v34, -v48
	v_fmac_f32_e32 v50, v52, v27
	v_add_f32_e32 v48, v43, v33
	v_add_f32_e32 v46, v38, v39
	;; [unrolled: 1-line block ×4, first 2 shown]
	v_fma_f32 v40, v51, v27, -v32
	v_mul_f32_e32 v35, v65, v35
	v_mul_f32_e32 v41, v52, v30
	v_add_f32_e32 v46, v46, v50
	s_delay_alu instid0(VALU_DEP_4) | instskip(NEXT) | instid1(VALU_DEP_4)
	v_add_f32_e32 v0, v0, v40
	v_dual_add_f32 v44, v37, v44 :: v_dual_fmac_f32 v35, v66, v34
	ds_load_b128 v[36:39], v21 offset:1056
	ds_load_2addr_b64 v[31:34], v20 offset0:160 offset1:176
	v_fma_f32 v59, v51, v29, -v41
	v_mul_f32_e32 v51, v51, v30
	v_add_f32_e32 v35, v42, v35
	ds_load_b128 v[40:43], v21 offset:1072
	v_add_f32_e32 v44, v44, v59
	s_wait_dscnt 0x2
	v_dual_fmac_f32 v51, v52, v29 :: v_dual_mul_f32 v52, v37, v30
	v_mul_f32_e32 v60, v37, v28
	v_mul_f32_e32 v28, v36, v28
	s_delay_alu instid0(VALU_DEP_2) | instskip(NEXT) | instid1(VALU_DEP_2)
	v_fma_f32 v50, v36, v27, -v60
	v_fmac_f32_e32 v28, v37, v27
	v_add_f32_e32 v45, v45, v51
	v_mul_f32_e32 v51, v36, v30
	v_fma_f32 v27, v36, v29, -v52
	s_delay_alu instid0(VALU_DEP_4) | instskip(SKIP_1) | instid1(VALU_DEP_3)
	v_dual_add_f32 v47, v47, v50 :: v_dual_add_f32 v36, v48, v28
	s_wait_dscnt 0x1
	v_dual_mul_f32 v48, v54, v32 :: v_dual_fmac_f32 v51, v37, v29
	v_dual_mul_f32 v50, v54, v34 :: v_dual_mul_f32 v37, v53, v32
	s_delay_alu instid0(VALU_DEP_2) | instskip(SKIP_4) | instid1(VALU_DEP_1)
	v_fma_f32 v48, v53, v31, -v48
	v_add_f32_e32 v49, v49, v27
	ds_load_2addr_b64 v[27:30], v20 offset0:192 offset1:208
	v_add_f32_e32 v0, v0, v48
	v_fma_f32 v48, v53, v33, -v50
	v_add_f32_e32 v44, v44, v48
	v_dual_mul_f32 v48, v39, v34 :: v_dual_fmac_f32 v37, v54, v31
	v_add_f32_e32 v51, v35, v51
	s_delay_alu instid0(VALU_DEP_2) | instskip(SKIP_2) | instid1(VALU_DEP_3)
	v_dual_mul_f32 v35, v53, v34 :: v_dual_add_f32 v46, v46, v37
	v_mul_f32_e32 v37, v39, v32
	v_mul_f32_e32 v32, v38, v32
	v_fmac_f32_e32 v35, v54, v33
	s_delay_alu instid0(VALU_DEP_3) | instskip(NEXT) | instid1(VALU_DEP_3)
	v_fma_f32 v37, v38, v31, -v37
	v_dual_fmac_f32 v32, v39, v31 :: v_dual_mul_f32 v31, v38, v34
	v_fma_f32 v34, v38, v33, -v48
	s_wait_dscnt 0x0
	v_dual_add_f32 v45, v45, v35 :: v_dual_mul_f32 v48, v56, v30
	s_delay_alu instid0(VALU_DEP_3) | instskip(NEXT) | instid1(VALU_DEP_3)
	v_dual_add_f32 v32, v36, v32 :: v_dual_fmac_f32 v31, v39, v33
	v_dual_add_f32 v33, v49, v34 :: v_dual_mul_f32 v34, v55, v28
	v_add_f32_e32 v47, v47, v37
	s_delay_alu instid0(VALU_DEP_4) | instskip(NEXT) | instid1(VALU_DEP_3)
	v_fma_f32 v48, v55, v29, -v48
	v_dual_mul_f32 v49, v41, v28 :: v_dual_fmac_f32 v34, v56, v27
	v_mul_f32_e32 v35, v56, v28
	v_mul_f32_e32 v28, v40, v28
	s_delay_alu instid0(VALU_DEP_4)
	v_add_f32_e32 v44, v44, v48
	v_mul_f32_e32 v48, v41, v30
	v_add_f32_e32 v34, v46, v34
	v_fma_f32 v39, v55, v27, -v35
	ds_load_2addr_b64 v[35:38], v20 offset0:224 offset1:240
	v_fmac_f32_e32 v28, v41, v27
	s_wait_loadcnt_dscnt 0x0
	s_barrier_signal -1
	v_dual_add_f32 v0, v0, v39 :: v_dual_mul_f32 v39, v55, v30
	v_dual_add_f32 v31, v51, v31 :: v_dual_mul_f32 v30, v40, v30
	v_fma_f32 v46, v40, v27, -v49
	v_fma_f32 v40, v40, v29, -v48
	s_delay_alu instid0(VALU_DEP_4)
	v_fmac_f32_e32 v39, v56, v29
	v_add_f32_e32 v28, v32, v28
	v_fmac_f32_e32 v30, v41, v29
	s_barrier_wait -1
	v_add_f32_e32 v40, v33, v40
	v_add_f32_e32 v27, v45, v39
	;; [unrolled: 1-line block ×3, first 2 shown]
	global_inv scope:SCOPE_SE
	v_mul_f32_e32 v32, v58, v36
	v_mul_f32_e32 v33, v58, v38
	v_add_f32_e32 v41, v31, v30
	s_delay_alu instid0(VALU_DEP_3) | instskip(SKIP_1) | instid1(VALU_DEP_4)
	v_fma_f32 v32, v57, v35, -v32
	v_mul_f32_e32 v30, v57, v38
	v_fma_f32 v31, v57, v37, -v33
	s_delay_alu instid0(VALU_DEP_3) | instskip(NEXT) | instid1(VALU_DEP_3)
	v_add_f32_e32 v33, v0, v32
	v_dual_mul_f32 v29, v57, v36 :: v_dual_fmac_f32 v30, v58, v37
	s_delay_alu instid0(VALU_DEP_3) | instskip(NEXT) | instid1(VALU_DEP_2)
	v_dual_mul_f32 v0, v43, v36 :: v_dual_add_f32 v31, v44, v31
	v_dual_mul_f32 v44, v43, v38 :: v_dual_fmac_f32 v29, v58, v35
	s_delay_alu instid0(VALU_DEP_3) | instskip(NEXT) | instid1(VALU_DEP_3)
	v_add_f32_e32 v32, v27, v30
	v_fma_f32 v0, v42, v35, -v0
	v_mul_f32_e32 v38, v42, v38
	s_delay_alu instid0(VALU_DEP_2) | instskip(NEXT) | instid1(VALU_DEP_2)
	v_dual_add_f32 v34, v34, v29 :: v_dual_add_f32 v29, v39, v0
	v_fmac_f32_e32 v38, v43, v37
	v_mul_f32_e32 v36, v42, v36
	v_fma_f32 v0, v42, v37, -v44
	s_delay_alu instid0(VALU_DEP_2) | instskip(NEXT) | instid1(VALU_DEP_1)
	v_dual_add_f32 v27, v41, v38 :: v_dual_fmac_f32 v36, v43, v35
	v_add_f32_e32 v30, v28, v36
	s_delay_alu instid0(VALU_DEP_3)
	v_add_f32_e32 v28, v40, v0
	s_wait_alu 0xfffe
	s_cbranch_vccz .LBB506_22
.LBB506_11:                             ;   Parent Loop BB506_8 Depth=1
                                        ; =>  This Inner Loop Header: Depth=2
	s_mov_b32 s30, 0
	s_mov_b32 s39, s34
	s_and_saveexec_b32 s31, s0
	s_cbranch_execnz .LBB506_19
; %bb.12:                               ;   in Loop: Header=BB506_11 Depth=2
	s_or_b32 exec_lo, exec_lo, s31
	s_and_saveexec_b32 s31, s39
	s_delay_alu instid0(SALU_CYCLE_1)
	s_xor_b32 s31, exec_lo, s31
	s_cbranch_execnz .LBB506_20
.LBB506_13:                             ;   in Loop: Header=BB506_11 Depth=2
	s_or_b32 exec_lo, exec_lo, s31
	s_and_saveexec_b32 s31, s30
	s_cbranch_execz .LBB506_15
.LBB506_14:                             ;   in Loop: Header=BB506_11 Depth=2
	v_mul_lo_u32 v0, s15, v12
	v_mul_lo_u32 v37, s14, v13
	v_mad_co_u64_u32 v[35:36], null, s14, v12, 0
	s_delay_alu instid0(VALU_DEP_1) | instskip(NEXT) | instid1(VALU_DEP_1)
	v_add3_u32 v36, v36, v37, v0
	v_lshlrev_b64_e32 v[35:36], 3, v[35:36]
	s_delay_alu instid0(VALU_DEP_1) | instskip(SKIP_1) | instid1(VALU_DEP_2)
	v_add_co_u32 v35, vcc_lo, v23, v35
	s_wait_alu 0xfffd
	v_add_co_ci_u32_e64 v36, null, v24, v36, vcc_lo
	flat_load_b64 v[35:36], v[35:36]
	s_wait_loadcnt_dscnt 0x0
	ds_store_b64 v18, v[35:36]
.LBB506_15:                             ;   in Loop: Header=BB506_11 Depth=2
	s_or_b32 exec_lo, exec_lo, s31
	s_wait_alu 0xfffe
	v_add_nc_u32_e32 v0, s22, v16
	s_delay_alu instid0(VALU_DEP_1) | instskip(SKIP_1) | instid1(SALU_CYCLE_1)
	v_cmp_le_u64_e32 vcc_lo, s[8:9], v[0:1]
	s_or_b32 s30, vcc_lo, s38
	s_and_saveexec_b32 s31, s30
	s_delay_alu instid0(SALU_CYCLE_1)
	s_xor_b32 s30, exec_lo, s31
; %bb.16:                               ;   in Loop: Header=BB506_11 Depth=2
	ds_store_b32 v19, v1
; %bb.17:                               ;   in Loop: Header=BB506_11 Depth=2
	s_or_saveexec_b32 s30, s30
	v_mov_b32_e32 v35, 0
	s_xor_b32 exec_lo, exec_lo, s30
	s_cbranch_execz .LBB506_10
; %bb.18:                               ;   in Loop: Header=BB506_11 Depth=2
	v_mad_co_u64_u32 v[35:36], null, s20, v0, 0
	s_delay_alu instid0(VALU_DEP_1) | instskip(NEXT) | instid1(VALU_DEP_1)
	v_mad_co_u64_u32 v[36:37], null, s21, v0, v[36:37]
	v_lshlrev_b64_e32 v[35:36], 3, v[35:36]
	s_delay_alu instid0(VALU_DEP_1) | instskip(SKIP_1) | instid1(VALU_DEP_2)
	v_add_co_u32 v35, vcc_lo, v25, v35
	s_wait_alu 0xfffd
	v_add_co_ci_u32_e64 v36, null, v26, v36, vcc_lo
	flat_load_b64 v[36:37], v[35:36]
	s_wait_loadcnt_dscnt 0x0
	v_xor_b32_e32 v35, 0x80000000, v37
	ds_store_b32 v19, v36
	s_branch .LBB506_10
.LBB506_19:                             ;   in Loop: Header=BB506_11 Depth=2
	s_wait_alu 0xfffe
	v_add_nc_u32_e32 v0, s22, v17
	v_mov_b32_e32 v13, v1
	s_and_not1_b32 s39, s34, exec_lo
	s_mov_b32 s30, exec_lo
	s_delay_alu instid0(VALU_DEP_2) | instskip(SKIP_2) | instid1(SALU_CYCLE_1)
	v_cmp_le_u64_e32 vcc_lo, s[8:9], v[0:1]
	v_mov_b32_e32 v12, v0
	s_and_b32 s40, vcc_lo, exec_lo
	s_or_b32 s39, s39, s40
	s_or_b32 exec_lo, exec_lo, s31
	s_and_saveexec_b32 s31, s39
	s_delay_alu instid0(SALU_CYCLE_1)
	s_xor_b32 s31, exec_lo, s31
	s_cbranch_execz .LBB506_13
.LBB506_20:                             ;   in Loop: Header=BB506_11 Depth=2
	v_mov_b32_e32 v0, v1
	s_and_not1_b32 s30, s30, exec_lo
	ds_store_b64 v18, v[0:1]
	s_or_b32 exec_lo, exec_lo, s31
	s_and_saveexec_b32 s31, s30
	s_cbranch_execnz .LBB506_14
	s_branch .LBB506_15
.LBB506_21:                             ;   in Loop: Header=BB506_8 Depth=1
	v_dual_mov_b32 v33, v1 :: v_dual_mov_b32 v34, v1
	v_dual_mov_b32 v31, v1 :: v_dual_mov_b32 v32, v1
	;; [unrolled: 1-line block ×4, first 2 shown]
.LBB506_22:                             ;   in Loop: Header=BB506_8 Depth=1
	s_wait_loadcnt 0x0
	v_add_co_u32 v0, vcc_lo, v14, s16
	s_wait_alu 0xfffd
	v_add_co_ci_u32_e64 v23, null, s17, v15, vcc_lo
	s_delay_alu instid0(VALU_DEP_2) | instskip(SKIP_1) | instid1(VALU_DEP_2)
	v_add_co_u32 v24, vcc_lo, v0, v4
	s_wait_alu 0xfffd
	v_add_co_ci_u32_e64 v25, null, v23, v5, vcc_lo
	s_wait_alu 0xfffe
	s_and_saveexec_b32 s22, s28
	s_cbranch_execz .LBB506_27
; %bb.23:                               ;   in Loop: Header=BB506_8 Depth=1
	v_mul_f32_e32 v15, s10, v34
	v_mul_f32_e32 v14, s11, v34
	s_and_b32 vcc_lo, exec_lo, s37
	s_mov_b32 s23, -1
	s_delay_alu instid0(VALU_DEP_2) | instskip(NEXT) | instid1(VALU_DEP_2)
	v_fmac_f32_e32 v15, s11, v33
	v_fma_f32 v14, v33, s10, -v14
	s_wait_alu 0xfffe
	s_cbranch_vccz .LBB506_25
; %bb.24:                               ;   in Loop: Header=BB506_8 Depth=1
	v_add_co_u32 v33, vcc_lo, v24, v8
	s_wait_alu 0xfffd
	v_add_co_ci_u32_e64 v34, null, v25, v9, vcc_lo
	s_mov_b32 s23, 0
	flat_load_b64 v[35:36], v[33:34]
	s_wait_loadcnt_dscnt 0x0
	v_mul_f32_e32 v26, s7, v36
	s_delay_alu instid0(VALU_DEP_1) | instskip(SKIP_1) | instid1(VALU_DEP_1)
	v_fma_f32 v26, v35, s6, -v26
	v_mul_f32_e32 v36, s6, v36
	v_dual_fmac_f32 v36, s7, v35 :: v_dual_add_f32 v35, v14, v26
	s_delay_alu instid0(VALU_DEP_1)
	v_add_f32_e32 v36, v15, v36
	flat_store_b64 v[33:34], v[35:36]
.LBB506_25:                             ;   in Loop: Header=BB506_8 Depth=1
	s_wait_alu 0xfffe
	s_and_not1_b32 vcc_lo, exec_lo, s23
	s_wait_alu 0xfffe
	s_cbranch_vccnz .LBB506_27
; %bb.26:                               ;   in Loop: Header=BB506_8 Depth=1
	v_add_co_u32 v33, vcc_lo, v24, v8
	s_wait_alu 0xfffd
	v_add_co_ci_u32_e64 v34, null, v25, v9, vcc_lo
	flat_store_b64 v[33:34], v[14:15]
.LBB506_27:                             ;   in Loop: Header=BB506_8 Depth=1
	s_wait_alu 0xfffe
	s_or_b32 exec_lo, exec_lo, s22
	s_and_saveexec_b32 s22, s1
	s_cbranch_execz .LBB506_32
; %bb.28:                               ;   in Loop: Header=BB506_8 Depth=1
	v_mul_f32_e32 v15, s10, v32
	v_mul_f32_e32 v14, s11, v32
	s_and_not1_b32 vcc_lo, exec_lo, s37
	s_mov_b32 s23, -1
	s_delay_alu instid0(VALU_DEP_2) | instskip(NEXT) | instid1(VALU_DEP_2)
	v_fmac_f32_e32 v15, s11, v31
	v_fma_f32 v14, v31, s10, -v14
	s_wait_alu 0xfffe
	s_cbranch_vccnz .LBB506_30
; %bb.29:                               ;   in Loop: Header=BB506_8 Depth=1
	v_add_co_u32 v31, vcc_lo, v24, v10
	s_wait_alu 0xfffd
	v_add_co_ci_u32_e64 v32, null, v25, v11, vcc_lo
	s_mov_b32 s23, 0
	flat_load_b64 v[33:34], v[31:32]
	s_wait_loadcnt_dscnt 0x0
	v_mul_f32_e32 v26, s7, v34
	v_mul_f32_e32 v34, s6, v34
	s_delay_alu instid0(VALU_DEP_2) | instskip(NEXT) | instid1(VALU_DEP_1)
	v_fma_f32 v26, v33, s6, -v26
	v_dual_fmac_f32 v34, s7, v33 :: v_dual_add_f32 v33, v14, v26
	s_delay_alu instid0(VALU_DEP_1)
	v_add_f32_e32 v34, v15, v34
	flat_store_b64 v[31:32], v[33:34]
.LBB506_30:                             ;   in Loop: Header=BB506_8 Depth=1
	s_wait_alu 0xfffe
	s_and_not1_b32 vcc_lo, exec_lo, s23
	s_wait_alu 0xfffe
	s_cbranch_vccnz .LBB506_32
; %bb.31:                               ;   in Loop: Header=BB506_8 Depth=1
	v_add_co_u32 v24, vcc_lo, v24, v10
	s_wait_alu 0xfffd
	v_add_co_ci_u32_e64 v25, null, v25, v11, vcc_lo
	flat_store_b64 v[24:25], v[14:15]
.LBB506_32:                             ;   in Loop: Header=BB506_8 Depth=1
	s_wait_alu 0xfffe
	s_or_b32 exec_lo, exec_lo, s22
	v_add_co_u32 v0, vcc_lo, v0, v6
	s_wait_alu 0xfffd
	v_add_co_ci_u32_e64 v23, null, v23, v7, vcc_lo
	s_and_saveexec_b32 s22, s29
	s_cbranch_execz .LBB506_37
; %bb.33:                               ;   in Loop: Header=BB506_8 Depth=1
	v_mul_f32_e32 v15, s10, v30
	v_mul_f32_e32 v14, s11, v30
	s_and_not1_b32 vcc_lo, exec_lo, s37
	s_mov_b32 s23, -1
	s_delay_alu instid0(VALU_DEP_2) | instskip(NEXT) | instid1(VALU_DEP_2)
	v_fmac_f32_e32 v15, s11, v29
	v_fma_f32 v14, v29, s10, -v14
	s_wait_alu 0xfffe
	s_cbranch_vccnz .LBB506_35
; %bb.34:                               ;   in Loop: Header=BB506_8 Depth=1
	v_add_co_u32 v24, vcc_lo, v0, v8
	s_wait_alu 0xfffd
	v_add_co_ci_u32_e64 v25, null, v23, v9, vcc_lo
	s_mov_b32 s23, 0
	flat_load_b64 v[29:30], v[24:25]
	s_wait_loadcnt_dscnt 0x0
	v_mul_f32_e32 v26, s7, v30
	v_mul_f32_e32 v30, s6, v30
	s_delay_alu instid0(VALU_DEP_2) | instskip(NEXT) | instid1(VALU_DEP_1)
	v_fma_f32 v26, v29, s6, -v26
	v_dual_fmac_f32 v30, s7, v29 :: v_dual_add_f32 v29, v14, v26
	s_delay_alu instid0(VALU_DEP_1)
	v_add_f32_e32 v30, v15, v30
	flat_store_b64 v[24:25], v[29:30]
.LBB506_35:                             ;   in Loop: Header=BB506_8 Depth=1
	s_wait_alu 0xfffe
	s_and_not1_b32 vcc_lo, exec_lo, s23
	s_wait_alu 0xfffe
	s_cbranch_vccnz .LBB506_37
; %bb.36:                               ;   in Loop: Header=BB506_8 Depth=1
	v_add_co_u32 v24, vcc_lo, v0, v8
	s_wait_alu 0xfffd
	v_add_co_ci_u32_e64 v25, null, v23, v9, vcc_lo
	flat_store_b64 v[24:25], v[14:15]
.LBB506_37:                             ;   in Loop: Header=BB506_8 Depth=1
	s_wait_alu 0xfffe
	s_or_b32 exec_lo, exec_lo, s22
	s_and_saveexec_b32 s22, s35
	s_cbranch_execz .LBB506_7
; %bb.38:                               ;   in Loop: Header=BB506_8 Depth=1
	v_mul_f32_e32 v15, s10, v27
	v_mul_f32_e32 v14, s11, v27
	s_and_not1_b32 vcc_lo, exec_lo, s37
	s_mov_b32 s23, -1
	s_delay_alu instid0(VALU_DEP_2) | instskip(NEXT) | instid1(VALU_DEP_2)
	v_fmac_f32_e32 v15, s11, v28
	v_fma_f32 v14, v28, s10, -v14
	s_wait_alu 0xfffe
	s_cbranch_vccnz .LBB506_40
; %bb.39:                               ;   in Loop: Header=BB506_8 Depth=1
	v_add_co_u32 v24, vcc_lo, v0, v10
	s_wait_alu 0xfffd
	v_add_co_ci_u32_e64 v25, null, v23, v11, vcc_lo
	s_mov_b32 s23, 0
	flat_load_b64 v[26:27], v[24:25]
	s_wait_loadcnt_dscnt 0x0
	v_mul_f32_e32 v28, s7, v27
	v_mul_f32_e32 v27, s6, v27
	s_delay_alu instid0(VALU_DEP_1) | instskip(NEXT) | instid1(VALU_DEP_3)
	v_fmac_f32_e32 v27, s7, v26
	v_fma_f32 v28, v26, s6, -v28
	s_delay_alu instid0(VALU_DEP_1)
	v_dual_add_f32 v27, v15, v27 :: v_dual_add_f32 v26, v14, v28
	flat_store_b64 v[24:25], v[26:27]
.LBB506_40:                             ;   in Loop: Header=BB506_8 Depth=1
	s_wait_alu 0xfffe
	s_and_not1_b32 vcc_lo, exec_lo, s23
	s_wait_alu 0xfffe
	s_cbranch_vccnz .LBB506_7
; %bb.41:                               ;   in Loop: Header=BB506_8 Depth=1
	v_add_co_u32 v24, vcc_lo, v0, v10
	s_wait_alu 0xfffd
	v_add_co_ci_u32_e64 v25, null, v23, v11, vcc_lo
	flat_store_b64 v[24:25], v[14:15]
	s_branch .LBB506_7
.LBB506_42:
	s_endpgm
	.section	.rodata,"a",@progbits
	.p2align	6, 0x0
	.amdhsa_kernel _ZL29rocblas_internal_gemmt_kernelIlLi16ELi32ELi8ELc78ELc67ELc85ELb0ELb1E19rocblas_complex_numIfEPKS1_PKS3_PKPS1_EviT_T9_T10_S9_lSB_S9_lSA_T11_S9_li
		.amdhsa_group_segment_fixed_size 4096
		.amdhsa_private_segment_fixed_size 0
		.amdhsa_kernarg_size 108
		.amdhsa_user_sgpr_count 2
		.amdhsa_user_sgpr_dispatch_ptr 0
		.amdhsa_user_sgpr_queue_ptr 0
		.amdhsa_user_sgpr_kernarg_segment_ptr 1
		.amdhsa_user_sgpr_dispatch_id 0
		.amdhsa_user_sgpr_private_segment_size 0
		.amdhsa_wavefront_size32 1
		.amdhsa_uses_dynamic_stack 0
		.amdhsa_enable_private_segment 0
		.amdhsa_system_sgpr_workgroup_id_x 1
		.amdhsa_system_sgpr_workgroup_id_y 1
		.amdhsa_system_sgpr_workgroup_id_z 1
		.amdhsa_system_sgpr_workgroup_info 0
		.amdhsa_system_vgpr_workitem_id 1
		.amdhsa_next_free_vgpr 72
		.amdhsa_next_free_sgpr 41
		.amdhsa_reserve_vcc 1
		.amdhsa_float_round_mode_32 0
		.amdhsa_float_round_mode_16_64 0
		.amdhsa_float_denorm_mode_32 3
		.amdhsa_float_denorm_mode_16_64 3
		.amdhsa_fp16_overflow 0
		.amdhsa_workgroup_processor_mode 1
		.amdhsa_memory_ordered 1
		.amdhsa_forward_progress 1
		.amdhsa_inst_pref_size 26
		.amdhsa_round_robin_scheduling 0
		.amdhsa_exception_fp_ieee_invalid_op 0
		.amdhsa_exception_fp_denorm_src 0
		.amdhsa_exception_fp_ieee_div_zero 0
		.amdhsa_exception_fp_ieee_overflow 0
		.amdhsa_exception_fp_ieee_underflow 0
		.amdhsa_exception_fp_ieee_inexact 0
		.amdhsa_exception_int_div_zero 0
	.end_amdhsa_kernel
	.section	.text._ZL29rocblas_internal_gemmt_kernelIlLi16ELi32ELi8ELc78ELc67ELc85ELb0ELb1E19rocblas_complex_numIfEPKS1_PKS3_PKPS1_EviT_T9_T10_S9_lSB_S9_lSA_T11_S9_li,"axG",@progbits,_ZL29rocblas_internal_gemmt_kernelIlLi16ELi32ELi8ELc78ELc67ELc85ELb0ELb1E19rocblas_complex_numIfEPKS1_PKS3_PKPS1_EviT_T9_T10_S9_lSB_S9_lSA_T11_S9_li,comdat
.Lfunc_end506:
	.size	_ZL29rocblas_internal_gemmt_kernelIlLi16ELi32ELi8ELc78ELc67ELc85ELb0ELb1E19rocblas_complex_numIfEPKS1_PKS3_PKPS1_EviT_T9_T10_S9_lSB_S9_lSA_T11_S9_li, .Lfunc_end506-_ZL29rocblas_internal_gemmt_kernelIlLi16ELi32ELi8ELc78ELc67ELc85ELb0ELb1E19rocblas_complex_numIfEPKS1_PKS3_PKPS1_EviT_T9_T10_S9_lSB_S9_lSA_T11_S9_li
                                        ; -- End function
	.set _ZL29rocblas_internal_gemmt_kernelIlLi16ELi32ELi8ELc78ELc67ELc85ELb0ELb1E19rocblas_complex_numIfEPKS1_PKS3_PKPS1_EviT_T9_T10_S9_lSB_S9_lSA_T11_S9_li.num_vgpr, 72
	.set _ZL29rocblas_internal_gemmt_kernelIlLi16ELi32ELi8ELc78ELc67ELc85ELb0ELb1E19rocblas_complex_numIfEPKS1_PKS3_PKPS1_EviT_T9_T10_S9_lSB_S9_lSA_T11_S9_li.num_agpr, 0
	.set _ZL29rocblas_internal_gemmt_kernelIlLi16ELi32ELi8ELc78ELc67ELc85ELb0ELb1E19rocblas_complex_numIfEPKS1_PKS3_PKPS1_EviT_T9_T10_S9_lSB_S9_lSA_T11_S9_li.numbered_sgpr, 41
	.set _ZL29rocblas_internal_gemmt_kernelIlLi16ELi32ELi8ELc78ELc67ELc85ELb0ELb1E19rocblas_complex_numIfEPKS1_PKS3_PKPS1_EviT_T9_T10_S9_lSB_S9_lSA_T11_S9_li.num_named_barrier, 0
	.set _ZL29rocblas_internal_gemmt_kernelIlLi16ELi32ELi8ELc78ELc67ELc85ELb0ELb1E19rocblas_complex_numIfEPKS1_PKS3_PKPS1_EviT_T9_T10_S9_lSB_S9_lSA_T11_S9_li.private_seg_size, 0
	.set _ZL29rocblas_internal_gemmt_kernelIlLi16ELi32ELi8ELc78ELc67ELc85ELb0ELb1E19rocblas_complex_numIfEPKS1_PKS3_PKPS1_EviT_T9_T10_S9_lSB_S9_lSA_T11_S9_li.uses_vcc, 1
	.set _ZL29rocblas_internal_gemmt_kernelIlLi16ELi32ELi8ELc78ELc67ELc85ELb0ELb1E19rocblas_complex_numIfEPKS1_PKS3_PKPS1_EviT_T9_T10_S9_lSB_S9_lSA_T11_S9_li.uses_flat_scratch, 0
	.set _ZL29rocblas_internal_gemmt_kernelIlLi16ELi32ELi8ELc78ELc67ELc85ELb0ELb1E19rocblas_complex_numIfEPKS1_PKS3_PKPS1_EviT_T9_T10_S9_lSB_S9_lSA_T11_S9_li.has_dyn_sized_stack, 0
	.set _ZL29rocblas_internal_gemmt_kernelIlLi16ELi32ELi8ELc78ELc67ELc85ELb0ELb1E19rocblas_complex_numIfEPKS1_PKS3_PKPS1_EviT_T9_T10_S9_lSB_S9_lSA_T11_S9_li.has_recursion, 0
	.set _ZL29rocblas_internal_gemmt_kernelIlLi16ELi32ELi8ELc78ELc67ELc85ELb0ELb1E19rocblas_complex_numIfEPKS1_PKS3_PKPS1_EviT_T9_T10_S9_lSB_S9_lSA_T11_S9_li.has_indirect_call, 0
	.section	.AMDGPU.csdata,"",@progbits
; Kernel info:
; codeLenInByte = 3300
; TotalNumSgprs: 43
; NumVgprs: 72
; ScratchSize: 0
; MemoryBound: 0
; FloatMode: 240
; IeeeMode: 1
; LDSByteSize: 4096 bytes/workgroup (compile time only)
; SGPRBlocks: 0
; VGPRBlocks: 8
; NumSGPRsForWavesPerEU: 43
; NumVGPRsForWavesPerEU: 72
; Occupancy: 16
; WaveLimiterHint : 1
; COMPUTE_PGM_RSRC2:SCRATCH_EN: 0
; COMPUTE_PGM_RSRC2:USER_SGPR: 2
; COMPUTE_PGM_RSRC2:TRAP_HANDLER: 0
; COMPUTE_PGM_RSRC2:TGID_X_EN: 1
; COMPUTE_PGM_RSRC2:TGID_Y_EN: 1
; COMPUTE_PGM_RSRC2:TGID_Z_EN: 1
; COMPUTE_PGM_RSRC2:TIDIG_COMP_CNT: 1
	.section	.text._ZL29rocblas_internal_gemmt_kernelIlLi16ELi32ELi8ELc84ELc78ELc85ELb0ELb0E19rocblas_complex_numIfEPKS1_PKS3_PKPS1_EviT_T9_T10_S9_lSB_S9_lSA_T11_S9_li,"axG",@progbits,_ZL29rocblas_internal_gemmt_kernelIlLi16ELi32ELi8ELc84ELc78ELc85ELb0ELb0E19rocblas_complex_numIfEPKS1_PKS3_PKPS1_EviT_T9_T10_S9_lSB_S9_lSA_T11_S9_li,comdat
	.globl	_ZL29rocblas_internal_gemmt_kernelIlLi16ELi32ELi8ELc84ELc78ELc85ELb0ELb0E19rocblas_complex_numIfEPKS1_PKS3_PKPS1_EviT_T9_T10_S9_lSB_S9_lSA_T11_S9_li ; -- Begin function _ZL29rocblas_internal_gemmt_kernelIlLi16ELi32ELi8ELc84ELc78ELc85ELb0ELb0E19rocblas_complex_numIfEPKS1_PKS3_PKPS1_EviT_T9_T10_S9_lSB_S9_lSA_T11_S9_li
	.p2align	8
	.type	_ZL29rocblas_internal_gemmt_kernelIlLi16ELi32ELi8ELc84ELc78ELc85ELb0ELb0E19rocblas_complex_numIfEPKS1_PKS3_PKPS1_EviT_T9_T10_S9_lSB_S9_lSA_T11_S9_li,@function
_ZL29rocblas_internal_gemmt_kernelIlLi16ELi32ELi8ELc84ELc78ELc85ELb0ELb0E19rocblas_complex_numIfEPKS1_PKS3_PKPS1_EviT_T9_T10_S9_lSB_S9_lSA_T11_S9_li: ; @_ZL29rocblas_internal_gemmt_kernelIlLi16ELi32ELi8ELc84ELc78ELc85ELb0ELb0E19rocblas_complex_numIfEPKS1_PKS3_PKPS1_EviT_T9_T10_S9_lSB_S9_lSA_T11_S9_li
; %bb.0:
	s_load_b256 s[24:31], s[0:1], 0x48
	s_wait_kmcnt 0x0
	s_load_b64 s[6:7], s[24:25], 0x0
	s_load_b512 s[8:23], s[0:1], 0x8
	s_wait_kmcnt 0x0
	s_cmp_eq_f32 s6, 1.0
	s_load_b64 s[10:11], s[10:11], 0x0
	s_cselect_b32 s2, -1, 0
	s_and_b32 s3, s7, 0x7fffffff
	s_delay_alu instid0(SALU_CYCLE_1) | instskip(SKIP_1) | instid1(SALU_CYCLE_1)
	s_cmp_eq_u32 s3, 0
	s_cselect_b32 s3, -1, 0
	s_and_b32 s4, s2, s3
	s_mov_b32 s2, 0
	s_and_not1_b32 vcc_lo, exec_lo, s4
	s_mov_b32 s4, -1
	s_cbranch_vccnz .LBB507_4
; %bb.1:
	s_cmp_lg_u64 s[8:9], 0
	s_cbranch_scc0 .LBB507_3
; %bb.2:
	s_wait_kmcnt 0x0
	s_cmp_neq_f32 s10, 0
	s_cselect_b32 s2, -1, 0
	s_cmp_neq_f32 s11, 0
	s_cselect_b32 s4, -1, 0
	s_delay_alu instid0(SALU_CYCLE_1)
	s_or_b32 s2, s2, s4
.LBB507_3:
	s_delay_alu instid0(SALU_CYCLE_1)
	s_mov_b32 s4, s2
.LBB507_4:
	s_delay_alu instid0(SALU_CYCLE_1)
	s_and_b32 vcc_lo, exec_lo, s4
	s_cbranch_vccz .LBB507_42
; %bb.5:
	s_load_b32 s33, s[0:1], 0x68
	s_lshr_b32 s24, ttmp7, 16
	s_wait_kmcnt 0x0
	s_cmp_ge_u32 s24, s33
	s_cbranch_scc1 .LBB507_42
; %bb.6:
	v_and_b32_e32 v8, 0x3ff, v0
	v_bfe_u32 v11, v0, 10, 10
	s_load_b32 s4, s[0:1], 0x0
	s_lshl_b32 s0, ttmp7, 5
	v_and_b32_e32 v18, 7, v0
	s_and_b32 s2, s0, 0x1fffe0
	v_lshl_add_u32 v1, v11, 4, v8
	s_lshl_b32 s1, ttmp9, 5
	s_cmp_neq_f32 s10, 0
	v_add_nc_u32_e32 v13, s2, v11
	v_lshl_add_u32 v23, v11, 6, 0x800
	v_lshrrev_b32_e32 v6, 3, v1
	v_and_b32_e32 v0, 31, v1
	v_lshrrev_b32_e32 v19, 5, v1
	s_cselect_b32 s0, -1, 0
	s_cmp_neq_f32 s11, 0
	v_add_nc_u32_e32 v9, s2, v6
	v_or_b32_e32 v1, s1, v0
	v_lshlrev_b32_e32 v0, 3, v0
	s_cselect_b32 s5, -1, 0
	v_add_nc_u32_e32 v14, 16, v13
	v_mad_co_u64_u32 v[4:5], null, s20, v9, 0
	s_delay_alu instid0(VALU_DEP_3)
	v_lshl_or_b32 v20, v19, 8, v0
	s_or_b32 s36, s0, s5
	s_wait_kmcnt 0x0
	v_cmp_gt_i32_e64 s0, s4, v1
	v_cmp_le_i32_e64 s20, s4, v1
	v_mul_lo_u32 v10, s15, v1
	v_mad_co_u64_u32 v[2:3], null, s14, v1, 0
	v_dual_mov_b32 v0, v5 :: v_dual_lshlrev_b32 v5, 3, v18
	s_ashr_i32 s35, s1, 31
	v_cmp_gt_i32_e32 vcc_lo, s4, v9
	s_mul_i32 s2, s14, s35
	s_delay_alu instid0(VALU_DEP_2)
	v_mad_co_u64_u32 v[0:1], null, s21, v9, v[0:1]
	v_lshl_or_b32 v1, v6, 6, v5
	v_mad_co_u64_u32 v[6:7], null, s28, v13, 0
	s_wait_alu 0xfffe
	v_add3_u32 v3, v3, s2, v10
	s_cmp_neq_f32 s6, 0
	v_add_nc_u32_e32 v21, 0x800, v1
	v_dual_mov_b32 v5, v0 :: v_dual_add_nc_u32 v10, s1, v8
	v_cmp_gt_i32_e64 s1, s4, v13
	v_mov_b32_e32 v0, v7
	s_cselect_b32 s14, -1, 0
	v_cmp_gt_i64_e64 s34, s[8:9], 0
	v_cmp_le_i32_e64 s2, v10, v13
	v_add_nc_u32_e32 v12, 16, v10
	v_mad_co_u64_u32 v[0:1], null, s29, v13, v[0:1]
	v_lshlrev_b32_e32 v22, 3, v8
	v_mad_co_u64_u32 v[8:9], null, s28, v14, 0
	s_and_b32 s21, s1, s2
	v_cmp_le_i32_e64 s2, v12, v13
	v_ashrrev_i32_e32 v11, 31, v10
	v_mov_b32_e32 v7, v0
	v_ashrrev_i32_e32 v13, 31, v12
	s_xor_b32 s15, s3, -1
	v_mov_b32_e32 v1, v9
	v_lshlrev_b64_e32 v[4:5], 3, v[4:5]
	v_lshlrev_b64_e32 v[6:7], 3, v[6:7]
	s_mov_b32 s25, 0
	s_and_b32 s1, s1, s2
	v_mad_co_u64_u32 v[0:1], null, s29, v14, v[1:2]
	v_lshlrev_b64_e32 v[2:3], 3, v[2:3]
	v_mov_b32_e32 v1, 0
	s_and_b32 s34, s36, s34
	s_delay_alu instid0(VALU_DEP_3)
	v_mov_b32_e32 v9, v0
	v_cmp_gt_i32_e64 s3, s4, v14
	v_cmp_le_i32_e64 s4, v10, v14
	v_cmp_le_i32_e64 s5, v12, v14
	v_lshlrev_b64_e32 v[10:11], 3, v[10:11]
	v_lshlrev_b64_e32 v[8:9], 3, v[8:9]
	;; [unrolled: 1-line block ×3, first 2 shown]
	s_and_b32 s28, s3, s4
	s_and_b32 s29, s3, s5
	s_lshl_b64 s[2:3], s[22:23], 3
	s_wait_alu 0xfffe
	s_or_b32 s22, s14, s15
	s_lshl_b64 s[4:5], s[16:17], 3
	s_xor_b32 s23, vcc_lo, -1
	s_lshl_b64 s[14:15], s[30:31], 3
                                        ; implicit-def: $vgpr14_vgpr15
	s_branch .LBB507_8
.LBB507_7:                              ;   in Loop: Header=BB507_8 Depth=1
	s_wait_alu 0xfffe
	s_or_b32 exec_lo, exec_lo, s16
	s_add_co_i32 s24, s24, 0x10000
	s_delay_alu instid0(SALU_CYCLE_1)
	s_cmp_lt_u32 s24, s33
	s_cbranch_scc0 .LBB507_42
.LBB507_8:                              ; =>This Loop Header: Depth=1
                                        ;     Child Loop BB507_11 Depth 2
	s_lshl_b64 s[16:17], s[24:25], 3
	s_and_not1_b32 vcc_lo, exec_lo, s34
	s_wait_alu 0xfffe
	s_add_nc_u64 s[30:31], s[26:27], s[16:17]
	global_load_b64 v[16:17], v1, s[30:31]
	s_cbranch_vccnz .LBB507_21
; %bb.9:                                ;   in Loop: Header=BB507_8 Depth=1
	s_add_nc_u64 s[30:31], s[12:13], s[16:17]
	s_add_nc_u64 s[16:17], s[18:19], s[16:17]
	s_clause 0x1
	global_load_b64 v[24:25], v1, s[30:31]
	global_load_b64 v[26:27], v1, s[16:17]
	v_dual_mov_b32 v28, 0 :: v_dual_mov_b32 v29, 0
	v_dual_mov_b32 v31, 0 :: v_dual_mov_b32 v30, 0
	;; [unrolled: 1-line block ×4, first 2 shown]
	s_mov_b64 s[16:17], 0
	s_wait_loadcnt 0x1
	v_add_co_u32 v0, vcc_lo, v24, s4
	s_wait_alu 0xfffd
	v_add_co_ci_u32_e64 v25, null, s5, v25, vcc_lo
	s_wait_loadcnt 0x0
	v_add_co_u32 v26, vcc_lo, v26, s2
	s_wait_alu 0xfffd
	v_add_co_ci_u32_e64 v27, null, s3, v27, vcc_lo
	v_add_co_u32 v24, vcc_lo, v0, v2
	s_wait_alu 0xfffd
	v_add_co_ci_u32_e64 v25, null, v25, v3, vcc_lo
	;; [unrolled: 3-line block ×3, first 2 shown]
	s_branch .LBB507_11
.LBB507_10:                             ;   in Loop: Header=BB507_11 Depth=2
	s_or_b32 exec_lo, exec_lo, s30
	s_wait_dscnt 0x0
	s_barrier_signal -1
	s_barrier_wait -1
	global_inv scope:SCOPE_SE
	ds_load_b128 v[36:39], v23
	ds_load_2addr_b64 v[40:43], v22 offset1:16
	ds_load_b128 v[44:47], v23 offset:1024
	ds_load_b128 v[48:51], v23 offset:16
	;; [unrolled: 1-line block ×4, first 2 shown]
	ds_load_2addr_b64 v[60:63], v22 offset0:32 offset1:48
	ds_load_b128 v[64:67], v23 offset:1040
	s_add_nc_u64 s[16:17], s[16:17], 8
	s_wait_alu 0xfffe
	v_cmp_gt_i64_e64 s30, s[8:9], s[16:17]
	s_and_b32 vcc_lo, exec_lo, s30
	s_wait_dscnt 0x6
	v_mul_f32_e32 v0, v37, v41
	v_dual_mul_f32 v68, v36, v41 :: v_dual_mul_f32 v69, v37, v43
	s_wait_dscnt 0x5
	v_dual_mul_f32 v70, v36, v43 :: v_dual_mul_f32 v71, v45, v41
	v_dual_mul_f32 v41, v44, v41 :: v_dual_mul_f32 v72, v45, v43
	v_mul_f32_e32 v43, v44, v43
	v_fma_f32 v0, v36, v40, -v0
	v_fma_f32 v36, v36, v42, -v69
	v_fmac_f32_e32 v70, v37, v42
	v_fmac_f32_e32 v41, v45, v40
	;; [unrolled: 1-line block ×3, first 2 shown]
	v_fma_f32 v37, v44, v40, -v71
	v_fma_f32 v40, v44, v42, -v72
	v_dual_add_f32 v0, v34, v0 :: v_dual_fmac_f32 v43, v45, v42
	s_delay_alu instid0(VALU_DEP_4) | instskip(NEXT) | instid1(VALU_DEP_4)
	v_add_f32_e32 v34, v35, v68
	v_dual_add_f32 v35, v32, v36 :: v_dual_add_f32 v36, v30, v37
	v_add_f32_e32 v37, v31, v41
	s_wait_dscnt 0x1
	v_dual_mul_f32 v41, v39, v61 :: v_dual_add_f32 v40, v29, v40
	ds_load_2addr_b64 v[29:32], v22 offset0:64 offset1:80
	v_dual_add_f32 v33, v33, v70 :: v_dual_mul_f32 v44, v39, v63
	v_fma_f32 v41, v38, v60, -v41
	v_add_f32_e32 v28, v28, v43
	s_delay_alu instid0(VALU_DEP_2) | instskip(NEXT) | instid1(VALU_DEP_1)
	v_dual_mul_f32 v43, v38, v63 :: v_dual_add_f32 v0, v0, v41
	v_dual_mul_f32 v42, v38, v61 :: v_dual_fmac_f32 v43, v39, v62
	v_fma_f32 v38, v38, v62, -v44
	v_mul_f32_e32 v41, v47, v61
	s_delay_alu instid0(VALU_DEP_3) | instskip(SKIP_1) | instid1(VALU_DEP_4)
	v_fmac_f32_e32 v42, v39, v60
	v_mul_f32_e32 v39, v47, v63
	v_add_f32_e32 v38, v35, v38
	s_delay_alu instid0(VALU_DEP_4) | instskip(NEXT) | instid1(VALU_DEP_4)
	v_fma_f32 v35, v46, v60, -v41
	v_dual_add_f32 v41, v33, v43 :: v_dual_add_f32 v42, v34, v42
	v_mul_f32_e32 v43, v46, v63
	v_mul_f32_e32 v34, v46, v61
	v_fma_f32 v33, v46, v62, -v39
	s_wait_dscnt 0x0
	v_mul_f32_e32 v39, v48, v30
	v_fmac_f32_e32 v43, v47, v62
	v_fmac_f32_e32 v34, v47, v60
	v_dual_add_f32 v44, v36, v35 :: v_dual_mul_f32 v35, v49, v30
	s_delay_alu instid0(VALU_DEP_3) | instskip(NEXT) | instid1(VALU_DEP_3)
	v_dual_mul_f32 v46, v49, v32 :: v_dual_add_f32 v43, v28, v43
	v_add_f32_e32 v37, v37, v34
	v_dual_fmac_f32 v39, v49, v29 :: v_dual_mul_f32 v28, v48, v32
	v_add_f32_e32 v40, v40, v33
	v_fma_f32 v45, v48, v29, -v35
	ds_load_2addr_b64 v[33:36], v22 offset0:96 offset1:112
	v_add_f32_e32 v39, v42, v39
	v_fmac_f32_e32 v28, v49, v31
	v_add_f32_e32 v0, v0, v45
	v_fma_f32 v45, v48, v31, -v46
	s_delay_alu instid0(VALU_DEP_1) | instskip(SKIP_2) | instid1(VALU_DEP_2)
	v_dual_add_f32 v41, v41, v28 :: v_dual_add_f32 v38, v38, v45
	v_mul_f32_e32 v45, v65, v32
	v_mul_f32_e32 v32, v64, v32
	v_fma_f32 v28, v64, v31, -v45
	v_mul_f32_e32 v42, v65, v30
	s_delay_alu instid0(VALU_DEP_3)
	v_fmac_f32_e32 v32, v65, v31
	s_wait_dscnt 0x0
	v_dual_mul_f32 v30, v64, v30 :: v_dual_mul_f32 v49, v67, v36
	v_add_f32_e32 v45, v40, v28
	v_fma_f32 v42, v64, v29, -v42
	v_dual_mul_f32 v40, v50, v34 :: v_dual_add_f32 v43, v43, v32
	s_delay_alu instid0(VALU_DEP_4) | instskip(SKIP_1) | instid1(VALU_DEP_3)
	v_fmac_f32_e32 v30, v65, v29
	v_mul_f32_e32 v32, v50, v36
	v_fmac_f32_e32 v40, v51, v33
	v_add_f32_e32 v42, v44, v42
	s_delay_alu instid0(VALU_DEP_4)
	v_add_f32_e32 v44, v37, v30
	ds_load_2addr_b64 v[28:31], v22 offset0:128 offset1:144
	v_mul_f32_e32 v37, v51, v34
	v_mul_f32_e32 v46, v51, v36
	v_fmac_f32_e32 v32, v51, v35
	v_mul_f32_e32 v36, v66, v36
	s_delay_alu instid0(VALU_DEP_4) | instskip(NEXT) | instid1(VALU_DEP_1)
	v_fma_f32 v37, v50, v33, -v37
	v_dual_add_f32 v0, v0, v37 :: v_dual_mul_f32 v37, v67, v34
	v_mul_f32_e32 v34, v66, v34
	s_delay_alu instid0(VALU_DEP_2)
	v_fma_f32 v48, v66, v33, -v37
	s_wait_dscnt 0x0
	v_mul_f32_e32 v51, v52, v29
	v_fma_f32 v46, v50, v35, -v46
	v_add_f32_e32 v50, v41, v32
	v_fma_f32 v32, v66, v35, -v49
	s_delay_alu instid0(VALU_DEP_4) | instskip(NEXT) | instid1(VALU_DEP_4)
	v_fmac_f32_e32 v51, v53, v28
	v_dual_add_f32 v47, v39, v40 :: v_dual_add_f32 v46, v38, v46
	ds_load_b128 v[37:40], v23 offset:1056
	v_fmac_f32_e32 v34, v67, v33
	v_mul_f32_e32 v33, v53, v29
	v_dual_add_f32 v45, v45, v32 :: v_dual_fmac_f32 v36, v67, v35
	v_dual_add_f32 v47, v47, v51 :: v_dual_add_f32 v48, v42, v48
	s_delay_alu instid0(VALU_DEP_4) | instskip(NEXT) | instid1(VALU_DEP_4)
	v_add_f32_e32 v49, v44, v34
	v_fma_f32 v41, v52, v28, -v33
	ds_load_2addr_b64 v[32:35], v22 offset0:160 offset1:176
	v_mul_f32_e32 v42, v53, v31
	v_add_f32_e32 v36, v43, v36
	v_add_f32_e32 v0, v0, v41
	s_delay_alu instid0(VALU_DEP_3)
	v_fma_f32 v60, v52, v30, -v42
	v_mul_f32_e32 v52, v52, v31
	ds_load_b128 v[41:44], v23 offset:1072
	s_wait_dscnt 0x2
	v_mul_f32_e32 v61, v38, v29
	v_mul_f32_e32 v29, v37, v29
	v_dual_fmac_f32 v52, v53, v30 :: v_dual_mul_f32 v53, v38, v31
	s_delay_alu instid0(VALU_DEP_3) | instskip(NEXT) | instid1(VALU_DEP_3)
	v_fma_f32 v51, v37, v28, -v61
	v_fmac_f32_e32 v29, v38, v28
	s_delay_alu instid0(VALU_DEP_3) | instskip(SKIP_2) | instid1(VALU_DEP_4)
	v_add_f32_e32 v50, v50, v52
	v_mul_f32_e32 v52, v37, v31
	v_fma_f32 v28, v37, v30, -v53
	v_add_f32_e32 v37, v49, v29
	s_wait_dscnt 0x1
	s_delay_alu instid0(VALU_DEP_3) | instskip(NEXT) | instid1(VALU_DEP_3)
	v_dual_mul_f32 v49, v55, v33 :: v_dual_fmac_f32 v52, v38, v30
	v_add_f32_e32 v45, v45, v28
	ds_load_2addr_b64 v[28:31], v22 offset0:192 offset1:208
	v_mul_f32_e32 v38, v54, v33
	v_fma_f32 v49, v54, v32, -v49
	v_add_f32_e32 v46, v46, v60
	s_delay_alu instid0(VALU_DEP_3) | instskip(NEXT) | instid1(VALU_DEP_1)
	v_fmac_f32_e32 v38, v55, v32
	v_dual_add_f32 v0, v0, v49 :: v_dual_add_f32 v47, v47, v38
	v_add_f32_e32 v48, v48, v51
	v_dual_mul_f32 v51, v55, v35 :: v_dual_mul_f32 v38, v40, v33
	v_mul_f32_e32 v33, v39, v33
	s_delay_alu instid0(VALU_DEP_2) | instskip(NEXT) | instid1(VALU_DEP_3)
	v_fma_f32 v49, v54, v34, -v51
	v_fma_f32 v38, v39, v32, -v38
	s_delay_alu instid0(VALU_DEP_3) | instskip(NEXT) | instid1(VALU_DEP_3)
	v_dual_fmac_f32 v33, v40, v32 :: v_dual_mul_f32 v32, v39, v35
	v_dual_add_f32 v46, v46, v49 :: v_dual_mul_f32 v49, v40, v35
	s_delay_alu instid0(VALU_DEP_2) | instskip(SKIP_1) | instid1(VALU_DEP_4)
	v_dual_add_f32 v52, v36, v52 :: v_dual_add_f32 v33, v37, v33
	v_mul_f32_e32 v36, v54, v35
	v_fmac_f32_e32 v32, v40, v34
	s_delay_alu instid0(VALU_DEP_4) | instskip(SKIP_1) | instid1(VALU_DEP_3)
	v_fma_f32 v35, v39, v34, -v49
	s_wait_dscnt 0x0
	v_dual_mul_f32 v49, v42, v29 :: v_dual_fmac_f32 v36, v55, v34
	s_delay_alu instid0(VALU_DEP_2) | instskip(SKIP_1) | instid1(VALU_DEP_2)
	v_dual_add_f32 v34, v45, v35 :: v_dual_mul_f32 v35, v56, v29
	v_mul_f32_e32 v45, v57, v31
	v_dual_fmac_f32 v35, v57, v28 :: v_dual_add_f32 v48, v48, v38
	s_delay_alu instid0(VALU_DEP_2) | instskip(NEXT) | instid1(VALU_DEP_2)
	v_fma_f32 v45, v56, v30, -v45
	v_dual_add_f32 v35, v47, v35 :: v_dual_add_f32 v50, v50, v36
	v_mul_f32_e32 v36, v57, v29
	v_mul_f32_e32 v29, v41, v29
	v_mul_f32_e32 v47, v42, v31
	v_add_f32_e32 v45, v46, v45
	v_fma_f32 v46, v41, v28, -v49
	v_fma_f32 v40, v56, v28, -v36
	ds_load_2addr_b64 v[36:39], v22 offset0:224 offset1:240
	v_fmac_f32_e32 v29, v42, v28
	v_add_f32_e32 v32, v52, v32
	s_wait_loadcnt_dscnt 0x0
	s_barrier_signal -1
	s_barrier_wait -1
	v_dual_add_f32 v29, v33, v29 :: v_dual_add_f32 v0, v0, v40
	v_mul_f32_e32 v40, v56, v31
	v_mul_f32_e32 v31, v41, v31
	v_fma_f32 v41, v41, v30, -v47
	global_inv scope:SCOPE_SE
	v_fmac_f32_e32 v40, v57, v30
	v_fmac_f32_e32 v31, v42, v30
	s_delay_alu instid0(VALU_DEP_1) | instskip(SKIP_3) | instid1(VALU_DEP_3)
	v_dual_add_f32 v41, v34, v41 :: v_dual_add_f32 v42, v32, v31
	v_mul_f32_e32 v33, v59, v37
	v_mul_f32_e32 v34, v59, v39
	;; [unrolled: 1-line block ×3, first 2 shown]
	v_fma_f32 v33, v58, v36, -v33
	s_delay_alu instid0(VALU_DEP_3) | instskip(NEXT) | instid1(VALU_DEP_2)
	v_fma_f32 v32, v58, v38, -v34
	v_dual_fmac_f32 v31, v59, v38 :: v_dual_add_f32 v34, v0, v33
	v_mul_f32_e32 v0, v44, v37
	s_delay_alu instid0(VALU_DEP_3)
	v_dual_add_f32 v32, v45, v32 :: v_dual_mul_f32 v45, v44, v39
	v_add_f32_e32 v28, v50, v40
	v_mul_f32_e32 v30, v58, v37
	v_dual_add_f32 v40, v48, v46 :: v_dual_mul_f32 v37, v43, v37
	v_fma_f32 v0, v43, v36, -v0
	v_mul_f32_e32 v39, v43, v39
	s_delay_alu instid0(VALU_DEP_4) | instskip(NEXT) | instid1(VALU_DEP_4)
	v_dual_add_f32 v33, v28, v31 :: v_dual_fmac_f32 v30, v59, v36
	v_fmac_f32_e32 v37, v44, v36
	s_delay_alu instid0(VALU_DEP_3) | instskip(NEXT) | instid1(VALU_DEP_3)
	v_fmac_f32_e32 v39, v44, v38
	v_dual_add_f32 v35, v35, v30 :: v_dual_add_f32 v30, v40, v0
	v_fma_f32 v0, v43, v38, -v45
	s_delay_alu instid0(VALU_DEP_3) | instskip(NEXT) | instid1(VALU_DEP_2)
	v_dual_add_f32 v31, v29, v37 :: v_dual_add_f32 v28, v42, v39
	v_add_f32_e32 v29, v41, v0
	s_wait_alu 0xfffe
	s_cbranch_vccz .LBB507_22
.LBB507_11:                             ;   Parent Loop BB507_8 Depth=1
                                        ; =>  This Inner Loop Header: Depth=2
	s_mov_b32 s30, 0
	s_mov_b32 s35, s20
	s_and_saveexec_b32 s31, s0
	s_cbranch_execnz .LBB507_19
; %bb.12:                               ;   in Loop: Header=BB507_11 Depth=2
	s_or_b32 exec_lo, exec_lo, s31
	s_and_saveexec_b32 s31, s35
	s_delay_alu instid0(SALU_CYCLE_1)
	s_xor_b32 s31, exec_lo, s31
	s_cbranch_execnz .LBB507_20
.LBB507_13:                             ;   in Loop: Header=BB507_11 Depth=2
	s_or_b32 exec_lo, exec_lo, s31
	s_and_saveexec_b32 s31, s30
	s_cbranch_execz .LBB507_15
.LBB507_14:                             ;   in Loop: Header=BB507_11 Depth=2
	v_lshlrev_b64_e32 v[36:37], 3, v[14:15]
	s_delay_alu instid0(VALU_DEP_1) | instskip(SKIP_1) | instid1(VALU_DEP_2)
	v_add_co_u32 v36, vcc_lo, v24, v36
	s_wait_alu 0xfffd
	v_add_co_ci_u32_e64 v37, null, v25, v37, vcc_lo
	flat_load_b64 v[36:37], v[36:37]
	s_wait_loadcnt_dscnt 0x0
	ds_store_b64 v20, v[36:37]
.LBB507_15:                             ;   in Loop: Header=BB507_11 Depth=2
	s_or_b32 exec_lo, exec_lo, s31
	s_wait_alu 0xfffe
	v_add_nc_u32_e32 v0, s16, v18
	s_delay_alu instid0(VALU_DEP_1) | instskip(SKIP_1) | instid1(SALU_CYCLE_1)
	v_cmp_le_u64_e32 vcc_lo, s[8:9], v[0:1]
	s_or_b32 s30, vcc_lo, s23
	s_and_saveexec_b32 s31, s30
	s_delay_alu instid0(SALU_CYCLE_1)
	s_xor_b32 s30, exec_lo, s31
; %bb.16:                               ;   in Loop: Header=BB507_11 Depth=2
	v_mov_b32_e32 v0, v1
	ds_store_b64 v21, v[0:1]
; %bb.17:                               ;   in Loop: Header=BB507_11 Depth=2
	s_and_not1_saveexec_b32 s30, s30
	s_cbranch_execz .LBB507_10
; %bb.18:                               ;   in Loop: Header=BB507_11 Depth=2
	v_lshlrev_b64_e32 v[36:37], 3, v[0:1]
	s_delay_alu instid0(VALU_DEP_1) | instskip(SKIP_1) | instid1(VALU_DEP_2)
	v_add_co_u32 v36, vcc_lo, v26, v36
	s_wait_alu 0xfffd
	v_add_co_ci_u32_e64 v37, null, v27, v37, vcc_lo
	flat_load_b64 v[36:37], v[36:37]
	s_wait_loadcnt_dscnt 0x0
	ds_store_b64 v21, v[36:37]
	s_branch .LBB507_10
.LBB507_19:                             ;   in Loop: Header=BB507_11 Depth=2
	s_wait_alu 0xfffe
	v_add_nc_u32_e32 v0, s16, v19
	v_mov_b32_e32 v15, v1
	s_and_not1_b32 s35, s20, exec_lo
	s_mov_b32 s30, exec_lo
	s_delay_alu instid0(VALU_DEP_2) | instskip(SKIP_2) | instid1(SALU_CYCLE_1)
	v_cmp_le_u64_e32 vcc_lo, s[8:9], v[0:1]
	v_mov_b32_e32 v14, v0
	s_and_b32 s36, vcc_lo, exec_lo
	s_or_b32 s35, s35, s36
	s_or_b32 exec_lo, exec_lo, s31
	s_and_saveexec_b32 s31, s35
	s_delay_alu instid0(SALU_CYCLE_1)
	s_xor_b32 s31, exec_lo, s31
	s_cbranch_execz .LBB507_13
.LBB507_20:                             ;   in Loop: Header=BB507_11 Depth=2
	v_mov_b32_e32 v0, v1
	s_and_not1_b32 s30, s30, exec_lo
	ds_store_b64 v20, v[0:1]
	s_or_b32 exec_lo, exec_lo, s31
	s_and_saveexec_b32 s31, s30
	s_cbranch_execnz .LBB507_14
	s_branch .LBB507_15
.LBB507_21:                             ;   in Loop: Header=BB507_8 Depth=1
	v_dual_mov_b32 v34, v1 :: v_dual_mov_b32 v35, v1
	v_dual_mov_b32 v32, v1 :: v_dual_mov_b32 v33, v1
	v_dual_mov_b32 v30, v1 :: v_dual_mov_b32 v31, v1
	v_dual_mov_b32 v29, v1 :: v_dual_mov_b32 v28, v1
.LBB507_22:                             ;   in Loop: Header=BB507_8 Depth=1
	s_wait_loadcnt 0x0
	s_wait_alu 0xfffe
	v_add_co_u32 v0, vcc_lo, v16, s14
	s_wait_alu 0xfffd
	v_add_co_ci_u32_e64 v24, null, s15, v17, vcc_lo
	s_delay_alu instid0(VALU_DEP_2) | instskip(SKIP_1) | instid1(VALU_DEP_2)
	v_add_co_u32 v25, vcc_lo, v0, v6
	s_wait_alu 0xfffd
	v_add_co_ci_u32_e64 v26, null, v24, v7, vcc_lo
	s_and_saveexec_b32 s16, s21
	s_cbranch_execz .LBB507_27
; %bb.23:                               ;   in Loop: Header=BB507_8 Depth=1
	v_mul_f32_e32 v17, s10, v35
	v_mul_f32_e32 v16, s11, v35
	s_and_b32 vcc_lo, exec_lo, s22
	s_mov_b32 s17, -1
	s_delay_alu instid0(VALU_DEP_2) | instskip(NEXT) | instid1(VALU_DEP_2)
	v_fmac_f32_e32 v17, s11, v34
	v_fma_f32 v16, v34, s10, -v16
	s_wait_alu 0xfffe
	s_cbranch_vccz .LBB507_25
; %bb.24:                               ;   in Loop: Header=BB507_8 Depth=1
	v_add_co_u32 v34, vcc_lo, v25, v10
	s_wait_alu 0xfffd
	v_add_co_ci_u32_e64 v35, null, v26, v11, vcc_lo
	s_mov_b32 s17, 0
	flat_load_b64 v[36:37], v[34:35]
	s_wait_loadcnt_dscnt 0x0
	v_mul_f32_e32 v27, s7, v37
	s_delay_alu instid0(VALU_DEP_1) | instskip(SKIP_1) | instid1(VALU_DEP_1)
	v_fma_f32 v27, v36, s6, -v27
	v_mul_f32_e32 v37, s6, v37
	v_dual_fmac_f32 v37, s7, v36 :: v_dual_add_f32 v36, v16, v27
	s_delay_alu instid0(VALU_DEP_1)
	v_add_f32_e32 v37, v17, v37
	flat_store_b64 v[34:35], v[36:37]
.LBB507_25:                             ;   in Loop: Header=BB507_8 Depth=1
	s_wait_alu 0xfffe
	s_and_not1_b32 vcc_lo, exec_lo, s17
	s_wait_alu 0xfffe
	s_cbranch_vccnz .LBB507_27
; %bb.26:                               ;   in Loop: Header=BB507_8 Depth=1
	v_add_co_u32 v34, vcc_lo, v25, v10
	s_wait_alu 0xfffd
	v_add_co_ci_u32_e64 v35, null, v26, v11, vcc_lo
	flat_store_b64 v[34:35], v[16:17]
.LBB507_27:                             ;   in Loop: Header=BB507_8 Depth=1
	s_wait_alu 0xfffe
	s_or_b32 exec_lo, exec_lo, s16
	s_and_saveexec_b32 s16, s1
	s_cbranch_execz .LBB507_32
; %bb.28:                               ;   in Loop: Header=BB507_8 Depth=1
	v_mul_f32_e32 v17, s10, v33
	v_mul_f32_e32 v16, s11, v33
	s_and_not1_b32 vcc_lo, exec_lo, s22
	s_mov_b32 s17, -1
	s_delay_alu instid0(VALU_DEP_2) | instskip(NEXT) | instid1(VALU_DEP_2)
	v_fmac_f32_e32 v17, s11, v32
	v_fma_f32 v16, v32, s10, -v16
	s_wait_alu 0xfffe
	s_cbranch_vccnz .LBB507_30
; %bb.29:                               ;   in Loop: Header=BB507_8 Depth=1
	v_add_co_u32 v32, vcc_lo, v25, v12
	s_wait_alu 0xfffd
	v_add_co_ci_u32_e64 v33, null, v26, v13, vcc_lo
	s_mov_b32 s17, 0
	flat_load_b64 v[34:35], v[32:33]
	s_wait_loadcnt_dscnt 0x0
	v_mul_f32_e32 v27, s7, v35
	v_mul_f32_e32 v35, s6, v35
	s_delay_alu instid0(VALU_DEP_2) | instskip(NEXT) | instid1(VALU_DEP_1)
	v_fma_f32 v27, v34, s6, -v27
	v_dual_fmac_f32 v35, s7, v34 :: v_dual_add_f32 v34, v16, v27
	s_delay_alu instid0(VALU_DEP_1)
	v_add_f32_e32 v35, v17, v35
	flat_store_b64 v[32:33], v[34:35]
.LBB507_30:                             ;   in Loop: Header=BB507_8 Depth=1
	s_wait_alu 0xfffe
	s_and_not1_b32 vcc_lo, exec_lo, s17
	s_wait_alu 0xfffe
	s_cbranch_vccnz .LBB507_32
; %bb.31:                               ;   in Loop: Header=BB507_8 Depth=1
	v_add_co_u32 v25, vcc_lo, v25, v12
	s_wait_alu 0xfffd
	v_add_co_ci_u32_e64 v26, null, v26, v13, vcc_lo
	flat_store_b64 v[25:26], v[16:17]
.LBB507_32:                             ;   in Loop: Header=BB507_8 Depth=1
	s_wait_alu 0xfffe
	s_or_b32 exec_lo, exec_lo, s16
	v_add_co_u32 v0, vcc_lo, v0, v8
	s_wait_alu 0xfffd
	v_add_co_ci_u32_e64 v24, null, v24, v9, vcc_lo
	s_and_saveexec_b32 s16, s28
	s_cbranch_execz .LBB507_37
; %bb.33:                               ;   in Loop: Header=BB507_8 Depth=1
	v_mul_f32_e32 v17, s10, v31
	v_mul_f32_e32 v16, s11, v31
	s_and_not1_b32 vcc_lo, exec_lo, s22
	s_mov_b32 s17, -1
	s_delay_alu instid0(VALU_DEP_2) | instskip(NEXT) | instid1(VALU_DEP_2)
	v_fmac_f32_e32 v17, s11, v30
	v_fma_f32 v16, v30, s10, -v16
	s_wait_alu 0xfffe
	s_cbranch_vccnz .LBB507_35
; %bb.34:                               ;   in Loop: Header=BB507_8 Depth=1
	v_add_co_u32 v25, vcc_lo, v0, v10
	s_wait_alu 0xfffd
	v_add_co_ci_u32_e64 v26, null, v24, v11, vcc_lo
	s_mov_b32 s17, 0
	flat_load_b64 v[30:31], v[25:26]
	s_wait_loadcnt_dscnt 0x0
	v_mul_f32_e32 v27, s7, v31
	v_mul_f32_e32 v31, s6, v31
	s_delay_alu instid0(VALU_DEP_2) | instskip(NEXT) | instid1(VALU_DEP_1)
	v_fma_f32 v27, v30, s6, -v27
	v_dual_fmac_f32 v31, s7, v30 :: v_dual_add_f32 v30, v16, v27
	s_delay_alu instid0(VALU_DEP_1)
	v_add_f32_e32 v31, v17, v31
	flat_store_b64 v[25:26], v[30:31]
.LBB507_35:                             ;   in Loop: Header=BB507_8 Depth=1
	s_wait_alu 0xfffe
	s_and_not1_b32 vcc_lo, exec_lo, s17
	s_wait_alu 0xfffe
	s_cbranch_vccnz .LBB507_37
; %bb.36:                               ;   in Loop: Header=BB507_8 Depth=1
	v_add_co_u32 v25, vcc_lo, v0, v10
	s_wait_alu 0xfffd
	v_add_co_ci_u32_e64 v26, null, v24, v11, vcc_lo
	flat_store_b64 v[25:26], v[16:17]
.LBB507_37:                             ;   in Loop: Header=BB507_8 Depth=1
	s_wait_alu 0xfffe
	s_or_b32 exec_lo, exec_lo, s16
	s_and_saveexec_b32 s16, s29
	s_cbranch_execz .LBB507_7
; %bb.38:                               ;   in Loop: Header=BB507_8 Depth=1
	v_mul_f32_e32 v17, s10, v28
	v_mul_f32_e32 v16, s11, v28
	s_and_not1_b32 vcc_lo, exec_lo, s22
	s_mov_b32 s17, -1
	s_delay_alu instid0(VALU_DEP_2) | instskip(NEXT) | instid1(VALU_DEP_2)
	v_fmac_f32_e32 v17, s11, v29
	v_fma_f32 v16, v29, s10, -v16
	s_wait_alu 0xfffe
	s_cbranch_vccnz .LBB507_40
; %bb.39:                               ;   in Loop: Header=BB507_8 Depth=1
	v_add_co_u32 v25, vcc_lo, v0, v12
	s_wait_alu 0xfffd
	v_add_co_ci_u32_e64 v26, null, v24, v13, vcc_lo
	s_mov_b32 s17, 0
	flat_load_b64 v[27:28], v[25:26]
	s_wait_loadcnt_dscnt 0x0
	v_mul_f32_e32 v29, s7, v28
	v_mul_f32_e32 v28, s6, v28
	s_delay_alu instid0(VALU_DEP_1) | instskip(NEXT) | instid1(VALU_DEP_3)
	v_fmac_f32_e32 v28, s7, v27
	v_fma_f32 v29, v27, s6, -v29
	s_delay_alu instid0(VALU_DEP_1)
	v_dual_add_f32 v28, v17, v28 :: v_dual_add_f32 v27, v16, v29
	flat_store_b64 v[25:26], v[27:28]
.LBB507_40:                             ;   in Loop: Header=BB507_8 Depth=1
	s_wait_alu 0xfffe
	s_and_not1_b32 vcc_lo, exec_lo, s17
	s_wait_alu 0xfffe
	s_cbranch_vccnz .LBB507_7
; %bb.41:                               ;   in Loop: Header=BB507_8 Depth=1
	v_add_co_u32 v25, vcc_lo, v0, v12
	s_wait_alu 0xfffd
	v_add_co_ci_u32_e64 v26, null, v24, v13, vcc_lo
	flat_store_b64 v[25:26], v[16:17]
	s_branch .LBB507_7
.LBB507_42:
	s_endpgm
	.section	.rodata,"a",@progbits
	.p2align	6, 0x0
	.amdhsa_kernel _ZL29rocblas_internal_gemmt_kernelIlLi16ELi32ELi8ELc84ELc78ELc85ELb0ELb0E19rocblas_complex_numIfEPKS1_PKS3_PKPS1_EviT_T9_T10_S9_lSB_S9_lSA_T11_S9_li
		.amdhsa_group_segment_fixed_size 4096
		.amdhsa_private_segment_fixed_size 0
		.amdhsa_kernarg_size 108
		.amdhsa_user_sgpr_count 2
		.amdhsa_user_sgpr_dispatch_ptr 0
		.amdhsa_user_sgpr_queue_ptr 0
		.amdhsa_user_sgpr_kernarg_segment_ptr 1
		.amdhsa_user_sgpr_dispatch_id 0
		.amdhsa_user_sgpr_private_segment_size 0
		.amdhsa_wavefront_size32 1
		.amdhsa_uses_dynamic_stack 0
		.amdhsa_enable_private_segment 0
		.amdhsa_system_sgpr_workgroup_id_x 1
		.amdhsa_system_sgpr_workgroup_id_y 1
		.amdhsa_system_sgpr_workgroup_id_z 1
		.amdhsa_system_sgpr_workgroup_info 0
		.amdhsa_system_vgpr_workitem_id 1
		.amdhsa_next_free_vgpr 73
		.amdhsa_next_free_sgpr 37
		.amdhsa_reserve_vcc 1
		.amdhsa_float_round_mode_32 0
		.amdhsa_float_round_mode_16_64 0
		.amdhsa_float_denorm_mode_32 3
		.amdhsa_float_denorm_mode_16_64 3
		.amdhsa_fp16_overflow 0
		.amdhsa_workgroup_processor_mode 1
		.amdhsa_memory_ordered 1
		.amdhsa_forward_progress 1
		.amdhsa_inst_pref_size 26
		.amdhsa_round_robin_scheduling 0
		.amdhsa_exception_fp_ieee_invalid_op 0
		.amdhsa_exception_fp_denorm_src 0
		.amdhsa_exception_fp_ieee_div_zero 0
		.amdhsa_exception_fp_ieee_overflow 0
		.amdhsa_exception_fp_ieee_underflow 0
		.amdhsa_exception_fp_ieee_inexact 0
		.amdhsa_exception_int_div_zero 0
	.end_amdhsa_kernel
	.section	.text._ZL29rocblas_internal_gemmt_kernelIlLi16ELi32ELi8ELc84ELc78ELc85ELb0ELb0E19rocblas_complex_numIfEPKS1_PKS3_PKPS1_EviT_T9_T10_S9_lSB_S9_lSA_T11_S9_li,"axG",@progbits,_ZL29rocblas_internal_gemmt_kernelIlLi16ELi32ELi8ELc84ELc78ELc85ELb0ELb0E19rocblas_complex_numIfEPKS1_PKS3_PKPS1_EviT_T9_T10_S9_lSB_S9_lSA_T11_S9_li,comdat
.Lfunc_end507:
	.size	_ZL29rocblas_internal_gemmt_kernelIlLi16ELi32ELi8ELc84ELc78ELc85ELb0ELb0E19rocblas_complex_numIfEPKS1_PKS3_PKPS1_EviT_T9_T10_S9_lSB_S9_lSA_T11_S9_li, .Lfunc_end507-_ZL29rocblas_internal_gemmt_kernelIlLi16ELi32ELi8ELc84ELc78ELc85ELb0ELb0E19rocblas_complex_numIfEPKS1_PKS3_PKPS1_EviT_T9_T10_S9_lSB_S9_lSA_T11_S9_li
                                        ; -- End function
	.set _ZL29rocblas_internal_gemmt_kernelIlLi16ELi32ELi8ELc84ELc78ELc85ELb0ELb0E19rocblas_complex_numIfEPKS1_PKS3_PKPS1_EviT_T9_T10_S9_lSB_S9_lSA_T11_S9_li.num_vgpr, 73
	.set _ZL29rocblas_internal_gemmt_kernelIlLi16ELi32ELi8ELc84ELc78ELc85ELb0ELb0E19rocblas_complex_numIfEPKS1_PKS3_PKPS1_EviT_T9_T10_S9_lSB_S9_lSA_T11_S9_li.num_agpr, 0
	.set _ZL29rocblas_internal_gemmt_kernelIlLi16ELi32ELi8ELc84ELc78ELc85ELb0ELb0E19rocblas_complex_numIfEPKS1_PKS3_PKPS1_EviT_T9_T10_S9_lSB_S9_lSA_T11_S9_li.numbered_sgpr, 37
	.set _ZL29rocblas_internal_gemmt_kernelIlLi16ELi32ELi8ELc84ELc78ELc85ELb0ELb0E19rocblas_complex_numIfEPKS1_PKS3_PKPS1_EviT_T9_T10_S9_lSB_S9_lSA_T11_S9_li.num_named_barrier, 0
	.set _ZL29rocblas_internal_gemmt_kernelIlLi16ELi32ELi8ELc84ELc78ELc85ELb0ELb0E19rocblas_complex_numIfEPKS1_PKS3_PKPS1_EviT_T9_T10_S9_lSB_S9_lSA_T11_S9_li.private_seg_size, 0
	.set _ZL29rocblas_internal_gemmt_kernelIlLi16ELi32ELi8ELc84ELc78ELc85ELb0ELb0E19rocblas_complex_numIfEPKS1_PKS3_PKPS1_EviT_T9_T10_S9_lSB_S9_lSA_T11_S9_li.uses_vcc, 1
	.set _ZL29rocblas_internal_gemmt_kernelIlLi16ELi32ELi8ELc84ELc78ELc85ELb0ELb0E19rocblas_complex_numIfEPKS1_PKS3_PKPS1_EviT_T9_T10_S9_lSB_S9_lSA_T11_S9_li.uses_flat_scratch, 0
	.set _ZL29rocblas_internal_gemmt_kernelIlLi16ELi32ELi8ELc84ELc78ELc85ELb0ELb0E19rocblas_complex_numIfEPKS1_PKS3_PKPS1_EviT_T9_T10_S9_lSB_S9_lSA_T11_S9_li.has_dyn_sized_stack, 0
	.set _ZL29rocblas_internal_gemmt_kernelIlLi16ELi32ELi8ELc84ELc78ELc85ELb0ELb0E19rocblas_complex_numIfEPKS1_PKS3_PKPS1_EviT_T9_T10_S9_lSB_S9_lSA_T11_S9_li.has_recursion, 0
	.set _ZL29rocblas_internal_gemmt_kernelIlLi16ELi32ELi8ELc84ELc78ELc85ELb0ELb0E19rocblas_complex_numIfEPKS1_PKS3_PKPS1_EviT_T9_T10_S9_lSB_S9_lSA_T11_S9_li.has_indirect_call, 0
	.section	.AMDGPU.csdata,"",@progbits
; Kernel info:
; codeLenInByte = 3284
; TotalNumSgprs: 39
; NumVgprs: 73
; ScratchSize: 0
; MemoryBound: 0
; FloatMode: 240
; IeeeMode: 1
; LDSByteSize: 4096 bytes/workgroup (compile time only)
; SGPRBlocks: 0
; VGPRBlocks: 9
; NumSGPRsForWavesPerEU: 39
; NumVGPRsForWavesPerEU: 73
; Occupancy: 16
; WaveLimiterHint : 1
; COMPUTE_PGM_RSRC2:SCRATCH_EN: 0
; COMPUTE_PGM_RSRC2:USER_SGPR: 2
; COMPUTE_PGM_RSRC2:TRAP_HANDLER: 0
; COMPUTE_PGM_RSRC2:TGID_X_EN: 1
; COMPUTE_PGM_RSRC2:TGID_Y_EN: 1
; COMPUTE_PGM_RSRC2:TGID_Z_EN: 1
; COMPUTE_PGM_RSRC2:TIDIG_COMP_CNT: 1
	.section	.text._ZL29rocblas_internal_gemmt_kernelIlLi16ELi32ELi8ELc84ELc84ELc85ELb0ELb0E19rocblas_complex_numIfEPKS1_PKS3_PKPS1_EviT_T9_T10_S9_lSB_S9_lSA_T11_S9_li,"axG",@progbits,_ZL29rocblas_internal_gemmt_kernelIlLi16ELi32ELi8ELc84ELc84ELc85ELb0ELb0E19rocblas_complex_numIfEPKS1_PKS3_PKPS1_EviT_T9_T10_S9_lSB_S9_lSA_T11_S9_li,comdat
	.globl	_ZL29rocblas_internal_gemmt_kernelIlLi16ELi32ELi8ELc84ELc84ELc85ELb0ELb0E19rocblas_complex_numIfEPKS1_PKS3_PKPS1_EviT_T9_T10_S9_lSB_S9_lSA_T11_S9_li ; -- Begin function _ZL29rocblas_internal_gemmt_kernelIlLi16ELi32ELi8ELc84ELc84ELc85ELb0ELb0E19rocblas_complex_numIfEPKS1_PKS3_PKPS1_EviT_T9_T10_S9_lSB_S9_lSA_T11_S9_li
	.p2align	8
	.type	_ZL29rocblas_internal_gemmt_kernelIlLi16ELi32ELi8ELc84ELc84ELc85ELb0ELb0E19rocblas_complex_numIfEPKS1_PKS3_PKPS1_EviT_T9_T10_S9_lSB_S9_lSA_T11_S9_li,@function
_ZL29rocblas_internal_gemmt_kernelIlLi16ELi32ELi8ELc84ELc84ELc85ELb0ELb0E19rocblas_complex_numIfEPKS1_PKS3_PKPS1_EviT_T9_T10_S9_lSB_S9_lSA_T11_S9_li: ; @_ZL29rocblas_internal_gemmt_kernelIlLi16ELi32ELi8ELc84ELc84ELc85ELb0ELb0E19rocblas_complex_numIfEPKS1_PKS3_PKPS1_EviT_T9_T10_S9_lSB_S9_lSA_T11_S9_li
; %bb.0:
	s_load_b256 s[24:31], s[0:1], 0x48
	s_wait_kmcnt 0x0
	s_load_b64 s[6:7], s[24:25], 0x0
	s_load_b512 s[8:23], s[0:1], 0x8
	s_wait_kmcnt 0x0
	s_cmp_eq_f32 s6, 1.0
	s_load_b64 s[10:11], s[10:11], 0x0
	s_cselect_b32 s2, -1, 0
	s_and_b32 s3, s7, 0x7fffffff
	s_delay_alu instid0(SALU_CYCLE_1) | instskip(SKIP_1) | instid1(SALU_CYCLE_1)
	s_cmp_eq_u32 s3, 0
	s_cselect_b32 s3, -1, 0
	s_and_b32 s4, s2, s3
	s_mov_b32 s2, 0
	s_and_not1_b32 vcc_lo, exec_lo, s4
	s_mov_b32 s4, -1
	s_cbranch_vccnz .LBB508_4
; %bb.1:
	s_cmp_lg_u64 s[8:9], 0
	s_cbranch_scc0 .LBB508_3
; %bb.2:
	s_wait_kmcnt 0x0
	s_cmp_neq_f32 s10, 0
	s_cselect_b32 s2, -1, 0
	s_cmp_neq_f32 s11, 0
	s_cselect_b32 s4, -1, 0
	s_delay_alu instid0(SALU_CYCLE_1)
	s_or_b32 s2, s2, s4
.LBB508_3:
	s_delay_alu instid0(SALU_CYCLE_1)
	s_mov_b32 s4, s2
.LBB508_4:
	s_delay_alu instid0(SALU_CYCLE_1)
	s_and_b32 vcc_lo, exec_lo, s4
	s_cbranch_vccz .LBB508_42
; %bb.5:
	s_load_b32 s33, s[0:1], 0x68
	s_lshr_b32 s24, ttmp7, 16
	s_wait_kmcnt 0x0
	s_cmp_ge_u32 s24, s33
	s_cbranch_scc1 .LBB508_42
; %bb.6:
	v_and_b32_e32 v6, 0x3ff, v0
	v_bfe_u32 v11, v0, 10, 10
	s_load_b32 s4, s[0:1], 0x0
	s_lshl_b32 s0, ttmp7, 5
	s_lshl_b32 s1, ttmp9, 5
	s_and_b32 s2, s0, 0x1fffe0
	v_lshl_add_u32 v1, v11, 4, v6
	s_cmp_neq_f32 s10, 0
	v_and_b32_e32 v16, 7, v0
	v_add_nc_u32_e32 v15, s2, v11
	v_lshl_add_u32 v21, v11, 6, 0x800
	v_and_b32_e32 v0, 31, v1
	s_cselect_b32 s0, -1, 0
	s_cmp_neq_f32 s11, 0
	v_lshrrev_b32_e32 v4, 3, v1
	v_lshrrev_b32_e32 v17, 5, v1
	v_or_b32_e32 v2, s1, v0
	s_cselect_b32 s5, -1, 0
	v_add_nc_u32_e32 v22, 16, v15
	s_or_b32 s37, s0, s5
	s_ashr_i32 s5, s1, 31
	v_mul_lo_u32 v1, s15, v2
	s_wait_kmcnt 0x0
	v_cmp_gt_i32_e64 s0, s4, v2
	v_cmp_le_i32_e64 s34, s4, v2
	v_mad_co_u64_u32 v[2:3], null, s14, v2, 0
	v_add_nc_u32_e32 v14, s2, v4
	s_mul_i32 s2, s14, s5
	v_lshlrev_b32_e32 v0, 3, v0
	s_cmp_neq_f32 s6, 0
	v_cmp_gt_i64_e64 s36, s[8:9], 0
	v_cmp_gt_i32_e32 vcc_lo, s4, v14
	s_wait_alu 0xfffe
	v_add3_u32 v3, v3, s2, v1
	v_dual_mov_b32 v1, 0 :: v_dual_lshlrev_b32 v20, 3, v6
	v_add_nc_u32_e32 v8, s1, v6
	v_mad_co_u64_u32 v[6:7], null, s28, v22, 0
	v_lshlrev_b32_e32 v5, 3, v16
	v_lshl_or_b32 v18, v17, 8, v0
	s_cselect_b32 s14, -1, 0
	s_xor_b32 s15, s3, -1
	v_cmp_gt_i32_e64 s3, s4, v22
	v_lshl_or_b32 v0, v4, 6, v5
	v_mad_co_u64_u32 v[4:5], null, s28, v15, 0
	v_lshlrev_b64_e32 v[2:3], 3, v[2:3]
	s_mov_b32 s25, 0
	s_delay_alu instid0(VALU_DEP_3) | instskip(SKIP_1) | instid1(VALU_DEP_3)
	v_add_nc_u32_e32 v19, 0x800, v0
	s_and_b32 s36, s37, s36
	v_mov_b32_e32 v0, v5
	v_cmp_gt_i32_e64 s1, s4, v15
	v_cmp_le_i32_e64 s2, v8, v15
	v_cmp_le_i32_e64 s4, v8, v22
	s_delay_alu instid0(VALU_DEP_4) | instskip(SKIP_3) | instid1(VALU_DEP_2)
	v_mad_co_u64_u32 v[9:10], null, s29, v15, v[0:1]
	v_mov_b32_e32 v0, v7
	v_add_nc_u32_e32 v10, 16, v8
	s_and_b32 s28, s1, s2
	v_mad_co_u64_u32 v[12:13], null, s29, v22, v[0:1]
	s_delay_alu instid0(VALU_DEP_4)
	v_mov_b32_e32 v5, v9
	v_ashrrev_i32_e32 v9, 31, v8
	v_ashrrev_i32_e32 v11, 31, v10
	v_cmp_le_i32_e64 s2, v10, v15
	v_cmp_le_i32_e64 s5, v10, v22
	v_lshlrev_b64_e32 v[4:5], 3, v[4:5]
	v_mov_b32_e32 v7, v12
	v_lshlrev_b64_e32 v[8:9], 3, v[8:9]
	v_lshlrev_b64_e32 v[10:11], 3, v[10:11]
	v_lshlrev_b32_e32 v22, 3, v14
	s_and_b32 s1, s1, s2
	v_lshlrev_b64_e32 v[6:7], 3, v[6:7]
	s_and_b32 s29, s3, s4
	s_and_b32 s35, s3, s5
	s_lshl_b64 s[2:3], s[22:23], 3
	s_wait_alu 0xfffe
	s_or_b32 s22, s14, s15
	s_lshl_b64 s[4:5], s[16:17], 3
	s_xor_b32 s23, vcc_lo, -1
	s_lshl_b64 s[14:15], s[30:31], 3
                                        ; implicit-def: $vgpr12_vgpr13
	s_branch .LBB508_8
.LBB508_7:                              ;   in Loop: Header=BB508_8 Depth=1
	s_wait_alu 0xfffe
	s_or_b32 exec_lo, exec_lo, s16
	s_add_co_i32 s24, s24, 0x10000
	s_delay_alu instid0(SALU_CYCLE_1)
	s_cmp_lt_u32 s24, s33
	s_cbranch_scc0 .LBB508_42
.LBB508_8:                              ; =>This Loop Header: Depth=1
                                        ;     Child Loop BB508_11 Depth 2
	s_lshl_b64 s[16:17], s[24:25], 3
	s_and_not1_b32 vcc_lo, exec_lo, s36
	s_wait_alu 0xfffe
	s_add_nc_u64 s[30:31], s[26:27], s[16:17]
	global_load_b64 v[14:15], v1, s[30:31]
	s_cbranch_vccnz .LBB508_21
; %bb.9:                                ;   in Loop: Header=BB508_8 Depth=1
	s_add_nc_u64 s[30:31], s[12:13], s[16:17]
	s_add_nc_u64 s[16:17], s[18:19], s[16:17]
	s_clause 0x1
	global_load_b64 v[23:24], v1, s[30:31]
	global_load_b64 v[25:26], v1, s[16:17]
	v_dual_mov_b32 v27, 0 :: v_dual_mov_b32 v28, 0
	v_dual_mov_b32 v30, 0 :: v_dual_mov_b32 v29, 0
	;; [unrolled: 1-line block ×4, first 2 shown]
	s_mov_b64 s[16:17], 0
	s_wait_loadcnt 0x1
	v_add_co_u32 v0, vcc_lo, v23, s4
	s_wait_alu 0xfffd
	v_add_co_ci_u32_e64 v24, null, s5, v24, vcc_lo
	s_wait_loadcnt 0x0
	v_add_co_u32 v25, vcc_lo, v25, s2
	s_wait_alu 0xfffd
	v_add_co_ci_u32_e64 v26, null, s3, v26, vcc_lo
	v_add_co_u32 v23, vcc_lo, v0, v2
	s_wait_alu 0xfffd
	v_add_co_ci_u32_e64 v24, null, v24, v3, vcc_lo
	;; [unrolled: 3-line block ×3, first 2 shown]
	s_branch .LBB508_11
.LBB508_10:                             ;   in Loop: Header=BB508_11 Depth=2
	s_or_b32 exec_lo, exec_lo, s30
	s_wait_dscnt 0x0
	s_barrier_signal -1
	s_barrier_wait -1
	global_inv scope:SCOPE_SE
	ds_load_b128 v[35:38], v21
	ds_load_2addr_b64 v[39:42], v20 offset1:16
	ds_load_b128 v[43:46], v21 offset:1024
	ds_load_b128 v[47:50], v21 offset:16
	ds_load_b128 v[51:54], v21 offset:32
	ds_load_b128 v[55:58], v21 offset:48
	ds_load_2addr_b64 v[59:62], v20 offset0:32 offset1:48
	ds_load_b128 v[63:66], v21 offset:1040
	s_add_nc_u64 s[16:17], s[16:17], 8
	s_wait_alu 0xfffe
	v_cmp_gt_i64_e64 s30, s[8:9], s[16:17]
	s_and_b32 vcc_lo, exec_lo, s30
	s_wait_dscnt 0x6
	v_dual_mul_f32 v0, v36, v40 :: v_dual_mul_f32 v69, v35, v42
	v_dual_mul_f32 v67, v35, v40 :: v_dual_mul_f32 v68, v36, v42
	s_wait_dscnt 0x5
	v_mul_f32_e32 v71, v44, v42
	s_delay_alu instid0(VALU_DEP_3) | instskip(SKIP_3) | instid1(VALU_DEP_4)
	v_fma_f32 v0, v35, v39, -v0
	v_dual_mul_f32 v42, v43, v42 :: v_dual_fmac_f32 v69, v36, v41
	v_fmac_f32_e32 v67, v36, v39
	v_fma_f32 v35, v35, v41, -v68
	v_add_f32_e32 v0, v33, v0
	v_mul_f32_e32 v70, v44, v40
	s_delay_alu instid0(VALU_DEP_4) | instskip(NEXT) | instid1(VALU_DEP_4)
	v_dual_mul_f32 v40, v43, v40 :: v_dual_add_f32 v33, v34, v67
	v_add_f32_e32 v34, v31, v35
	v_fmac_f32_e32 v42, v44, v41
	s_delay_alu instid0(VALU_DEP_4) | instskip(NEXT) | instid1(VALU_DEP_4)
	v_fma_f32 v36, v43, v39, -v70
	v_fmac_f32_e32 v40, v44, v39
	v_fma_f32 v39, v43, v41, -v71
	s_wait_dscnt 0x1
	v_dual_mul_f32 v41, v37, v60 :: v_dual_add_f32 v32, v32, v69
	v_mul_f32_e32 v43, v38, v62
	v_add_f32_e32 v35, v29, v36
	v_dual_add_f32 v36, v30, v40 :: v_dual_add_f32 v39, v28, v39
	ds_load_2addr_b64 v[28:31], v20 offset0:64 offset1:80
	v_fmac_f32_e32 v41, v38, v59
	v_dual_mul_f32 v40, v38, v60 :: v_dual_add_f32 v27, v27, v42
	v_mul_f32_e32 v42, v37, v62
	s_delay_alu instid0(VALU_DEP_3) | instskip(NEXT) | instid1(VALU_DEP_3)
	v_add_f32_e32 v41, v33, v41
	v_fma_f32 v40, v37, v59, -v40
	v_fma_f32 v37, v37, v61, -v43
	v_mul_f32_e32 v33, v45, v60
	s_delay_alu instid0(VALU_DEP_3) | instskip(SKIP_1) | instid1(VALU_DEP_4)
	v_add_f32_e32 v0, v0, v40
	v_mul_f32_e32 v40, v46, v60
	v_add_f32_e32 v37, v34, v37
	v_fmac_f32_e32 v42, v38, v61
	v_mul_f32_e32 v38, v46, v62
	v_fmac_f32_e32 v33, v46, v59
	v_fma_f32 v34, v45, v59, -v40
	s_delay_alu instid0(VALU_DEP_4) | instskip(SKIP_4) | instid1(VALU_DEP_3)
	v_add_f32_e32 v40, v32, v42
	v_mul_f32_e32 v42, v45, v62
	v_fma_f32 v32, v45, v61, -v38
	s_wait_dscnt 0x0
	v_dual_add_f32 v43, v35, v34 :: v_dual_mul_f32 v34, v48, v29
	v_dual_mul_f32 v45, v48, v31 :: v_dual_fmac_f32 v42, v46, v61
	v_mul_f32_e32 v38, v47, v29
	v_add_f32_e32 v39, v39, v32
	s_delay_alu instid0(VALU_DEP_3) | instskip(SKIP_3) | instid1(VALU_DEP_3)
	v_add_f32_e32 v42, v27, v42
	v_mul_f32_e32 v27, v47, v31
	v_fma_f32 v44, v47, v28, -v34
	v_fmac_f32_e32 v38, v48, v28
	v_fmac_f32_e32 v27, v48, v30
	s_delay_alu instid0(VALU_DEP_3)
	v_add_f32_e32 v0, v0, v44
	v_fma_f32 v44, v47, v30, -v45
	v_add_f32_e32 v36, v36, v33
	ds_load_2addr_b64 v[32:35], v20 offset0:96 offset1:112
	v_dual_add_f32 v38, v41, v38 :: v_dual_mul_f32 v41, v64, v29
	v_mul_f32_e32 v29, v63, v29
	v_dual_add_f32 v37, v37, v44 :: v_dual_mul_f32 v44, v64, v31
	v_mul_f32_e32 v31, v63, v31
	s_delay_alu instid0(VALU_DEP_4) | instskip(NEXT) | instid1(VALU_DEP_4)
	v_fma_f32 v41, v63, v28, -v41
	v_fmac_f32_e32 v29, v64, v28
	v_add_f32_e32 v40, v40, v27
	v_fma_f32 v27, v63, v30, -v44
	v_fmac_f32_e32 v31, v64, v30
	v_add_f32_e32 v41, v43, v41
	s_delay_alu instid0(VALU_DEP_3) | instskip(SKIP_4) | instid1(VALU_DEP_2)
	v_dual_add_f32 v43, v36, v29 :: v_dual_add_f32 v44, v39, v27
	ds_load_2addr_b64 v[27:30], v20 offset0:128 offset1:144
	s_wait_dscnt 0x1
	v_mul_f32_e32 v36, v50, v33
	v_dual_mul_f32 v39, v49, v33 :: v_dual_mul_f32 v48, v66, v35
	v_fma_f32 v36, v49, v32, -v36
	v_mul_f32_e32 v45, v50, v35
	s_delay_alu instid0(VALU_DEP_3) | instskip(NEXT) | instid1(VALU_DEP_3)
	v_fmac_f32_e32 v39, v50, v32
	v_add_f32_e32 v0, v0, v36
	s_delay_alu instid0(VALU_DEP_3) | instskip(SKIP_3) | instid1(VALU_DEP_4)
	v_fma_f32 v45, v49, v34, -v45
	v_add_f32_e32 v42, v42, v31
	v_dual_mul_f32 v31, v49, v35 :: v_dual_mul_f32 v36, v66, v33
	v_dual_add_f32 v46, v38, v39 :: v_dual_mul_f32 v33, v65, v33
	v_add_f32_e32 v45, v37, v45
	s_delay_alu instid0(VALU_DEP_3) | instskip(NEXT) | instid1(VALU_DEP_4)
	v_fmac_f32_e32 v31, v50, v34
	v_fma_f32 v47, v65, v32, -v36
	ds_load_b128 v[36:39], v21 offset:1056
	v_fmac_f32_e32 v33, v66, v32
	s_wait_dscnt 0x1
	v_mul_f32_e32 v32, v52, v28
	v_add_f32_e32 v49, v40, v31
	v_dual_mul_f32 v35, v65, v35 :: v_dual_mul_f32 v50, v51, v28
	s_delay_alu instid0(VALU_DEP_3)
	v_fma_f32 v40, v51, v27, -v32
	v_add_f32_e32 v47, v41, v47
	v_mul_f32_e32 v41, v52, v30
	v_fma_f32 v31, v65, v34, -v48
	v_dual_fmac_f32 v35, v66, v34 :: v_dual_fmac_f32 v50, v52, v27
	v_add_f32_e32 v0, v0, v40
	s_delay_alu instid0(VALU_DEP_4) | instskip(NEXT) | instid1(VALU_DEP_4)
	v_fma_f32 v59, v51, v29, -v41
	v_add_f32_e32 v44, v44, v31
	v_add_f32_e32 v48, v43, v33
	ds_load_2addr_b64 v[31:34], v20 offset0:160 offset1:176
	v_add_f32_e32 v35, v42, v35
	ds_load_b128 v[40:43], v21 offset:1072
	s_wait_dscnt 0x2
	v_dual_mul_f32 v51, v51, v30 :: v_dual_mul_f32 v60, v37, v28
	v_mul_f32_e32 v28, v36, v28
	s_delay_alu instid0(VALU_DEP_2) | instskip(SKIP_1) | instid1(VALU_DEP_3)
	v_dual_add_f32 v46, v46, v50 :: v_dual_fmac_f32 v51, v52, v29
	v_mul_f32_e32 v52, v37, v30
	v_fmac_f32_e32 v28, v37, v27
	v_fma_f32 v50, v36, v27, -v60
	s_delay_alu instid0(VALU_DEP_4) | instskip(SKIP_2) | instid1(VALU_DEP_2)
	v_add_f32_e32 v49, v49, v51
	v_mul_f32_e32 v51, v36, v30
	v_add_f32_e32 v45, v45, v59
	v_fmac_f32_e32 v51, v37, v29
	s_wait_dscnt 0x1
	v_mul_f32_e32 v37, v53, v32
	s_delay_alu instid0(VALU_DEP_1) | instskip(SKIP_4) | instid1(VALU_DEP_4)
	v_fmac_f32_e32 v37, v54, v31
	v_fma_f32 v27, v36, v29, -v52
	v_add_f32_e32 v36, v48, v28
	v_dual_mul_f32 v48, v54, v32 :: v_dual_add_f32 v47, v47, v50
	v_mul_f32_e32 v50, v54, v34
	v_add_f32_e32 v44, v44, v27
	ds_load_2addr_b64 v[27:30], v20 offset0:192 offset1:208
	v_fma_f32 v48, v53, v31, -v48
	v_add_f32_e32 v51, v35, v51
	v_dual_mul_f32 v35, v53, v34 :: v_dual_add_f32 v46, v46, v37
	v_mul_f32_e32 v37, v39, v32
	s_delay_alu instid0(VALU_DEP_4) | instskip(SKIP_4) | instid1(VALU_DEP_4)
	v_add_f32_e32 v0, v0, v48
	v_fma_f32 v48, v53, v33, -v50
	v_mul_f32_e32 v32, v38, v32
	v_fmac_f32_e32 v35, v54, v33
	v_fma_f32 v37, v38, v31, -v37
	v_dual_add_f32 v45, v45, v48 :: v_dual_mul_f32 v48, v39, v34
	s_delay_alu instid0(VALU_DEP_4) | instskip(NEXT) | instid1(VALU_DEP_4)
	v_dual_fmac_f32 v32, v39, v31 :: v_dual_mul_f32 v31, v38, v34
	v_add_f32_e32 v49, v49, v35
	s_delay_alu instid0(VALU_DEP_3) | instskip(NEXT) | instid1(VALU_DEP_3)
	v_fma_f32 v34, v38, v33, -v48
	v_dual_add_f32 v32, v36, v32 :: v_dual_fmac_f32 v31, v39, v33
	s_wait_dscnt 0x0
	s_delay_alu instid0(VALU_DEP_2) | instskip(SKIP_1) | instid1(VALU_DEP_3)
	v_dual_mul_f32 v48, v41, v28 :: v_dual_add_f32 v33, v44, v34
	v_mul_f32_e32 v34, v55, v28
	v_dual_mul_f32 v44, v56, v30 :: v_dual_add_f32 v31, v51, v31
	s_delay_alu instid0(VALU_DEP_2) | instskip(SKIP_1) | instid1(VALU_DEP_3)
	v_fmac_f32_e32 v34, v56, v27
	v_mul_f32_e32 v35, v56, v28
	v_fma_f32 v44, v55, v29, -v44
	v_mul_f32_e32 v28, v40, v28
	s_delay_alu instid0(VALU_DEP_4) | instskip(NEXT) | instid1(VALU_DEP_4)
	v_add_f32_e32 v34, v46, v34
	v_fma_f32 v39, v55, v27, -v35
	v_add_f32_e32 v47, v47, v37
	ds_load_2addr_b64 v[35:38], v20 offset0:224 offset1:240
	v_add_f32_e32 v44, v45, v44
	v_mul_f32_e32 v46, v41, v30
	v_dual_add_f32 v0, v0, v39 :: v_dual_mul_f32 v39, v55, v30
	v_fma_f32 v45, v40, v27, -v48
	v_fmac_f32_e32 v28, v41, v27
	v_mul_f32_e32 v30, v40, v30
	v_fma_f32 v40, v40, v29, -v46
	v_fmac_f32_e32 v39, v56, v29
	s_wait_loadcnt_dscnt 0x0
	s_barrier_signal -1
	v_fmac_f32_e32 v30, v41, v29
	v_add_f32_e32 v40, v33, v40
	v_add_f32_e32 v27, v49, v39
	v_dual_add_f32 v39, v47, v45 :: v_dual_add_f32 v28, v32, v28
	s_barrier_wait -1
	global_inv scope:SCOPE_SE
	v_mul_f32_e32 v29, v57, v36
	v_mul_f32_e32 v33, v58, v38
	s_delay_alu instid0(VALU_DEP_2) | instskip(SKIP_1) | instid1(VALU_DEP_3)
	v_fmac_f32_e32 v29, v58, v35
	v_dual_mul_f32 v32, v58, v36 :: v_dual_add_f32 v41, v31, v30
	v_fma_f32 v31, v57, v37, -v33
	s_delay_alu instid0(VALU_DEP_2) | instskip(NEXT) | instid1(VALU_DEP_2)
	v_fma_f32 v32, v57, v35, -v32
	v_dual_mul_f32 v30, v57, v38 :: v_dual_add_f32 v31, v44, v31
	v_mul_f32_e32 v44, v43, v38
	s_delay_alu instid0(VALU_DEP_3) | instskip(NEXT) | instid1(VALU_DEP_3)
	v_dual_mul_f32 v38, v42, v38 :: v_dual_add_f32 v33, v0, v32
	v_fmac_f32_e32 v30, v58, v37
	s_delay_alu instid0(VALU_DEP_2) | instskip(SKIP_2) | instid1(VALU_DEP_4)
	v_fmac_f32_e32 v38, v43, v37
	v_mul_f32_e32 v0, v43, v36
	v_mul_f32_e32 v36, v42, v36
	v_add_f32_e32 v32, v27, v30
	s_delay_alu instid0(VALU_DEP_4) | instskip(NEXT) | instid1(VALU_DEP_4)
	v_add_f32_e32 v27, v41, v38
	v_fma_f32 v0, v42, v35, -v0
	v_add_f32_e32 v34, v34, v29
	v_fmac_f32_e32 v36, v43, v35
	s_delay_alu instid0(VALU_DEP_3) | instskip(SKIP_1) | instid1(VALU_DEP_3)
	v_add_f32_e32 v29, v39, v0
	v_fma_f32 v0, v42, v37, -v44
	v_add_f32_e32 v30, v28, v36
	s_delay_alu instid0(VALU_DEP_2)
	v_add_f32_e32 v28, v40, v0
	s_wait_alu 0xfffe
	s_cbranch_vccz .LBB508_22
.LBB508_11:                             ;   Parent Loop BB508_8 Depth=1
                                        ; =>  This Inner Loop Header: Depth=2
	s_mov_b32 s30, 0
	s_mov_b32 s37, s34
	s_and_saveexec_b32 s31, s0
	s_cbranch_execnz .LBB508_19
; %bb.12:                               ;   in Loop: Header=BB508_11 Depth=2
	s_or_b32 exec_lo, exec_lo, s31
	s_and_saveexec_b32 s31, s37
	s_delay_alu instid0(SALU_CYCLE_1)
	s_xor_b32 s31, exec_lo, s31
	s_cbranch_execnz .LBB508_20
.LBB508_13:                             ;   in Loop: Header=BB508_11 Depth=2
	s_or_b32 exec_lo, exec_lo, s31
	s_and_saveexec_b32 s31, s30
	s_cbranch_execz .LBB508_15
.LBB508_14:                             ;   in Loop: Header=BB508_11 Depth=2
	v_lshlrev_b64_e32 v[35:36], 3, v[12:13]
	s_delay_alu instid0(VALU_DEP_1) | instskip(SKIP_1) | instid1(VALU_DEP_2)
	v_add_co_u32 v35, vcc_lo, v23, v35
	s_wait_alu 0xfffd
	v_add_co_ci_u32_e64 v36, null, v24, v36, vcc_lo
	flat_load_b64 v[35:36], v[35:36]
	s_wait_loadcnt_dscnt 0x0
	ds_store_b64 v18, v[35:36]
.LBB508_15:                             ;   in Loop: Header=BB508_11 Depth=2
	s_or_b32 exec_lo, exec_lo, s31
	s_wait_alu 0xfffe
	v_add_nc_u32_e32 v0, s16, v16
	s_delay_alu instid0(VALU_DEP_1) | instskip(SKIP_1) | instid1(SALU_CYCLE_1)
	v_cmp_le_u64_e32 vcc_lo, s[8:9], v[0:1]
	s_or_b32 s30, vcc_lo, s23
	s_and_saveexec_b32 s31, s30
	s_delay_alu instid0(SALU_CYCLE_1)
	s_xor_b32 s30, exec_lo, s31
; %bb.16:                               ;   in Loop: Header=BB508_11 Depth=2
	v_mov_b32_e32 v0, v1
	ds_store_b64 v19, v[0:1]
; %bb.17:                               ;   in Loop: Header=BB508_11 Depth=2
	s_and_not1_saveexec_b32 s30, s30
	s_cbranch_execz .LBB508_10
; %bb.18:                               ;   in Loop: Header=BB508_11 Depth=2
	v_mad_co_u64_u32 v[35:36], null, s20, v0, 0
	s_delay_alu instid0(VALU_DEP_1) | instskip(NEXT) | instid1(VALU_DEP_1)
	v_mad_co_u64_u32 v[36:37], null, s21, v0, v[36:37]
	v_lshlrev_b64_e32 v[35:36], 3, v[35:36]
	s_delay_alu instid0(VALU_DEP_1) | instskip(SKIP_1) | instid1(VALU_DEP_2)
	v_add_co_u32 v35, vcc_lo, v25, v35
	s_wait_alu 0xfffd
	v_add_co_ci_u32_e64 v36, null, v26, v36, vcc_lo
	flat_load_b64 v[35:36], v[35:36]
	s_wait_loadcnt_dscnt 0x0
	ds_store_b64 v19, v[35:36]
	s_branch .LBB508_10
.LBB508_19:                             ;   in Loop: Header=BB508_11 Depth=2
	s_wait_alu 0xfffe
	v_add_nc_u32_e32 v0, s16, v17
	v_mov_b32_e32 v13, v1
	s_and_not1_b32 s37, s34, exec_lo
	s_mov_b32 s30, exec_lo
	s_delay_alu instid0(VALU_DEP_2) | instskip(SKIP_2) | instid1(SALU_CYCLE_1)
	v_cmp_le_u64_e32 vcc_lo, s[8:9], v[0:1]
	v_mov_b32_e32 v12, v0
	s_and_b32 s38, vcc_lo, exec_lo
	s_or_b32 s37, s37, s38
	s_or_b32 exec_lo, exec_lo, s31
	s_and_saveexec_b32 s31, s37
	s_delay_alu instid0(SALU_CYCLE_1)
	s_xor_b32 s31, exec_lo, s31
	s_cbranch_execz .LBB508_13
.LBB508_20:                             ;   in Loop: Header=BB508_11 Depth=2
	v_mov_b32_e32 v0, v1
	s_and_not1_b32 s30, s30, exec_lo
	ds_store_b64 v18, v[0:1]
	s_or_b32 exec_lo, exec_lo, s31
	s_and_saveexec_b32 s31, s30
	s_cbranch_execnz .LBB508_14
	s_branch .LBB508_15
.LBB508_21:                             ;   in Loop: Header=BB508_8 Depth=1
	v_dual_mov_b32 v33, v1 :: v_dual_mov_b32 v34, v1
	v_dual_mov_b32 v31, v1 :: v_dual_mov_b32 v32, v1
	v_dual_mov_b32 v29, v1 :: v_dual_mov_b32 v30, v1
	v_dual_mov_b32 v28, v1 :: v_dual_mov_b32 v27, v1
.LBB508_22:                             ;   in Loop: Header=BB508_8 Depth=1
	s_wait_loadcnt 0x0
	s_wait_alu 0xfffe
	v_add_co_u32 v0, vcc_lo, v14, s14
	s_wait_alu 0xfffd
	v_add_co_ci_u32_e64 v23, null, s15, v15, vcc_lo
	s_delay_alu instid0(VALU_DEP_2) | instskip(SKIP_1) | instid1(VALU_DEP_2)
	v_add_co_u32 v24, vcc_lo, v0, v4
	s_wait_alu 0xfffd
	v_add_co_ci_u32_e64 v25, null, v23, v5, vcc_lo
	s_and_saveexec_b32 s16, s28
	s_cbranch_execz .LBB508_27
; %bb.23:                               ;   in Loop: Header=BB508_8 Depth=1
	v_mul_f32_e32 v15, s10, v34
	v_mul_f32_e32 v14, s11, v34
	s_and_b32 vcc_lo, exec_lo, s22
	s_mov_b32 s17, -1
	s_delay_alu instid0(VALU_DEP_2) | instskip(NEXT) | instid1(VALU_DEP_2)
	v_fmac_f32_e32 v15, s11, v33
	v_fma_f32 v14, v33, s10, -v14
	s_wait_alu 0xfffe
	s_cbranch_vccz .LBB508_25
; %bb.24:                               ;   in Loop: Header=BB508_8 Depth=1
	v_add_co_u32 v33, vcc_lo, v24, v8
	s_wait_alu 0xfffd
	v_add_co_ci_u32_e64 v34, null, v25, v9, vcc_lo
	s_mov_b32 s17, 0
	flat_load_b64 v[35:36], v[33:34]
	s_wait_loadcnt_dscnt 0x0
	v_mul_f32_e32 v26, s7, v36
	s_delay_alu instid0(VALU_DEP_1) | instskip(SKIP_1) | instid1(VALU_DEP_1)
	v_fma_f32 v26, v35, s6, -v26
	v_mul_f32_e32 v36, s6, v36
	v_dual_fmac_f32 v36, s7, v35 :: v_dual_add_f32 v35, v14, v26
	s_delay_alu instid0(VALU_DEP_1)
	v_add_f32_e32 v36, v15, v36
	flat_store_b64 v[33:34], v[35:36]
.LBB508_25:                             ;   in Loop: Header=BB508_8 Depth=1
	s_wait_alu 0xfffe
	s_and_not1_b32 vcc_lo, exec_lo, s17
	s_wait_alu 0xfffe
	s_cbranch_vccnz .LBB508_27
; %bb.26:                               ;   in Loop: Header=BB508_8 Depth=1
	v_add_co_u32 v33, vcc_lo, v24, v8
	s_wait_alu 0xfffd
	v_add_co_ci_u32_e64 v34, null, v25, v9, vcc_lo
	flat_store_b64 v[33:34], v[14:15]
.LBB508_27:                             ;   in Loop: Header=BB508_8 Depth=1
	s_wait_alu 0xfffe
	s_or_b32 exec_lo, exec_lo, s16
	s_and_saveexec_b32 s16, s1
	s_cbranch_execz .LBB508_32
; %bb.28:                               ;   in Loop: Header=BB508_8 Depth=1
	v_mul_f32_e32 v15, s10, v32
	v_mul_f32_e32 v14, s11, v32
	s_and_not1_b32 vcc_lo, exec_lo, s22
	s_mov_b32 s17, -1
	s_delay_alu instid0(VALU_DEP_2) | instskip(NEXT) | instid1(VALU_DEP_2)
	v_fmac_f32_e32 v15, s11, v31
	v_fma_f32 v14, v31, s10, -v14
	s_wait_alu 0xfffe
	s_cbranch_vccnz .LBB508_30
; %bb.29:                               ;   in Loop: Header=BB508_8 Depth=1
	v_add_co_u32 v31, vcc_lo, v24, v10
	s_wait_alu 0xfffd
	v_add_co_ci_u32_e64 v32, null, v25, v11, vcc_lo
	s_mov_b32 s17, 0
	flat_load_b64 v[33:34], v[31:32]
	s_wait_loadcnt_dscnt 0x0
	v_mul_f32_e32 v26, s7, v34
	v_mul_f32_e32 v34, s6, v34
	s_delay_alu instid0(VALU_DEP_2) | instskip(NEXT) | instid1(VALU_DEP_1)
	v_fma_f32 v26, v33, s6, -v26
	v_dual_fmac_f32 v34, s7, v33 :: v_dual_add_f32 v33, v14, v26
	s_delay_alu instid0(VALU_DEP_1)
	v_add_f32_e32 v34, v15, v34
	flat_store_b64 v[31:32], v[33:34]
.LBB508_30:                             ;   in Loop: Header=BB508_8 Depth=1
	s_wait_alu 0xfffe
	s_and_not1_b32 vcc_lo, exec_lo, s17
	s_wait_alu 0xfffe
	s_cbranch_vccnz .LBB508_32
; %bb.31:                               ;   in Loop: Header=BB508_8 Depth=1
	v_add_co_u32 v24, vcc_lo, v24, v10
	s_wait_alu 0xfffd
	v_add_co_ci_u32_e64 v25, null, v25, v11, vcc_lo
	flat_store_b64 v[24:25], v[14:15]
.LBB508_32:                             ;   in Loop: Header=BB508_8 Depth=1
	s_wait_alu 0xfffe
	s_or_b32 exec_lo, exec_lo, s16
	v_add_co_u32 v0, vcc_lo, v0, v6
	s_wait_alu 0xfffd
	v_add_co_ci_u32_e64 v23, null, v23, v7, vcc_lo
	s_and_saveexec_b32 s16, s29
	s_cbranch_execz .LBB508_37
; %bb.33:                               ;   in Loop: Header=BB508_8 Depth=1
	v_mul_f32_e32 v15, s10, v30
	v_mul_f32_e32 v14, s11, v30
	s_and_not1_b32 vcc_lo, exec_lo, s22
	s_mov_b32 s17, -1
	s_delay_alu instid0(VALU_DEP_2) | instskip(NEXT) | instid1(VALU_DEP_2)
	v_fmac_f32_e32 v15, s11, v29
	v_fma_f32 v14, v29, s10, -v14
	s_wait_alu 0xfffe
	s_cbranch_vccnz .LBB508_35
; %bb.34:                               ;   in Loop: Header=BB508_8 Depth=1
	v_add_co_u32 v24, vcc_lo, v0, v8
	s_wait_alu 0xfffd
	v_add_co_ci_u32_e64 v25, null, v23, v9, vcc_lo
	s_mov_b32 s17, 0
	flat_load_b64 v[29:30], v[24:25]
	s_wait_loadcnt_dscnt 0x0
	v_mul_f32_e32 v26, s7, v30
	v_mul_f32_e32 v30, s6, v30
	s_delay_alu instid0(VALU_DEP_2) | instskip(NEXT) | instid1(VALU_DEP_1)
	v_fma_f32 v26, v29, s6, -v26
	v_dual_fmac_f32 v30, s7, v29 :: v_dual_add_f32 v29, v14, v26
	s_delay_alu instid0(VALU_DEP_1)
	v_add_f32_e32 v30, v15, v30
	flat_store_b64 v[24:25], v[29:30]
.LBB508_35:                             ;   in Loop: Header=BB508_8 Depth=1
	s_wait_alu 0xfffe
	s_and_not1_b32 vcc_lo, exec_lo, s17
	s_wait_alu 0xfffe
	s_cbranch_vccnz .LBB508_37
; %bb.36:                               ;   in Loop: Header=BB508_8 Depth=1
	v_add_co_u32 v24, vcc_lo, v0, v8
	s_wait_alu 0xfffd
	v_add_co_ci_u32_e64 v25, null, v23, v9, vcc_lo
	flat_store_b64 v[24:25], v[14:15]
.LBB508_37:                             ;   in Loop: Header=BB508_8 Depth=1
	s_wait_alu 0xfffe
	s_or_b32 exec_lo, exec_lo, s16
	s_and_saveexec_b32 s16, s35
	s_cbranch_execz .LBB508_7
; %bb.38:                               ;   in Loop: Header=BB508_8 Depth=1
	v_mul_f32_e32 v15, s10, v27
	v_mul_f32_e32 v14, s11, v27
	s_and_not1_b32 vcc_lo, exec_lo, s22
	s_mov_b32 s17, -1
	s_delay_alu instid0(VALU_DEP_2) | instskip(NEXT) | instid1(VALU_DEP_2)
	v_fmac_f32_e32 v15, s11, v28
	v_fma_f32 v14, v28, s10, -v14
	s_wait_alu 0xfffe
	s_cbranch_vccnz .LBB508_40
; %bb.39:                               ;   in Loop: Header=BB508_8 Depth=1
	v_add_co_u32 v24, vcc_lo, v0, v10
	s_wait_alu 0xfffd
	v_add_co_ci_u32_e64 v25, null, v23, v11, vcc_lo
	s_mov_b32 s17, 0
	flat_load_b64 v[26:27], v[24:25]
	s_wait_loadcnt_dscnt 0x0
	v_mul_f32_e32 v28, s7, v27
	v_mul_f32_e32 v27, s6, v27
	s_delay_alu instid0(VALU_DEP_1) | instskip(NEXT) | instid1(VALU_DEP_3)
	v_fmac_f32_e32 v27, s7, v26
	v_fma_f32 v28, v26, s6, -v28
	s_delay_alu instid0(VALU_DEP_1)
	v_dual_add_f32 v27, v15, v27 :: v_dual_add_f32 v26, v14, v28
	flat_store_b64 v[24:25], v[26:27]
.LBB508_40:                             ;   in Loop: Header=BB508_8 Depth=1
	s_wait_alu 0xfffe
	s_and_not1_b32 vcc_lo, exec_lo, s17
	s_wait_alu 0xfffe
	s_cbranch_vccnz .LBB508_7
; %bb.41:                               ;   in Loop: Header=BB508_8 Depth=1
	v_add_co_u32 v24, vcc_lo, v0, v10
	s_wait_alu 0xfffd
	v_add_co_ci_u32_e64 v25, null, v23, v11, vcc_lo
	flat_store_b64 v[24:25], v[14:15]
	s_branch .LBB508_7
.LBB508_42:
	s_endpgm
	.section	.rodata,"a",@progbits
	.p2align	6, 0x0
	.amdhsa_kernel _ZL29rocblas_internal_gemmt_kernelIlLi16ELi32ELi8ELc84ELc84ELc85ELb0ELb0E19rocblas_complex_numIfEPKS1_PKS3_PKPS1_EviT_T9_T10_S9_lSB_S9_lSA_T11_S9_li
		.amdhsa_group_segment_fixed_size 4096
		.amdhsa_private_segment_fixed_size 0
		.amdhsa_kernarg_size 108
		.amdhsa_user_sgpr_count 2
		.amdhsa_user_sgpr_dispatch_ptr 0
		.amdhsa_user_sgpr_queue_ptr 0
		.amdhsa_user_sgpr_kernarg_segment_ptr 1
		.amdhsa_user_sgpr_dispatch_id 0
		.amdhsa_user_sgpr_private_segment_size 0
		.amdhsa_wavefront_size32 1
		.amdhsa_uses_dynamic_stack 0
		.amdhsa_enable_private_segment 0
		.amdhsa_system_sgpr_workgroup_id_x 1
		.amdhsa_system_sgpr_workgroup_id_y 1
		.amdhsa_system_sgpr_workgroup_id_z 1
		.amdhsa_system_sgpr_workgroup_info 0
		.amdhsa_system_vgpr_workitem_id 1
		.amdhsa_next_free_vgpr 72
		.amdhsa_next_free_sgpr 39
		.amdhsa_reserve_vcc 1
		.amdhsa_float_round_mode_32 0
		.amdhsa_float_round_mode_16_64 0
		.amdhsa_float_denorm_mode_32 3
		.amdhsa_float_denorm_mode_16_64 3
		.amdhsa_fp16_overflow 0
		.amdhsa_workgroup_processor_mode 1
		.amdhsa_memory_ordered 1
		.amdhsa_forward_progress 1
		.amdhsa_inst_pref_size 26
		.amdhsa_round_robin_scheduling 0
		.amdhsa_exception_fp_ieee_invalid_op 0
		.amdhsa_exception_fp_denorm_src 0
		.amdhsa_exception_fp_ieee_div_zero 0
		.amdhsa_exception_fp_ieee_overflow 0
		.amdhsa_exception_fp_ieee_underflow 0
		.amdhsa_exception_fp_ieee_inexact 0
		.amdhsa_exception_int_div_zero 0
	.end_amdhsa_kernel
	.section	.text._ZL29rocblas_internal_gemmt_kernelIlLi16ELi32ELi8ELc84ELc84ELc85ELb0ELb0E19rocblas_complex_numIfEPKS1_PKS3_PKPS1_EviT_T9_T10_S9_lSB_S9_lSA_T11_S9_li,"axG",@progbits,_ZL29rocblas_internal_gemmt_kernelIlLi16ELi32ELi8ELc84ELc84ELc85ELb0ELb0E19rocblas_complex_numIfEPKS1_PKS3_PKPS1_EviT_T9_T10_S9_lSB_S9_lSA_T11_S9_li,comdat
.Lfunc_end508:
	.size	_ZL29rocblas_internal_gemmt_kernelIlLi16ELi32ELi8ELc84ELc84ELc85ELb0ELb0E19rocblas_complex_numIfEPKS1_PKS3_PKPS1_EviT_T9_T10_S9_lSB_S9_lSA_T11_S9_li, .Lfunc_end508-_ZL29rocblas_internal_gemmt_kernelIlLi16ELi32ELi8ELc84ELc84ELc85ELb0ELb0E19rocblas_complex_numIfEPKS1_PKS3_PKPS1_EviT_T9_T10_S9_lSB_S9_lSA_T11_S9_li
                                        ; -- End function
	.set _ZL29rocblas_internal_gemmt_kernelIlLi16ELi32ELi8ELc84ELc84ELc85ELb0ELb0E19rocblas_complex_numIfEPKS1_PKS3_PKPS1_EviT_T9_T10_S9_lSB_S9_lSA_T11_S9_li.num_vgpr, 72
	.set _ZL29rocblas_internal_gemmt_kernelIlLi16ELi32ELi8ELc84ELc84ELc85ELb0ELb0E19rocblas_complex_numIfEPKS1_PKS3_PKPS1_EviT_T9_T10_S9_lSB_S9_lSA_T11_S9_li.num_agpr, 0
	.set _ZL29rocblas_internal_gemmt_kernelIlLi16ELi32ELi8ELc84ELc84ELc85ELb0ELb0E19rocblas_complex_numIfEPKS1_PKS3_PKPS1_EviT_T9_T10_S9_lSB_S9_lSA_T11_S9_li.numbered_sgpr, 39
	.set _ZL29rocblas_internal_gemmt_kernelIlLi16ELi32ELi8ELc84ELc84ELc85ELb0ELb0E19rocblas_complex_numIfEPKS1_PKS3_PKPS1_EviT_T9_T10_S9_lSB_S9_lSA_T11_S9_li.num_named_barrier, 0
	.set _ZL29rocblas_internal_gemmt_kernelIlLi16ELi32ELi8ELc84ELc84ELc85ELb0ELb0E19rocblas_complex_numIfEPKS1_PKS3_PKPS1_EviT_T9_T10_S9_lSB_S9_lSA_T11_S9_li.private_seg_size, 0
	.set _ZL29rocblas_internal_gemmt_kernelIlLi16ELi32ELi8ELc84ELc84ELc85ELb0ELb0E19rocblas_complex_numIfEPKS1_PKS3_PKPS1_EviT_T9_T10_S9_lSB_S9_lSA_T11_S9_li.uses_vcc, 1
	.set _ZL29rocblas_internal_gemmt_kernelIlLi16ELi32ELi8ELc84ELc84ELc85ELb0ELb0E19rocblas_complex_numIfEPKS1_PKS3_PKPS1_EviT_T9_T10_S9_lSB_S9_lSA_T11_S9_li.uses_flat_scratch, 0
	.set _ZL29rocblas_internal_gemmt_kernelIlLi16ELi32ELi8ELc84ELc84ELc85ELb0ELb0E19rocblas_complex_numIfEPKS1_PKS3_PKPS1_EviT_T9_T10_S9_lSB_S9_lSA_T11_S9_li.has_dyn_sized_stack, 0
	.set _ZL29rocblas_internal_gemmt_kernelIlLi16ELi32ELi8ELc84ELc84ELc85ELb0ELb0E19rocblas_complex_numIfEPKS1_PKS3_PKPS1_EviT_T9_T10_S9_lSB_S9_lSA_T11_S9_li.has_recursion, 0
	.set _ZL29rocblas_internal_gemmt_kernelIlLi16ELi32ELi8ELc84ELc84ELc85ELb0ELb0E19rocblas_complex_numIfEPKS1_PKS3_PKPS1_EviT_T9_T10_S9_lSB_S9_lSA_T11_S9_li.has_indirect_call, 0
	.section	.AMDGPU.csdata,"",@progbits
; Kernel info:
; codeLenInByte = 3284
; TotalNumSgprs: 41
; NumVgprs: 72
; ScratchSize: 0
; MemoryBound: 0
; FloatMode: 240
; IeeeMode: 1
; LDSByteSize: 4096 bytes/workgroup (compile time only)
; SGPRBlocks: 0
; VGPRBlocks: 8
; NumSGPRsForWavesPerEU: 41
; NumVGPRsForWavesPerEU: 72
; Occupancy: 16
; WaveLimiterHint : 1
; COMPUTE_PGM_RSRC2:SCRATCH_EN: 0
; COMPUTE_PGM_RSRC2:USER_SGPR: 2
; COMPUTE_PGM_RSRC2:TRAP_HANDLER: 0
; COMPUTE_PGM_RSRC2:TGID_X_EN: 1
; COMPUTE_PGM_RSRC2:TGID_Y_EN: 1
; COMPUTE_PGM_RSRC2:TGID_Z_EN: 1
; COMPUTE_PGM_RSRC2:TIDIG_COMP_CNT: 1
	.section	.text._ZL29rocblas_internal_gemmt_kernelIlLi16ELi32ELi8ELc84ELc67ELc85ELb0ELb1E19rocblas_complex_numIfEPKS1_PKS3_PKPS1_EviT_T9_T10_S9_lSB_S9_lSA_T11_S9_li,"axG",@progbits,_ZL29rocblas_internal_gemmt_kernelIlLi16ELi32ELi8ELc84ELc67ELc85ELb0ELb1E19rocblas_complex_numIfEPKS1_PKS3_PKPS1_EviT_T9_T10_S9_lSB_S9_lSA_T11_S9_li,comdat
	.globl	_ZL29rocblas_internal_gemmt_kernelIlLi16ELi32ELi8ELc84ELc67ELc85ELb0ELb1E19rocblas_complex_numIfEPKS1_PKS3_PKPS1_EviT_T9_T10_S9_lSB_S9_lSA_T11_S9_li ; -- Begin function _ZL29rocblas_internal_gemmt_kernelIlLi16ELi32ELi8ELc84ELc67ELc85ELb0ELb1E19rocblas_complex_numIfEPKS1_PKS3_PKPS1_EviT_T9_T10_S9_lSB_S9_lSA_T11_S9_li
	.p2align	8
	.type	_ZL29rocblas_internal_gemmt_kernelIlLi16ELi32ELi8ELc84ELc67ELc85ELb0ELb1E19rocblas_complex_numIfEPKS1_PKS3_PKPS1_EviT_T9_T10_S9_lSB_S9_lSA_T11_S9_li,@function
_ZL29rocblas_internal_gemmt_kernelIlLi16ELi32ELi8ELc84ELc67ELc85ELb0ELb1E19rocblas_complex_numIfEPKS1_PKS3_PKPS1_EviT_T9_T10_S9_lSB_S9_lSA_T11_S9_li: ; @_ZL29rocblas_internal_gemmt_kernelIlLi16ELi32ELi8ELc84ELc67ELc85ELb0ELb1E19rocblas_complex_numIfEPKS1_PKS3_PKPS1_EviT_T9_T10_S9_lSB_S9_lSA_T11_S9_li
; %bb.0:
	s_load_b256 s[24:31], s[0:1], 0x48
	s_wait_kmcnt 0x0
	s_load_b64 s[6:7], s[24:25], 0x0
	s_load_b512 s[8:23], s[0:1], 0x8
	s_wait_kmcnt 0x0
	s_cmp_eq_f32 s6, 1.0
	s_load_b64 s[10:11], s[10:11], 0x0
	s_cselect_b32 s2, -1, 0
	s_and_b32 s3, s7, 0x7fffffff
	s_delay_alu instid0(SALU_CYCLE_1) | instskip(SKIP_1) | instid1(SALU_CYCLE_1)
	s_cmp_eq_u32 s3, 0
	s_cselect_b32 s3, -1, 0
	s_and_b32 s4, s2, s3
	s_mov_b32 s2, 0
	s_and_not1_b32 vcc_lo, exec_lo, s4
	s_mov_b32 s4, -1
	s_cbranch_vccnz .LBB509_4
; %bb.1:
	s_cmp_lg_u64 s[8:9], 0
	s_cbranch_scc0 .LBB509_3
; %bb.2:
	s_wait_kmcnt 0x0
	s_cmp_neq_f32 s10, 0
	s_cselect_b32 s2, -1, 0
	s_cmp_neq_f32 s11, 0
	s_cselect_b32 s4, -1, 0
	s_delay_alu instid0(SALU_CYCLE_1)
	s_or_b32 s2, s2, s4
.LBB509_3:
	s_delay_alu instid0(SALU_CYCLE_1)
	s_mov_b32 s4, s2
.LBB509_4:
	s_delay_alu instid0(SALU_CYCLE_1)
	s_and_b32 vcc_lo, exec_lo, s4
	s_cbranch_vccz .LBB509_42
; %bb.5:
	s_load_b32 s33, s[0:1], 0x68
	s_lshr_b32 s24, ttmp7, 16
	s_wait_kmcnt 0x0
	s_cmp_ge_u32 s24, s33
	s_cbranch_scc1 .LBB509_42
; %bb.6:
	v_and_b32_e32 v6, 0x3ff, v0
	v_bfe_u32 v11, v0, 10, 10
	s_load_b32 s4, s[0:1], 0x0
	s_lshl_b32 s0, ttmp7, 5
	s_lshl_b32 s1, ttmp9, 5
	s_and_b32 s2, s0, 0x1fffe0
	v_lshl_add_u32 v1, v11, 4, v6
	s_cmp_neq_f32 s10, 0
	v_and_b32_e32 v16, 7, v0
	v_add_nc_u32_e32 v15, s2, v11
	v_lshl_add_u32 v21, v11, 6, 0x800
	v_and_b32_e32 v0, 31, v1
	s_cselect_b32 s0, -1, 0
	s_cmp_neq_f32 s11, 0
	v_lshrrev_b32_e32 v4, 3, v1
	v_lshrrev_b32_e32 v17, 5, v1
	v_or_b32_e32 v2, s1, v0
	s_cselect_b32 s5, -1, 0
	v_add_nc_u32_e32 v22, 16, v15
	s_or_b32 s37, s0, s5
	s_ashr_i32 s5, s1, 31
	v_mul_lo_u32 v1, s15, v2
	s_wait_kmcnt 0x0
	v_cmp_gt_i32_e64 s0, s4, v2
	v_cmp_le_i32_e64 s34, s4, v2
	v_mad_co_u64_u32 v[2:3], null, s14, v2, 0
	v_add_nc_u32_e32 v14, s2, v4
	s_mul_i32 s2, s14, s5
	v_lshlrev_b32_e32 v0, 3, v0
	s_cmp_neq_f32 s6, 0
	v_cmp_gt_i64_e64 s36, s[8:9], 0
	v_cmp_gt_i32_e32 vcc_lo, s4, v14
	s_wait_alu 0xfffe
	v_add3_u32 v3, v3, s2, v1
	v_dual_mov_b32 v1, 0 :: v_dual_lshlrev_b32 v20, 3, v6
	v_add_nc_u32_e32 v8, s1, v6
	v_mad_co_u64_u32 v[6:7], null, s28, v22, 0
	v_lshlrev_b32_e32 v5, 3, v16
	v_lshl_or_b32 v18, v17, 8, v0
	s_cselect_b32 s14, -1, 0
	s_xor_b32 s15, s3, -1
	v_cmp_gt_i32_e64 s3, s4, v22
	v_lshl_or_b32 v0, v4, 6, v5
	v_mad_co_u64_u32 v[4:5], null, s28, v15, 0
	v_lshlrev_b64_e32 v[2:3], 3, v[2:3]
	s_mov_b32 s25, 0
	s_delay_alu instid0(VALU_DEP_3) | instskip(SKIP_1) | instid1(VALU_DEP_3)
	v_add_nc_u32_e32 v19, 0x800, v0
	s_and_b32 s36, s37, s36
	v_mov_b32_e32 v0, v5
	v_cmp_gt_i32_e64 s1, s4, v15
	v_cmp_le_i32_e64 s2, v8, v15
	v_cmp_le_i32_e64 s4, v8, v22
	s_delay_alu instid0(VALU_DEP_4) | instskip(SKIP_3) | instid1(VALU_DEP_2)
	v_mad_co_u64_u32 v[9:10], null, s29, v15, v[0:1]
	v_mov_b32_e32 v0, v7
	v_add_nc_u32_e32 v10, 16, v8
	s_and_b32 s28, s1, s2
	v_mad_co_u64_u32 v[12:13], null, s29, v22, v[0:1]
	s_delay_alu instid0(VALU_DEP_4)
	v_mov_b32_e32 v5, v9
	v_ashrrev_i32_e32 v9, 31, v8
	v_ashrrev_i32_e32 v11, 31, v10
	v_cmp_le_i32_e64 s2, v10, v15
	v_cmp_le_i32_e64 s5, v10, v22
	v_lshlrev_b64_e32 v[4:5], 3, v[4:5]
	v_mov_b32_e32 v7, v12
	v_lshlrev_b64_e32 v[8:9], 3, v[8:9]
	v_lshlrev_b64_e32 v[10:11], 3, v[10:11]
	v_lshlrev_b32_e32 v22, 3, v14
	s_and_b32 s1, s1, s2
	v_lshlrev_b64_e32 v[6:7], 3, v[6:7]
	s_and_b32 s29, s3, s4
	s_and_b32 s35, s3, s5
	s_lshl_b64 s[2:3], s[22:23], 3
	s_wait_alu 0xfffe
	s_or_b32 s22, s14, s15
	s_lshl_b64 s[4:5], s[16:17], 3
	s_xor_b32 s23, vcc_lo, -1
	s_lshl_b64 s[14:15], s[30:31], 3
                                        ; implicit-def: $vgpr12_vgpr13
	s_branch .LBB509_8
.LBB509_7:                              ;   in Loop: Header=BB509_8 Depth=1
	s_wait_alu 0xfffe
	s_or_b32 exec_lo, exec_lo, s16
	s_add_co_i32 s24, s24, 0x10000
	s_delay_alu instid0(SALU_CYCLE_1)
	s_cmp_lt_u32 s24, s33
	s_cbranch_scc0 .LBB509_42
.LBB509_8:                              ; =>This Loop Header: Depth=1
                                        ;     Child Loop BB509_11 Depth 2
	s_lshl_b64 s[16:17], s[24:25], 3
	s_and_not1_b32 vcc_lo, exec_lo, s36
	s_wait_alu 0xfffe
	s_add_nc_u64 s[30:31], s[26:27], s[16:17]
	global_load_b64 v[14:15], v1, s[30:31]
	s_cbranch_vccnz .LBB509_21
; %bb.9:                                ;   in Loop: Header=BB509_8 Depth=1
	s_add_nc_u64 s[30:31], s[12:13], s[16:17]
	s_add_nc_u64 s[16:17], s[18:19], s[16:17]
	s_clause 0x1
	global_load_b64 v[23:24], v1, s[30:31]
	global_load_b64 v[25:26], v1, s[16:17]
	v_dual_mov_b32 v27, 0 :: v_dual_mov_b32 v28, 0
	v_dual_mov_b32 v30, 0 :: v_dual_mov_b32 v29, 0
	;; [unrolled: 1-line block ×4, first 2 shown]
	s_mov_b64 s[16:17], 0
	s_wait_loadcnt 0x1
	v_add_co_u32 v0, vcc_lo, v23, s4
	s_wait_alu 0xfffd
	v_add_co_ci_u32_e64 v24, null, s5, v24, vcc_lo
	s_wait_loadcnt 0x0
	v_add_co_u32 v25, vcc_lo, v25, s2
	s_wait_alu 0xfffd
	v_add_co_ci_u32_e64 v26, null, s3, v26, vcc_lo
	v_add_co_u32 v23, vcc_lo, v0, v2
	s_wait_alu 0xfffd
	v_add_co_ci_u32_e64 v24, null, v24, v3, vcc_lo
	;; [unrolled: 3-line block ×3, first 2 shown]
	s_branch .LBB509_11
.LBB509_10:                             ;   in Loop: Header=BB509_11 Depth=2
	s_or_b32 exec_lo, exec_lo, s30
	ds_store_b32 v19, v35 offset:4
	s_wait_dscnt 0x0
	s_barrier_signal -1
	s_barrier_wait -1
	global_inv scope:SCOPE_SE
	ds_load_b128 v[35:38], v21
	ds_load_2addr_b64 v[39:42], v20 offset1:16
	ds_load_b128 v[43:46], v21 offset:1024
	ds_load_b128 v[47:50], v21 offset:16
	;; [unrolled: 1-line block ×4, first 2 shown]
	ds_load_2addr_b64 v[59:62], v20 offset0:32 offset1:48
	ds_load_b128 v[63:66], v21 offset:1040
	s_add_nc_u64 s[16:17], s[16:17], 8
	s_wait_alu 0xfffe
	v_cmp_gt_i64_e64 s30, s[8:9], s[16:17]
	s_and_b32 vcc_lo, exec_lo, s30
	s_wait_dscnt 0x6
	v_dual_mul_f32 v0, v36, v40 :: v_dual_mul_f32 v69, v35, v42
	v_dual_mul_f32 v67, v35, v40 :: v_dual_mul_f32 v68, v36, v42
	s_wait_dscnt 0x5
	v_mul_f32_e32 v71, v44, v42
	s_delay_alu instid0(VALU_DEP_3) | instskip(SKIP_3) | instid1(VALU_DEP_4)
	v_fma_f32 v0, v35, v39, -v0
	v_dual_mul_f32 v42, v43, v42 :: v_dual_fmac_f32 v69, v36, v41
	v_fmac_f32_e32 v67, v36, v39
	v_fma_f32 v35, v35, v41, -v68
	v_add_f32_e32 v0, v33, v0
	v_mul_f32_e32 v70, v44, v40
	s_delay_alu instid0(VALU_DEP_4) | instskip(NEXT) | instid1(VALU_DEP_4)
	v_dual_mul_f32 v40, v43, v40 :: v_dual_add_f32 v33, v34, v67
	v_add_f32_e32 v34, v31, v35
	v_fma_f32 v31, v43, v41, -v71
	s_delay_alu instid0(VALU_DEP_4) | instskip(NEXT) | instid1(VALU_DEP_4)
	v_fma_f32 v36, v43, v39, -v70
	v_fmac_f32_e32 v40, v44, v39
	s_wait_dscnt 0x1
	v_dual_add_f32 v32, v32, v69 :: v_dual_mul_f32 v39, v38, v60
	v_dual_fmac_f32 v42, v44, v41 :: v_dual_mul_f32 v43, v38, v62
	v_add_f32_e32 v35, v29, v36
	v_add_f32_e32 v36, v30, v40
	v_dual_add_f32 v40, v28, v31 :: v_dual_mul_f32 v41, v37, v60
	ds_load_2addr_b64 v[28:31], v20 offset0:64 offset1:80
	v_fma_f32 v39, v37, v59, -v39
	v_add_f32_e32 v27, v27, v42
	v_dual_mul_f32 v42, v37, v62 :: v_dual_fmac_f32 v41, v38, v59
	v_fma_f32 v37, v37, v61, -v43
	s_delay_alu instid0(VALU_DEP_4) | instskip(NEXT) | instid1(VALU_DEP_3)
	v_dual_add_f32 v0, v0, v39 :: v_dual_mul_f32 v39, v46, v60
	v_fmac_f32_e32 v42, v38, v61
	s_delay_alu instid0(VALU_DEP_4)
	v_add_f32_e32 v41, v33, v41
	v_mul_f32_e32 v33, v45, v60
	v_add_f32_e32 v37, v34, v37
	v_fma_f32 v34, v45, v59, -v39
	v_mul_f32_e32 v38, v46, v62
	v_add_f32_e32 v39, v32, v42
	v_dual_mul_f32 v42, v45, v62 :: v_dual_fmac_f32 v33, v46, v59
	s_delay_alu instid0(VALU_DEP_4) | instskip(NEXT) | instid1(VALU_DEP_4)
	v_add_f32_e32 v43, v35, v34
	v_fma_f32 v32, v45, v61, -v38
	s_wait_dscnt 0x0
	v_mul_f32_e32 v34, v48, v29
	v_dual_fmac_f32 v42, v46, v61 :: v_dual_mul_f32 v45, v48, v31
	s_delay_alu instid0(VALU_DEP_3) | instskip(SKIP_1) | instid1(VALU_DEP_4)
	v_add_f32_e32 v40, v40, v32
	v_add_f32_e32 v36, v36, v33
	v_fma_f32 v44, v47, v28, -v34
	s_delay_alu instid0(VALU_DEP_4)
	v_add_f32_e32 v42, v27, v42
	v_mul_f32_e32 v27, v47, v31
	v_mul_f32_e32 v38, v47, v29
	ds_load_2addr_b64 v[32:35], v20 offset0:96 offset1:112
	v_add_f32_e32 v0, v0, v44
	v_fma_f32 v44, v47, v30, -v45
	v_fmac_f32_e32 v27, v48, v30
	v_fmac_f32_e32 v38, v48, v28
	s_delay_alu instid0(VALU_DEP_3) | instskip(NEXT) | instid1(VALU_DEP_2)
	v_dual_add_f32 v37, v37, v44 :: v_dual_mul_f32 v44, v64, v31
	v_dual_add_f32 v38, v41, v38 :: v_dual_mul_f32 v41, v64, v29
	v_mul_f32_e32 v29, v63, v29
	v_mul_f32_e32 v31, v63, v31
	v_add_f32_e32 v45, v39, v27
	v_fma_f32 v27, v63, v30, -v44
	v_fma_f32 v41, v63, v28, -v41
	v_fmac_f32_e32 v29, v64, v28
	v_fmac_f32_e32 v31, v64, v30
	s_delay_alu instid0(VALU_DEP_3) | instskip(SKIP_1) | instid1(VALU_DEP_3)
	v_dual_add_f32 v40, v40, v27 :: v_dual_add_f32 v41, v43, v41
	s_wait_dscnt 0x0
	v_dual_add_f32 v43, v36, v29 :: v_dual_mul_f32 v44, v50, v35
	ds_load_2addr_b64 v[27:30], v20 offset0:128 offset1:144
	v_mul_f32_e32 v36, v50, v33
	v_mul_f32_e32 v48, v66, v35
	v_fma_f32 v44, v49, v34, -v44
	s_delay_alu instid0(VALU_DEP_3) | instskip(NEXT) | instid1(VALU_DEP_1)
	v_fma_f32 v36, v49, v32, -v36
	v_add_f32_e32 v0, v0, v36
	v_mul_f32_e32 v36, v66, v33
	v_dual_mul_f32 v39, v49, v33 :: v_dual_add_f32 v42, v42, v31
	v_mul_f32_e32 v31, v49, v35
	v_mul_f32_e32 v33, v65, v33
	s_delay_alu instid0(VALU_DEP_4) | instskip(NEXT) | instid1(VALU_DEP_2)
	v_fma_f32 v47, v65, v32, -v36
	v_fmac_f32_e32 v33, v66, v32
	v_fmac_f32_e32 v39, v50, v32
	s_wait_dscnt 0x0
	v_dual_mul_f32 v32, v52, v28 :: v_dual_fmac_f32 v31, v50, v34
	s_delay_alu instid0(VALU_DEP_1) | instskip(SKIP_1) | instid1(VALU_DEP_2)
	v_dual_mul_f32 v50, v51, v28 :: v_dual_add_f32 v45, v45, v31
	v_fma_f32 v31, v65, v34, -v48
	v_fmac_f32_e32 v50, v52, v27
	v_add_f32_e32 v48, v43, v33
	v_add_f32_e32 v46, v38, v39
	;; [unrolled: 1-line block ×4, first 2 shown]
	v_fma_f32 v40, v51, v27, -v32
	v_mul_f32_e32 v35, v65, v35
	v_mul_f32_e32 v41, v52, v30
	v_add_f32_e32 v46, v46, v50
	s_delay_alu instid0(VALU_DEP_4) | instskip(NEXT) | instid1(VALU_DEP_4)
	v_add_f32_e32 v0, v0, v40
	v_dual_add_f32 v44, v37, v44 :: v_dual_fmac_f32 v35, v66, v34
	ds_load_b128 v[36:39], v21 offset:1056
	ds_load_2addr_b64 v[31:34], v20 offset0:160 offset1:176
	v_fma_f32 v59, v51, v29, -v41
	v_mul_f32_e32 v51, v51, v30
	v_add_f32_e32 v35, v42, v35
	ds_load_b128 v[40:43], v21 offset:1072
	v_add_f32_e32 v44, v44, v59
	s_wait_dscnt 0x2
	v_dual_fmac_f32 v51, v52, v29 :: v_dual_mul_f32 v52, v37, v30
	v_mul_f32_e32 v60, v37, v28
	v_mul_f32_e32 v28, v36, v28
	s_delay_alu instid0(VALU_DEP_2) | instskip(NEXT) | instid1(VALU_DEP_2)
	v_fma_f32 v50, v36, v27, -v60
	v_fmac_f32_e32 v28, v37, v27
	v_add_f32_e32 v45, v45, v51
	v_mul_f32_e32 v51, v36, v30
	v_fma_f32 v27, v36, v29, -v52
	s_delay_alu instid0(VALU_DEP_4) | instskip(SKIP_1) | instid1(VALU_DEP_3)
	v_dual_add_f32 v47, v47, v50 :: v_dual_add_f32 v36, v48, v28
	s_wait_dscnt 0x1
	v_dual_mul_f32 v48, v54, v32 :: v_dual_fmac_f32 v51, v37, v29
	v_dual_mul_f32 v50, v54, v34 :: v_dual_mul_f32 v37, v53, v32
	s_delay_alu instid0(VALU_DEP_2) | instskip(SKIP_4) | instid1(VALU_DEP_1)
	v_fma_f32 v48, v53, v31, -v48
	v_add_f32_e32 v49, v49, v27
	ds_load_2addr_b64 v[27:30], v20 offset0:192 offset1:208
	v_add_f32_e32 v0, v0, v48
	v_fma_f32 v48, v53, v33, -v50
	v_add_f32_e32 v44, v44, v48
	v_dual_mul_f32 v48, v39, v34 :: v_dual_fmac_f32 v37, v54, v31
	v_add_f32_e32 v51, v35, v51
	s_delay_alu instid0(VALU_DEP_2) | instskip(SKIP_2) | instid1(VALU_DEP_3)
	v_dual_mul_f32 v35, v53, v34 :: v_dual_add_f32 v46, v46, v37
	v_mul_f32_e32 v37, v39, v32
	v_mul_f32_e32 v32, v38, v32
	v_fmac_f32_e32 v35, v54, v33
	s_delay_alu instid0(VALU_DEP_3) | instskip(NEXT) | instid1(VALU_DEP_3)
	v_fma_f32 v37, v38, v31, -v37
	v_dual_fmac_f32 v32, v39, v31 :: v_dual_mul_f32 v31, v38, v34
	v_fma_f32 v34, v38, v33, -v48
	s_wait_dscnt 0x0
	v_dual_add_f32 v45, v45, v35 :: v_dual_mul_f32 v48, v56, v30
	s_delay_alu instid0(VALU_DEP_3) | instskip(NEXT) | instid1(VALU_DEP_3)
	v_dual_add_f32 v32, v36, v32 :: v_dual_fmac_f32 v31, v39, v33
	v_dual_add_f32 v33, v49, v34 :: v_dual_mul_f32 v34, v55, v28
	v_add_f32_e32 v47, v47, v37
	s_delay_alu instid0(VALU_DEP_4) | instskip(NEXT) | instid1(VALU_DEP_3)
	v_fma_f32 v48, v55, v29, -v48
	v_dual_mul_f32 v49, v41, v28 :: v_dual_fmac_f32 v34, v56, v27
	v_mul_f32_e32 v35, v56, v28
	v_mul_f32_e32 v28, v40, v28
	s_delay_alu instid0(VALU_DEP_4)
	v_add_f32_e32 v44, v44, v48
	v_mul_f32_e32 v48, v41, v30
	v_add_f32_e32 v34, v46, v34
	v_fma_f32 v39, v55, v27, -v35
	ds_load_2addr_b64 v[35:38], v20 offset0:224 offset1:240
	v_fmac_f32_e32 v28, v41, v27
	s_wait_loadcnt_dscnt 0x0
	s_barrier_signal -1
	v_dual_add_f32 v0, v0, v39 :: v_dual_mul_f32 v39, v55, v30
	v_dual_add_f32 v31, v51, v31 :: v_dual_mul_f32 v30, v40, v30
	v_fma_f32 v46, v40, v27, -v49
	v_fma_f32 v40, v40, v29, -v48
	s_delay_alu instid0(VALU_DEP_4)
	v_fmac_f32_e32 v39, v56, v29
	v_add_f32_e32 v28, v32, v28
	v_fmac_f32_e32 v30, v41, v29
	s_barrier_wait -1
	v_add_f32_e32 v40, v33, v40
	v_add_f32_e32 v27, v45, v39
	;; [unrolled: 1-line block ×3, first 2 shown]
	global_inv scope:SCOPE_SE
	v_mul_f32_e32 v32, v58, v36
	v_mul_f32_e32 v33, v58, v38
	v_add_f32_e32 v41, v31, v30
	s_delay_alu instid0(VALU_DEP_3) | instskip(SKIP_1) | instid1(VALU_DEP_4)
	v_fma_f32 v32, v57, v35, -v32
	v_mul_f32_e32 v30, v57, v38
	v_fma_f32 v31, v57, v37, -v33
	s_delay_alu instid0(VALU_DEP_3) | instskip(NEXT) | instid1(VALU_DEP_3)
	v_add_f32_e32 v33, v0, v32
	v_dual_mul_f32 v29, v57, v36 :: v_dual_fmac_f32 v30, v58, v37
	s_delay_alu instid0(VALU_DEP_3) | instskip(NEXT) | instid1(VALU_DEP_2)
	v_dual_mul_f32 v0, v43, v36 :: v_dual_add_f32 v31, v44, v31
	v_dual_mul_f32 v44, v43, v38 :: v_dual_fmac_f32 v29, v58, v35
	s_delay_alu instid0(VALU_DEP_3) | instskip(NEXT) | instid1(VALU_DEP_3)
	v_add_f32_e32 v32, v27, v30
	v_fma_f32 v0, v42, v35, -v0
	v_mul_f32_e32 v38, v42, v38
	s_delay_alu instid0(VALU_DEP_2) | instskip(NEXT) | instid1(VALU_DEP_2)
	v_dual_add_f32 v34, v34, v29 :: v_dual_add_f32 v29, v39, v0
	v_fmac_f32_e32 v38, v43, v37
	v_mul_f32_e32 v36, v42, v36
	v_fma_f32 v0, v42, v37, -v44
	s_delay_alu instid0(VALU_DEP_2) | instskip(NEXT) | instid1(VALU_DEP_1)
	v_dual_add_f32 v27, v41, v38 :: v_dual_fmac_f32 v36, v43, v35
	v_add_f32_e32 v30, v28, v36
	s_delay_alu instid0(VALU_DEP_3)
	v_add_f32_e32 v28, v40, v0
	s_wait_alu 0xfffe
	s_cbranch_vccz .LBB509_22
.LBB509_11:                             ;   Parent Loop BB509_8 Depth=1
                                        ; =>  This Inner Loop Header: Depth=2
	s_mov_b32 s30, 0
	s_mov_b32 s37, s34
	s_and_saveexec_b32 s31, s0
	s_cbranch_execnz .LBB509_19
; %bb.12:                               ;   in Loop: Header=BB509_11 Depth=2
	s_or_b32 exec_lo, exec_lo, s31
	s_and_saveexec_b32 s31, s37
	s_delay_alu instid0(SALU_CYCLE_1)
	s_xor_b32 s31, exec_lo, s31
	s_cbranch_execnz .LBB509_20
.LBB509_13:                             ;   in Loop: Header=BB509_11 Depth=2
	s_or_b32 exec_lo, exec_lo, s31
	s_and_saveexec_b32 s31, s30
	s_cbranch_execz .LBB509_15
.LBB509_14:                             ;   in Loop: Header=BB509_11 Depth=2
	v_lshlrev_b64_e32 v[35:36], 3, v[12:13]
	s_delay_alu instid0(VALU_DEP_1) | instskip(SKIP_1) | instid1(VALU_DEP_2)
	v_add_co_u32 v35, vcc_lo, v23, v35
	s_wait_alu 0xfffd
	v_add_co_ci_u32_e64 v36, null, v24, v36, vcc_lo
	flat_load_b64 v[35:36], v[35:36]
	s_wait_loadcnt_dscnt 0x0
	ds_store_b64 v18, v[35:36]
.LBB509_15:                             ;   in Loop: Header=BB509_11 Depth=2
	s_or_b32 exec_lo, exec_lo, s31
	s_wait_alu 0xfffe
	v_add_nc_u32_e32 v0, s16, v16
	s_delay_alu instid0(VALU_DEP_1) | instskip(SKIP_1) | instid1(SALU_CYCLE_1)
	v_cmp_le_u64_e32 vcc_lo, s[8:9], v[0:1]
	s_or_b32 s30, vcc_lo, s23
	s_and_saveexec_b32 s31, s30
	s_delay_alu instid0(SALU_CYCLE_1)
	s_xor_b32 s30, exec_lo, s31
; %bb.16:                               ;   in Loop: Header=BB509_11 Depth=2
	ds_store_b32 v19, v1
; %bb.17:                               ;   in Loop: Header=BB509_11 Depth=2
	s_or_saveexec_b32 s30, s30
	v_mov_b32_e32 v35, 0
	s_xor_b32 exec_lo, exec_lo, s30
	s_cbranch_execz .LBB509_10
; %bb.18:                               ;   in Loop: Header=BB509_11 Depth=2
	v_mad_co_u64_u32 v[35:36], null, s20, v0, 0
	s_delay_alu instid0(VALU_DEP_1) | instskip(NEXT) | instid1(VALU_DEP_1)
	v_mad_co_u64_u32 v[36:37], null, s21, v0, v[36:37]
	v_lshlrev_b64_e32 v[35:36], 3, v[35:36]
	s_delay_alu instid0(VALU_DEP_1) | instskip(SKIP_1) | instid1(VALU_DEP_2)
	v_add_co_u32 v35, vcc_lo, v25, v35
	s_wait_alu 0xfffd
	v_add_co_ci_u32_e64 v36, null, v26, v36, vcc_lo
	flat_load_b64 v[36:37], v[35:36]
	s_wait_loadcnt_dscnt 0x0
	v_xor_b32_e32 v35, 0x80000000, v37
	ds_store_b32 v19, v36
	s_branch .LBB509_10
.LBB509_19:                             ;   in Loop: Header=BB509_11 Depth=2
	s_wait_alu 0xfffe
	v_add_nc_u32_e32 v0, s16, v17
	v_mov_b32_e32 v13, v1
	s_and_not1_b32 s37, s34, exec_lo
	s_mov_b32 s30, exec_lo
	s_delay_alu instid0(VALU_DEP_2) | instskip(SKIP_2) | instid1(SALU_CYCLE_1)
	v_cmp_le_u64_e32 vcc_lo, s[8:9], v[0:1]
	v_mov_b32_e32 v12, v0
	s_and_b32 s38, vcc_lo, exec_lo
	s_or_b32 s37, s37, s38
	s_or_b32 exec_lo, exec_lo, s31
	s_and_saveexec_b32 s31, s37
	s_delay_alu instid0(SALU_CYCLE_1)
	s_xor_b32 s31, exec_lo, s31
	s_cbranch_execz .LBB509_13
.LBB509_20:                             ;   in Loop: Header=BB509_11 Depth=2
	v_mov_b32_e32 v0, v1
	s_and_not1_b32 s30, s30, exec_lo
	ds_store_b64 v18, v[0:1]
	s_or_b32 exec_lo, exec_lo, s31
	s_and_saveexec_b32 s31, s30
	s_cbranch_execnz .LBB509_14
	s_branch .LBB509_15
.LBB509_21:                             ;   in Loop: Header=BB509_8 Depth=1
	v_dual_mov_b32 v33, v1 :: v_dual_mov_b32 v34, v1
	v_dual_mov_b32 v31, v1 :: v_dual_mov_b32 v32, v1
	;; [unrolled: 1-line block ×4, first 2 shown]
.LBB509_22:                             ;   in Loop: Header=BB509_8 Depth=1
	s_wait_loadcnt 0x0
	s_wait_alu 0xfffe
	v_add_co_u32 v0, vcc_lo, v14, s14
	s_wait_alu 0xfffd
	v_add_co_ci_u32_e64 v23, null, s15, v15, vcc_lo
	s_delay_alu instid0(VALU_DEP_2) | instskip(SKIP_1) | instid1(VALU_DEP_2)
	v_add_co_u32 v24, vcc_lo, v0, v4
	s_wait_alu 0xfffd
	v_add_co_ci_u32_e64 v25, null, v23, v5, vcc_lo
	s_and_saveexec_b32 s16, s28
	s_cbranch_execz .LBB509_27
; %bb.23:                               ;   in Loop: Header=BB509_8 Depth=1
	v_mul_f32_e32 v15, s10, v34
	v_mul_f32_e32 v14, s11, v34
	s_and_b32 vcc_lo, exec_lo, s22
	s_mov_b32 s17, -1
	s_delay_alu instid0(VALU_DEP_2) | instskip(NEXT) | instid1(VALU_DEP_2)
	v_fmac_f32_e32 v15, s11, v33
	v_fma_f32 v14, v33, s10, -v14
	s_wait_alu 0xfffe
	s_cbranch_vccz .LBB509_25
; %bb.24:                               ;   in Loop: Header=BB509_8 Depth=1
	v_add_co_u32 v33, vcc_lo, v24, v8
	s_wait_alu 0xfffd
	v_add_co_ci_u32_e64 v34, null, v25, v9, vcc_lo
	s_mov_b32 s17, 0
	flat_load_b64 v[35:36], v[33:34]
	s_wait_loadcnt_dscnt 0x0
	v_mul_f32_e32 v26, s7, v36
	s_delay_alu instid0(VALU_DEP_1) | instskip(SKIP_1) | instid1(VALU_DEP_1)
	v_fma_f32 v26, v35, s6, -v26
	v_mul_f32_e32 v36, s6, v36
	v_dual_fmac_f32 v36, s7, v35 :: v_dual_add_f32 v35, v14, v26
	s_delay_alu instid0(VALU_DEP_1)
	v_add_f32_e32 v36, v15, v36
	flat_store_b64 v[33:34], v[35:36]
.LBB509_25:                             ;   in Loop: Header=BB509_8 Depth=1
	s_wait_alu 0xfffe
	s_and_not1_b32 vcc_lo, exec_lo, s17
	s_wait_alu 0xfffe
	s_cbranch_vccnz .LBB509_27
; %bb.26:                               ;   in Loop: Header=BB509_8 Depth=1
	v_add_co_u32 v33, vcc_lo, v24, v8
	s_wait_alu 0xfffd
	v_add_co_ci_u32_e64 v34, null, v25, v9, vcc_lo
	flat_store_b64 v[33:34], v[14:15]
.LBB509_27:                             ;   in Loop: Header=BB509_8 Depth=1
	s_wait_alu 0xfffe
	s_or_b32 exec_lo, exec_lo, s16
	s_and_saveexec_b32 s16, s1
	s_cbranch_execz .LBB509_32
; %bb.28:                               ;   in Loop: Header=BB509_8 Depth=1
	v_mul_f32_e32 v15, s10, v32
	v_mul_f32_e32 v14, s11, v32
	s_and_not1_b32 vcc_lo, exec_lo, s22
	s_mov_b32 s17, -1
	s_delay_alu instid0(VALU_DEP_2) | instskip(NEXT) | instid1(VALU_DEP_2)
	v_fmac_f32_e32 v15, s11, v31
	v_fma_f32 v14, v31, s10, -v14
	s_wait_alu 0xfffe
	s_cbranch_vccnz .LBB509_30
; %bb.29:                               ;   in Loop: Header=BB509_8 Depth=1
	v_add_co_u32 v31, vcc_lo, v24, v10
	s_wait_alu 0xfffd
	v_add_co_ci_u32_e64 v32, null, v25, v11, vcc_lo
	s_mov_b32 s17, 0
	flat_load_b64 v[33:34], v[31:32]
	s_wait_loadcnt_dscnt 0x0
	v_mul_f32_e32 v26, s7, v34
	v_mul_f32_e32 v34, s6, v34
	s_delay_alu instid0(VALU_DEP_2) | instskip(NEXT) | instid1(VALU_DEP_1)
	v_fma_f32 v26, v33, s6, -v26
	v_dual_fmac_f32 v34, s7, v33 :: v_dual_add_f32 v33, v14, v26
	s_delay_alu instid0(VALU_DEP_1)
	v_add_f32_e32 v34, v15, v34
	flat_store_b64 v[31:32], v[33:34]
.LBB509_30:                             ;   in Loop: Header=BB509_8 Depth=1
	s_wait_alu 0xfffe
	s_and_not1_b32 vcc_lo, exec_lo, s17
	s_wait_alu 0xfffe
	s_cbranch_vccnz .LBB509_32
; %bb.31:                               ;   in Loop: Header=BB509_8 Depth=1
	v_add_co_u32 v24, vcc_lo, v24, v10
	s_wait_alu 0xfffd
	v_add_co_ci_u32_e64 v25, null, v25, v11, vcc_lo
	flat_store_b64 v[24:25], v[14:15]
.LBB509_32:                             ;   in Loop: Header=BB509_8 Depth=1
	s_wait_alu 0xfffe
	s_or_b32 exec_lo, exec_lo, s16
	v_add_co_u32 v0, vcc_lo, v0, v6
	s_wait_alu 0xfffd
	v_add_co_ci_u32_e64 v23, null, v23, v7, vcc_lo
	s_and_saveexec_b32 s16, s29
	s_cbranch_execz .LBB509_37
; %bb.33:                               ;   in Loop: Header=BB509_8 Depth=1
	v_mul_f32_e32 v15, s10, v30
	v_mul_f32_e32 v14, s11, v30
	s_and_not1_b32 vcc_lo, exec_lo, s22
	s_mov_b32 s17, -1
	s_delay_alu instid0(VALU_DEP_2) | instskip(NEXT) | instid1(VALU_DEP_2)
	v_fmac_f32_e32 v15, s11, v29
	v_fma_f32 v14, v29, s10, -v14
	s_wait_alu 0xfffe
	s_cbranch_vccnz .LBB509_35
; %bb.34:                               ;   in Loop: Header=BB509_8 Depth=1
	v_add_co_u32 v24, vcc_lo, v0, v8
	s_wait_alu 0xfffd
	v_add_co_ci_u32_e64 v25, null, v23, v9, vcc_lo
	s_mov_b32 s17, 0
	flat_load_b64 v[29:30], v[24:25]
	s_wait_loadcnt_dscnt 0x0
	v_mul_f32_e32 v26, s7, v30
	v_mul_f32_e32 v30, s6, v30
	s_delay_alu instid0(VALU_DEP_2) | instskip(NEXT) | instid1(VALU_DEP_1)
	v_fma_f32 v26, v29, s6, -v26
	v_dual_fmac_f32 v30, s7, v29 :: v_dual_add_f32 v29, v14, v26
	s_delay_alu instid0(VALU_DEP_1)
	v_add_f32_e32 v30, v15, v30
	flat_store_b64 v[24:25], v[29:30]
.LBB509_35:                             ;   in Loop: Header=BB509_8 Depth=1
	s_wait_alu 0xfffe
	s_and_not1_b32 vcc_lo, exec_lo, s17
	s_wait_alu 0xfffe
	s_cbranch_vccnz .LBB509_37
; %bb.36:                               ;   in Loop: Header=BB509_8 Depth=1
	v_add_co_u32 v24, vcc_lo, v0, v8
	s_wait_alu 0xfffd
	v_add_co_ci_u32_e64 v25, null, v23, v9, vcc_lo
	flat_store_b64 v[24:25], v[14:15]
.LBB509_37:                             ;   in Loop: Header=BB509_8 Depth=1
	s_wait_alu 0xfffe
	s_or_b32 exec_lo, exec_lo, s16
	s_and_saveexec_b32 s16, s35
	s_cbranch_execz .LBB509_7
; %bb.38:                               ;   in Loop: Header=BB509_8 Depth=1
	v_mul_f32_e32 v15, s10, v27
	v_mul_f32_e32 v14, s11, v27
	s_and_not1_b32 vcc_lo, exec_lo, s22
	s_mov_b32 s17, -1
	s_delay_alu instid0(VALU_DEP_2) | instskip(NEXT) | instid1(VALU_DEP_2)
	v_fmac_f32_e32 v15, s11, v28
	v_fma_f32 v14, v28, s10, -v14
	s_wait_alu 0xfffe
	s_cbranch_vccnz .LBB509_40
; %bb.39:                               ;   in Loop: Header=BB509_8 Depth=1
	v_add_co_u32 v24, vcc_lo, v0, v10
	s_wait_alu 0xfffd
	v_add_co_ci_u32_e64 v25, null, v23, v11, vcc_lo
	s_mov_b32 s17, 0
	flat_load_b64 v[26:27], v[24:25]
	s_wait_loadcnt_dscnt 0x0
	v_mul_f32_e32 v28, s7, v27
	v_mul_f32_e32 v27, s6, v27
	s_delay_alu instid0(VALU_DEP_1) | instskip(NEXT) | instid1(VALU_DEP_3)
	v_fmac_f32_e32 v27, s7, v26
	v_fma_f32 v28, v26, s6, -v28
	s_delay_alu instid0(VALU_DEP_1)
	v_dual_add_f32 v27, v15, v27 :: v_dual_add_f32 v26, v14, v28
	flat_store_b64 v[24:25], v[26:27]
.LBB509_40:                             ;   in Loop: Header=BB509_8 Depth=1
	s_wait_alu 0xfffe
	s_and_not1_b32 vcc_lo, exec_lo, s17
	s_wait_alu 0xfffe
	s_cbranch_vccnz .LBB509_7
; %bb.41:                               ;   in Loop: Header=BB509_8 Depth=1
	v_add_co_u32 v24, vcc_lo, v0, v10
	s_wait_alu 0xfffd
	v_add_co_ci_u32_e64 v25, null, v23, v11, vcc_lo
	flat_store_b64 v[24:25], v[14:15]
	s_branch .LBB509_7
.LBB509_42:
	s_endpgm
	.section	.rodata,"a",@progbits
	.p2align	6, 0x0
	.amdhsa_kernel _ZL29rocblas_internal_gemmt_kernelIlLi16ELi32ELi8ELc84ELc67ELc85ELb0ELb1E19rocblas_complex_numIfEPKS1_PKS3_PKPS1_EviT_T9_T10_S9_lSB_S9_lSA_T11_S9_li
		.amdhsa_group_segment_fixed_size 4096
		.amdhsa_private_segment_fixed_size 0
		.amdhsa_kernarg_size 108
		.amdhsa_user_sgpr_count 2
		.amdhsa_user_sgpr_dispatch_ptr 0
		.amdhsa_user_sgpr_queue_ptr 0
		.amdhsa_user_sgpr_kernarg_segment_ptr 1
		.amdhsa_user_sgpr_dispatch_id 0
		.amdhsa_user_sgpr_private_segment_size 0
		.amdhsa_wavefront_size32 1
		.amdhsa_uses_dynamic_stack 0
		.amdhsa_enable_private_segment 0
		.amdhsa_system_sgpr_workgroup_id_x 1
		.amdhsa_system_sgpr_workgroup_id_y 1
		.amdhsa_system_sgpr_workgroup_id_z 1
		.amdhsa_system_sgpr_workgroup_info 0
		.amdhsa_system_vgpr_workitem_id 1
		.amdhsa_next_free_vgpr 72
		.amdhsa_next_free_sgpr 39
		.amdhsa_reserve_vcc 1
		.amdhsa_float_round_mode_32 0
		.amdhsa_float_round_mode_16_64 0
		.amdhsa_float_denorm_mode_32 3
		.amdhsa_float_denorm_mode_16_64 3
		.amdhsa_fp16_overflow 0
		.amdhsa_workgroup_processor_mode 1
		.amdhsa_memory_ordered 1
		.amdhsa_forward_progress 1
		.amdhsa_inst_pref_size 26
		.amdhsa_round_robin_scheduling 0
		.amdhsa_exception_fp_ieee_invalid_op 0
		.amdhsa_exception_fp_denorm_src 0
		.amdhsa_exception_fp_ieee_div_zero 0
		.amdhsa_exception_fp_ieee_overflow 0
		.amdhsa_exception_fp_ieee_underflow 0
		.amdhsa_exception_fp_ieee_inexact 0
		.amdhsa_exception_int_div_zero 0
	.end_amdhsa_kernel
	.section	.text._ZL29rocblas_internal_gemmt_kernelIlLi16ELi32ELi8ELc84ELc67ELc85ELb0ELb1E19rocblas_complex_numIfEPKS1_PKS3_PKPS1_EviT_T9_T10_S9_lSB_S9_lSA_T11_S9_li,"axG",@progbits,_ZL29rocblas_internal_gemmt_kernelIlLi16ELi32ELi8ELc84ELc67ELc85ELb0ELb1E19rocblas_complex_numIfEPKS1_PKS3_PKPS1_EviT_T9_T10_S9_lSB_S9_lSA_T11_S9_li,comdat
.Lfunc_end509:
	.size	_ZL29rocblas_internal_gemmt_kernelIlLi16ELi32ELi8ELc84ELc67ELc85ELb0ELb1E19rocblas_complex_numIfEPKS1_PKS3_PKPS1_EviT_T9_T10_S9_lSB_S9_lSA_T11_S9_li, .Lfunc_end509-_ZL29rocblas_internal_gemmt_kernelIlLi16ELi32ELi8ELc84ELc67ELc85ELb0ELb1E19rocblas_complex_numIfEPKS1_PKS3_PKPS1_EviT_T9_T10_S9_lSB_S9_lSA_T11_S9_li
                                        ; -- End function
	.set _ZL29rocblas_internal_gemmt_kernelIlLi16ELi32ELi8ELc84ELc67ELc85ELb0ELb1E19rocblas_complex_numIfEPKS1_PKS3_PKPS1_EviT_T9_T10_S9_lSB_S9_lSA_T11_S9_li.num_vgpr, 72
	.set _ZL29rocblas_internal_gemmt_kernelIlLi16ELi32ELi8ELc84ELc67ELc85ELb0ELb1E19rocblas_complex_numIfEPKS1_PKS3_PKPS1_EviT_T9_T10_S9_lSB_S9_lSA_T11_S9_li.num_agpr, 0
	.set _ZL29rocblas_internal_gemmt_kernelIlLi16ELi32ELi8ELc84ELc67ELc85ELb0ELb1E19rocblas_complex_numIfEPKS1_PKS3_PKPS1_EviT_T9_T10_S9_lSB_S9_lSA_T11_S9_li.numbered_sgpr, 39
	.set _ZL29rocblas_internal_gemmt_kernelIlLi16ELi32ELi8ELc84ELc67ELc85ELb0ELb1E19rocblas_complex_numIfEPKS1_PKS3_PKPS1_EviT_T9_T10_S9_lSB_S9_lSA_T11_S9_li.num_named_barrier, 0
	.set _ZL29rocblas_internal_gemmt_kernelIlLi16ELi32ELi8ELc84ELc67ELc85ELb0ELb1E19rocblas_complex_numIfEPKS1_PKS3_PKPS1_EviT_T9_T10_S9_lSB_S9_lSA_T11_S9_li.private_seg_size, 0
	.set _ZL29rocblas_internal_gemmt_kernelIlLi16ELi32ELi8ELc84ELc67ELc85ELb0ELb1E19rocblas_complex_numIfEPKS1_PKS3_PKPS1_EviT_T9_T10_S9_lSB_S9_lSA_T11_S9_li.uses_vcc, 1
	.set _ZL29rocblas_internal_gemmt_kernelIlLi16ELi32ELi8ELc84ELc67ELc85ELb0ELb1E19rocblas_complex_numIfEPKS1_PKS3_PKPS1_EviT_T9_T10_S9_lSB_S9_lSA_T11_S9_li.uses_flat_scratch, 0
	.set _ZL29rocblas_internal_gemmt_kernelIlLi16ELi32ELi8ELc84ELc67ELc85ELb0ELb1E19rocblas_complex_numIfEPKS1_PKS3_PKPS1_EviT_T9_T10_S9_lSB_S9_lSA_T11_S9_li.has_dyn_sized_stack, 0
	.set _ZL29rocblas_internal_gemmt_kernelIlLi16ELi32ELi8ELc84ELc67ELc85ELb0ELb1E19rocblas_complex_numIfEPKS1_PKS3_PKPS1_EviT_T9_T10_S9_lSB_S9_lSA_T11_S9_li.has_recursion, 0
	.set _ZL29rocblas_internal_gemmt_kernelIlLi16ELi32ELi8ELc84ELc67ELc85ELb0ELb1E19rocblas_complex_numIfEPKS1_PKS3_PKPS1_EviT_T9_T10_S9_lSB_S9_lSA_T11_S9_li.has_indirect_call, 0
	.section	.AMDGPU.csdata,"",@progbits
; Kernel info:
; codeLenInByte = 3300
; TotalNumSgprs: 41
; NumVgprs: 72
; ScratchSize: 0
; MemoryBound: 0
; FloatMode: 240
; IeeeMode: 1
; LDSByteSize: 4096 bytes/workgroup (compile time only)
; SGPRBlocks: 0
; VGPRBlocks: 8
; NumSGPRsForWavesPerEU: 41
; NumVGPRsForWavesPerEU: 72
; Occupancy: 16
; WaveLimiterHint : 1
; COMPUTE_PGM_RSRC2:SCRATCH_EN: 0
; COMPUTE_PGM_RSRC2:USER_SGPR: 2
; COMPUTE_PGM_RSRC2:TRAP_HANDLER: 0
; COMPUTE_PGM_RSRC2:TGID_X_EN: 1
; COMPUTE_PGM_RSRC2:TGID_Y_EN: 1
; COMPUTE_PGM_RSRC2:TGID_Z_EN: 1
; COMPUTE_PGM_RSRC2:TIDIG_COMP_CNT: 1
	.section	.text._ZL29rocblas_internal_gemmt_kernelIlLi16ELi32ELi8ELc67ELc78ELc85ELb1ELb0E19rocblas_complex_numIfEPKS1_PKS3_PKPS1_EviT_T9_T10_S9_lSB_S9_lSA_T11_S9_li,"axG",@progbits,_ZL29rocblas_internal_gemmt_kernelIlLi16ELi32ELi8ELc67ELc78ELc85ELb1ELb0E19rocblas_complex_numIfEPKS1_PKS3_PKPS1_EviT_T9_T10_S9_lSB_S9_lSA_T11_S9_li,comdat
	.globl	_ZL29rocblas_internal_gemmt_kernelIlLi16ELi32ELi8ELc67ELc78ELc85ELb1ELb0E19rocblas_complex_numIfEPKS1_PKS3_PKPS1_EviT_T9_T10_S9_lSB_S9_lSA_T11_S9_li ; -- Begin function _ZL29rocblas_internal_gemmt_kernelIlLi16ELi32ELi8ELc67ELc78ELc85ELb1ELb0E19rocblas_complex_numIfEPKS1_PKS3_PKPS1_EviT_T9_T10_S9_lSB_S9_lSA_T11_S9_li
	.p2align	8
	.type	_ZL29rocblas_internal_gemmt_kernelIlLi16ELi32ELi8ELc67ELc78ELc85ELb1ELb0E19rocblas_complex_numIfEPKS1_PKS3_PKPS1_EviT_T9_T10_S9_lSB_S9_lSA_T11_S9_li,@function
_ZL29rocblas_internal_gemmt_kernelIlLi16ELi32ELi8ELc67ELc78ELc85ELb1ELb0E19rocblas_complex_numIfEPKS1_PKS3_PKPS1_EviT_T9_T10_S9_lSB_S9_lSA_T11_S9_li: ; @_ZL29rocblas_internal_gemmt_kernelIlLi16ELi32ELi8ELc67ELc78ELc85ELb1ELb0E19rocblas_complex_numIfEPKS1_PKS3_PKPS1_EviT_T9_T10_S9_lSB_S9_lSA_T11_S9_li
; %bb.0:
	s_load_b256 s[24:31], s[0:1], 0x48
	s_wait_kmcnt 0x0
	s_load_b64 s[6:7], s[24:25], 0x0
	s_load_b512 s[8:23], s[0:1], 0x8
	s_wait_kmcnt 0x0
	s_cmp_eq_f32 s6, 1.0
	s_load_b64 s[10:11], s[10:11], 0x0
	s_cselect_b32 s2, -1, 0
	s_and_b32 s3, s7, 0x7fffffff
	s_delay_alu instid0(SALU_CYCLE_1) | instskip(SKIP_1) | instid1(SALU_CYCLE_1)
	s_cmp_eq_u32 s3, 0
	s_cselect_b32 s3, -1, 0
	s_and_b32 s4, s2, s3
	s_mov_b32 s2, 0
	s_and_not1_b32 vcc_lo, exec_lo, s4
	s_mov_b32 s4, -1
	s_cbranch_vccnz .LBB510_4
; %bb.1:
	s_cmp_lg_u64 s[8:9], 0
	s_cbranch_scc0 .LBB510_3
; %bb.2:
	s_wait_kmcnt 0x0
	s_cmp_neq_f32 s10, 0
	s_cselect_b32 s2, -1, 0
	s_cmp_neq_f32 s11, 0
	s_cselect_b32 s4, -1, 0
	s_delay_alu instid0(SALU_CYCLE_1)
	s_or_b32 s2, s2, s4
.LBB510_3:
	s_delay_alu instid0(SALU_CYCLE_1)
	s_mov_b32 s4, s2
.LBB510_4:
	s_delay_alu instid0(SALU_CYCLE_1)
	s_and_b32 vcc_lo, exec_lo, s4
	s_cbranch_vccz .LBB510_42
; %bb.5:
	s_load_b32 s33, s[0:1], 0x68
	s_lshr_b32 s24, ttmp7, 16
	s_wait_kmcnt 0x0
	s_cmp_ge_u32 s24, s33
	s_cbranch_scc1 .LBB510_42
; %bb.6:
	v_and_b32_e32 v8, 0x3ff, v0
	v_bfe_u32 v11, v0, 10, 10
	s_load_b32 s4, s[0:1], 0x0
	s_lshl_b32 s0, ttmp7, 5
	v_and_b32_e32 v18, 7, v0
	s_and_b32 s2, s0, 0x1fffe0
	v_lshl_add_u32 v1, v11, 4, v8
	s_lshl_b32 s1, ttmp9, 5
	s_cmp_neq_f32 s10, 0
	v_add_nc_u32_e32 v13, s2, v11
	v_lshl_add_u32 v23, v11, 6, 0x800
	v_lshrrev_b32_e32 v6, 3, v1
	v_and_b32_e32 v0, 31, v1
	v_lshrrev_b32_e32 v19, 5, v1
	s_cselect_b32 s0, -1, 0
	s_cmp_neq_f32 s11, 0
	v_add_nc_u32_e32 v9, s2, v6
	v_or_b32_e32 v1, s1, v0
	v_lshlrev_b32_e32 v0, 3, v0
	s_cselect_b32 s5, -1, 0
	v_add_nc_u32_e32 v14, 16, v13
	v_mad_co_u64_u32 v[4:5], null, s20, v9, 0
	s_delay_alu instid0(VALU_DEP_3)
	v_lshl_or_b32 v20, v19, 8, v0
	s_or_b32 s36, s0, s5
	s_wait_kmcnt 0x0
	v_cmp_gt_i32_e64 s0, s4, v1
	v_cmp_le_i32_e64 s20, s4, v1
	v_mul_lo_u32 v10, s15, v1
	v_mad_co_u64_u32 v[2:3], null, s14, v1, 0
	v_dual_mov_b32 v0, v5 :: v_dual_lshlrev_b32 v5, 3, v18
	s_ashr_i32 s35, s1, 31
	v_cmp_gt_i32_e32 vcc_lo, s4, v9
	s_mul_i32 s2, s14, s35
	s_delay_alu instid0(VALU_DEP_2)
	v_mad_co_u64_u32 v[0:1], null, s21, v9, v[0:1]
	v_lshl_or_b32 v1, v6, 6, v5
	v_mad_co_u64_u32 v[6:7], null, s28, v13, 0
	s_wait_alu 0xfffe
	v_add3_u32 v3, v3, s2, v10
	s_cmp_neq_f32 s6, 0
	v_add_nc_u32_e32 v21, 0x800, v1
	v_dual_mov_b32 v5, v0 :: v_dual_add_nc_u32 v10, s1, v8
	v_cmp_gt_i32_e64 s1, s4, v13
	v_mov_b32_e32 v0, v7
	s_cselect_b32 s14, -1, 0
	v_cmp_gt_i64_e64 s34, s[8:9], 0
	v_cmp_le_i32_e64 s2, v10, v13
	v_add_nc_u32_e32 v12, 16, v10
	v_mad_co_u64_u32 v[0:1], null, s29, v13, v[0:1]
	v_lshlrev_b32_e32 v22, 3, v8
	v_mad_co_u64_u32 v[8:9], null, s28, v14, 0
	s_and_b32 s21, s1, s2
	v_cmp_le_i32_e64 s2, v12, v13
	v_ashrrev_i32_e32 v11, 31, v10
	v_mov_b32_e32 v7, v0
	v_ashrrev_i32_e32 v13, 31, v12
	s_xor_b32 s15, s3, -1
	v_mov_b32_e32 v1, v9
	v_lshlrev_b64_e32 v[4:5], 3, v[4:5]
	v_lshlrev_b64_e32 v[6:7], 3, v[6:7]
	s_mov_b32 s25, 0
	s_and_b32 s1, s1, s2
	v_mad_co_u64_u32 v[0:1], null, s29, v14, v[1:2]
	v_lshlrev_b64_e32 v[2:3], 3, v[2:3]
	v_mov_b32_e32 v1, 0
	s_and_b32 s34, s36, s34
	s_delay_alu instid0(VALU_DEP_3)
	v_mov_b32_e32 v9, v0
	v_cmp_gt_i32_e64 s3, s4, v14
	v_cmp_le_i32_e64 s4, v10, v14
	v_cmp_le_i32_e64 s5, v12, v14
	v_lshlrev_b64_e32 v[10:11], 3, v[10:11]
	v_lshlrev_b64_e32 v[8:9], 3, v[8:9]
	;; [unrolled: 1-line block ×3, first 2 shown]
	s_and_b32 s28, s3, s4
	s_and_b32 s29, s3, s5
	s_lshl_b64 s[2:3], s[22:23], 3
	s_wait_alu 0xfffe
	s_or_b32 s22, s14, s15
	s_lshl_b64 s[4:5], s[16:17], 3
	s_xor_b32 s23, vcc_lo, -1
	s_lshl_b64 s[14:15], s[30:31], 3
                                        ; implicit-def: $vgpr14_vgpr15
	s_branch .LBB510_8
.LBB510_7:                              ;   in Loop: Header=BB510_8 Depth=1
	s_wait_alu 0xfffe
	s_or_b32 exec_lo, exec_lo, s16
	s_add_co_i32 s24, s24, 0x10000
	s_delay_alu instid0(SALU_CYCLE_1)
	s_cmp_lt_u32 s24, s33
	s_cbranch_scc0 .LBB510_42
.LBB510_8:                              ; =>This Loop Header: Depth=1
                                        ;     Child Loop BB510_11 Depth 2
	s_lshl_b64 s[16:17], s[24:25], 3
	s_and_not1_b32 vcc_lo, exec_lo, s34
	s_wait_alu 0xfffe
	s_add_nc_u64 s[30:31], s[26:27], s[16:17]
	global_load_b64 v[16:17], v1, s[30:31]
	s_cbranch_vccnz .LBB510_21
; %bb.9:                                ;   in Loop: Header=BB510_8 Depth=1
	s_add_nc_u64 s[30:31], s[12:13], s[16:17]
	s_add_nc_u64 s[16:17], s[18:19], s[16:17]
	s_clause 0x1
	global_load_b64 v[24:25], v1, s[30:31]
	global_load_b64 v[26:27], v1, s[16:17]
	v_dual_mov_b32 v28, 0 :: v_dual_mov_b32 v29, 0
	v_dual_mov_b32 v31, 0 :: v_dual_mov_b32 v30, 0
	;; [unrolled: 1-line block ×4, first 2 shown]
	s_mov_b64 s[16:17], 0
	s_wait_loadcnt 0x1
	v_add_co_u32 v0, vcc_lo, v24, s4
	s_wait_alu 0xfffd
	v_add_co_ci_u32_e64 v25, null, s5, v25, vcc_lo
	s_wait_loadcnt 0x0
	v_add_co_u32 v26, vcc_lo, v26, s2
	s_wait_alu 0xfffd
	v_add_co_ci_u32_e64 v27, null, s3, v27, vcc_lo
	v_add_co_u32 v24, vcc_lo, v0, v2
	s_wait_alu 0xfffd
	v_add_co_ci_u32_e64 v25, null, v25, v3, vcc_lo
	v_add_co_u32 v26, vcc_lo, v26, v4
	s_wait_alu 0xfffd
	v_add_co_ci_u32_e64 v27, null, v27, v5, vcc_lo
	s_branch .LBB510_11
.LBB510_10:                             ;   in Loop: Header=BB510_11 Depth=2
	s_or_b32 exec_lo, exec_lo, s30
	s_wait_dscnt 0x0
	s_barrier_signal -1
	s_barrier_wait -1
	global_inv scope:SCOPE_SE
	ds_load_b128 v[36:39], v23
	ds_load_2addr_b64 v[40:43], v22 offset1:16
	ds_load_b128 v[44:47], v23 offset:1024
	ds_load_b128 v[48:51], v23 offset:16
	;; [unrolled: 1-line block ×4, first 2 shown]
	ds_load_2addr_b64 v[60:63], v22 offset0:32 offset1:48
	ds_load_b128 v[64:67], v23 offset:1040
	s_add_nc_u64 s[16:17], s[16:17], 8
	s_wait_alu 0xfffe
	v_cmp_gt_i64_e64 s30, s[8:9], s[16:17]
	s_and_b32 vcc_lo, exec_lo, s30
	s_wait_dscnt 0x6
	v_mul_f32_e32 v0, v37, v41
	v_dual_mul_f32 v68, v36, v41 :: v_dual_mul_f32 v69, v37, v43
	s_wait_dscnt 0x5
	v_dual_mul_f32 v70, v36, v43 :: v_dual_mul_f32 v71, v45, v41
	v_dual_mul_f32 v41, v44, v41 :: v_dual_mul_f32 v72, v45, v43
	v_mul_f32_e32 v43, v44, v43
	v_fma_f32 v0, v36, v40, -v0
	v_fma_f32 v36, v36, v42, -v69
	v_fmac_f32_e32 v70, v37, v42
	v_fmac_f32_e32 v41, v45, v40
	;; [unrolled: 1-line block ×3, first 2 shown]
	v_fma_f32 v37, v44, v40, -v71
	v_fma_f32 v40, v44, v42, -v72
	v_dual_add_f32 v0, v34, v0 :: v_dual_fmac_f32 v43, v45, v42
	s_delay_alu instid0(VALU_DEP_4) | instskip(NEXT) | instid1(VALU_DEP_4)
	v_add_f32_e32 v34, v35, v68
	v_dual_add_f32 v35, v32, v36 :: v_dual_add_f32 v36, v30, v37
	v_add_f32_e32 v37, v31, v41
	s_wait_dscnt 0x1
	v_dual_mul_f32 v41, v39, v61 :: v_dual_add_f32 v40, v29, v40
	ds_load_2addr_b64 v[29:32], v22 offset0:64 offset1:80
	v_dual_add_f32 v33, v33, v70 :: v_dual_mul_f32 v44, v39, v63
	v_fma_f32 v41, v38, v60, -v41
	v_add_f32_e32 v28, v28, v43
	s_delay_alu instid0(VALU_DEP_2) | instskip(NEXT) | instid1(VALU_DEP_1)
	v_dual_mul_f32 v43, v38, v63 :: v_dual_add_f32 v0, v0, v41
	v_dual_mul_f32 v42, v38, v61 :: v_dual_fmac_f32 v43, v39, v62
	v_fma_f32 v38, v38, v62, -v44
	v_mul_f32_e32 v41, v47, v61
	s_delay_alu instid0(VALU_DEP_3) | instskip(SKIP_1) | instid1(VALU_DEP_4)
	v_fmac_f32_e32 v42, v39, v60
	v_mul_f32_e32 v39, v47, v63
	v_add_f32_e32 v38, v35, v38
	s_delay_alu instid0(VALU_DEP_4) | instskip(NEXT) | instid1(VALU_DEP_4)
	v_fma_f32 v35, v46, v60, -v41
	v_dual_add_f32 v41, v33, v43 :: v_dual_add_f32 v42, v34, v42
	v_mul_f32_e32 v43, v46, v63
	v_mul_f32_e32 v34, v46, v61
	v_fma_f32 v33, v46, v62, -v39
	s_wait_dscnt 0x0
	v_mul_f32_e32 v39, v48, v30
	v_fmac_f32_e32 v43, v47, v62
	v_fmac_f32_e32 v34, v47, v60
	v_dual_add_f32 v44, v36, v35 :: v_dual_mul_f32 v35, v49, v30
	s_delay_alu instid0(VALU_DEP_3) | instskip(NEXT) | instid1(VALU_DEP_3)
	v_dual_mul_f32 v46, v49, v32 :: v_dual_add_f32 v43, v28, v43
	v_add_f32_e32 v37, v37, v34
	v_dual_fmac_f32 v39, v49, v29 :: v_dual_mul_f32 v28, v48, v32
	v_add_f32_e32 v40, v40, v33
	v_fma_f32 v45, v48, v29, -v35
	ds_load_2addr_b64 v[33:36], v22 offset0:96 offset1:112
	v_add_f32_e32 v39, v42, v39
	v_fmac_f32_e32 v28, v49, v31
	v_add_f32_e32 v0, v0, v45
	v_fma_f32 v45, v48, v31, -v46
	s_delay_alu instid0(VALU_DEP_1) | instskip(SKIP_2) | instid1(VALU_DEP_2)
	v_dual_add_f32 v41, v41, v28 :: v_dual_add_f32 v38, v38, v45
	v_mul_f32_e32 v45, v65, v32
	v_mul_f32_e32 v32, v64, v32
	v_fma_f32 v28, v64, v31, -v45
	v_mul_f32_e32 v42, v65, v30
	s_delay_alu instid0(VALU_DEP_3)
	v_fmac_f32_e32 v32, v65, v31
	s_wait_dscnt 0x0
	v_dual_mul_f32 v30, v64, v30 :: v_dual_mul_f32 v49, v67, v36
	v_add_f32_e32 v45, v40, v28
	v_fma_f32 v42, v64, v29, -v42
	v_dual_mul_f32 v40, v50, v34 :: v_dual_add_f32 v43, v43, v32
	s_delay_alu instid0(VALU_DEP_4) | instskip(SKIP_1) | instid1(VALU_DEP_3)
	v_fmac_f32_e32 v30, v65, v29
	v_mul_f32_e32 v32, v50, v36
	v_fmac_f32_e32 v40, v51, v33
	v_add_f32_e32 v42, v44, v42
	s_delay_alu instid0(VALU_DEP_4)
	v_add_f32_e32 v44, v37, v30
	ds_load_2addr_b64 v[28:31], v22 offset0:128 offset1:144
	v_mul_f32_e32 v37, v51, v34
	v_mul_f32_e32 v46, v51, v36
	v_fmac_f32_e32 v32, v51, v35
	v_mul_f32_e32 v36, v66, v36
	s_delay_alu instid0(VALU_DEP_4) | instskip(NEXT) | instid1(VALU_DEP_1)
	v_fma_f32 v37, v50, v33, -v37
	v_dual_add_f32 v0, v0, v37 :: v_dual_mul_f32 v37, v67, v34
	v_mul_f32_e32 v34, v66, v34
	s_delay_alu instid0(VALU_DEP_2)
	v_fma_f32 v48, v66, v33, -v37
	s_wait_dscnt 0x0
	v_mul_f32_e32 v51, v52, v29
	v_fma_f32 v46, v50, v35, -v46
	v_add_f32_e32 v50, v41, v32
	v_fma_f32 v32, v66, v35, -v49
	s_delay_alu instid0(VALU_DEP_4) | instskip(NEXT) | instid1(VALU_DEP_4)
	v_fmac_f32_e32 v51, v53, v28
	v_dual_add_f32 v47, v39, v40 :: v_dual_add_f32 v46, v38, v46
	ds_load_b128 v[37:40], v23 offset:1056
	v_fmac_f32_e32 v34, v67, v33
	v_mul_f32_e32 v33, v53, v29
	v_dual_add_f32 v45, v45, v32 :: v_dual_fmac_f32 v36, v67, v35
	v_dual_add_f32 v47, v47, v51 :: v_dual_add_f32 v48, v42, v48
	s_delay_alu instid0(VALU_DEP_4) | instskip(NEXT) | instid1(VALU_DEP_4)
	v_add_f32_e32 v49, v44, v34
	v_fma_f32 v41, v52, v28, -v33
	ds_load_2addr_b64 v[32:35], v22 offset0:160 offset1:176
	v_mul_f32_e32 v42, v53, v31
	v_add_f32_e32 v36, v43, v36
	v_add_f32_e32 v0, v0, v41
	s_delay_alu instid0(VALU_DEP_3)
	v_fma_f32 v60, v52, v30, -v42
	v_mul_f32_e32 v52, v52, v31
	ds_load_b128 v[41:44], v23 offset:1072
	s_wait_dscnt 0x2
	v_mul_f32_e32 v61, v38, v29
	v_mul_f32_e32 v29, v37, v29
	v_dual_fmac_f32 v52, v53, v30 :: v_dual_mul_f32 v53, v38, v31
	s_delay_alu instid0(VALU_DEP_3) | instskip(NEXT) | instid1(VALU_DEP_3)
	v_fma_f32 v51, v37, v28, -v61
	v_fmac_f32_e32 v29, v38, v28
	s_delay_alu instid0(VALU_DEP_3) | instskip(SKIP_2) | instid1(VALU_DEP_4)
	v_add_f32_e32 v50, v50, v52
	v_mul_f32_e32 v52, v37, v31
	v_fma_f32 v28, v37, v30, -v53
	v_add_f32_e32 v37, v49, v29
	s_wait_dscnt 0x1
	s_delay_alu instid0(VALU_DEP_3) | instskip(NEXT) | instid1(VALU_DEP_3)
	v_dual_mul_f32 v49, v55, v33 :: v_dual_fmac_f32 v52, v38, v30
	v_add_f32_e32 v45, v45, v28
	ds_load_2addr_b64 v[28:31], v22 offset0:192 offset1:208
	v_mul_f32_e32 v38, v54, v33
	v_fma_f32 v49, v54, v32, -v49
	v_add_f32_e32 v46, v46, v60
	s_delay_alu instid0(VALU_DEP_3) | instskip(NEXT) | instid1(VALU_DEP_1)
	v_fmac_f32_e32 v38, v55, v32
	v_dual_add_f32 v0, v0, v49 :: v_dual_add_f32 v47, v47, v38
	v_add_f32_e32 v48, v48, v51
	v_dual_mul_f32 v51, v55, v35 :: v_dual_mul_f32 v38, v40, v33
	v_mul_f32_e32 v33, v39, v33
	s_delay_alu instid0(VALU_DEP_2) | instskip(NEXT) | instid1(VALU_DEP_3)
	v_fma_f32 v49, v54, v34, -v51
	v_fma_f32 v38, v39, v32, -v38
	s_delay_alu instid0(VALU_DEP_3) | instskip(NEXT) | instid1(VALU_DEP_3)
	v_dual_fmac_f32 v33, v40, v32 :: v_dual_mul_f32 v32, v39, v35
	v_dual_add_f32 v46, v46, v49 :: v_dual_mul_f32 v49, v40, v35
	s_delay_alu instid0(VALU_DEP_2) | instskip(SKIP_1) | instid1(VALU_DEP_4)
	v_dual_add_f32 v52, v36, v52 :: v_dual_add_f32 v33, v37, v33
	v_mul_f32_e32 v36, v54, v35
	v_fmac_f32_e32 v32, v40, v34
	s_delay_alu instid0(VALU_DEP_4) | instskip(SKIP_1) | instid1(VALU_DEP_3)
	v_fma_f32 v35, v39, v34, -v49
	s_wait_dscnt 0x0
	v_dual_mul_f32 v49, v42, v29 :: v_dual_fmac_f32 v36, v55, v34
	s_delay_alu instid0(VALU_DEP_2) | instskip(SKIP_1) | instid1(VALU_DEP_2)
	v_dual_add_f32 v34, v45, v35 :: v_dual_mul_f32 v35, v56, v29
	v_mul_f32_e32 v45, v57, v31
	v_dual_fmac_f32 v35, v57, v28 :: v_dual_add_f32 v48, v48, v38
	s_delay_alu instid0(VALU_DEP_2) | instskip(NEXT) | instid1(VALU_DEP_2)
	v_fma_f32 v45, v56, v30, -v45
	v_dual_add_f32 v35, v47, v35 :: v_dual_add_f32 v50, v50, v36
	v_mul_f32_e32 v36, v57, v29
	v_mul_f32_e32 v29, v41, v29
	;; [unrolled: 1-line block ×3, first 2 shown]
	v_add_f32_e32 v45, v46, v45
	v_fma_f32 v46, v41, v28, -v49
	v_fma_f32 v40, v56, v28, -v36
	ds_load_2addr_b64 v[36:39], v22 offset0:224 offset1:240
	v_fmac_f32_e32 v29, v42, v28
	v_add_f32_e32 v32, v52, v32
	s_wait_loadcnt_dscnt 0x0
	s_barrier_signal -1
	s_barrier_wait -1
	v_dual_add_f32 v29, v33, v29 :: v_dual_add_f32 v0, v0, v40
	v_mul_f32_e32 v40, v56, v31
	v_mul_f32_e32 v31, v41, v31
	v_fma_f32 v41, v41, v30, -v47
	global_inv scope:SCOPE_SE
	v_fmac_f32_e32 v40, v57, v30
	v_fmac_f32_e32 v31, v42, v30
	s_delay_alu instid0(VALU_DEP_1) | instskip(SKIP_3) | instid1(VALU_DEP_3)
	v_dual_add_f32 v41, v34, v41 :: v_dual_add_f32 v42, v32, v31
	v_mul_f32_e32 v33, v59, v37
	v_mul_f32_e32 v34, v59, v39
	;; [unrolled: 1-line block ×3, first 2 shown]
	v_fma_f32 v33, v58, v36, -v33
	s_delay_alu instid0(VALU_DEP_3) | instskip(NEXT) | instid1(VALU_DEP_2)
	v_fma_f32 v32, v58, v38, -v34
	v_dual_fmac_f32 v31, v59, v38 :: v_dual_add_f32 v34, v0, v33
	v_mul_f32_e32 v0, v44, v37
	s_delay_alu instid0(VALU_DEP_3)
	v_dual_add_f32 v32, v45, v32 :: v_dual_mul_f32 v45, v44, v39
	v_add_f32_e32 v28, v50, v40
	v_mul_f32_e32 v30, v58, v37
	v_dual_add_f32 v40, v48, v46 :: v_dual_mul_f32 v37, v43, v37
	v_fma_f32 v0, v43, v36, -v0
	v_mul_f32_e32 v39, v43, v39
	s_delay_alu instid0(VALU_DEP_4) | instskip(NEXT) | instid1(VALU_DEP_4)
	v_dual_add_f32 v33, v28, v31 :: v_dual_fmac_f32 v30, v59, v36
	v_fmac_f32_e32 v37, v44, v36
	s_delay_alu instid0(VALU_DEP_3) | instskip(NEXT) | instid1(VALU_DEP_3)
	v_fmac_f32_e32 v39, v44, v38
	v_dual_add_f32 v35, v35, v30 :: v_dual_add_f32 v30, v40, v0
	v_fma_f32 v0, v43, v38, -v45
	s_delay_alu instid0(VALU_DEP_3) | instskip(NEXT) | instid1(VALU_DEP_2)
	v_dual_add_f32 v31, v29, v37 :: v_dual_add_f32 v28, v42, v39
	v_add_f32_e32 v29, v41, v0
	s_wait_alu 0xfffe
	s_cbranch_vccz .LBB510_22
.LBB510_11:                             ;   Parent Loop BB510_8 Depth=1
                                        ; =>  This Inner Loop Header: Depth=2
	s_mov_b32 s30, 0
	s_mov_b32 s35, s20
	s_and_saveexec_b32 s31, s0
	s_cbranch_execnz .LBB510_19
; %bb.12:                               ;   in Loop: Header=BB510_11 Depth=2
	s_or_b32 exec_lo, exec_lo, s31
	s_and_saveexec_b32 s31, s35
	s_delay_alu instid0(SALU_CYCLE_1)
	s_xor_b32 s31, exec_lo, s31
	s_cbranch_execnz .LBB510_20
.LBB510_13:                             ;   in Loop: Header=BB510_11 Depth=2
	s_or_b32 exec_lo, exec_lo, s31
	v_mov_b32_e32 v36, 0
	s_and_saveexec_b32 s31, s30
	s_cbranch_execz .LBB510_15
.LBB510_14:                             ;   in Loop: Header=BB510_11 Depth=2
	v_lshlrev_b64_e32 v[36:37], 3, v[14:15]
	s_delay_alu instid0(VALU_DEP_1) | instskip(SKIP_1) | instid1(VALU_DEP_2)
	v_add_co_u32 v36, vcc_lo, v24, v36
	s_wait_alu 0xfffd
	v_add_co_ci_u32_e64 v37, null, v25, v37, vcc_lo
	flat_load_b64 v[37:38], v[36:37]
	s_wait_loadcnt_dscnt 0x0
	v_xor_b32_e32 v36, 0x80000000, v38
	ds_store_b32 v20, v37
.LBB510_15:                             ;   in Loop: Header=BB510_11 Depth=2
	s_or_b32 exec_lo, exec_lo, s31
	s_wait_alu 0xfffe
	v_add_nc_u32_e32 v0, s16, v18
	ds_store_b32 v20, v36 offset:4
	v_cmp_le_u64_e32 vcc_lo, s[8:9], v[0:1]
	s_or_b32 s30, vcc_lo, s23
	s_delay_alu instid0(SALU_CYCLE_1) | instskip(NEXT) | instid1(SALU_CYCLE_1)
	s_and_saveexec_b32 s31, s30
	s_xor_b32 s30, exec_lo, s31
; %bb.16:                               ;   in Loop: Header=BB510_11 Depth=2
	v_mov_b32_e32 v0, v1
	ds_store_b64 v21, v[0:1]
; %bb.17:                               ;   in Loop: Header=BB510_11 Depth=2
	s_and_not1_saveexec_b32 s30, s30
	s_cbranch_execz .LBB510_10
; %bb.18:                               ;   in Loop: Header=BB510_11 Depth=2
	v_lshlrev_b64_e32 v[36:37], 3, v[0:1]
	s_delay_alu instid0(VALU_DEP_1) | instskip(SKIP_1) | instid1(VALU_DEP_2)
	v_add_co_u32 v36, vcc_lo, v26, v36
	s_wait_alu 0xfffd
	v_add_co_ci_u32_e64 v37, null, v27, v37, vcc_lo
	flat_load_b64 v[36:37], v[36:37]
	s_wait_loadcnt_dscnt 0x0
	ds_store_b64 v21, v[36:37]
	s_branch .LBB510_10
.LBB510_19:                             ;   in Loop: Header=BB510_11 Depth=2
	s_wait_alu 0xfffe
	v_add_nc_u32_e32 v0, s16, v19
	v_mov_b32_e32 v15, v1
	s_and_not1_b32 s35, s20, exec_lo
	s_mov_b32 s30, exec_lo
	s_delay_alu instid0(VALU_DEP_2) | instskip(SKIP_2) | instid1(SALU_CYCLE_1)
	v_cmp_le_u64_e32 vcc_lo, s[8:9], v[0:1]
	v_mov_b32_e32 v14, v0
	s_and_b32 s36, vcc_lo, exec_lo
	s_or_b32 s35, s35, s36
	s_or_b32 exec_lo, exec_lo, s31
	s_and_saveexec_b32 s31, s35
	s_delay_alu instid0(SALU_CYCLE_1)
	s_xor_b32 s31, exec_lo, s31
	s_cbranch_execz .LBB510_13
.LBB510_20:                             ;   in Loop: Header=BB510_11 Depth=2
	s_and_not1_b32 s30, s30, exec_lo
	ds_store_b32 v20, v1
	s_or_b32 exec_lo, exec_lo, s31
	v_mov_b32_e32 v36, 0
	s_and_saveexec_b32 s31, s30
	s_cbranch_execnz .LBB510_14
	s_branch .LBB510_15
.LBB510_21:                             ;   in Loop: Header=BB510_8 Depth=1
	v_dual_mov_b32 v34, v1 :: v_dual_mov_b32 v35, v1
	v_dual_mov_b32 v32, v1 :: v_dual_mov_b32 v33, v1
	;; [unrolled: 1-line block ×4, first 2 shown]
.LBB510_22:                             ;   in Loop: Header=BB510_8 Depth=1
	s_wait_loadcnt 0x0
	s_wait_alu 0xfffe
	v_add_co_u32 v0, vcc_lo, v16, s14
	s_wait_alu 0xfffd
	v_add_co_ci_u32_e64 v24, null, s15, v17, vcc_lo
	s_delay_alu instid0(VALU_DEP_2) | instskip(SKIP_1) | instid1(VALU_DEP_2)
	v_add_co_u32 v25, vcc_lo, v0, v6
	s_wait_alu 0xfffd
	v_add_co_ci_u32_e64 v26, null, v24, v7, vcc_lo
	s_and_saveexec_b32 s16, s21
	s_cbranch_execz .LBB510_27
; %bb.23:                               ;   in Loop: Header=BB510_8 Depth=1
	v_mul_f32_e32 v17, s10, v35
	v_mul_f32_e32 v16, s11, v35
	s_and_b32 vcc_lo, exec_lo, s22
	s_mov_b32 s17, -1
	s_delay_alu instid0(VALU_DEP_2) | instskip(NEXT) | instid1(VALU_DEP_2)
	v_fmac_f32_e32 v17, s11, v34
	v_fma_f32 v16, v34, s10, -v16
	s_wait_alu 0xfffe
	s_cbranch_vccz .LBB510_25
; %bb.24:                               ;   in Loop: Header=BB510_8 Depth=1
	v_add_co_u32 v34, vcc_lo, v25, v10
	s_wait_alu 0xfffd
	v_add_co_ci_u32_e64 v35, null, v26, v11, vcc_lo
	s_mov_b32 s17, 0
	flat_load_b64 v[36:37], v[34:35]
	s_wait_loadcnt_dscnt 0x0
	v_mul_f32_e32 v27, s7, v37
	s_delay_alu instid0(VALU_DEP_1) | instskip(SKIP_1) | instid1(VALU_DEP_1)
	v_fma_f32 v27, v36, s6, -v27
	v_mul_f32_e32 v37, s6, v37
	v_dual_fmac_f32 v37, s7, v36 :: v_dual_add_f32 v36, v16, v27
	s_delay_alu instid0(VALU_DEP_1)
	v_add_f32_e32 v37, v17, v37
	flat_store_b64 v[34:35], v[36:37]
.LBB510_25:                             ;   in Loop: Header=BB510_8 Depth=1
	s_wait_alu 0xfffe
	s_and_not1_b32 vcc_lo, exec_lo, s17
	s_wait_alu 0xfffe
	s_cbranch_vccnz .LBB510_27
; %bb.26:                               ;   in Loop: Header=BB510_8 Depth=1
	v_add_co_u32 v34, vcc_lo, v25, v10
	s_wait_alu 0xfffd
	v_add_co_ci_u32_e64 v35, null, v26, v11, vcc_lo
	flat_store_b64 v[34:35], v[16:17]
.LBB510_27:                             ;   in Loop: Header=BB510_8 Depth=1
	s_wait_alu 0xfffe
	s_or_b32 exec_lo, exec_lo, s16
	s_and_saveexec_b32 s16, s1
	s_cbranch_execz .LBB510_32
; %bb.28:                               ;   in Loop: Header=BB510_8 Depth=1
	v_mul_f32_e32 v17, s10, v33
	v_mul_f32_e32 v16, s11, v33
	s_and_not1_b32 vcc_lo, exec_lo, s22
	s_mov_b32 s17, -1
	s_delay_alu instid0(VALU_DEP_2) | instskip(NEXT) | instid1(VALU_DEP_2)
	v_fmac_f32_e32 v17, s11, v32
	v_fma_f32 v16, v32, s10, -v16
	s_wait_alu 0xfffe
	s_cbranch_vccnz .LBB510_30
; %bb.29:                               ;   in Loop: Header=BB510_8 Depth=1
	v_add_co_u32 v32, vcc_lo, v25, v12
	s_wait_alu 0xfffd
	v_add_co_ci_u32_e64 v33, null, v26, v13, vcc_lo
	s_mov_b32 s17, 0
	flat_load_b64 v[34:35], v[32:33]
	s_wait_loadcnt_dscnt 0x0
	v_mul_f32_e32 v27, s7, v35
	v_mul_f32_e32 v35, s6, v35
	s_delay_alu instid0(VALU_DEP_2) | instskip(NEXT) | instid1(VALU_DEP_1)
	v_fma_f32 v27, v34, s6, -v27
	v_dual_fmac_f32 v35, s7, v34 :: v_dual_add_f32 v34, v16, v27
	s_delay_alu instid0(VALU_DEP_1)
	v_add_f32_e32 v35, v17, v35
	flat_store_b64 v[32:33], v[34:35]
.LBB510_30:                             ;   in Loop: Header=BB510_8 Depth=1
	s_wait_alu 0xfffe
	s_and_not1_b32 vcc_lo, exec_lo, s17
	s_wait_alu 0xfffe
	s_cbranch_vccnz .LBB510_32
; %bb.31:                               ;   in Loop: Header=BB510_8 Depth=1
	v_add_co_u32 v25, vcc_lo, v25, v12
	s_wait_alu 0xfffd
	v_add_co_ci_u32_e64 v26, null, v26, v13, vcc_lo
	flat_store_b64 v[25:26], v[16:17]
.LBB510_32:                             ;   in Loop: Header=BB510_8 Depth=1
	s_wait_alu 0xfffe
	s_or_b32 exec_lo, exec_lo, s16
	v_add_co_u32 v0, vcc_lo, v0, v8
	s_wait_alu 0xfffd
	v_add_co_ci_u32_e64 v24, null, v24, v9, vcc_lo
	s_and_saveexec_b32 s16, s28
	s_cbranch_execz .LBB510_37
; %bb.33:                               ;   in Loop: Header=BB510_8 Depth=1
	v_mul_f32_e32 v17, s10, v31
	v_mul_f32_e32 v16, s11, v31
	s_and_not1_b32 vcc_lo, exec_lo, s22
	s_mov_b32 s17, -1
	s_delay_alu instid0(VALU_DEP_2) | instskip(NEXT) | instid1(VALU_DEP_2)
	v_fmac_f32_e32 v17, s11, v30
	v_fma_f32 v16, v30, s10, -v16
	s_wait_alu 0xfffe
	s_cbranch_vccnz .LBB510_35
; %bb.34:                               ;   in Loop: Header=BB510_8 Depth=1
	v_add_co_u32 v25, vcc_lo, v0, v10
	s_wait_alu 0xfffd
	v_add_co_ci_u32_e64 v26, null, v24, v11, vcc_lo
	s_mov_b32 s17, 0
	flat_load_b64 v[30:31], v[25:26]
	s_wait_loadcnt_dscnt 0x0
	v_mul_f32_e32 v27, s7, v31
	v_mul_f32_e32 v31, s6, v31
	s_delay_alu instid0(VALU_DEP_2) | instskip(NEXT) | instid1(VALU_DEP_1)
	v_fma_f32 v27, v30, s6, -v27
	v_dual_fmac_f32 v31, s7, v30 :: v_dual_add_f32 v30, v16, v27
	s_delay_alu instid0(VALU_DEP_1)
	v_add_f32_e32 v31, v17, v31
	flat_store_b64 v[25:26], v[30:31]
.LBB510_35:                             ;   in Loop: Header=BB510_8 Depth=1
	s_wait_alu 0xfffe
	s_and_not1_b32 vcc_lo, exec_lo, s17
	s_wait_alu 0xfffe
	s_cbranch_vccnz .LBB510_37
; %bb.36:                               ;   in Loop: Header=BB510_8 Depth=1
	v_add_co_u32 v25, vcc_lo, v0, v10
	s_wait_alu 0xfffd
	v_add_co_ci_u32_e64 v26, null, v24, v11, vcc_lo
	flat_store_b64 v[25:26], v[16:17]
.LBB510_37:                             ;   in Loop: Header=BB510_8 Depth=1
	s_wait_alu 0xfffe
	s_or_b32 exec_lo, exec_lo, s16
	s_and_saveexec_b32 s16, s29
	s_cbranch_execz .LBB510_7
; %bb.38:                               ;   in Loop: Header=BB510_8 Depth=1
	v_mul_f32_e32 v17, s10, v28
	v_mul_f32_e32 v16, s11, v28
	s_and_not1_b32 vcc_lo, exec_lo, s22
	s_mov_b32 s17, -1
	s_delay_alu instid0(VALU_DEP_2) | instskip(NEXT) | instid1(VALU_DEP_2)
	v_fmac_f32_e32 v17, s11, v29
	v_fma_f32 v16, v29, s10, -v16
	s_wait_alu 0xfffe
	s_cbranch_vccnz .LBB510_40
; %bb.39:                               ;   in Loop: Header=BB510_8 Depth=1
	v_add_co_u32 v25, vcc_lo, v0, v12
	s_wait_alu 0xfffd
	v_add_co_ci_u32_e64 v26, null, v24, v13, vcc_lo
	s_mov_b32 s17, 0
	flat_load_b64 v[27:28], v[25:26]
	s_wait_loadcnt_dscnt 0x0
	v_mul_f32_e32 v29, s7, v28
	v_mul_f32_e32 v28, s6, v28
	s_delay_alu instid0(VALU_DEP_1) | instskip(NEXT) | instid1(VALU_DEP_3)
	v_fmac_f32_e32 v28, s7, v27
	v_fma_f32 v29, v27, s6, -v29
	s_delay_alu instid0(VALU_DEP_1)
	v_dual_add_f32 v28, v17, v28 :: v_dual_add_f32 v27, v16, v29
	flat_store_b64 v[25:26], v[27:28]
.LBB510_40:                             ;   in Loop: Header=BB510_8 Depth=1
	s_wait_alu 0xfffe
	s_and_not1_b32 vcc_lo, exec_lo, s17
	s_wait_alu 0xfffe
	s_cbranch_vccnz .LBB510_7
; %bb.41:                               ;   in Loop: Header=BB510_8 Depth=1
	v_add_co_u32 v25, vcc_lo, v0, v12
	s_wait_alu 0xfffd
	v_add_co_ci_u32_e64 v26, null, v24, v13, vcc_lo
	flat_store_b64 v[25:26], v[16:17]
	s_branch .LBB510_7
.LBB510_42:
	s_endpgm
	.section	.rodata,"a",@progbits
	.p2align	6, 0x0
	.amdhsa_kernel _ZL29rocblas_internal_gemmt_kernelIlLi16ELi32ELi8ELc67ELc78ELc85ELb1ELb0E19rocblas_complex_numIfEPKS1_PKS3_PKPS1_EviT_T9_T10_S9_lSB_S9_lSA_T11_S9_li
		.amdhsa_group_segment_fixed_size 4096
		.amdhsa_private_segment_fixed_size 0
		.amdhsa_kernarg_size 108
		.amdhsa_user_sgpr_count 2
		.amdhsa_user_sgpr_dispatch_ptr 0
		.amdhsa_user_sgpr_queue_ptr 0
		.amdhsa_user_sgpr_kernarg_segment_ptr 1
		.amdhsa_user_sgpr_dispatch_id 0
		.amdhsa_user_sgpr_private_segment_size 0
		.amdhsa_wavefront_size32 1
		.amdhsa_uses_dynamic_stack 0
		.amdhsa_enable_private_segment 0
		.amdhsa_system_sgpr_workgroup_id_x 1
		.amdhsa_system_sgpr_workgroup_id_y 1
		.amdhsa_system_sgpr_workgroup_id_z 1
		.amdhsa_system_sgpr_workgroup_info 0
		.amdhsa_system_vgpr_workitem_id 1
		.amdhsa_next_free_vgpr 73
		.amdhsa_next_free_sgpr 37
		.amdhsa_reserve_vcc 1
		.amdhsa_float_round_mode_32 0
		.amdhsa_float_round_mode_16_64 0
		.amdhsa_float_denorm_mode_32 3
		.amdhsa_float_denorm_mode_16_64 3
		.amdhsa_fp16_overflow 0
		.amdhsa_workgroup_processor_mode 1
		.amdhsa_memory_ordered 1
		.amdhsa_forward_progress 1
		.amdhsa_inst_pref_size 26
		.amdhsa_round_robin_scheduling 0
		.amdhsa_exception_fp_ieee_invalid_op 0
		.amdhsa_exception_fp_denorm_src 0
		.amdhsa_exception_fp_ieee_div_zero 0
		.amdhsa_exception_fp_ieee_overflow 0
		.amdhsa_exception_fp_ieee_underflow 0
		.amdhsa_exception_fp_ieee_inexact 0
		.amdhsa_exception_int_div_zero 0
	.end_amdhsa_kernel
	.section	.text._ZL29rocblas_internal_gemmt_kernelIlLi16ELi32ELi8ELc67ELc78ELc85ELb1ELb0E19rocblas_complex_numIfEPKS1_PKS3_PKPS1_EviT_T9_T10_S9_lSB_S9_lSA_T11_S9_li,"axG",@progbits,_ZL29rocblas_internal_gemmt_kernelIlLi16ELi32ELi8ELc67ELc78ELc85ELb1ELb0E19rocblas_complex_numIfEPKS1_PKS3_PKPS1_EviT_T9_T10_S9_lSB_S9_lSA_T11_S9_li,comdat
.Lfunc_end510:
	.size	_ZL29rocblas_internal_gemmt_kernelIlLi16ELi32ELi8ELc67ELc78ELc85ELb1ELb0E19rocblas_complex_numIfEPKS1_PKS3_PKPS1_EviT_T9_T10_S9_lSB_S9_lSA_T11_S9_li, .Lfunc_end510-_ZL29rocblas_internal_gemmt_kernelIlLi16ELi32ELi8ELc67ELc78ELc85ELb1ELb0E19rocblas_complex_numIfEPKS1_PKS3_PKPS1_EviT_T9_T10_S9_lSB_S9_lSA_T11_S9_li
                                        ; -- End function
	.set _ZL29rocblas_internal_gemmt_kernelIlLi16ELi32ELi8ELc67ELc78ELc85ELb1ELb0E19rocblas_complex_numIfEPKS1_PKS3_PKPS1_EviT_T9_T10_S9_lSB_S9_lSA_T11_S9_li.num_vgpr, 73
	.set _ZL29rocblas_internal_gemmt_kernelIlLi16ELi32ELi8ELc67ELc78ELc85ELb1ELb0E19rocblas_complex_numIfEPKS1_PKS3_PKPS1_EviT_T9_T10_S9_lSB_S9_lSA_T11_S9_li.num_agpr, 0
	.set _ZL29rocblas_internal_gemmt_kernelIlLi16ELi32ELi8ELc67ELc78ELc85ELb1ELb0E19rocblas_complex_numIfEPKS1_PKS3_PKPS1_EviT_T9_T10_S9_lSB_S9_lSA_T11_S9_li.numbered_sgpr, 37
	.set _ZL29rocblas_internal_gemmt_kernelIlLi16ELi32ELi8ELc67ELc78ELc85ELb1ELb0E19rocblas_complex_numIfEPKS1_PKS3_PKPS1_EviT_T9_T10_S9_lSB_S9_lSA_T11_S9_li.num_named_barrier, 0
	.set _ZL29rocblas_internal_gemmt_kernelIlLi16ELi32ELi8ELc67ELc78ELc85ELb1ELb0E19rocblas_complex_numIfEPKS1_PKS3_PKPS1_EviT_T9_T10_S9_lSB_S9_lSA_T11_S9_li.private_seg_size, 0
	.set _ZL29rocblas_internal_gemmt_kernelIlLi16ELi32ELi8ELc67ELc78ELc85ELb1ELb0E19rocblas_complex_numIfEPKS1_PKS3_PKPS1_EviT_T9_T10_S9_lSB_S9_lSA_T11_S9_li.uses_vcc, 1
	.set _ZL29rocblas_internal_gemmt_kernelIlLi16ELi32ELi8ELc67ELc78ELc85ELb1ELb0E19rocblas_complex_numIfEPKS1_PKS3_PKPS1_EviT_T9_T10_S9_lSB_S9_lSA_T11_S9_li.uses_flat_scratch, 0
	.set _ZL29rocblas_internal_gemmt_kernelIlLi16ELi32ELi8ELc67ELc78ELc85ELb1ELb0E19rocblas_complex_numIfEPKS1_PKS3_PKPS1_EviT_T9_T10_S9_lSB_S9_lSA_T11_S9_li.has_dyn_sized_stack, 0
	.set _ZL29rocblas_internal_gemmt_kernelIlLi16ELi32ELi8ELc67ELc78ELc85ELb1ELb0E19rocblas_complex_numIfEPKS1_PKS3_PKPS1_EviT_T9_T10_S9_lSB_S9_lSA_T11_S9_li.has_recursion, 0
	.set _ZL29rocblas_internal_gemmt_kernelIlLi16ELi32ELi8ELc67ELc78ELc85ELb1ELb0E19rocblas_complex_numIfEPKS1_PKS3_PKPS1_EviT_T9_T10_S9_lSB_S9_lSA_T11_S9_li.has_indirect_call, 0
	.section	.AMDGPU.csdata,"",@progbits
; Kernel info:
; codeLenInByte = 3300
; TotalNumSgprs: 39
; NumVgprs: 73
; ScratchSize: 0
; MemoryBound: 0
; FloatMode: 240
; IeeeMode: 1
; LDSByteSize: 4096 bytes/workgroup (compile time only)
; SGPRBlocks: 0
; VGPRBlocks: 9
; NumSGPRsForWavesPerEU: 39
; NumVGPRsForWavesPerEU: 73
; Occupancy: 16
; WaveLimiterHint : 1
; COMPUTE_PGM_RSRC2:SCRATCH_EN: 0
; COMPUTE_PGM_RSRC2:USER_SGPR: 2
; COMPUTE_PGM_RSRC2:TRAP_HANDLER: 0
; COMPUTE_PGM_RSRC2:TGID_X_EN: 1
; COMPUTE_PGM_RSRC2:TGID_Y_EN: 1
; COMPUTE_PGM_RSRC2:TGID_Z_EN: 1
; COMPUTE_PGM_RSRC2:TIDIG_COMP_CNT: 1
	.section	.text._ZL29rocblas_internal_gemmt_kernelIlLi16ELi32ELi8ELc67ELc84ELc85ELb1ELb0E19rocblas_complex_numIfEPKS1_PKS3_PKPS1_EviT_T9_T10_S9_lSB_S9_lSA_T11_S9_li,"axG",@progbits,_ZL29rocblas_internal_gemmt_kernelIlLi16ELi32ELi8ELc67ELc84ELc85ELb1ELb0E19rocblas_complex_numIfEPKS1_PKS3_PKPS1_EviT_T9_T10_S9_lSB_S9_lSA_T11_S9_li,comdat
	.globl	_ZL29rocblas_internal_gemmt_kernelIlLi16ELi32ELi8ELc67ELc84ELc85ELb1ELb0E19rocblas_complex_numIfEPKS1_PKS3_PKPS1_EviT_T9_T10_S9_lSB_S9_lSA_T11_S9_li ; -- Begin function _ZL29rocblas_internal_gemmt_kernelIlLi16ELi32ELi8ELc67ELc84ELc85ELb1ELb0E19rocblas_complex_numIfEPKS1_PKS3_PKPS1_EviT_T9_T10_S9_lSB_S9_lSA_T11_S9_li
	.p2align	8
	.type	_ZL29rocblas_internal_gemmt_kernelIlLi16ELi32ELi8ELc67ELc84ELc85ELb1ELb0E19rocblas_complex_numIfEPKS1_PKS3_PKPS1_EviT_T9_T10_S9_lSB_S9_lSA_T11_S9_li,@function
_ZL29rocblas_internal_gemmt_kernelIlLi16ELi32ELi8ELc67ELc84ELc85ELb1ELb0E19rocblas_complex_numIfEPKS1_PKS3_PKPS1_EviT_T9_T10_S9_lSB_S9_lSA_T11_S9_li: ; @_ZL29rocblas_internal_gemmt_kernelIlLi16ELi32ELi8ELc67ELc84ELc85ELb1ELb0E19rocblas_complex_numIfEPKS1_PKS3_PKPS1_EviT_T9_T10_S9_lSB_S9_lSA_T11_S9_li
; %bb.0:
	s_load_b256 s[24:31], s[0:1], 0x48
	s_wait_kmcnt 0x0
	s_load_b64 s[6:7], s[24:25], 0x0
	s_load_b512 s[8:23], s[0:1], 0x8
	s_wait_kmcnt 0x0
	s_cmp_eq_f32 s6, 1.0
	s_load_b64 s[10:11], s[10:11], 0x0
	s_cselect_b32 s2, -1, 0
	s_and_b32 s3, s7, 0x7fffffff
	s_delay_alu instid0(SALU_CYCLE_1) | instskip(SKIP_1) | instid1(SALU_CYCLE_1)
	s_cmp_eq_u32 s3, 0
	s_cselect_b32 s3, -1, 0
	s_and_b32 s4, s2, s3
	s_mov_b32 s2, 0
	s_and_not1_b32 vcc_lo, exec_lo, s4
	s_mov_b32 s4, -1
	s_cbranch_vccnz .LBB511_4
; %bb.1:
	s_cmp_lg_u64 s[8:9], 0
	s_cbranch_scc0 .LBB511_3
; %bb.2:
	s_wait_kmcnt 0x0
	s_cmp_neq_f32 s10, 0
	s_cselect_b32 s2, -1, 0
	s_cmp_neq_f32 s11, 0
	s_cselect_b32 s4, -1, 0
	s_delay_alu instid0(SALU_CYCLE_1)
	s_or_b32 s2, s2, s4
.LBB511_3:
	s_delay_alu instid0(SALU_CYCLE_1)
	s_mov_b32 s4, s2
.LBB511_4:
	s_delay_alu instid0(SALU_CYCLE_1)
	s_and_b32 vcc_lo, exec_lo, s4
	s_cbranch_vccz .LBB511_42
; %bb.5:
	s_load_b32 s33, s[0:1], 0x68
	s_lshr_b32 s24, ttmp7, 16
	s_wait_kmcnt 0x0
	s_cmp_ge_u32 s24, s33
	s_cbranch_scc1 .LBB511_42
; %bb.6:
	v_and_b32_e32 v6, 0x3ff, v0
	v_bfe_u32 v11, v0, 10, 10
	s_load_b32 s4, s[0:1], 0x0
	s_lshl_b32 s0, ttmp7, 5
	s_lshl_b32 s1, ttmp9, 5
	s_and_b32 s2, s0, 0x1fffe0
	v_lshl_add_u32 v1, v11, 4, v6
	s_cmp_neq_f32 s10, 0
	v_and_b32_e32 v16, 7, v0
	v_add_nc_u32_e32 v15, s2, v11
	v_lshl_add_u32 v21, v11, 6, 0x800
	v_and_b32_e32 v0, 31, v1
	s_cselect_b32 s0, -1, 0
	s_cmp_neq_f32 s11, 0
	v_lshrrev_b32_e32 v4, 3, v1
	v_lshrrev_b32_e32 v17, 5, v1
	v_or_b32_e32 v2, s1, v0
	s_cselect_b32 s5, -1, 0
	v_add_nc_u32_e32 v22, 16, v15
	s_or_b32 s37, s0, s5
	s_ashr_i32 s5, s1, 31
	v_mul_lo_u32 v1, s15, v2
	s_wait_kmcnt 0x0
	v_cmp_gt_i32_e64 s0, s4, v2
	v_cmp_le_i32_e64 s34, s4, v2
	v_mad_co_u64_u32 v[2:3], null, s14, v2, 0
	v_add_nc_u32_e32 v14, s2, v4
	s_mul_i32 s2, s14, s5
	v_lshlrev_b32_e32 v0, 3, v0
	s_cmp_neq_f32 s6, 0
	v_cmp_gt_i64_e64 s36, s[8:9], 0
	v_cmp_gt_i32_e32 vcc_lo, s4, v14
	s_wait_alu 0xfffe
	v_add3_u32 v3, v3, s2, v1
	v_dual_mov_b32 v1, 0 :: v_dual_lshlrev_b32 v20, 3, v6
	v_add_nc_u32_e32 v8, s1, v6
	v_mad_co_u64_u32 v[6:7], null, s28, v22, 0
	v_lshlrev_b32_e32 v5, 3, v16
	v_lshl_or_b32 v18, v17, 8, v0
	s_cselect_b32 s14, -1, 0
	s_xor_b32 s15, s3, -1
	v_cmp_gt_i32_e64 s3, s4, v22
	v_lshl_or_b32 v0, v4, 6, v5
	v_mad_co_u64_u32 v[4:5], null, s28, v15, 0
	v_lshlrev_b64_e32 v[2:3], 3, v[2:3]
	s_mov_b32 s25, 0
	s_delay_alu instid0(VALU_DEP_3) | instskip(SKIP_1) | instid1(VALU_DEP_3)
	v_add_nc_u32_e32 v19, 0x800, v0
	s_and_b32 s36, s37, s36
	v_mov_b32_e32 v0, v5
	v_cmp_gt_i32_e64 s1, s4, v15
	v_cmp_le_i32_e64 s2, v8, v15
	v_cmp_le_i32_e64 s4, v8, v22
	s_delay_alu instid0(VALU_DEP_4) | instskip(SKIP_3) | instid1(VALU_DEP_2)
	v_mad_co_u64_u32 v[9:10], null, s29, v15, v[0:1]
	v_mov_b32_e32 v0, v7
	v_add_nc_u32_e32 v10, 16, v8
	s_and_b32 s28, s1, s2
	v_mad_co_u64_u32 v[12:13], null, s29, v22, v[0:1]
	s_delay_alu instid0(VALU_DEP_4)
	v_mov_b32_e32 v5, v9
	v_ashrrev_i32_e32 v9, 31, v8
	v_ashrrev_i32_e32 v11, 31, v10
	v_cmp_le_i32_e64 s2, v10, v15
	v_cmp_le_i32_e64 s5, v10, v22
	v_lshlrev_b64_e32 v[4:5], 3, v[4:5]
	v_mov_b32_e32 v7, v12
	v_lshlrev_b64_e32 v[8:9], 3, v[8:9]
	v_lshlrev_b64_e32 v[10:11], 3, v[10:11]
	v_lshlrev_b32_e32 v22, 3, v14
	s_and_b32 s1, s1, s2
	v_lshlrev_b64_e32 v[6:7], 3, v[6:7]
	s_and_b32 s29, s3, s4
	s_and_b32 s35, s3, s5
	s_lshl_b64 s[2:3], s[22:23], 3
	s_wait_alu 0xfffe
	s_or_b32 s22, s14, s15
	s_lshl_b64 s[4:5], s[16:17], 3
	s_xor_b32 s23, vcc_lo, -1
	s_lshl_b64 s[14:15], s[30:31], 3
                                        ; implicit-def: $vgpr12_vgpr13
	s_branch .LBB511_8
.LBB511_7:                              ;   in Loop: Header=BB511_8 Depth=1
	s_wait_alu 0xfffe
	s_or_b32 exec_lo, exec_lo, s16
	s_add_co_i32 s24, s24, 0x10000
	s_delay_alu instid0(SALU_CYCLE_1)
	s_cmp_lt_u32 s24, s33
	s_cbranch_scc0 .LBB511_42
.LBB511_8:                              ; =>This Loop Header: Depth=1
                                        ;     Child Loop BB511_11 Depth 2
	s_lshl_b64 s[16:17], s[24:25], 3
	s_and_not1_b32 vcc_lo, exec_lo, s36
	s_wait_alu 0xfffe
	s_add_nc_u64 s[30:31], s[26:27], s[16:17]
	global_load_b64 v[14:15], v1, s[30:31]
	s_cbranch_vccnz .LBB511_21
; %bb.9:                                ;   in Loop: Header=BB511_8 Depth=1
	s_add_nc_u64 s[30:31], s[12:13], s[16:17]
	s_add_nc_u64 s[16:17], s[18:19], s[16:17]
	s_clause 0x1
	global_load_b64 v[23:24], v1, s[30:31]
	global_load_b64 v[25:26], v1, s[16:17]
	v_dual_mov_b32 v27, 0 :: v_dual_mov_b32 v28, 0
	v_dual_mov_b32 v30, 0 :: v_dual_mov_b32 v29, 0
	;; [unrolled: 1-line block ×4, first 2 shown]
	s_mov_b64 s[16:17], 0
	s_wait_loadcnt 0x1
	v_add_co_u32 v0, vcc_lo, v23, s4
	s_wait_alu 0xfffd
	v_add_co_ci_u32_e64 v24, null, s5, v24, vcc_lo
	s_wait_loadcnt 0x0
	v_add_co_u32 v25, vcc_lo, v25, s2
	s_wait_alu 0xfffd
	v_add_co_ci_u32_e64 v26, null, s3, v26, vcc_lo
	v_add_co_u32 v23, vcc_lo, v0, v2
	s_wait_alu 0xfffd
	v_add_co_ci_u32_e64 v24, null, v24, v3, vcc_lo
	;; [unrolled: 3-line block ×3, first 2 shown]
	s_branch .LBB511_11
.LBB511_10:                             ;   in Loop: Header=BB511_11 Depth=2
	s_or_b32 exec_lo, exec_lo, s30
	s_wait_dscnt 0x0
	s_barrier_signal -1
	s_barrier_wait -1
	global_inv scope:SCOPE_SE
	ds_load_b128 v[35:38], v21
	ds_load_2addr_b64 v[39:42], v20 offset1:16
	ds_load_b128 v[43:46], v21 offset:1024
	ds_load_b128 v[47:50], v21 offset:16
	;; [unrolled: 1-line block ×4, first 2 shown]
	ds_load_2addr_b64 v[59:62], v20 offset0:32 offset1:48
	ds_load_b128 v[63:66], v21 offset:1040
	s_add_nc_u64 s[16:17], s[16:17], 8
	s_wait_alu 0xfffe
	v_cmp_gt_i64_e64 s30, s[8:9], s[16:17]
	s_and_b32 vcc_lo, exec_lo, s30
	s_wait_dscnt 0x6
	v_dual_mul_f32 v0, v36, v40 :: v_dual_mul_f32 v69, v35, v42
	v_dual_mul_f32 v67, v35, v40 :: v_dual_mul_f32 v68, v36, v42
	s_wait_dscnt 0x5
	v_mul_f32_e32 v71, v44, v42
	s_delay_alu instid0(VALU_DEP_3) | instskip(SKIP_3) | instid1(VALU_DEP_4)
	v_fma_f32 v0, v35, v39, -v0
	v_dual_mul_f32 v42, v43, v42 :: v_dual_fmac_f32 v69, v36, v41
	v_fmac_f32_e32 v67, v36, v39
	v_fma_f32 v35, v35, v41, -v68
	v_add_f32_e32 v0, v33, v0
	v_mul_f32_e32 v70, v44, v40
	s_delay_alu instid0(VALU_DEP_4) | instskip(NEXT) | instid1(VALU_DEP_4)
	v_dual_mul_f32 v40, v43, v40 :: v_dual_add_f32 v33, v34, v67
	v_add_f32_e32 v34, v31, v35
	v_fmac_f32_e32 v42, v44, v41
	s_delay_alu instid0(VALU_DEP_4) | instskip(NEXT) | instid1(VALU_DEP_4)
	v_fma_f32 v36, v43, v39, -v70
	v_fmac_f32_e32 v40, v44, v39
	v_fma_f32 v39, v43, v41, -v71
	s_wait_dscnt 0x1
	v_dual_mul_f32 v41, v37, v60 :: v_dual_add_f32 v32, v32, v69
	v_mul_f32_e32 v43, v38, v62
	v_add_f32_e32 v35, v29, v36
	v_dual_add_f32 v36, v30, v40 :: v_dual_add_f32 v39, v28, v39
	ds_load_2addr_b64 v[28:31], v20 offset0:64 offset1:80
	v_fmac_f32_e32 v41, v38, v59
	v_dual_mul_f32 v40, v38, v60 :: v_dual_add_f32 v27, v27, v42
	v_mul_f32_e32 v42, v37, v62
	s_delay_alu instid0(VALU_DEP_3) | instskip(NEXT) | instid1(VALU_DEP_3)
	v_add_f32_e32 v41, v33, v41
	v_fma_f32 v40, v37, v59, -v40
	v_fma_f32 v37, v37, v61, -v43
	v_mul_f32_e32 v33, v45, v60
	s_delay_alu instid0(VALU_DEP_3) | instskip(SKIP_1) | instid1(VALU_DEP_4)
	v_add_f32_e32 v0, v0, v40
	v_mul_f32_e32 v40, v46, v60
	v_add_f32_e32 v37, v34, v37
	v_fmac_f32_e32 v42, v38, v61
	v_mul_f32_e32 v38, v46, v62
	v_fmac_f32_e32 v33, v46, v59
	v_fma_f32 v34, v45, v59, -v40
	s_delay_alu instid0(VALU_DEP_4) | instskip(SKIP_4) | instid1(VALU_DEP_3)
	v_add_f32_e32 v40, v32, v42
	v_mul_f32_e32 v42, v45, v62
	v_fma_f32 v32, v45, v61, -v38
	s_wait_dscnt 0x0
	v_dual_add_f32 v43, v35, v34 :: v_dual_mul_f32 v34, v48, v29
	v_dual_mul_f32 v45, v48, v31 :: v_dual_fmac_f32 v42, v46, v61
	v_mul_f32_e32 v38, v47, v29
	v_add_f32_e32 v39, v39, v32
	s_delay_alu instid0(VALU_DEP_3) | instskip(SKIP_3) | instid1(VALU_DEP_3)
	v_add_f32_e32 v42, v27, v42
	v_mul_f32_e32 v27, v47, v31
	v_fma_f32 v44, v47, v28, -v34
	v_fmac_f32_e32 v38, v48, v28
	v_fmac_f32_e32 v27, v48, v30
	s_delay_alu instid0(VALU_DEP_3)
	v_add_f32_e32 v0, v0, v44
	v_fma_f32 v44, v47, v30, -v45
	v_add_f32_e32 v36, v36, v33
	ds_load_2addr_b64 v[32:35], v20 offset0:96 offset1:112
	v_dual_add_f32 v38, v41, v38 :: v_dual_mul_f32 v41, v64, v29
	v_mul_f32_e32 v29, v63, v29
	v_dual_add_f32 v37, v37, v44 :: v_dual_mul_f32 v44, v64, v31
	v_mul_f32_e32 v31, v63, v31
	s_delay_alu instid0(VALU_DEP_4) | instskip(NEXT) | instid1(VALU_DEP_4)
	v_fma_f32 v41, v63, v28, -v41
	v_fmac_f32_e32 v29, v64, v28
	v_add_f32_e32 v40, v40, v27
	v_fma_f32 v27, v63, v30, -v44
	v_fmac_f32_e32 v31, v64, v30
	v_add_f32_e32 v41, v43, v41
	s_delay_alu instid0(VALU_DEP_3) | instskip(SKIP_4) | instid1(VALU_DEP_2)
	v_dual_add_f32 v43, v36, v29 :: v_dual_add_f32 v44, v39, v27
	ds_load_2addr_b64 v[27:30], v20 offset0:128 offset1:144
	s_wait_dscnt 0x1
	v_mul_f32_e32 v36, v50, v33
	v_dual_mul_f32 v39, v49, v33 :: v_dual_mul_f32 v48, v66, v35
	v_fma_f32 v36, v49, v32, -v36
	v_mul_f32_e32 v45, v50, v35
	s_delay_alu instid0(VALU_DEP_3) | instskip(NEXT) | instid1(VALU_DEP_3)
	v_fmac_f32_e32 v39, v50, v32
	v_add_f32_e32 v0, v0, v36
	s_delay_alu instid0(VALU_DEP_3) | instskip(SKIP_3) | instid1(VALU_DEP_4)
	v_fma_f32 v45, v49, v34, -v45
	v_add_f32_e32 v42, v42, v31
	v_dual_mul_f32 v31, v49, v35 :: v_dual_mul_f32 v36, v66, v33
	v_dual_add_f32 v46, v38, v39 :: v_dual_mul_f32 v33, v65, v33
	v_add_f32_e32 v45, v37, v45
	s_delay_alu instid0(VALU_DEP_3) | instskip(NEXT) | instid1(VALU_DEP_4)
	v_fmac_f32_e32 v31, v50, v34
	v_fma_f32 v47, v65, v32, -v36
	ds_load_b128 v[36:39], v21 offset:1056
	v_fmac_f32_e32 v33, v66, v32
	s_wait_dscnt 0x1
	v_mul_f32_e32 v32, v52, v28
	v_add_f32_e32 v49, v40, v31
	v_dual_mul_f32 v35, v65, v35 :: v_dual_mul_f32 v50, v51, v28
	s_delay_alu instid0(VALU_DEP_3)
	v_fma_f32 v40, v51, v27, -v32
	v_add_f32_e32 v47, v41, v47
	v_mul_f32_e32 v41, v52, v30
	v_fma_f32 v31, v65, v34, -v48
	v_dual_fmac_f32 v35, v66, v34 :: v_dual_fmac_f32 v50, v52, v27
	v_add_f32_e32 v0, v0, v40
	s_delay_alu instid0(VALU_DEP_4) | instskip(NEXT) | instid1(VALU_DEP_4)
	v_fma_f32 v59, v51, v29, -v41
	v_add_f32_e32 v44, v44, v31
	v_add_f32_e32 v48, v43, v33
	ds_load_2addr_b64 v[31:34], v20 offset0:160 offset1:176
	v_add_f32_e32 v35, v42, v35
	ds_load_b128 v[40:43], v21 offset:1072
	s_wait_dscnt 0x2
	v_dual_mul_f32 v51, v51, v30 :: v_dual_mul_f32 v60, v37, v28
	v_mul_f32_e32 v28, v36, v28
	s_delay_alu instid0(VALU_DEP_2) | instskip(SKIP_1) | instid1(VALU_DEP_3)
	v_dual_add_f32 v46, v46, v50 :: v_dual_fmac_f32 v51, v52, v29
	v_mul_f32_e32 v52, v37, v30
	v_fmac_f32_e32 v28, v37, v27
	v_fma_f32 v50, v36, v27, -v60
	s_delay_alu instid0(VALU_DEP_4) | instskip(SKIP_2) | instid1(VALU_DEP_2)
	v_add_f32_e32 v49, v49, v51
	v_mul_f32_e32 v51, v36, v30
	v_add_f32_e32 v45, v45, v59
	v_fmac_f32_e32 v51, v37, v29
	s_wait_dscnt 0x1
	v_mul_f32_e32 v37, v53, v32
	s_delay_alu instid0(VALU_DEP_1) | instskip(SKIP_4) | instid1(VALU_DEP_4)
	v_fmac_f32_e32 v37, v54, v31
	v_fma_f32 v27, v36, v29, -v52
	v_add_f32_e32 v36, v48, v28
	v_dual_mul_f32 v48, v54, v32 :: v_dual_add_f32 v47, v47, v50
	v_mul_f32_e32 v50, v54, v34
	v_add_f32_e32 v44, v44, v27
	ds_load_2addr_b64 v[27:30], v20 offset0:192 offset1:208
	v_fma_f32 v48, v53, v31, -v48
	v_add_f32_e32 v51, v35, v51
	v_dual_mul_f32 v35, v53, v34 :: v_dual_add_f32 v46, v46, v37
	v_mul_f32_e32 v37, v39, v32
	s_delay_alu instid0(VALU_DEP_4) | instskip(SKIP_4) | instid1(VALU_DEP_4)
	v_add_f32_e32 v0, v0, v48
	v_fma_f32 v48, v53, v33, -v50
	v_mul_f32_e32 v32, v38, v32
	v_fmac_f32_e32 v35, v54, v33
	v_fma_f32 v37, v38, v31, -v37
	v_dual_add_f32 v45, v45, v48 :: v_dual_mul_f32 v48, v39, v34
	s_delay_alu instid0(VALU_DEP_4) | instskip(NEXT) | instid1(VALU_DEP_4)
	v_dual_fmac_f32 v32, v39, v31 :: v_dual_mul_f32 v31, v38, v34
	v_add_f32_e32 v49, v49, v35
	s_delay_alu instid0(VALU_DEP_3) | instskip(NEXT) | instid1(VALU_DEP_3)
	v_fma_f32 v34, v38, v33, -v48
	v_dual_add_f32 v32, v36, v32 :: v_dual_fmac_f32 v31, v39, v33
	s_wait_dscnt 0x0
	s_delay_alu instid0(VALU_DEP_2) | instskip(SKIP_1) | instid1(VALU_DEP_3)
	v_dual_mul_f32 v48, v41, v28 :: v_dual_add_f32 v33, v44, v34
	v_mul_f32_e32 v34, v55, v28
	v_dual_mul_f32 v44, v56, v30 :: v_dual_add_f32 v31, v51, v31
	s_delay_alu instid0(VALU_DEP_2) | instskip(SKIP_1) | instid1(VALU_DEP_3)
	v_fmac_f32_e32 v34, v56, v27
	v_mul_f32_e32 v35, v56, v28
	v_fma_f32 v44, v55, v29, -v44
	v_mul_f32_e32 v28, v40, v28
	s_delay_alu instid0(VALU_DEP_4) | instskip(NEXT) | instid1(VALU_DEP_4)
	v_add_f32_e32 v34, v46, v34
	v_fma_f32 v39, v55, v27, -v35
	v_add_f32_e32 v47, v47, v37
	ds_load_2addr_b64 v[35:38], v20 offset0:224 offset1:240
	v_add_f32_e32 v44, v45, v44
	v_mul_f32_e32 v46, v41, v30
	v_dual_add_f32 v0, v0, v39 :: v_dual_mul_f32 v39, v55, v30
	v_fma_f32 v45, v40, v27, -v48
	v_fmac_f32_e32 v28, v41, v27
	v_mul_f32_e32 v30, v40, v30
	v_fma_f32 v40, v40, v29, -v46
	v_fmac_f32_e32 v39, v56, v29
	s_wait_loadcnt_dscnt 0x0
	s_barrier_signal -1
	v_fmac_f32_e32 v30, v41, v29
	v_add_f32_e32 v40, v33, v40
	v_add_f32_e32 v27, v49, v39
	v_dual_add_f32 v39, v47, v45 :: v_dual_add_f32 v28, v32, v28
	s_barrier_wait -1
	global_inv scope:SCOPE_SE
	v_mul_f32_e32 v29, v57, v36
	v_mul_f32_e32 v33, v58, v38
	s_delay_alu instid0(VALU_DEP_2) | instskip(SKIP_1) | instid1(VALU_DEP_3)
	v_fmac_f32_e32 v29, v58, v35
	v_dual_mul_f32 v32, v58, v36 :: v_dual_add_f32 v41, v31, v30
	v_fma_f32 v31, v57, v37, -v33
	s_delay_alu instid0(VALU_DEP_2) | instskip(NEXT) | instid1(VALU_DEP_2)
	v_fma_f32 v32, v57, v35, -v32
	v_dual_mul_f32 v30, v57, v38 :: v_dual_add_f32 v31, v44, v31
	v_mul_f32_e32 v44, v43, v38
	s_delay_alu instid0(VALU_DEP_3) | instskip(NEXT) | instid1(VALU_DEP_3)
	v_dual_mul_f32 v38, v42, v38 :: v_dual_add_f32 v33, v0, v32
	v_fmac_f32_e32 v30, v58, v37
	s_delay_alu instid0(VALU_DEP_2) | instskip(SKIP_2) | instid1(VALU_DEP_4)
	v_fmac_f32_e32 v38, v43, v37
	v_mul_f32_e32 v0, v43, v36
	v_mul_f32_e32 v36, v42, v36
	v_add_f32_e32 v32, v27, v30
	s_delay_alu instid0(VALU_DEP_4) | instskip(NEXT) | instid1(VALU_DEP_4)
	v_add_f32_e32 v27, v41, v38
	v_fma_f32 v0, v42, v35, -v0
	v_add_f32_e32 v34, v34, v29
	v_fmac_f32_e32 v36, v43, v35
	s_delay_alu instid0(VALU_DEP_3) | instskip(SKIP_1) | instid1(VALU_DEP_3)
	v_add_f32_e32 v29, v39, v0
	v_fma_f32 v0, v42, v37, -v44
	v_add_f32_e32 v30, v28, v36
	s_delay_alu instid0(VALU_DEP_2)
	v_add_f32_e32 v28, v40, v0
	s_wait_alu 0xfffe
	s_cbranch_vccz .LBB511_22
.LBB511_11:                             ;   Parent Loop BB511_8 Depth=1
                                        ; =>  This Inner Loop Header: Depth=2
	s_mov_b32 s30, 0
	s_mov_b32 s37, s34
	s_and_saveexec_b32 s31, s0
	s_cbranch_execnz .LBB511_19
; %bb.12:                               ;   in Loop: Header=BB511_11 Depth=2
	s_or_b32 exec_lo, exec_lo, s31
	s_and_saveexec_b32 s31, s37
	s_delay_alu instid0(SALU_CYCLE_1)
	s_xor_b32 s31, exec_lo, s31
	s_cbranch_execnz .LBB511_20
.LBB511_13:                             ;   in Loop: Header=BB511_11 Depth=2
	s_or_b32 exec_lo, exec_lo, s31
	v_mov_b32_e32 v35, 0
	s_and_saveexec_b32 s31, s30
	s_cbranch_execz .LBB511_15
.LBB511_14:                             ;   in Loop: Header=BB511_11 Depth=2
	v_lshlrev_b64_e32 v[35:36], 3, v[12:13]
	s_delay_alu instid0(VALU_DEP_1) | instskip(SKIP_1) | instid1(VALU_DEP_2)
	v_add_co_u32 v35, vcc_lo, v23, v35
	s_wait_alu 0xfffd
	v_add_co_ci_u32_e64 v36, null, v24, v36, vcc_lo
	flat_load_b64 v[36:37], v[35:36]
	s_wait_loadcnt_dscnt 0x0
	v_xor_b32_e32 v35, 0x80000000, v37
	ds_store_b32 v18, v36
.LBB511_15:                             ;   in Loop: Header=BB511_11 Depth=2
	s_or_b32 exec_lo, exec_lo, s31
	s_wait_alu 0xfffe
	v_add_nc_u32_e32 v0, s16, v16
	ds_store_b32 v18, v35 offset:4
	v_cmp_le_u64_e32 vcc_lo, s[8:9], v[0:1]
	s_or_b32 s30, vcc_lo, s23
	s_delay_alu instid0(SALU_CYCLE_1) | instskip(NEXT) | instid1(SALU_CYCLE_1)
	s_and_saveexec_b32 s31, s30
	s_xor_b32 s30, exec_lo, s31
; %bb.16:                               ;   in Loop: Header=BB511_11 Depth=2
	v_mov_b32_e32 v0, v1
	ds_store_b64 v19, v[0:1]
; %bb.17:                               ;   in Loop: Header=BB511_11 Depth=2
	s_and_not1_saveexec_b32 s30, s30
	s_cbranch_execz .LBB511_10
; %bb.18:                               ;   in Loop: Header=BB511_11 Depth=2
	v_mad_co_u64_u32 v[35:36], null, s20, v0, 0
	s_delay_alu instid0(VALU_DEP_1) | instskip(NEXT) | instid1(VALU_DEP_1)
	v_mad_co_u64_u32 v[36:37], null, s21, v0, v[36:37]
	v_lshlrev_b64_e32 v[35:36], 3, v[35:36]
	s_delay_alu instid0(VALU_DEP_1) | instskip(SKIP_1) | instid1(VALU_DEP_2)
	v_add_co_u32 v35, vcc_lo, v25, v35
	s_wait_alu 0xfffd
	v_add_co_ci_u32_e64 v36, null, v26, v36, vcc_lo
	flat_load_b64 v[35:36], v[35:36]
	s_wait_loadcnt_dscnt 0x0
	ds_store_b64 v19, v[35:36]
	s_branch .LBB511_10
.LBB511_19:                             ;   in Loop: Header=BB511_11 Depth=2
	s_wait_alu 0xfffe
	v_add_nc_u32_e32 v0, s16, v17
	v_mov_b32_e32 v13, v1
	s_and_not1_b32 s37, s34, exec_lo
	s_mov_b32 s30, exec_lo
	s_delay_alu instid0(VALU_DEP_2) | instskip(SKIP_2) | instid1(SALU_CYCLE_1)
	v_cmp_le_u64_e32 vcc_lo, s[8:9], v[0:1]
	v_mov_b32_e32 v12, v0
	s_and_b32 s38, vcc_lo, exec_lo
	s_or_b32 s37, s37, s38
	s_or_b32 exec_lo, exec_lo, s31
	s_and_saveexec_b32 s31, s37
	s_delay_alu instid0(SALU_CYCLE_1)
	s_xor_b32 s31, exec_lo, s31
	s_cbranch_execz .LBB511_13
.LBB511_20:                             ;   in Loop: Header=BB511_11 Depth=2
	s_and_not1_b32 s30, s30, exec_lo
	ds_store_b32 v18, v1
	s_or_b32 exec_lo, exec_lo, s31
	v_mov_b32_e32 v35, 0
	s_and_saveexec_b32 s31, s30
	s_cbranch_execnz .LBB511_14
	s_branch .LBB511_15
.LBB511_21:                             ;   in Loop: Header=BB511_8 Depth=1
	v_dual_mov_b32 v33, v1 :: v_dual_mov_b32 v34, v1
	v_dual_mov_b32 v31, v1 :: v_dual_mov_b32 v32, v1
	v_dual_mov_b32 v29, v1 :: v_dual_mov_b32 v30, v1
	v_dual_mov_b32 v28, v1 :: v_dual_mov_b32 v27, v1
.LBB511_22:                             ;   in Loop: Header=BB511_8 Depth=1
	s_wait_loadcnt 0x0
	s_wait_alu 0xfffe
	v_add_co_u32 v0, vcc_lo, v14, s14
	s_wait_alu 0xfffd
	v_add_co_ci_u32_e64 v23, null, s15, v15, vcc_lo
	s_delay_alu instid0(VALU_DEP_2) | instskip(SKIP_1) | instid1(VALU_DEP_2)
	v_add_co_u32 v24, vcc_lo, v0, v4
	s_wait_alu 0xfffd
	v_add_co_ci_u32_e64 v25, null, v23, v5, vcc_lo
	s_and_saveexec_b32 s16, s28
	s_cbranch_execz .LBB511_27
; %bb.23:                               ;   in Loop: Header=BB511_8 Depth=1
	v_mul_f32_e32 v15, s10, v34
	v_mul_f32_e32 v14, s11, v34
	s_and_b32 vcc_lo, exec_lo, s22
	s_mov_b32 s17, -1
	s_delay_alu instid0(VALU_DEP_2) | instskip(NEXT) | instid1(VALU_DEP_2)
	v_fmac_f32_e32 v15, s11, v33
	v_fma_f32 v14, v33, s10, -v14
	s_wait_alu 0xfffe
	s_cbranch_vccz .LBB511_25
; %bb.24:                               ;   in Loop: Header=BB511_8 Depth=1
	v_add_co_u32 v33, vcc_lo, v24, v8
	s_wait_alu 0xfffd
	v_add_co_ci_u32_e64 v34, null, v25, v9, vcc_lo
	s_mov_b32 s17, 0
	flat_load_b64 v[35:36], v[33:34]
	s_wait_loadcnt_dscnt 0x0
	v_mul_f32_e32 v26, s7, v36
	s_delay_alu instid0(VALU_DEP_1) | instskip(SKIP_1) | instid1(VALU_DEP_1)
	v_fma_f32 v26, v35, s6, -v26
	v_mul_f32_e32 v36, s6, v36
	v_dual_fmac_f32 v36, s7, v35 :: v_dual_add_f32 v35, v14, v26
	s_delay_alu instid0(VALU_DEP_1)
	v_add_f32_e32 v36, v15, v36
	flat_store_b64 v[33:34], v[35:36]
.LBB511_25:                             ;   in Loop: Header=BB511_8 Depth=1
	s_wait_alu 0xfffe
	s_and_not1_b32 vcc_lo, exec_lo, s17
	s_wait_alu 0xfffe
	s_cbranch_vccnz .LBB511_27
; %bb.26:                               ;   in Loop: Header=BB511_8 Depth=1
	v_add_co_u32 v33, vcc_lo, v24, v8
	s_wait_alu 0xfffd
	v_add_co_ci_u32_e64 v34, null, v25, v9, vcc_lo
	flat_store_b64 v[33:34], v[14:15]
.LBB511_27:                             ;   in Loop: Header=BB511_8 Depth=1
	s_wait_alu 0xfffe
	s_or_b32 exec_lo, exec_lo, s16
	s_and_saveexec_b32 s16, s1
	s_cbranch_execz .LBB511_32
; %bb.28:                               ;   in Loop: Header=BB511_8 Depth=1
	v_mul_f32_e32 v15, s10, v32
	v_mul_f32_e32 v14, s11, v32
	s_and_not1_b32 vcc_lo, exec_lo, s22
	s_mov_b32 s17, -1
	s_delay_alu instid0(VALU_DEP_2) | instskip(NEXT) | instid1(VALU_DEP_2)
	v_fmac_f32_e32 v15, s11, v31
	v_fma_f32 v14, v31, s10, -v14
	s_wait_alu 0xfffe
	s_cbranch_vccnz .LBB511_30
; %bb.29:                               ;   in Loop: Header=BB511_8 Depth=1
	v_add_co_u32 v31, vcc_lo, v24, v10
	s_wait_alu 0xfffd
	v_add_co_ci_u32_e64 v32, null, v25, v11, vcc_lo
	s_mov_b32 s17, 0
	flat_load_b64 v[33:34], v[31:32]
	s_wait_loadcnt_dscnt 0x0
	v_mul_f32_e32 v26, s7, v34
	v_mul_f32_e32 v34, s6, v34
	s_delay_alu instid0(VALU_DEP_2) | instskip(NEXT) | instid1(VALU_DEP_1)
	v_fma_f32 v26, v33, s6, -v26
	v_dual_fmac_f32 v34, s7, v33 :: v_dual_add_f32 v33, v14, v26
	s_delay_alu instid0(VALU_DEP_1)
	v_add_f32_e32 v34, v15, v34
	flat_store_b64 v[31:32], v[33:34]
.LBB511_30:                             ;   in Loop: Header=BB511_8 Depth=1
	s_wait_alu 0xfffe
	s_and_not1_b32 vcc_lo, exec_lo, s17
	s_wait_alu 0xfffe
	s_cbranch_vccnz .LBB511_32
; %bb.31:                               ;   in Loop: Header=BB511_8 Depth=1
	v_add_co_u32 v24, vcc_lo, v24, v10
	s_wait_alu 0xfffd
	v_add_co_ci_u32_e64 v25, null, v25, v11, vcc_lo
	flat_store_b64 v[24:25], v[14:15]
.LBB511_32:                             ;   in Loop: Header=BB511_8 Depth=1
	s_wait_alu 0xfffe
	s_or_b32 exec_lo, exec_lo, s16
	v_add_co_u32 v0, vcc_lo, v0, v6
	s_wait_alu 0xfffd
	v_add_co_ci_u32_e64 v23, null, v23, v7, vcc_lo
	s_and_saveexec_b32 s16, s29
	s_cbranch_execz .LBB511_37
; %bb.33:                               ;   in Loop: Header=BB511_8 Depth=1
	v_mul_f32_e32 v15, s10, v30
	v_mul_f32_e32 v14, s11, v30
	s_and_not1_b32 vcc_lo, exec_lo, s22
	s_mov_b32 s17, -1
	s_delay_alu instid0(VALU_DEP_2) | instskip(NEXT) | instid1(VALU_DEP_2)
	v_fmac_f32_e32 v15, s11, v29
	v_fma_f32 v14, v29, s10, -v14
	s_wait_alu 0xfffe
	s_cbranch_vccnz .LBB511_35
; %bb.34:                               ;   in Loop: Header=BB511_8 Depth=1
	v_add_co_u32 v24, vcc_lo, v0, v8
	s_wait_alu 0xfffd
	v_add_co_ci_u32_e64 v25, null, v23, v9, vcc_lo
	s_mov_b32 s17, 0
	flat_load_b64 v[29:30], v[24:25]
	s_wait_loadcnt_dscnt 0x0
	v_mul_f32_e32 v26, s7, v30
	v_mul_f32_e32 v30, s6, v30
	s_delay_alu instid0(VALU_DEP_2) | instskip(NEXT) | instid1(VALU_DEP_1)
	v_fma_f32 v26, v29, s6, -v26
	v_dual_fmac_f32 v30, s7, v29 :: v_dual_add_f32 v29, v14, v26
	s_delay_alu instid0(VALU_DEP_1)
	v_add_f32_e32 v30, v15, v30
	flat_store_b64 v[24:25], v[29:30]
.LBB511_35:                             ;   in Loop: Header=BB511_8 Depth=1
	s_wait_alu 0xfffe
	s_and_not1_b32 vcc_lo, exec_lo, s17
	s_wait_alu 0xfffe
	s_cbranch_vccnz .LBB511_37
; %bb.36:                               ;   in Loop: Header=BB511_8 Depth=1
	v_add_co_u32 v24, vcc_lo, v0, v8
	s_wait_alu 0xfffd
	v_add_co_ci_u32_e64 v25, null, v23, v9, vcc_lo
	flat_store_b64 v[24:25], v[14:15]
.LBB511_37:                             ;   in Loop: Header=BB511_8 Depth=1
	s_wait_alu 0xfffe
	s_or_b32 exec_lo, exec_lo, s16
	s_and_saveexec_b32 s16, s35
	s_cbranch_execz .LBB511_7
; %bb.38:                               ;   in Loop: Header=BB511_8 Depth=1
	v_mul_f32_e32 v15, s10, v27
	v_mul_f32_e32 v14, s11, v27
	s_and_not1_b32 vcc_lo, exec_lo, s22
	s_mov_b32 s17, -1
	s_delay_alu instid0(VALU_DEP_2) | instskip(NEXT) | instid1(VALU_DEP_2)
	v_fmac_f32_e32 v15, s11, v28
	v_fma_f32 v14, v28, s10, -v14
	s_wait_alu 0xfffe
	s_cbranch_vccnz .LBB511_40
; %bb.39:                               ;   in Loop: Header=BB511_8 Depth=1
	v_add_co_u32 v24, vcc_lo, v0, v10
	s_wait_alu 0xfffd
	v_add_co_ci_u32_e64 v25, null, v23, v11, vcc_lo
	s_mov_b32 s17, 0
	flat_load_b64 v[26:27], v[24:25]
	s_wait_loadcnt_dscnt 0x0
	v_mul_f32_e32 v28, s7, v27
	v_mul_f32_e32 v27, s6, v27
	s_delay_alu instid0(VALU_DEP_1) | instskip(NEXT) | instid1(VALU_DEP_3)
	v_fmac_f32_e32 v27, s7, v26
	v_fma_f32 v28, v26, s6, -v28
	s_delay_alu instid0(VALU_DEP_1)
	v_dual_add_f32 v27, v15, v27 :: v_dual_add_f32 v26, v14, v28
	flat_store_b64 v[24:25], v[26:27]
.LBB511_40:                             ;   in Loop: Header=BB511_8 Depth=1
	s_wait_alu 0xfffe
	s_and_not1_b32 vcc_lo, exec_lo, s17
	s_wait_alu 0xfffe
	s_cbranch_vccnz .LBB511_7
; %bb.41:                               ;   in Loop: Header=BB511_8 Depth=1
	v_add_co_u32 v24, vcc_lo, v0, v10
	s_wait_alu 0xfffd
	v_add_co_ci_u32_e64 v25, null, v23, v11, vcc_lo
	flat_store_b64 v[24:25], v[14:15]
	s_branch .LBB511_7
.LBB511_42:
	s_endpgm
	.section	.rodata,"a",@progbits
	.p2align	6, 0x0
	.amdhsa_kernel _ZL29rocblas_internal_gemmt_kernelIlLi16ELi32ELi8ELc67ELc84ELc85ELb1ELb0E19rocblas_complex_numIfEPKS1_PKS3_PKPS1_EviT_T9_T10_S9_lSB_S9_lSA_T11_S9_li
		.amdhsa_group_segment_fixed_size 4096
		.amdhsa_private_segment_fixed_size 0
		.amdhsa_kernarg_size 108
		.amdhsa_user_sgpr_count 2
		.amdhsa_user_sgpr_dispatch_ptr 0
		.amdhsa_user_sgpr_queue_ptr 0
		.amdhsa_user_sgpr_kernarg_segment_ptr 1
		.amdhsa_user_sgpr_dispatch_id 0
		.amdhsa_user_sgpr_private_segment_size 0
		.amdhsa_wavefront_size32 1
		.amdhsa_uses_dynamic_stack 0
		.amdhsa_enable_private_segment 0
		.amdhsa_system_sgpr_workgroup_id_x 1
		.amdhsa_system_sgpr_workgroup_id_y 1
		.amdhsa_system_sgpr_workgroup_id_z 1
		.amdhsa_system_sgpr_workgroup_info 0
		.amdhsa_system_vgpr_workitem_id 1
		.amdhsa_next_free_vgpr 72
		.amdhsa_next_free_sgpr 39
		.amdhsa_reserve_vcc 1
		.amdhsa_float_round_mode_32 0
		.amdhsa_float_round_mode_16_64 0
		.amdhsa_float_denorm_mode_32 3
		.amdhsa_float_denorm_mode_16_64 3
		.amdhsa_fp16_overflow 0
		.amdhsa_workgroup_processor_mode 1
		.amdhsa_memory_ordered 1
		.amdhsa_forward_progress 1
		.amdhsa_inst_pref_size 26
		.amdhsa_round_robin_scheduling 0
		.amdhsa_exception_fp_ieee_invalid_op 0
		.amdhsa_exception_fp_denorm_src 0
		.amdhsa_exception_fp_ieee_div_zero 0
		.amdhsa_exception_fp_ieee_overflow 0
		.amdhsa_exception_fp_ieee_underflow 0
		.amdhsa_exception_fp_ieee_inexact 0
		.amdhsa_exception_int_div_zero 0
	.end_amdhsa_kernel
	.section	.text._ZL29rocblas_internal_gemmt_kernelIlLi16ELi32ELi8ELc67ELc84ELc85ELb1ELb0E19rocblas_complex_numIfEPKS1_PKS3_PKPS1_EviT_T9_T10_S9_lSB_S9_lSA_T11_S9_li,"axG",@progbits,_ZL29rocblas_internal_gemmt_kernelIlLi16ELi32ELi8ELc67ELc84ELc85ELb1ELb0E19rocblas_complex_numIfEPKS1_PKS3_PKPS1_EviT_T9_T10_S9_lSB_S9_lSA_T11_S9_li,comdat
.Lfunc_end511:
	.size	_ZL29rocblas_internal_gemmt_kernelIlLi16ELi32ELi8ELc67ELc84ELc85ELb1ELb0E19rocblas_complex_numIfEPKS1_PKS3_PKPS1_EviT_T9_T10_S9_lSB_S9_lSA_T11_S9_li, .Lfunc_end511-_ZL29rocblas_internal_gemmt_kernelIlLi16ELi32ELi8ELc67ELc84ELc85ELb1ELb0E19rocblas_complex_numIfEPKS1_PKS3_PKPS1_EviT_T9_T10_S9_lSB_S9_lSA_T11_S9_li
                                        ; -- End function
	.set _ZL29rocblas_internal_gemmt_kernelIlLi16ELi32ELi8ELc67ELc84ELc85ELb1ELb0E19rocblas_complex_numIfEPKS1_PKS3_PKPS1_EviT_T9_T10_S9_lSB_S9_lSA_T11_S9_li.num_vgpr, 72
	.set _ZL29rocblas_internal_gemmt_kernelIlLi16ELi32ELi8ELc67ELc84ELc85ELb1ELb0E19rocblas_complex_numIfEPKS1_PKS3_PKPS1_EviT_T9_T10_S9_lSB_S9_lSA_T11_S9_li.num_agpr, 0
	.set _ZL29rocblas_internal_gemmt_kernelIlLi16ELi32ELi8ELc67ELc84ELc85ELb1ELb0E19rocblas_complex_numIfEPKS1_PKS3_PKPS1_EviT_T9_T10_S9_lSB_S9_lSA_T11_S9_li.numbered_sgpr, 39
	.set _ZL29rocblas_internal_gemmt_kernelIlLi16ELi32ELi8ELc67ELc84ELc85ELb1ELb0E19rocblas_complex_numIfEPKS1_PKS3_PKPS1_EviT_T9_T10_S9_lSB_S9_lSA_T11_S9_li.num_named_barrier, 0
	.set _ZL29rocblas_internal_gemmt_kernelIlLi16ELi32ELi8ELc67ELc84ELc85ELb1ELb0E19rocblas_complex_numIfEPKS1_PKS3_PKPS1_EviT_T9_T10_S9_lSB_S9_lSA_T11_S9_li.private_seg_size, 0
	.set _ZL29rocblas_internal_gemmt_kernelIlLi16ELi32ELi8ELc67ELc84ELc85ELb1ELb0E19rocblas_complex_numIfEPKS1_PKS3_PKPS1_EviT_T9_T10_S9_lSB_S9_lSA_T11_S9_li.uses_vcc, 1
	.set _ZL29rocblas_internal_gemmt_kernelIlLi16ELi32ELi8ELc67ELc84ELc85ELb1ELb0E19rocblas_complex_numIfEPKS1_PKS3_PKPS1_EviT_T9_T10_S9_lSB_S9_lSA_T11_S9_li.uses_flat_scratch, 0
	.set _ZL29rocblas_internal_gemmt_kernelIlLi16ELi32ELi8ELc67ELc84ELc85ELb1ELb0E19rocblas_complex_numIfEPKS1_PKS3_PKPS1_EviT_T9_T10_S9_lSB_S9_lSA_T11_S9_li.has_dyn_sized_stack, 0
	.set _ZL29rocblas_internal_gemmt_kernelIlLi16ELi32ELi8ELc67ELc84ELc85ELb1ELb0E19rocblas_complex_numIfEPKS1_PKS3_PKPS1_EviT_T9_T10_S9_lSB_S9_lSA_T11_S9_li.has_recursion, 0
	.set _ZL29rocblas_internal_gemmt_kernelIlLi16ELi32ELi8ELc67ELc84ELc85ELb1ELb0E19rocblas_complex_numIfEPKS1_PKS3_PKPS1_EviT_T9_T10_S9_lSB_S9_lSA_T11_S9_li.has_indirect_call, 0
	.section	.AMDGPU.csdata,"",@progbits
; Kernel info:
; codeLenInByte = 3300
; TotalNumSgprs: 41
; NumVgprs: 72
; ScratchSize: 0
; MemoryBound: 0
; FloatMode: 240
; IeeeMode: 1
; LDSByteSize: 4096 bytes/workgroup (compile time only)
; SGPRBlocks: 0
; VGPRBlocks: 8
; NumSGPRsForWavesPerEU: 41
; NumVGPRsForWavesPerEU: 72
; Occupancy: 16
; WaveLimiterHint : 1
; COMPUTE_PGM_RSRC2:SCRATCH_EN: 0
; COMPUTE_PGM_RSRC2:USER_SGPR: 2
; COMPUTE_PGM_RSRC2:TRAP_HANDLER: 0
; COMPUTE_PGM_RSRC2:TGID_X_EN: 1
; COMPUTE_PGM_RSRC2:TGID_Y_EN: 1
; COMPUTE_PGM_RSRC2:TGID_Z_EN: 1
; COMPUTE_PGM_RSRC2:TIDIG_COMP_CNT: 1
	.section	.text._ZL29rocblas_internal_gemmt_kernelIlLi16ELi32ELi8ELc67ELc67ELc85ELb1ELb1E19rocblas_complex_numIfEPKS1_PKS3_PKPS1_EviT_T9_T10_S9_lSB_S9_lSA_T11_S9_li,"axG",@progbits,_ZL29rocblas_internal_gemmt_kernelIlLi16ELi32ELi8ELc67ELc67ELc85ELb1ELb1E19rocblas_complex_numIfEPKS1_PKS3_PKPS1_EviT_T9_T10_S9_lSB_S9_lSA_T11_S9_li,comdat
	.globl	_ZL29rocblas_internal_gemmt_kernelIlLi16ELi32ELi8ELc67ELc67ELc85ELb1ELb1E19rocblas_complex_numIfEPKS1_PKS3_PKPS1_EviT_T9_T10_S9_lSB_S9_lSA_T11_S9_li ; -- Begin function _ZL29rocblas_internal_gemmt_kernelIlLi16ELi32ELi8ELc67ELc67ELc85ELb1ELb1E19rocblas_complex_numIfEPKS1_PKS3_PKPS1_EviT_T9_T10_S9_lSB_S9_lSA_T11_S9_li
	.p2align	8
	.type	_ZL29rocblas_internal_gemmt_kernelIlLi16ELi32ELi8ELc67ELc67ELc85ELb1ELb1E19rocblas_complex_numIfEPKS1_PKS3_PKPS1_EviT_T9_T10_S9_lSB_S9_lSA_T11_S9_li,@function
_ZL29rocblas_internal_gemmt_kernelIlLi16ELi32ELi8ELc67ELc67ELc85ELb1ELb1E19rocblas_complex_numIfEPKS1_PKS3_PKPS1_EviT_T9_T10_S9_lSB_S9_lSA_T11_S9_li: ; @_ZL29rocblas_internal_gemmt_kernelIlLi16ELi32ELi8ELc67ELc67ELc85ELb1ELb1E19rocblas_complex_numIfEPKS1_PKS3_PKPS1_EviT_T9_T10_S9_lSB_S9_lSA_T11_S9_li
; %bb.0:
	s_load_b256 s[24:31], s[0:1], 0x48
	s_wait_kmcnt 0x0
	s_load_b64 s[6:7], s[24:25], 0x0
	s_load_b512 s[8:23], s[0:1], 0x8
	s_wait_kmcnt 0x0
	s_cmp_eq_f32 s6, 1.0
	s_load_b64 s[10:11], s[10:11], 0x0
	s_cselect_b32 s2, -1, 0
	s_and_b32 s3, s7, 0x7fffffff
	s_delay_alu instid0(SALU_CYCLE_1) | instskip(SKIP_1) | instid1(SALU_CYCLE_1)
	s_cmp_eq_u32 s3, 0
	s_cselect_b32 s3, -1, 0
	s_and_b32 s4, s2, s3
	s_mov_b32 s2, 0
	s_and_not1_b32 vcc_lo, exec_lo, s4
	s_mov_b32 s4, -1
	s_cbranch_vccnz .LBB512_4
; %bb.1:
	s_cmp_lg_u64 s[8:9], 0
	s_cbranch_scc0 .LBB512_3
; %bb.2:
	s_wait_kmcnt 0x0
	s_cmp_neq_f32 s10, 0
	s_cselect_b32 s2, -1, 0
	s_cmp_neq_f32 s11, 0
	s_cselect_b32 s4, -1, 0
	s_delay_alu instid0(SALU_CYCLE_1)
	s_or_b32 s2, s2, s4
.LBB512_3:
	s_delay_alu instid0(SALU_CYCLE_1)
	s_mov_b32 s4, s2
.LBB512_4:
	s_delay_alu instid0(SALU_CYCLE_1)
	s_and_b32 vcc_lo, exec_lo, s4
	s_cbranch_vccz .LBB512_42
; %bb.5:
	s_load_b32 s33, s[0:1], 0x68
	s_lshr_b32 s24, ttmp7, 16
	s_wait_kmcnt 0x0
	s_cmp_ge_u32 s24, s33
	s_cbranch_scc1 .LBB512_42
; %bb.6:
	v_and_b32_e32 v6, 0x3ff, v0
	v_bfe_u32 v11, v0, 10, 10
	s_load_b32 s4, s[0:1], 0x0
	s_lshl_b32 s0, ttmp7, 5
	s_lshl_b32 s1, ttmp9, 5
	s_and_b32 s2, s0, 0x1fffe0
	v_lshl_add_u32 v1, v11, 4, v6
	s_cmp_neq_f32 s10, 0
	v_and_b32_e32 v16, 7, v0
	v_add_nc_u32_e32 v15, s2, v11
	v_lshl_add_u32 v21, v11, 6, 0x800
	v_and_b32_e32 v0, 31, v1
	s_cselect_b32 s0, -1, 0
	s_cmp_neq_f32 s11, 0
	v_lshrrev_b32_e32 v4, 3, v1
	v_lshrrev_b32_e32 v17, 5, v1
	v_or_b32_e32 v2, s1, v0
	s_cselect_b32 s5, -1, 0
	v_add_nc_u32_e32 v22, 16, v15
	s_or_b32 s37, s0, s5
	s_ashr_i32 s5, s1, 31
	v_mul_lo_u32 v1, s15, v2
	s_wait_kmcnt 0x0
	v_cmp_gt_i32_e64 s0, s4, v2
	v_cmp_le_i32_e64 s34, s4, v2
	v_mad_co_u64_u32 v[2:3], null, s14, v2, 0
	v_add_nc_u32_e32 v14, s2, v4
	s_mul_i32 s2, s14, s5
	v_lshlrev_b32_e32 v0, 3, v0
	s_cmp_neq_f32 s6, 0
	v_cmp_gt_i64_e64 s36, s[8:9], 0
	v_cmp_gt_i32_e32 vcc_lo, s4, v14
	s_wait_alu 0xfffe
	v_add3_u32 v3, v3, s2, v1
	v_dual_mov_b32 v1, 0 :: v_dual_lshlrev_b32 v20, 3, v6
	v_add_nc_u32_e32 v8, s1, v6
	v_mad_co_u64_u32 v[6:7], null, s28, v22, 0
	v_lshlrev_b32_e32 v5, 3, v16
	v_lshl_or_b32 v18, v17, 8, v0
	s_cselect_b32 s14, -1, 0
	s_xor_b32 s15, s3, -1
	v_cmp_gt_i32_e64 s3, s4, v22
	v_lshl_or_b32 v0, v4, 6, v5
	v_mad_co_u64_u32 v[4:5], null, s28, v15, 0
	v_lshlrev_b64_e32 v[2:3], 3, v[2:3]
	s_mov_b32 s25, 0
	s_delay_alu instid0(VALU_DEP_3) | instskip(SKIP_1) | instid1(VALU_DEP_3)
	v_add_nc_u32_e32 v19, 0x800, v0
	s_and_b32 s36, s37, s36
	v_mov_b32_e32 v0, v5
	v_cmp_gt_i32_e64 s1, s4, v15
	v_cmp_le_i32_e64 s2, v8, v15
	v_cmp_le_i32_e64 s4, v8, v22
	s_delay_alu instid0(VALU_DEP_4) | instskip(SKIP_3) | instid1(VALU_DEP_2)
	v_mad_co_u64_u32 v[9:10], null, s29, v15, v[0:1]
	v_mov_b32_e32 v0, v7
	v_add_nc_u32_e32 v10, 16, v8
	s_and_b32 s28, s1, s2
	v_mad_co_u64_u32 v[12:13], null, s29, v22, v[0:1]
	s_delay_alu instid0(VALU_DEP_4)
	v_mov_b32_e32 v5, v9
	v_ashrrev_i32_e32 v9, 31, v8
	v_ashrrev_i32_e32 v11, 31, v10
	v_cmp_le_i32_e64 s2, v10, v15
	v_cmp_le_i32_e64 s5, v10, v22
	v_lshlrev_b64_e32 v[4:5], 3, v[4:5]
	v_mov_b32_e32 v7, v12
	v_lshlrev_b64_e32 v[8:9], 3, v[8:9]
	v_lshlrev_b64_e32 v[10:11], 3, v[10:11]
	v_lshlrev_b32_e32 v22, 3, v14
	s_and_b32 s1, s1, s2
	v_lshlrev_b64_e32 v[6:7], 3, v[6:7]
	s_and_b32 s29, s3, s4
	s_and_b32 s35, s3, s5
	s_lshl_b64 s[2:3], s[22:23], 3
	s_wait_alu 0xfffe
	s_or_b32 s22, s14, s15
	s_lshl_b64 s[4:5], s[16:17], 3
	s_xor_b32 s23, vcc_lo, -1
	s_lshl_b64 s[14:15], s[30:31], 3
                                        ; implicit-def: $vgpr12_vgpr13
	s_branch .LBB512_8
.LBB512_7:                              ;   in Loop: Header=BB512_8 Depth=1
	s_wait_alu 0xfffe
	s_or_b32 exec_lo, exec_lo, s16
	s_add_co_i32 s24, s24, 0x10000
	s_delay_alu instid0(SALU_CYCLE_1)
	s_cmp_lt_u32 s24, s33
	s_cbranch_scc0 .LBB512_42
.LBB512_8:                              ; =>This Loop Header: Depth=1
                                        ;     Child Loop BB512_11 Depth 2
	s_lshl_b64 s[16:17], s[24:25], 3
	s_and_not1_b32 vcc_lo, exec_lo, s36
	s_wait_alu 0xfffe
	s_add_nc_u64 s[30:31], s[26:27], s[16:17]
	global_load_b64 v[14:15], v1, s[30:31]
	s_cbranch_vccnz .LBB512_21
; %bb.9:                                ;   in Loop: Header=BB512_8 Depth=1
	s_add_nc_u64 s[30:31], s[12:13], s[16:17]
	s_add_nc_u64 s[16:17], s[18:19], s[16:17]
	s_clause 0x1
	global_load_b64 v[23:24], v1, s[30:31]
	global_load_b64 v[25:26], v1, s[16:17]
	v_dual_mov_b32 v27, 0 :: v_dual_mov_b32 v28, 0
	v_dual_mov_b32 v30, 0 :: v_dual_mov_b32 v29, 0
	;; [unrolled: 1-line block ×4, first 2 shown]
	s_mov_b64 s[16:17], 0
	s_wait_loadcnt 0x1
	v_add_co_u32 v0, vcc_lo, v23, s4
	s_wait_alu 0xfffd
	v_add_co_ci_u32_e64 v24, null, s5, v24, vcc_lo
	s_wait_loadcnt 0x0
	v_add_co_u32 v25, vcc_lo, v25, s2
	s_wait_alu 0xfffd
	v_add_co_ci_u32_e64 v26, null, s3, v26, vcc_lo
	v_add_co_u32 v23, vcc_lo, v0, v2
	s_wait_alu 0xfffd
	v_add_co_ci_u32_e64 v24, null, v24, v3, vcc_lo
	v_add_co_u32 v25, vcc_lo, v25, v22
	s_wait_alu 0xfffd
	v_add_co_ci_u32_e64 v26, null, 0, v26, vcc_lo
	s_branch .LBB512_11
.LBB512_10:                             ;   in Loop: Header=BB512_11 Depth=2
	s_or_b32 exec_lo, exec_lo, s30
	ds_store_b32 v19, v35 offset:4
	s_wait_dscnt 0x0
	s_barrier_signal -1
	s_barrier_wait -1
	global_inv scope:SCOPE_SE
	ds_load_b128 v[35:38], v21
	ds_load_2addr_b64 v[39:42], v20 offset1:16
	ds_load_b128 v[43:46], v21 offset:1024
	ds_load_b128 v[47:50], v21 offset:16
	;; [unrolled: 1-line block ×4, first 2 shown]
	ds_load_2addr_b64 v[59:62], v20 offset0:32 offset1:48
	ds_load_b128 v[63:66], v21 offset:1040
	s_add_nc_u64 s[16:17], s[16:17], 8
	s_wait_alu 0xfffe
	v_cmp_gt_i64_e64 s30, s[8:9], s[16:17]
	s_and_b32 vcc_lo, exec_lo, s30
	s_wait_dscnt 0x6
	v_dual_mul_f32 v0, v36, v40 :: v_dual_mul_f32 v69, v35, v42
	v_dual_mul_f32 v67, v35, v40 :: v_dual_mul_f32 v68, v36, v42
	s_wait_dscnt 0x5
	v_mul_f32_e32 v71, v44, v42
	s_delay_alu instid0(VALU_DEP_3) | instskip(SKIP_3) | instid1(VALU_DEP_4)
	v_fma_f32 v0, v35, v39, -v0
	v_dual_mul_f32 v42, v43, v42 :: v_dual_fmac_f32 v69, v36, v41
	v_fmac_f32_e32 v67, v36, v39
	v_fma_f32 v35, v35, v41, -v68
	v_add_f32_e32 v0, v33, v0
	v_mul_f32_e32 v70, v44, v40
	s_delay_alu instid0(VALU_DEP_4) | instskip(NEXT) | instid1(VALU_DEP_4)
	v_dual_mul_f32 v40, v43, v40 :: v_dual_add_f32 v33, v34, v67
	v_add_f32_e32 v34, v31, v35
	v_fma_f32 v31, v43, v41, -v71
	s_delay_alu instid0(VALU_DEP_4) | instskip(NEXT) | instid1(VALU_DEP_4)
	v_fma_f32 v36, v43, v39, -v70
	v_fmac_f32_e32 v40, v44, v39
	s_wait_dscnt 0x1
	v_dual_add_f32 v32, v32, v69 :: v_dual_mul_f32 v39, v38, v60
	v_dual_fmac_f32 v42, v44, v41 :: v_dual_mul_f32 v43, v38, v62
	v_add_f32_e32 v35, v29, v36
	v_add_f32_e32 v36, v30, v40
	v_dual_add_f32 v40, v28, v31 :: v_dual_mul_f32 v41, v37, v60
	ds_load_2addr_b64 v[28:31], v20 offset0:64 offset1:80
	v_fma_f32 v39, v37, v59, -v39
	v_add_f32_e32 v27, v27, v42
	v_dual_mul_f32 v42, v37, v62 :: v_dual_fmac_f32 v41, v38, v59
	v_fma_f32 v37, v37, v61, -v43
	s_delay_alu instid0(VALU_DEP_4) | instskip(NEXT) | instid1(VALU_DEP_3)
	v_dual_add_f32 v0, v0, v39 :: v_dual_mul_f32 v39, v46, v60
	v_fmac_f32_e32 v42, v38, v61
	s_delay_alu instid0(VALU_DEP_4)
	v_add_f32_e32 v41, v33, v41
	v_mul_f32_e32 v33, v45, v60
	v_add_f32_e32 v37, v34, v37
	v_fma_f32 v34, v45, v59, -v39
	v_mul_f32_e32 v38, v46, v62
	v_add_f32_e32 v39, v32, v42
	v_dual_mul_f32 v42, v45, v62 :: v_dual_fmac_f32 v33, v46, v59
	s_delay_alu instid0(VALU_DEP_4) | instskip(NEXT) | instid1(VALU_DEP_4)
	v_add_f32_e32 v43, v35, v34
	v_fma_f32 v32, v45, v61, -v38
	s_wait_dscnt 0x0
	v_mul_f32_e32 v34, v48, v29
	v_dual_fmac_f32 v42, v46, v61 :: v_dual_mul_f32 v45, v48, v31
	s_delay_alu instid0(VALU_DEP_3) | instskip(SKIP_1) | instid1(VALU_DEP_4)
	v_add_f32_e32 v40, v40, v32
	v_add_f32_e32 v36, v36, v33
	v_fma_f32 v44, v47, v28, -v34
	s_delay_alu instid0(VALU_DEP_4)
	v_add_f32_e32 v42, v27, v42
	v_mul_f32_e32 v27, v47, v31
	v_mul_f32_e32 v38, v47, v29
	ds_load_2addr_b64 v[32:35], v20 offset0:96 offset1:112
	v_add_f32_e32 v0, v0, v44
	v_fma_f32 v44, v47, v30, -v45
	v_fmac_f32_e32 v27, v48, v30
	v_fmac_f32_e32 v38, v48, v28
	s_delay_alu instid0(VALU_DEP_3) | instskip(NEXT) | instid1(VALU_DEP_2)
	v_dual_add_f32 v37, v37, v44 :: v_dual_mul_f32 v44, v64, v31
	v_dual_add_f32 v38, v41, v38 :: v_dual_mul_f32 v41, v64, v29
	v_mul_f32_e32 v29, v63, v29
	v_mul_f32_e32 v31, v63, v31
	v_add_f32_e32 v45, v39, v27
	v_fma_f32 v27, v63, v30, -v44
	v_fma_f32 v41, v63, v28, -v41
	v_fmac_f32_e32 v29, v64, v28
	v_fmac_f32_e32 v31, v64, v30
	s_delay_alu instid0(VALU_DEP_3) | instskip(SKIP_1) | instid1(VALU_DEP_3)
	v_dual_add_f32 v40, v40, v27 :: v_dual_add_f32 v41, v43, v41
	s_wait_dscnt 0x0
	v_dual_add_f32 v43, v36, v29 :: v_dual_mul_f32 v44, v50, v35
	ds_load_2addr_b64 v[27:30], v20 offset0:128 offset1:144
	v_mul_f32_e32 v36, v50, v33
	v_mul_f32_e32 v48, v66, v35
	v_fma_f32 v44, v49, v34, -v44
	s_delay_alu instid0(VALU_DEP_3) | instskip(NEXT) | instid1(VALU_DEP_1)
	v_fma_f32 v36, v49, v32, -v36
	v_add_f32_e32 v0, v0, v36
	v_mul_f32_e32 v36, v66, v33
	v_dual_mul_f32 v39, v49, v33 :: v_dual_add_f32 v42, v42, v31
	v_mul_f32_e32 v31, v49, v35
	v_mul_f32_e32 v33, v65, v33
	s_delay_alu instid0(VALU_DEP_4) | instskip(NEXT) | instid1(VALU_DEP_2)
	v_fma_f32 v47, v65, v32, -v36
	v_fmac_f32_e32 v33, v66, v32
	v_fmac_f32_e32 v39, v50, v32
	s_wait_dscnt 0x0
	v_dual_mul_f32 v32, v52, v28 :: v_dual_fmac_f32 v31, v50, v34
	s_delay_alu instid0(VALU_DEP_1) | instskip(SKIP_1) | instid1(VALU_DEP_2)
	v_dual_mul_f32 v50, v51, v28 :: v_dual_add_f32 v45, v45, v31
	v_fma_f32 v31, v65, v34, -v48
	v_fmac_f32_e32 v50, v52, v27
	v_add_f32_e32 v48, v43, v33
	v_add_f32_e32 v46, v38, v39
	;; [unrolled: 1-line block ×4, first 2 shown]
	v_fma_f32 v40, v51, v27, -v32
	v_mul_f32_e32 v35, v65, v35
	v_mul_f32_e32 v41, v52, v30
	v_add_f32_e32 v46, v46, v50
	s_delay_alu instid0(VALU_DEP_4) | instskip(NEXT) | instid1(VALU_DEP_4)
	v_add_f32_e32 v0, v0, v40
	v_dual_add_f32 v44, v37, v44 :: v_dual_fmac_f32 v35, v66, v34
	ds_load_b128 v[36:39], v21 offset:1056
	ds_load_2addr_b64 v[31:34], v20 offset0:160 offset1:176
	v_fma_f32 v59, v51, v29, -v41
	v_mul_f32_e32 v51, v51, v30
	v_add_f32_e32 v35, v42, v35
	ds_load_b128 v[40:43], v21 offset:1072
	v_add_f32_e32 v44, v44, v59
	s_wait_dscnt 0x2
	v_dual_fmac_f32 v51, v52, v29 :: v_dual_mul_f32 v52, v37, v30
	v_mul_f32_e32 v60, v37, v28
	v_mul_f32_e32 v28, v36, v28
	s_delay_alu instid0(VALU_DEP_2) | instskip(NEXT) | instid1(VALU_DEP_2)
	v_fma_f32 v50, v36, v27, -v60
	v_fmac_f32_e32 v28, v37, v27
	v_add_f32_e32 v45, v45, v51
	v_mul_f32_e32 v51, v36, v30
	v_fma_f32 v27, v36, v29, -v52
	s_delay_alu instid0(VALU_DEP_4) | instskip(SKIP_1) | instid1(VALU_DEP_3)
	v_dual_add_f32 v47, v47, v50 :: v_dual_add_f32 v36, v48, v28
	s_wait_dscnt 0x1
	v_dual_mul_f32 v48, v54, v32 :: v_dual_fmac_f32 v51, v37, v29
	v_dual_mul_f32 v50, v54, v34 :: v_dual_mul_f32 v37, v53, v32
	s_delay_alu instid0(VALU_DEP_2) | instskip(SKIP_4) | instid1(VALU_DEP_1)
	v_fma_f32 v48, v53, v31, -v48
	v_add_f32_e32 v49, v49, v27
	ds_load_2addr_b64 v[27:30], v20 offset0:192 offset1:208
	v_add_f32_e32 v0, v0, v48
	v_fma_f32 v48, v53, v33, -v50
	v_add_f32_e32 v44, v44, v48
	v_dual_mul_f32 v48, v39, v34 :: v_dual_fmac_f32 v37, v54, v31
	v_add_f32_e32 v51, v35, v51
	s_delay_alu instid0(VALU_DEP_2) | instskip(SKIP_2) | instid1(VALU_DEP_3)
	v_dual_mul_f32 v35, v53, v34 :: v_dual_add_f32 v46, v46, v37
	v_mul_f32_e32 v37, v39, v32
	v_mul_f32_e32 v32, v38, v32
	v_fmac_f32_e32 v35, v54, v33
	s_delay_alu instid0(VALU_DEP_3) | instskip(NEXT) | instid1(VALU_DEP_3)
	v_fma_f32 v37, v38, v31, -v37
	v_dual_fmac_f32 v32, v39, v31 :: v_dual_mul_f32 v31, v38, v34
	v_fma_f32 v34, v38, v33, -v48
	s_wait_dscnt 0x0
	v_dual_add_f32 v45, v45, v35 :: v_dual_mul_f32 v48, v56, v30
	s_delay_alu instid0(VALU_DEP_3) | instskip(NEXT) | instid1(VALU_DEP_3)
	v_dual_add_f32 v32, v36, v32 :: v_dual_fmac_f32 v31, v39, v33
	v_dual_add_f32 v33, v49, v34 :: v_dual_mul_f32 v34, v55, v28
	v_add_f32_e32 v47, v47, v37
	s_delay_alu instid0(VALU_DEP_4) | instskip(NEXT) | instid1(VALU_DEP_3)
	v_fma_f32 v48, v55, v29, -v48
	v_dual_mul_f32 v49, v41, v28 :: v_dual_fmac_f32 v34, v56, v27
	v_mul_f32_e32 v35, v56, v28
	v_mul_f32_e32 v28, v40, v28
	s_delay_alu instid0(VALU_DEP_4)
	v_add_f32_e32 v44, v44, v48
	v_mul_f32_e32 v48, v41, v30
	v_add_f32_e32 v34, v46, v34
	v_fma_f32 v39, v55, v27, -v35
	ds_load_2addr_b64 v[35:38], v20 offset0:224 offset1:240
	v_fmac_f32_e32 v28, v41, v27
	s_wait_loadcnt_dscnt 0x0
	s_barrier_signal -1
	v_dual_add_f32 v0, v0, v39 :: v_dual_mul_f32 v39, v55, v30
	v_dual_add_f32 v31, v51, v31 :: v_dual_mul_f32 v30, v40, v30
	v_fma_f32 v46, v40, v27, -v49
	v_fma_f32 v40, v40, v29, -v48
	s_delay_alu instid0(VALU_DEP_4)
	v_fmac_f32_e32 v39, v56, v29
	v_add_f32_e32 v28, v32, v28
	v_fmac_f32_e32 v30, v41, v29
	s_barrier_wait -1
	v_add_f32_e32 v40, v33, v40
	v_add_f32_e32 v27, v45, v39
	;; [unrolled: 1-line block ×3, first 2 shown]
	global_inv scope:SCOPE_SE
	v_mul_f32_e32 v32, v58, v36
	v_mul_f32_e32 v33, v58, v38
	v_add_f32_e32 v41, v31, v30
	s_delay_alu instid0(VALU_DEP_3) | instskip(SKIP_1) | instid1(VALU_DEP_4)
	v_fma_f32 v32, v57, v35, -v32
	v_mul_f32_e32 v30, v57, v38
	v_fma_f32 v31, v57, v37, -v33
	s_delay_alu instid0(VALU_DEP_3) | instskip(NEXT) | instid1(VALU_DEP_3)
	v_add_f32_e32 v33, v0, v32
	v_dual_mul_f32 v29, v57, v36 :: v_dual_fmac_f32 v30, v58, v37
	s_delay_alu instid0(VALU_DEP_3) | instskip(NEXT) | instid1(VALU_DEP_2)
	v_dual_mul_f32 v0, v43, v36 :: v_dual_add_f32 v31, v44, v31
	v_dual_mul_f32 v44, v43, v38 :: v_dual_fmac_f32 v29, v58, v35
	s_delay_alu instid0(VALU_DEP_3) | instskip(NEXT) | instid1(VALU_DEP_3)
	v_add_f32_e32 v32, v27, v30
	v_fma_f32 v0, v42, v35, -v0
	v_mul_f32_e32 v38, v42, v38
	s_delay_alu instid0(VALU_DEP_2) | instskip(NEXT) | instid1(VALU_DEP_2)
	v_dual_add_f32 v34, v34, v29 :: v_dual_add_f32 v29, v39, v0
	v_fmac_f32_e32 v38, v43, v37
	v_mul_f32_e32 v36, v42, v36
	v_fma_f32 v0, v42, v37, -v44
	s_delay_alu instid0(VALU_DEP_2) | instskip(NEXT) | instid1(VALU_DEP_1)
	v_dual_add_f32 v27, v41, v38 :: v_dual_fmac_f32 v36, v43, v35
	v_add_f32_e32 v30, v28, v36
	s_delay_alu instid0(VALU_DEP_3)
	v_add_f32_e32 v28, v40, v0
	s_wait_alu 0xfffe
	s_cbranch_vccz .LBB512_22
.LBB512_11:                             ;   Parent Loop BB512_8 Depth=1
                                        ; =>  This Inner Loop Header: Depth=2
	s_mov_b32 s30, 0
	s_mov_b32 s37, s34
	s_and_saveexec_b32 s31, s0
	s_cbranch_execnz .LBB512_19
; %bb.12:                               ;   in Loop: Header=BB512_11 Depth=2
	s_or_b32 exec_lo, exec_lo, s31
	s_and_saveexec_b32 s31, s37
	s_delay_alu instid0(SALU_CYCLE_1)
	s_xor_b32 s31, exec_lo, s31
	s_cbranch_execnz .LBB512_20
.LBB512_13:                             ;   in Loop: Header=BB512_11 Depth=2
	s_or_b32 exec_lo, exec_lo, s31
	v_mov_b32_e32 v35, 0
	s_and_saveexec_b32 s31, s30
	s_cbranch_execz .LBB512_15
.LBB512_14:                             ;   in Loop: Header=BB512_11 Depth=2
	v_lshlrev_b64_e32 v[35:36], 3, v[12:13]
	s_delay_alu instid0(VALU_DEP_1) | instskip(SKIP_1) | instid1(VALU_DEP_2)
	v_add_co_u32 v35, vcc_lo, v23, v35
	s_wait_alu 0xfffd
	v_add_co_ci_u32_e64 v36, null, v24, v36, vcc_lo
	flat_load_b64 v[36:37], v[35:36]
	s_wait_loadcnt_dscnt 0x0
	v_xor_b32_e32 v35, 0x80000000, v37
	ds_store_b32 v18, v36
.LBB512_15:                             ;   in Loop: Header=BB512_11 Depth=2
	s_or_b32 exec_lo, exec_lo, s31
	s_wait_alu 0xfffe
	v_add_nc_u32_e32 v0, s16, v16
	ds_store_b32 v18, v35 offset:4
	v_cmp_le_u64_e32 vcc_lo, s[8:9], v[0:1]
	s_or_b32 s30, vcc_lo, s23
	s_delay_alu instid0(SALU_CYCLE_1) | instskip(NEXT) | instid1(SALU_CYCLE_1)
	s_and_saveexec_b32 s31, s30
	s_xor_b32 s30, exec_lo, s31
; %bb.16:                               ;   in Loop: Header=BB512_11 Depth=2
	ds_store_b32 v19, v1
; %bb.17:                               ;   in Loop: Header=BB512_11 Depth=2
	s_or_saveexec_b32 s30, s30
	v_mov_b32_e32 v35, 0
	s_xor_b32 exec_lo, exec_lo, s30
	s_cbranch_execz .LBB512_10
; %bb.18:                               ;   in Loop: Header=BB512_11 Depth=2
	v_mad_co_u64_u32 v[35:36], null, s20, v0, 0
	s_delay_alu instid0(VALU_DEP_1) | instskip(NEXT) | instid1(VALU_DEP_1)
	v_mad_co_u64_u32 v[36:37], null, s21, v0, v[36:37]
	v_lshlrev_b64_e32 v[35:36], 3, v[35:36]
	s_delay_alu instid0(VALU_DEP_1) | instskip(SKIP_1) | instid1(VALU_DEP_2)
	v_add_co_u32 v35, vcc_lo, v25, v35
	s_wait_alu 0xfffd
	v_add_co_ci_u32_e64 v36, null, v26, v36, vcc_lo
	flat_load_b64 v[36:37], v[35:36]
	s_wait_loadcnt_dscnt 0x0
	v_xor_b32_e32 v35, 0x80000000, v37
	ds_store_b32 v19, v36
	s_branch .LBB512_10
.LBB512_19:                             ;   in Loop: Header=BB512_11 Depth=2
	s_wait_alu 0xfffe
	v_add_nc_u32_e32 v0, s16, v17
	v_mov_b32_e32 v13, v1
	s_and_not1_b32 s37, s34, exec_lo
	s_mov_b32 s30, exec_lo
	s_delay_alu instid0(VALU_DEP_2) | instskip(SKIP_2) | instid1(SALU_CYCLE_1)
	v_cmp_le_u64_e32 vcc_lo, s[8:9], v[0:1]
	v_mov_b32_e32 v12, v0
	s_and_b32 s38, vcc_lo, exec_lo
	s_or_b32 s37, s37, s38
	s_or_b32 exec_lo, exec_lo, s31
	s_and_saveexec_b32 s31, s37
	s_delay_alu instid0(SALU_CYCLE_1)
	s_xor_b32 s31, exec_lo, s31
	s_cbranch_execz .LBB512_13
.LBB512_20:                             ;   in Loop: Header=BB512_11 Depth=2
	s_and_not1_b32 s30, s30, exec_lo
	ds_store_b32 v18, v1
	s_or_b32 exec_lo, exec_lo, s31
	v_mov_b32_e32 v35, 0
	s_and_saveexec_b32 s31, s30
	s_cbranch_execnz .LBB512_14
	s_branch .LBB512_15
.LBB512_21:                             ;   in Loop: Header=BB512_8 Depth=1
	v_dual_mov_b32 v33, v1 :: v_dual_mov_b32 v34, v1
	v_dual_mov_b32 v31, v1 :: v_dual_mov_b32 v32, v1
	;; [unrolled: 1-line block ×4, first 2 shown]
.LBB512_22:                             ;   in Loop: Header=BB512_8 Depth=1
	s_wait_loadcnt 0x0
	s_wait_alu 0xfffe
	v_add_co_u32 v0, vcc_lo, v14, s14
	s_wait_alu 0xfffd
	v_add_co_ci_u32_e64 v23, null, s15, v15, vcc_lo
	s_delay_alu instid0(VALU_DEP_2) | instskip(SKIP_1) | instid1(VALU_DEP_2)
	v_add_co_u32 v24, vcc_lo, v0, v4
	s_wait_alu 0xfffd
	v_add_co_ci_u32_e64 v25, null, v23, v5, vcc_lo
	s_and_saveexec_b32 s16, s28
	s_cbranch_execz .LBB512_27
; %bb.23:                               ;   in Loop: Header=BB512_8 Depth=1
	v_mul_f32_e32 v15, s10, v34
	v_mul_f32_e32 v14, s11, v34
	s_and_b32 vcc_lo, exec_lo, s22
	s_mov_b32 s17, -1
	s_delay_alu instid0(VALU_DEP_2) | instskip(NEXT) | instid1(VALU_DEP_2)
	v_fmac_f32_e32 v15, s11, v33
	v_fma_f32 v14, v33, s10, -v14
	s_wait_alu 0xfffe
	s_cbranch_vccz .LBB512_25
; %bb.24:                               ;   in Loop: Header=BB512_8 Depth=1
	v_add_co_u32 v33, vcc_lo, v24, v8
	s_wait_alu 0xfffd
	v_add_co_ci_u32_e64 v34, null, v25, v9, vcc_lo
	s_mov_b32 s17, 0
	flat_load_b64 v[35:36], v[33:34]
	s_wait_loadcnt_dscnt 0x0
	v_mul_f32_e32 v26, s7, v36
	s_delay_alu instid0(VALU_DEP_1) | instskip(SKIP_1) | instid1(VALU_DEP_1)
	v_fma_f32 v26, v35, s6, -v26
	v_mul_f32_e32 v36, s6, v36
	v_dual_fmac_f32 v36, s7, v35 :: v_dual_add_f32 v35, v14, v26
	s_delay_alu instid0(VALU_DEP_1)
	v_add_f32_e32 v36, v15, v36
	flat_store_b64 v[33:34], v[35:36]
.LBB512_25:                             ;   in Loop: Header=BB512_8 Depth=1
	s_wait_alu 0xfffe
	s_and_not1_b32 vcc_lo, exec_lo, s17
	s_wait_alu 0xfffe
	s_cbranch_vccnz .LBB512_27
; %bb.26:                               ;   in Loop: Header=BB512_8 Depth=1
	v_add_co_u32 v33, vcc_lo, v24, v8
	s_wait_alu 0xfffd
	v_add_co_ci_u32_e64 v34, null, v25, v9, vcc_lo
	flat_store_b64 v[33:34], v[14:15]
.LBB512_27:                             ;   in Loop: Header=BB512_8 Depth=1
	s_wait_alu 0xfffe
	s_or_b32 exec_lo, exec_lo, s16
	s_and_saveexec_b32 s16, s1
	s_cbranch_execz .LBB512_32
; %bb.28:                               ;   in Loop: Header=BB512_8 Depth=1
	v_mul_f32_e32 v15, s10, v32
	v_mul_f32_e32 v14, s11, v32
	s_and_not1_b32 vcc_lo, exec_lo, s22
	s_mov_b32 s17, -1
	s_delay_alu instid0(VALU_DEP_2) | instskip(NEXT) | instid1(VALU_DEP_2)
	v_fmac_f32_e32 v15, s11, v31
	v_fma_f32 v14, v31, s10, -v14
	s_wait_alu 0xfffe
	s_cbranch_vccnz .LBB512_30
; %bb.29:                               ;   in Loop: Header=BB512_8 Depth=1
	v_add_co_u32 v31, vcc_lo, v24, v10
	s_wait_alu 0xfffd
	v_add_co_ci_u32_e64 v32, null, v25, v11, vcc_lo
	s_mov_b32 s17, 0
	flat_load_b64 v[33:34], v[31:32]
	s_wait_loadcnt_dscnt 0x0
	v_mul_f32_e32 v26, s7, v34
	v_mul_f32_e32 v34, s6, v34
	s_delay_alu instid0(VALU_DEP_2) | instskip(NEXT) | instid1(VALU_DEP_1)
	v_fma_f32 v26, v33, s6, -v26
	v_dual_fmac_f32 v34, s7, v33 :: v_dual_add_f32 v33, v14, v26
	s_delay_alu instid0(VALU_DEP_1)
	v_add_f32_e32 v34, v15, v34
	flat_store_b64 v[31:32], v[33:34]
.LBB512_30:                             ;   in Loop: Header=BB512_8 Depth=1
	s_wait_alu 0xfffe
	s_and_not1_b32 vcc_lo, exec_lo, s17
	s_wait_alu 0xfffe
	s_cbranch_vccnz .LBB512_32
; %bb.31:                               ;   in Loop: Header=BB512_8 Depth=1
	v_add_co_u32 v24, vcc_lo, v24, v10
	s_wait_alu 0xfffd
	v_add_co_ci_u32_e64 v25, null, v25, v11, vcc_lo
	flat_store_b64 v[24:25], v[14:15]
.LBB512_32:                             ;   in Loop: Header=BB512_8 Depth=1
	s_wait_alu 0xfffe
	s_or_b32 exec_lo, exec_lo, s16
	v_add_co_u32 v0, vcc_lo, v0, v6
	s_wait_alu 0xfffd
	v_add_co_ci_u32_e64 v23, null, v23, v7, vcc_lo
	s_and_saveexec_b32 s16, s29
	s_cbranch_execz .LBB512_37
; %bb.33:                               ;   in Loop: Header=BB512_8 Depth=1
	v_mul_f32_e32 v15, s10, v30
	v_mul_f32_e32 v14, s11, v30
	s_and_not1_b32 vcc_lo, exec_lo, s22
	s_mov_b32 s17, -1
	s_delay_alu instid0(VALU_DEP_2) | instskip(NEXT) | instid1(VALU_DEP_2)
	v_fmac_f32_e32 v15, s11, v29
	v_fma_f32 v14, v29, s10, -v14
	s_wait_alu 0xfffe
	s_cbranch_vccnz .LBB512_35
; %bb.34:                               ;   in Loop: Header=BB512_8 Depth=1
	v_add_co_u32 v24, vcc_lo, v0, v8
	s_wait_alu 0xfffd
	v_add_co_ci_u32_e64 v25, null, v23, v9, vcc_lo
	s_mov_b32 s17, 0
	flat_load_b64 v[29:30], v[24:25]
	s_wait_loadcnt_dscnt 0x0
	v_mul_f32_e32 v26, s7, v30
	v_mul_f32_e32 v30, s6, v30
	s_delay_alu instid0(VALU_DEP_2) | instskip(NEXT) | instid1(VALU_DEP_1)
	v_fma_f32 v26, v29, s6, -v26
	v_dual_fmac_f32 v30, s7, v29 :: v_dual_add_f32 v29, v14, v26
	s_delay_alu instid0(VALU_DEP_1)
	v_add_f32_e32 v30, v15, v30
	flat_store_b64 v[24:25], v[29:30]
.LBB512_35:                             ;   in Loop: Header=BB512_8 Depth=1
	s_wait_alu 0xfffe
	s_and_not1_b32 vcc_lo, exec_lo, s17
	s_wait_alu 0xfffe
	s_cbranch_vccnz .LBB512_37
; %bb.36:                               ;   in Loop: Header=BB512_8 Depth=1
	v_add_co_u32 v24, vcc_lo, v0, v8
	s_wait_alu 0xfffd
	v_add_co_ci_u32_e64 v25, null, v23, v9, vcc_lo
	flat_store_b64 v[24:25], v[14:15]
.LBB512_37:                             ;   in Loop: Header=BB512_8 Depth=1
	s_wait_alu 0xfffe
	s_or_b32 exec_lo, exec_lo, s16
	s_and_saveexec_b32 s16, s35
	s_cbranch_execz .LBB512_7
; %bb.38:                               ;   in Loop: Header=BB512_8 Depth=1
	v_mul_f32_e32 v15, s10, v27
	v_mul_f32_e32 v14, s11, v27
	s_and_not1_b32 vcc_lo, exec_lo, s22
	s_mov_b32 s17, -1
	s_delay_alu instid0(VALU_DEP_2) | instskip(NEXT) | instid1(VALU_DEP_2)
	v_fmac_f32_e32 v15, s11, v28
	v_fma_f32 v14, v28, s10, -v14
	s_wait_alu 0xfffe
	s_cbranch_vccnz .LBB512_40
; %bb.39:                               ;   in Loop: Header=BB512_8 Depth=1
	v_add_co_u32 v24, vcc_lo, v0, v10
	s_wait_alu 0xfffd
	v_add_co_ci_u32_e64 v25, null, v23, v11, vcc_lo
	s_mov_b32 s17, 0
	flat_load_b64 v[26:27], v[24:25]
	s_wait_loadcnt_dscnt 0x0
	v_mul_f32_e32 v28, s7, v27
	v_mul_f32_e32 v27, s6, v27
	s_delay_alu instid0(VALU_DEP_1) | instskip(NEXT) | instid1(VALU_DEP_3)
	v_fmac_f32_e32 v27, s7, v26
	v_fma_f32 v28, v26, s6, -v28
	s_delay_alu instid0(VALU_DEP_1)
	v_dual_add_f32 v27, v15, v27 :: v_dual_add_f32 v26, v14, v28
	flat_store_b64 v[24:25], v[26:27]
.LBB512_40:                             ;   in Loop: Header=BB512_8 Depth=1
	s_wait_alu 0xfffe
	s_and_not1_b32 vcc_lo, exec_lo, s17
	s_wait_alu 0xfffe
	s_cbranch_vccnz .LBB512_7
; %bb.41:                               ;   in Loop: Header=BB512_8 Depth=1
	v_add_co_u32 v24, vcc_lo, v0, v10
	s_wait_alu 0xfffd
	v_add_co_ci_u32_e64 v25, null, v23, v11, vcc_lo
	flat_store_b64 v[24:25], v[14:15]
	s_branch .LBB512_7
.LBB512_42:
	s_endpgm
	.section	.rodata,"a",@progbits
	.p2align	6, 0x0
	.amdhsa_kernel _ZL29rocblas_internal_gemmt_kernelIlLi16ELi32ELi8ELc67ELc67ELc85ELb1ELb1E19rocblas_complex_numIfEPKS1_PKS3_PKPS1_EviT_T9_T10_S9_lSB_S9_lSA_T11_S9_li
		.amdhsa_group_segment_fixed_size 4096
		.amdhsa_private_segment_fixed_size 0
		.amdhsa_kernarg_size 108
		.amdhsa_user_sgpr_count 2
		.amdhsa_user_sgpr_dispatch_ptr 0
		.amdhsa_user_sgpr_queue_ptr 0
		.amdhsa_user_sgpr_kernarg_segment_ptr 1
		.amdhsa_user_sgpr_dispatch_id 0
		.amdhsa_user_sgpr_private_segment_size 0
		.amdhsa_wavefront_size32 1
		.amdhsa_uses_dynamic_stack 0
		.amdhsa_enable_private_segment 0
		.amdhsa_system_sgpr_workgroup_id_x 1
		.amdhsa_system_sgpr_workgroup_id_y 1
		.amdhsa_system_sgpr_workgroup_id_z 1
		.amdhsa_system_sgpr_workgroup_info 0
		.amdhsa_system_vgpr_workitem_id 1
		.amdhsa_next_free_vgpr 72
		.amdhsa_next_free_sgpr 39
		.amdhsa_reserve_vcc 1
		.amdhsa_float_round_mode_32 0
		.amdhsa_float_round_mode_16_64 0
		.amdhsa_float_denorm_mode_32 3
		.amdhsa_float_denorm_mode_16_64 3
		.amdhsa_fp16_overflow 0
		.amdhsa_workgroup_processor_mode 1
		.amdhsa_memory_ordered 1
		.amdhsa_forward_progress 1
		.amdhsa_inst_pref_size 26
		.amdhsa_round_robin_scheduling 0
		.amdhsa_exception_fp_ieee_invalid_op 0
		.amdhsa_exception_fp_denorm_src 0
		.amdhsa_exception_fp_ieee_div_zero 0
		.amdhsa_exception_fp_ieee_overflow 0
		.amdhsa_exception_fp_ieee_underflow 0
		.amdhsa_exception_fp_ieee_inexact 0
		.amdhsa_exception_int_div_zero 0
	.end_amdhsa_kernel
	.section	.text._ZL29rocblas_internal_gemmt_kernelIlLi16ELi32ELi8ELc67ELc67ELc85ELb1ELb1E19rocblas_complex_numIfEPKS1_PKS3_PKPS1_EviT_T9_T10_S9_lSB_S9_lSA_T11_S9_li,"axG",@progbits,_ZL29rocblas_internal_gemmt_kernelIlLi16ELi32ELi8ELc67ELc67ELc85ELb1ELb1E19rocblas_complex_numIfEPKS1_PKS3_PKPS1_EviT_T9_T10_S9_lSB_S9_lSA_T11_S9_li,comdat
.Lfunc_end512:
	.size	_ZL29rocblas_internal_gemmt_kernelIlLi16ELi32ELi8ELc67ELc67ELc85ELb1ELb1E19rocblas_complex_numIfEPKS1_PKS3_PKPS1_EviT_T9_T10_S9_lSB_S9_lSA_T11_S9_li, .Lfunc_end512-_ZL29rocblas_internal_gemmt_kernelIlLi16ELi32ELi8ELc67ELc67ELc85ELb1ELb1E19rocblas_complex_numIfEPKS1_PKS3_PKPS1_EviT_T9_T10_S9_lSB_S9_lSA_T11_S9_li
                                        ; -- End function
	.set _ZL29rocblas_internal_gemmt_kernelIlLi16ELi32ELi8ELc67ELc67ELc85ELb1ELb1E19rocblas_complex_numIfEPKS1_PKS3_PKPS1_EviT_T9_T10_S9_lSB_S9_lSA_T11_S9_li.num_vgpr, 72
	.set _ZL29rocblas_internal_gemmt_kernelIlLi16ELi32ELi8ELc67ELc67ELc85ELb1ELb1E19rocblas_complex_numIfEPKS1_PKS3_PKPS1_EviT_T9_T10_S9_lSB_S9_lSA_T11_S9_li.num_agpr, 0
	.set _ZL29rocblas_internal_gemmt_kernelIlLi16ELi32ELi8ELc67ELc67ELc85ELb1ELb1E19rocblas_complex_numIfEPKS1_PKS3_PKPS1_EviT_T9_T10_S9_lSB_S9_lSA_T11_S9_li.numbered_sgpr, 39
	.set _ZL29rocblas_internal_gemmt_kernelIlLi16ELi32ELi8ELc67ELc67ELc85ELb1ELb1E19rocblas_complex_numIfEPKS1_PKS3_PKPS1_EviT_T9_T10_S9_lSB_S9_lSA_T11_S9_li.num_named_barrier, 0
	.set _ZL29rocblas_internal_gemmt_kernelIlLi16ELi32ELi8ELc67ELc67ELc85ELb1ELb1E19rocblas_complex_numIfEPKS1_PKS3_PKPS1_EviT_T9_T10_S9_lSB_S9_lSA_T11_S9_li.private_seg_size, 0
	.set _ZL29rocblas_internal_gemmt_kernelIlLi16ELi32ELi8ELc67ELc67ELc85ELb1ELb1E19rocblas_complex_numIfEPKS1_PKS3_PKPS1_EviT_T9_T10_S9_lSB_S9_lSA_T11_S9_li.uses_vcc, 1
	.set _ZL29rocblas_internal_gemmt_kernelIlLi16ELi32ELi8ELc67ELc67ELc85ELb1ELb1E19rocblas_complex_numIfEPKS1_PKS3_PKPS1_EviT_T9_T10_S9_lSB_S9_lSA_T11_S9_li.uses_flat_scratch, 0
	.set _ZL29rocblas_internal_gemmt_kernelIlLi16ELi32ELi8ELc67ELc67ELc85ELb1ELb1E19rocblas_complex_numIfEPKS1_PKS3_PKPS1_EviT_T9_T10_S9_lSB_S9_lSA_T11_S9_li.has_dyn_sized_stack, 0
	.set _ZL29rocblas_internal_gemmt_kernelIlLi16ELi32ELi8ELc67ELc67ELc85ELb1ELb1E19rocblas_complex_numIfEPKS1_PKS3_PKPS1_EviT_T9_T10_S9_lSB_S9_lSA_T11_S9_li.has_recursion, 0
	.set _ZL29rocblas_internal_gemmt_kernelIlLi16ELi32ELi8ELc67ELc67ELc85ELb1ELb1E19rocblas_complex_numIfEPKS1_PKS3_PKPS1_EviT_T9_T10_S9_lSB_S9_lSA_T11_S9_li.has_indirect_call, 0
	.section	.AMDGPU.csdata,"",@progbits
; Kernel info:
; codeLenInByte = 3316
; TotalNumSgprs: 41
; NumVgprs: 72
; ScratchSize: 0
; MemoryBound: 0
; FloatMode: 240
; IeeeMode: 1
; LDSByteSize: 4096 bytes/workgroup (compile time only)
; SGPRBlocks: 0
; VGPRBlocks: 8
; NumSGPRsForWavesPerEU: 41
; NumVGPRsForWavesPerEU: 72
; Occupancy: 16
; WaveLimiterHint : 1
; COMPUTE_PGM_RSRC2:SCRATCH_EN: 0
; COMPUTE_PGM_RSRC2:USER_SGPR: 2
; COMPUTE_PGM_RSRC2:TRAP_HANDLER: 0
; COMPUTE_PGM_RSRC2:TGID_X_EN: 1
; COMPUTE_PGM_RSRC2:TGID_Y_EN: 1
; COMPUTE_PGM_RSRC2:TGID_Z_EN: 1
; COMPUTE_PGM_RSRC2:TIDIG_COMP_CNT: 1
	.section	.text._ZL29rocblas_internal_gemmt_kernelIlLi16ELi32ELi8ELc78ELc78ELc76ELb0ELb0E19rocblas_complex_numIfEPKS1_PKS3_PKPS1_EviT_T9_T10_S9_lSB_S9_lSA_T11_S9_li,"axG",@progbits,_ZL29rocblas_internal_gemmt_kernelIlLi16ELi32ELi8ELc78ELc78ELc76ELb0ELb0E19rocblas_complex_numIfEPKS1_PKS3_PKPS1_EviT_T9_T10_S9_lSB_S9_lSA_T11_S9_li,comdat
	.globl	_ZL29rocblas_internal_gemmt_kernelIlLi16ELi32ELi8ELc78ELc78ELc76ELb0ELb0E19rocblas_complex_numIfEPKS1_PKS3_PKPS1_EviT_T9_T10_S9_lSB_S9_lSA_T11_S9_li ; -- Begin function _ZL29rocblas_internal_gemmt_kernelIlLi16ELi32ELi8ELc78ELc78ELc76ELb0ELb0E19rocblas_complex_numIfEPKS1_PKS3_PKPS1_EviT_T9_T10_S9_lSB_S9_lSA_T11_S9_li
	.p2align	8
	.type	_ZL29rocblas_internal_gemmt_kernelIlLi16ELi32ELi8ELc78ELc78ELc76ELb0ELb0E19rocblas_complex_numIfEPKS1_PKS3_PKPS1_EviT_T9_T10_S9_lSB_S9_lSA_T11_S9_li,@function
_ZL29rocblas_internal_gemmt_kernelIlLi16ELi32ELi8ELc78ELc78ELc76ELb0ELb0E19rocblas_complex_numIfEPKS1_PKS3_PKPS1_EviT_T9_T10_S9_lSB_S9_lSA_T11_S9_li: ; @_ZL29rocblas_internal_gemmt_kernelIlLi16ELi32ELi8ELc78ELc78ELc76ELb0ELb0E19rocblas_complex_numIfEPKS1_PKS3_PKPS1_EviT_T9_T10_S9_lSB_S9_lSA_T11_S9_li
; %bb.0:
	s_load_b256 s[24:31], s[0:1], 0x48
	s_wait_kmcnt 0x0
	s_load_b64 s[6:7], s[24:25], 0x0
	s_load_b512 s[8:23], s[0:1], 0x8
	s_wait_kmcnt 0x0
	s_cmp_eq_f32 s6, 1.0
	s_load_b64 s[10:11], s[10:11], 0x0
	s_cselect_b32 s3, -1, 0
	s_and_b32 s2, s7, 0x7fffffff
	s_delay_alu instid0(SALU_CYCLE_1) | instskip(SKIP_1) | instid1(SALU_CYCLE_1)
	s_cmp_eq_u32 s2, 0
	s_cselect_b32 s2, -1, 0
	s_and_b32 s4, s3, s2
	s_mov_b32 s3, 0
	s_and_not1_b32 vcc_lo, exec_lo, s4
	s_mov_b32 s4, -1
	s_cbranch_vccnz .LBB513_4
; %bb.1:
	s_cmp_lg_u64 s[8:9], 0
	s_cbranch_scc0 .LBB513_3
; %bb.2:
	s_wait_kmcnt 0x0
	s_cmp_neq_f32 s10, 0
	s_cselect_b32 s3, -1, 0
	s_cmp_neq_f32 s11, 0
	s_cselect_b32 s4, -1, 0
	s_delay_alu instid0(SALU_CYCLE_1)
	s_or_b32 s3, s3, s4
.LBB513_3:
	s_delay_alu instid0(SALU_CYCLE_1)
	s_mov_b32 s4, s3
.LBB513_4:
	s_delay_alu instid0(SALU_CYCLE_1)
	s_and_b32 vcc_lo, exec_lo, s4
	s_cbranch_vccz .LBB513_42
; %bb.5:
	s_load_b32 s33, s[0:1], 0x68
	s_lshr_b32 s24, ttmp7, 16
	s_wait_kmcnt 0x0
	s_cmp_ge_u32 s24, s33
	s_cbranch_scc1 .LBB513_42
; %bb.6:
	v_bfe_u32 v12, v0, 10, 10
	s_load_b32 s4, s[0:1], 0x0
	s_lshl_b32 s0, ttmp7, 5
	v_and_b32_e32 v11, 0x3ff, v0
	s_and_b32 s0, s0, 0x1fffe0
	s_lshl_b32 s1, ttmp9, 5
	v_add_nc_u32_e32 v13, s0, v12
	s_cmp_neq_f32 s10, 0
	v_lshl_add_u32 v23, v12, 6, 0x800
	v_cmp_gt_i64_e64 s36, s[8:9], 0
	s_mov_b32 s25, 0
	v_mad_co_u64_u32 v[6:7], null, s28, v13, 0
	v_and_b32_e32 v18, 7, v0
	v_lshl_add_u32 v0, v12, 4, v11
	s_delay_alu instid0(VALU_DEP_2) | instskip(NEXT) | instid1(VALU_DEP_2)
	v_lshlrev_b32_e32 v3, 3, v18
	v_lshrrev_b32_e32 v1, 3, v0
	v_lshrrev_b32_e32 v19, 5, v0
	v_and_b32_e32 v9, 31, v0
	s_delay_alu instid0(VALU_DEP_3) | instskip(SKIP_1) | instid1(VALU_DEP_2)
	v_add_nc_u32_e32 v8, s0, v1
	s_cselect_b32 s0, -1, 0
	v_or_b32_e32 v2, s1, v9
	s_cmp_neq_f32 s11, 0
	s_delay_alu instid0(VALU_DEP_2)
	v_mad_co_u64_u32 v[4:5], null, s20, v8, 0
	s_cselect_b32 s3, -1, 0
	s_wait_kmcnt 0x0
	v_cmp_le_i32_e64 s34, s4, v2
	s_wait_alu 0xfffe
	s_or_b32 s20, s0, s3
	s_cmp_neq_f32 s6, 0
	v_cmp_gt_i32_e64 s0, s4, v2
	v_dual_mov_b32 v0, v5 :: v_dual_lshlrev_b32 v5, 3, v9
	v_lshl_or_b32 v9, v1, 6, v3
	v_ashrrev_i32_e32 v3, 31, v2
	v_lshlrev_b32_e32 v22, 3, v11
	s_delay_alu instid0(VALU_DEP_4)
	v_mad_co_u64_u32 v[0:1], null, s21, v8, v[0:1]
	v_mov_b32_e32 v1, v7
	v_lshl_or_b32 v20, v19, 8, v5
	v_add_nc_u32_e32 v21, 0x800, v9
	s_cselect_b32 s21, -1, 0
	s_xor_b32 s37, s2, -1
	s_wait_alu 0xfffe
	s_and_b32 s36, s20, s36
	v_mov_b32_e32 v5, v0
	v_mad_co_u64_u32 v[0:1], null, s29, v13, v[1:2]
	v_add_nc_u32_e32 v14, 16, v13
	v_cmp_gt_i32_e32 vcc_lo, s4, v8
	v_lshlrev_b64_e32 v[2:3], 3, v[2:3]
	v_lshlrev_b64_e32 v[4:5], 3, v[4:5]
	v_mov_b32_e32 v7, v0
	v_mad_co_u64_u32 v[8:9], null, s28, v14, 0
	s_delay_alu instid0(VALU_DEP_2) | instskip(NEXT) | instid1(VALU_DEP_2)
	v_lshlrev_b64_e32 v[6:7], 3, v[6:7]
	v_mov_b32_e32 v0, v9
	s_delay_alu instid0(VALU_DEP_1) | instskip(SKIP_1) | instid1(VALU_DEP_1)
	v_mad_co_u64_u32 v[0:1], null, s29, v14, v[0:1]
	v_dual_mov_b32 v1, 0 :: v_dual_add_nc_u32 v10, s1, v11
	v_dual_mov_b32 v9, v0 :: v_dual_add_nc_u32 v12, 16, v10
	v_cmp_le_i32_e64 s1, v13, v10
	v_cmp_gt_i32_e64 s2, s4, v10
	v_ashrrev_i32_e32 v11, 31, v10
	s_delay_alu instid0(VALU_DEP_4)
	v_lshlrev_b64_e32 v[8:9], 3, v[8:9]
	v_cmp_le_i32_e64 s3, v13, v12
	v_ashrrev_i32_e32 v13, 31, v12
	v_cmp_gt_i32_e64 s4, s4, v12
	s_and_b32 s28, s1, s2
	v_cmp_le_i32_e64 s1, v14, v10
	v_cmp_le_i32_e64 s5, v14, v12
	v_lshlrev_b64_e32 v[10:11], 3, v[10:11]
	v_lshlrev_b64_e32 v[12:13], 3, v[12:13]
	s_and_b32 s29, s3, s4
	s_and_b32 s1, s1, s2
	;; [unrolled: 1-line block ×3, first 2 shown]
	s_lshl_b64 s[2:3], s[22:23], 3
	s_or_b32 s22, s21, s37
	s_lshl_b64 s[4:5], s[16:17], 3
	s_xor_b32 s23, vcc_lo, -1
	s_lshl_b64 s[16:17], s[30:31], 3
                                        ; implicit-def: $vgpr14_vgpr15
	s_branch .LBB513_8
.LBB513_7:                              ;   in Loop: Header=BB513_8 Depth=1
	s_wait_alu 0xfffe
	s_or_b32 exec_lo, exec_lo, s20
	s_add_co_i32 s24, s24, 0x10000
	s_delay_alu instid0(SALU_CYCLE_1)
	s_cmp_lt_u32 s24, s33
	s_cbranch_scc0 .LBB513_42
.LBB513_8:                              ; =>This Loop Header: Depth=1
                                        ;     Child Loop BB513_11 Depth 2
	s_lshl_b64 s[20:21], s[24:25], 3
	s_and_not1_b32 vcc_lo, exec_lo, s36
	s_wait_alu 0xfffe
	s_add_nc_u64 s[30:31], s[26:27], s[20:21]
	global_load_b64 v[16:17], v1, s[30:31]
	s_cbranch_vccnz .LBB513_21
; %bb.9:                                ;   in Loop: Header=BB513_8 Depth=1
	s_add_nc_u64 s[30:31], s[12:13], s[20:21]
	s_add_nc_u64 s[20:21], s[18:19], s[20:21]
	s_clause 0x1
	global_load_b64 v[24:25], v1, s[30:31]
	global_load_b64 v[26:27], v1, s[20:21]
	v_dual_mov_b32 v28, 0 :: v_dual_mov_b32 v29, 0
	v_dual_mov_b32 v31, 0 :: v_dual_mov_b32 v30, 0
	;; [unrolled: 1-line block ×4, first 2 shown]
	s_mov_b64 s[20:21], 0
	s_wait_loadcnt 0x1
	v_add_co_u32 v0, vcc_lo, v24, s4
	s_wait_alu 0xfffd
	v_add_co_ci_u32_e64 v25, null, s5, v25, vcc_lo
	s_wait_loadcnt 0x0
	v_add_co_u32 v26, vcc_lo, v26, s2
	s_wait_alu 0xfffd
	v_add_co_ci_u32_e64 v27, null, s3, v27, vcc_lo
	v_add_co_u32 v24, vcc_lo, v0, v2
	s_wait_alu 0xfffd
	v_add_co_ci_u32_e64 v25, null, v25, v3, vcc_lo
	;; [unrolled: 3-line block ×3, first 2 shown]
	s_branch .LBB513_11
.LBB513_10:                             ;   in Loop: Header=BB513_11 Depth=2
	s_or_b32 exec_lo, exec_lo, s30
	s_wait_dscnt 0x0
	s_barrier_signal -1
	s_barrier_wait -1
	global_inv scope:SCOPE_SE
	ds_load_b128 v[36:39], v23
	ds_load_2addr_b64 v[40:43], v22 offset1:16
	ds_load_b128 v[44:47], v23 offset:1024
	ds_load_b128 v[48:51], v23 offset:16
	;; [unrolled: 1-line block ×4, first 2 shown]
	ds_load_2addr_b64 v[60:63], v22 offset0:32 offset1:48
	ds_load_b128 v[64:67], v23 offset:1040
	s_add_nc_u64 s[20:21], s[20:21], 8
	s_wait_alu 0xfffe
	v_cmp_gt_i64_e64 s30, s[8:9], s[20:21]
	s_and_b32 vcc_lo, exec_lo, s30
	s_wait_dscnt 0x6
	v_mul_f32_e32 v0, v37, v41
	v_dual_mul_f32 v68, v36, v41 :: v_dual_mul_f32 v69, v37, v43
	s_wait_dscnt 0x5
	v_dual_mul_f32 v70, v36, v43 :: v_dual_mul_f32 v71, v45, v41
	v_dual_mul_f32 v41, v44, v41 :: v_dual_mul_f32 v72, v45, v43
	v_mul_f32_e32 v43, v44, v43
	v_fma_f32 v0, v36, v40, -v0
	v_fma_f32 v36, v36, v42, -v69
	v_fmac_f32_e32 v70, v37, v42
	v_fmac_f32_e32 v41, v45, v40
	;; [unrolled: 1-line block ×3, first 2 shown]
	v_fma_f32 v37, v44, v40, -v71
	v_fma_f32 v40, v44, v42, -v72
	v_dual_add_f32 v0, v34, v0 :: v_dual_fmac_f32 v43, v45, v42
	s_delay_alu instid0(VALU_DEP_4) | instskip(NEXT) | instid1(VALU_DEP_4)
	v_add_f32_e32 v34, v35, v68
	v_dual_add_f32 v35, v32, v36 :: v_dual_add_f32 v36, v30, v37
	v_add_f32_e32 v37, v31, v41
	s_wait_dscnt 0x1
	v_dual_mul_f32 v41, v39, v61 :: v_dual_add_f32 v40, v29, v40
	ds_load_2addr_b64 v[29:32], v22 offset0:64 offset1:80
	v_dual_add_f32 v33, v33, v70 :: v_dual_mul_f32 v44, v39, v63
	v_fma_f32 v41, v38, v60, -v41
	v_add_f32_e32 v28, v28, v43
	s_delay_alu instid0(VALU_DEP_2) | instskip(NEXT) | instid1(VALU_DEP_1)
	v_dual_mul_f32 v43, v38, v63 :: v_dual_add_f32 v0, v0, v41
	v_dual_mul_f32 v42, v38, v61 :: v_dual_fmac_f32 v43, v39, v62
	v_fma_f32 v38, v38, v62, -v44
	v_mul_f32_e32 v41, v47, v61
	s_delay_alu instid0(VALU_DEP_3) | instskip(SKIP_1) | instid1(VALU_DEP_4)
	v_fmac_f32_e32 v42, v39, v60
	v_mul_f32_e32 v39, v47, v63
	v_add_f32_e32 v38, v35, v38
	s_delay_alu instid0(VALU_DEP_4) | instskip(NEXT) | instid1(VALU_DEP_4)
	v_fma_f32 v35, v46, v60, -v41
	v_dual_add_f32 v41, v33, v43 :: v_dual_add_f32 v42, v34, v42
	v_mul_f32_e32 v43, v46, v63
	v_mul_f32_e32 v34, v46, v61
	v_fma_f32 v33, v46, v62, -v39
	s_wait_dscnt 0x0
	v_mul_f32_e32 v39, v48, v30
	v_fmac_f32_e32 v43, v47, v62
	v_fmac_f32_e32 v34, v47, v60
	v_dual_add_f32 v44, v36, v35 :: v_dual_mul_f32 v35, v49, v30
	s_delay_alu instid0(VALU_DEP_3) | instskip(NEXT) | instid1(VALU_DEP_3)
	v_dual_mul_f32 v46, v49, v32 :: v_dual_add_f32 v43, v28, v43
	v_add_f32_e32 v37, v37, v34
	v_dual_fmac_f32 v39, v49, v29 :: v_dual_mul_f32 v28, v48, v32
	v_add_f32_e32 v40, v40, v33
	v_fma_f32 v45, v48, v29, -v35
	ds_load_2addr_b64 v[33:36], v22 offset0:96 offset1:112
	v_add_f32_e32 v39, v42, v39
	v_fmac_f32_e32 v28, v49, v31
	v_add_f32_e32 v0, v0, v45
	v_fma_f32 v45, v48, v31, -v46
	s_delay_alu instid0(VALU_DEP_1) | instskip(SKIP_2) | instid1(VALU_DEP_2)
	v_dual_add_f32 v41, v41, v28 :: v_dual_add_f32 v38, v38, v45
	v_mul_f32_e32 v45, v65, v32
	v_mul_f32_e32 v32, v64, v32
	v_fma_f32 v28, v64, v31, -v45
	v_mul_f32_e32 v42, v65, v30
	s_delay_alu instid0(VALU_DEP_3)
	v_fmac_f32_e32 v32, v65, v31
	s_wait_dscnt 0x0
	v_dual_mul_f32 v30, v64, v30 :: v_dual_mul_f32 v49, v67, v36
	v_add_f32_e32 v45, v40, v28
	v_fma_f32 v42, v64, v29, -v42
	v_dual_mul_f32 v40, v50, v34 :: v_dual_add_f32 v43, v43, v32
	s_delay_alu instid0(VALU_DEP_4) | instskip(SKIP_1) | instid1(VALU_DEP_3)
	v_fmac_f32_e32 v30, v65, v29
	v_mul_f32_e32 v32, v50, v36
	v_fmac_f32_e32 v40, v51, v33
	v_add_f32_e32 v42, v44, v42
	s_delay_alu instid0(VALU_DEP_4)
	v_add_f32_e32 v44, v37, v30
	ds_load_2addr_b64 v[28:31], v22 offset0:128 offset1:144
	v_mul_f32_e32 v37, v51, v34
	v_mul_f32_e32 v46, v51, v36
	v_fmac_f32_e32 v32, v51, v35
	v_mul_f32_e32 v36, v66, v36
	s_delay_alu instid0(VALU_DEP_4) | instskip(NEXT) | instid1(VALU_DEP_1)
	v_fma_f32 v37, v50, v33, -v37
	v_dual_add_f32 v0, v0, v37 :: v_dual_mul_f32 v37, v67, v34
	v_mul_f32_e32 v34, v66, v34
	s_delay_alu instid0(VALU_DEP_2)
	v_fma_f32 v48, v66, v33, -v37
	s_wait_dscnt 0x0
	v_mul_f32_e32 v51, v52, v29
	v_fma_f32 v46, v50, v35, -v46
	v_add_f32_e32 v50, v41, v32
	v_fma_f32 v32, v66, v35, -v49
	s_delay_alu instid0(VALU_DEP_4) | instskip(NEXT) | instid1(VALU_DEP_4)
	v_fmac_f32_e32 v51, v53, v28
	v_dual_add_f32 v47, v39, v40 :: v_dual_add_f32 v46, v38, v46
	ds_load_b128 v[37:40], v23 offset:1056
	v_fmac_f32_e32 v34, v67, v33
	v_mul_f32_e32 v33, v53, v29
	v_dual_add_f32 v45, v45, v32 :: v_dual_fmac_f32 v36, v67, v35
	v_dual_add_f32 v47, v47, v51 :: v_dual_add_f32 v48, v42, v48
	s_delay_alu instid0(VALU_DEP_4) | instskip(NEXT) | instid1(VALU_DEP_4)
	v_add_f32_e32 v49, v44, v34
	v_fma_f32 v41, v52, v28, -v33
	ds_load_2addr_b64 v[32:35], v22 offset0:160 offset1:176
	v_mul_f32_e32 v42, v53, v31
	v_add_f32_e32 v36, v43, v36
	v_add_f32_e32 v0, v0, v41
	s_delay_alu instid0(VALU_DEP_3)
	v_fma_f32 v60, v52, v30, -v42
	v_mul_f32_e32 v52, v52, v31
	ds_load_b128 v[41:44], v23 offset:1072
	s_wait_dscnt 0x2
	v_mul_f32_e32 v61, v38, v29
	v_mul_f32_e32 v29, v37, v29
	v_dual_fmac_f32 v52, v53, v30 :: v_dual_mul_f32 v53, v38, v31
	s_delay_alu instid0(VALU_DEP_3) | instskip(NEXT) | instid1(VALU_DEP_3)
	v_fma_f32 v51, v37, v28, -v61
	v_fmac_f32_e32 v29, v38, v28
	s_delay_alu instid0(VALU_DEP_3) | instskip(SKIP_2) | instid1(VALU_DEP_4)
	v_add_f32_e32 v50, v50, v52
	v_mul_f32_e32 v52, v37, v31
	v_fma_f32 v28, v37, v30, -v53
	v_add_f32_e32 v37, v49, v29
	s_wait_dscnt 0x1
	s_delay_alu instid0(VALU_DEP_3) | instskip(NEXT) | instid1(VALU_DEP_3)
	v_dual_mul_f32 v49, v55, v33 :: v_dual_fmac_f32 v52, v38, v30
	v_add_f32_e32 v45, v45, v28
	ds_load_2addr_b64 v[28:31], v22 offset0:192 offset1:208
	v_mul_f32_e32 v38, v54, v33
	v_fma_f32 v49, v54, v32, -v49
	v_add_f32_e32 v46, v46, v60
	s_delay_alu instid0(VALU_DEP_3) | instskip(NEXT) | instid1(VALU_DEP_1)
	v_fmac_f32_e32 v38, v55, v32
	v_dual_add_f32 v0, v0, v49 :: v_dual_add_f32 v47, v47, v38
	v_add_f32_e32 v48, v48, v51
	v_dual_mul_f32 v51, v55, v35 :: v_dual_mul_f32 v38, v40, v33
	v_mul_f32_e32 v33, v39, v33
	s_delay_alu instid0(VALU_DEP_2) | instskip(NEXT) | instid1(VALU_DEP_3)
	v_fma_f32 v49, v54, v34, -v51
	v_fma_f32 v38, v39, v32, -v38
	s_delay_alu instid0(VALU_DEP_3) | instskip(NEXT) | instid1(VALU_DEP_3)
	v_dual_fmac_f32 v33, v40, v32 :: v_dual_mul_f32 v32, v39, v35
	v_dual_add_f32 v46, v46, v49 :: v_dual_mul_f32 v49, v40, v35
	s_delay_alu instid0(VALU_DEP_2) | instskip(SKIP_1) | instid1(VALU_DEP_4)
	v_dual_add_f32 v52, v36, v52 :: v_dual_add_f32 v33, v37, v33
	v_mul_f32_e32 v36, v54, v35
	v_fmac_f32_e32 v32, v40, v34
	s_delay_alu instid0(VALU_DEP_4) | instskip(SKIP_1) | instid1(VALU_DEP_3)
	v_fma_f32 v35, v39, v34, -v49
	s_wait_dscnt 0x0
	v_dual_mul_f32 v49, v42, v29 :: v_dual_fmac_f32 v36, v55, v34
	s_delay_alu instid0(VALU_DEP_2) | instskip(SKIP_1) | instid1(VALU_DEP_2)
	v_dual_add_f32 v34, v45, v35 :: v_dual_mul_f32 v35, v56, v29
	v_mul_f32_e32 v45, v57, v31
	v_dual_fmac_f32 v35, v57, v28 :: v_dual_add_f32 v48, v48, v38
	s_delay_alu instid0(VALU_DEP_2) | instskip(NEXT) | instid1(VALU_DEP_2)
	v_fma_f32 v45, v56, v30, -v45
	v_dual_add_f32 v35, v47, v35 :: v_dual_add_f32 v50, v50, v36
	v_mul_f32_e32 v36, v57, v29
	v_mul_f32_e32 v29, v41, v29
	;; [unrolled: 1-line block ×3, first 2 shown]
	v_add_f32_e32 v45, v46, v45
	v_fma_f32 v46, v41, v28, -v49
	v_fma_f32 v40, v56, v28, -v36
	ds_load_2addr_b64 v[36:39], v22 offset0:224 offset1:240
	v_fmac_f32_e32 v29, v42, v28
	v_add_f32_e32 v32, v52, v32
	s_wait_loadcnt_dscnt 0x0
	s_barrier_signal -1
	s_barrier_wait -1
	v_dual_add_f32 v29, v33, v29 :: v_dual_add_f32 v0, v0, v40
	v_mul_f32_e32 v40, v56, v31
	v_mul_f32_e32 v31, v41, v31
	v_fma_f32 v41, v41, v30, -v47
	global_inv scope:SCOPE_SE
	v_fmac_f32_e32 v40, v57, v30
	v_fmac_f32_e32 v31, v42, v30
	s_delay_alu instid0(VALU_DEP_1) | instskip(SKIP_3) | instid1(VALU_DEP_3)
	v_dual_add_f32 v41, v34, v41 :: v_dual_add_f32 v42, v32, v31
	v_mul_f32_e32 v33, v59, v37
	v_mul_f32_e32 v34, v59, v39
	;; [unrolled: 1-line block ×3, first 2 shown]
	v_fma_f32 v33, v58, v36, -v33
	s_delay_alu instid0(VALU_DEP_3) | instskip(NEXT) | instid1(VALU_DEP_2)
	v_fma_f32 v32, v58, v38, -v34
	v_dual_fmac_f32 v31, v59, v38 :: v_dual_add_f32 v34, v0, v33
	v_mul_f32_e32 v0, v44, v37
	s_delay_alu instid0(VALU_DEP_3)
	v_dual_add_f32 v32, v45, v32 :: v_dual_mul_f32 v45, v44, v39
	v_add_f32_e32 v28, v50, v40
	v_mul_f32_e32 v30, v58, v37
	v_dual_add_f32 v40, v48, v46 :: v_dual_mul_f32 v37, v43, v37
	v_fma_f32 v0, v43, v36, -v0
	v_mul_f32_e32 v39, v43, v39
	s_delay_alu instid0(VALU_DEP_4) | instskip(NEXT) | instid1(VALU_DEP_4)
	v_dual_add_f32 v33, v28, v31 :: v_dual_fmac_f32 v30, v59, v36
	v_fmac_f32_e32 v37, v44, v36
	s_delay_alu instid0(VALU_DEP_3) | instskip(NEXT) | instid1(VALU_DEP_3)
	v_fmac_f32_e32 v39, v44, v38
	v_dual_add_f32 v35, v35, v30 :: v_dual_add_f32 v30, v40, v0
	v_fma_f32 v0, v43, v38, -v45
	s_delay_alu instid0(VALU_DEP_3) | instskip(NEXT) | instid1(VALU_DEP_2)
	v_dual_add_f32 v31, v29, v37 :: v_dual_add_f32 v28, v42, v39
	v_add_f32_e32 v29, v41, v0
	s_wait_alu 0xfffe
	s_cbranch_vccz .LBB513_22
.LBB513_11:                             ;   Parent Loop BB513_8 Depth=1
                                        ; =>  This Inner Loop Header: Depth=2
	s_mov_b32 s30, 0
	s_mov_b32 s37, s34
	s_and_saveexec_b32 s31, s0
	s_cbranch_execnz .LBB513_19
; %bb.12:                               ;   in Loop: Header=BB513_11 Depth=2
	s_or_b32 exec_lo, exec_lo, s31
	s_and_saveexec_b32 s31, s37
	s_delay_alu instid0(SALU_CYCLE_1)
	s_xor_b32 s31, exec_lo, s31
	s_cbranch_execnz .LBB513_20
.LBB513_13:                             ;   in Loop: Header=BB513_11 Depth=2
	s_or_b32 exec_lo, exec_lo, s31
	s_and_saveexec_b32 s31, s30
	s_cbranch_execz .LBB513_15
.LBB513_14:                             ;   in Loop: Header=BB513_11 Depth=2
	v_mul_lo_u32 v0, s15, v14
	v_mul_lo_u32 v38, s14, v15
	v_mad_co_u64_u32 v[36:37], null, s14, v14, 0
	s_delay_alu instid0(VALU_DEP_1) | instskip(NEXT) | instid1(VALU_DEP_1)
	v_add3_u32 v37, v37, v38, v0
	v_lshlrev_b64_e32 v[36:37], 3, v[36:37]
	s_delay_alu instid0(VALU_DEP_1) | instskip(SKIP_1) | instid1(VALU_DEP_2)
	v_add_co_u32 v36, vcc_lo, v24, v36
	s_wait_alu 0xfffd
	v_add_co_ci_u32_e64 v37, null, v25, v37, vcc_lo
	flat_load_b64 v[36:37], v[36:37]
	s_wait_loadcnt_dscnt 0x0
	ds_store_b64 v20, v[36:37]
.LBB513_15:                             ;   in Loop: Header=BB513_11 Depth=2
	s_or_b32 exec_lo, exec_lo, s31
	s_wait_alu 0xfffe
	v_add_nc_u32_e32 v0, s20, v18
	s_delay_alu instid0(VALU_DEP_1) | instskip(SKIP_1) | instid1(SALU_CYCLE_1)
	v_cmp_le_u64_e32 vcc_lo, s[8:9], v[0:1]
	s_or_b32 s30, vcc_lo, s23
	s_and_saveexec_b32 s31, s30
	s_delay_alu instid0(SALU_CYCLE_1)
	s_xor_b32 s30, exec_lo, s31
; %bb.16:                               ;   in Loop: Header=BB513_11 Depth=2
	v_mov_b32_e32 v0, v1
	ds_store_b64 v21, v[0:1]
; %bb.17:                               ;   in Loop: Header=BB513_11 Depth=2
	s_and_not1_saveexec_b32 s30, s30
	s_cbranch_execz .LBB513_10
; %bb.18:                               ;   in Loop: Header=BB513_11 Depth=2
	v_lshlrev_b64_e32 v[36:37], 3, v[0:1]
	s_delay_alu instid0(VALU_DEP_1) | instskip(SKIP_1) | instid1(VALU_DEP_2)
	v_add_co_u32 v36, vcc_lo, v26, v36
	s_wait_alu 0xfffd
	v_add_co_ci_u32_e64 v37, null, v27, v37, vcc_lo
	flat_load_b64 v[36:37], v[36:37]
	s_wait_loadcnt_dscnt 0x0
	ds_store_b64 v21, v[36:37]
	s_branch .LBB513_10
.LBB513_19:                             ;   in Loop: Header=BB513_11 Depth=2
	s_wait_alu 0xfffe
	v_add_nc_u32_e32 v0, s20, v19
	v_mov_b32_e32 v15, v1
	s_and_not1_b32 s37, s34, exec_lo
	s_mov_b32 s30, exec_lo
	s_delay_alu instid0(VALU_DEP_2) | instskip(SKIP_2) | instid1(SALU_CYCLE_1)
	v_cmp_le_u64_e32 vcc_lo, s[8:9], v[0:1]
	v_mov_b32_e32 v14, v0
	s_and_b32 s38, vcc_lo, exec_lo
	s_or_b32 s37, s37, s38
	s_or_b32 exec_lo, exec_lo, s31
	s_and_saveexec_b32 s31, s37
	s_delay_alu instid0(SALU_CYCLE_1)
	s_xor_b32 s31, exec_lo, s31
	s_cbranch_execz .LBB513_13
.LBB513_20:                             ;   in Loop: Header=BB513_11 Depth=2
	v_mov_b32_e32 v0, v1
	s_and_not1_b32 s30, s30, exec_lo
	ds_store_b64 v20, v[0:1]
	s_or_b32 exec_lo, exec_lo, s31
	s_and_saveexec_b32 s31, s30
	s_cbranch_execnz .LBB513_14
	s_branch .LBB513_15
.LBB513_21:                             ;   in Loop: Header=BB513_8 Depth=1
	v_dual_mov_b32 v34, v1 :: v_dual_mov_b32 v35, v1
	v_dual_mov_b32 v32, v1 :: v_dual_mov_b32 v33, v1
	;; [unrolled: 1-line block ×4, first 2 shown]
.LBB513_22:                             ;   in Loop: Header=BB513_8 Depth=1
	s_wait_loadcnt 0x0
	v_add_co_u32 v0, vcc_lo, v16, s16
	s_wait_alu 0xfffd
	v_add_co_ci_u32_e64 v24, null, s17, v17, vcc_lo
	s_delay_alu instid0(VALU_DEP_2) | instskip(SKIP_1) | instid1(VALU_DEP_2)
	v_add_co_u32 v25, vcc_lo, v0, v6
	s_wait_alu 0xfffd
	v_add_co_ci_u32_e64 v26, null, v24, v7, vcc_lo
	s_and_saveexec_b32 s20, s28
	s_cbranch_execz .LBB513_27
; %bb.23:                               ;   in Loop: Header=BB513_8 Depth=1
	v_mul_f32_e32 v17, s10, v35
	v_mul_f32_e32 v16, s11, v35
	s_and_b32 vcc_lo, exec_lo, s22
	s_mov_b32 s21, -1
	s_delay_alu instid0(VALU_DEP_2) | instskip(NEXT) | instid1(VALU_DEP_2)
	v_fmac_f32_e32 v17, s11, v34
	v_fma_f32 v16, v34, s10, -v16
	s_wait_alu 0xfffe
	s_cbranch_vccz .LBB513_25
; %bb.24:                               ;   in Loop: Header=BB513_8 Depth=1
	v_add_co_u32 v34, vcc_lo, v25, v10
	s_wait_alu 0xfffd
	v_add_co_ci_u32_e64 v35, null, v26, v11, vcc_lo
	s_mov_b32 s21, 0
	flat_load_b64 v[36:37], v[34:35]
	s_wait_loadcnt_dscnt 0x0
	v_mul_f32_e32 v27, s7, v37
	s_delay_alu instid0(VALU_DEP_1) | instskip(SKIP_1) | instid1(VALU_DEP_1)
	v_fma_f32 v27, v36, s6, -v27
	v_mul_f32_e32 v37, s6, v37
	v_dual_fmac_f32 v37, s7, v36 :: v_dual_add_f32 v36, v16, v27
	s_delay_alu instid0(VALU_DEP_1)
	v_add_f32_e32 v37, v17, v37
	flat_store_b64 v[34:35], v[36:37]
.LBB513_25:                             ;   in Loop: Header=BB513_8 Depth=1
	s_wait_alu 0xfffe
	s_and_not1_b32 vcc_lo, exec_lo, s21
	s_wait_alu 0xfffe
	s_cbranch_vccnz .LBB513_27
; %bb.26:                               ;   in Loop: Header=BB513_8 Depth=1
	v_add_co_u32 v34, vcc_lo, v25, v10
	s_wait_alu 0xfffd
	v_add_co_ci_u32_e64 v35, null, v26, v11, vcc_lo
	flat_store_b64 v[34:35], v[16:17]
.LBB513_27:                             ;   in Loop: Header=BB513_8 Depth=1
	s_wait_alu 0xfffe
	s_or_b32 exec_lo, exec_lo, s20
	s_and_saveexec_b32 s20, s29
	s_cbranch_execz .LBB513_32
; %bb.28:                               ;   in Loop: Header=BB513_8 Depth=1
	v_mul_f32_e32 v17, s10, v33
	v_mul_f32_e32 v16, s11, v33
	s_and_not1_b32 vcc_lo, exec_lo, s22
	s_mov_b32 s21, -1
	s_delay_alu instid0(VALU_DEP_2) | instskip(NEXT) | instid1(VALU_DEP_2)
	v_fmac_f32_e32 v17, s11, v32
	v_fma_f32 v16, v32, s10, -v16
	s_wait_alu 0xfffe
	s_cbranch_vccnz .LBB513_30
; %bb.29:                               ;   in Loop: Header=BB513_8 Depth=1
	v_add_co_u32 v32, vcc_lo, v25, v12
	s_wait_alu 0xfffd
	v_add_co_ci_u32_e64 v33, null, v26, v13, vcc_lo
	s_mov_b32 s21, 0
	flat_load_b64 v[34:35], v[32:33]
	s_wait_loadcnt_dscnt 0x0
	v_mul_f32_e32 v27, s7, v35
	v_mul_f32_e32 v35, s6, v35
	s_delay_alu instid0(VALU_DEP_2) | instskip(NEXT) | instid1(VALU_DEP_1)
	v_fma_f32 v27, v34, s6, -v27
	v_dual_fmac_f32 v35, s7, v34 :: v_dual_add_f32 v34, v16, v27
	s_delay_alu instid0(VALU_DEP_1)
	v_add_f32_e32 v35, v17, v35
	flat_store_b64 v[32:33], v[34:35]
.LBB513_30:                             ;   in Loop: Header=BB513_8 Depth=1
	s_wait_alu 0xfffe
	s_and_not1_b32 vcc_lo, exec_lo, s21
	s_wait_alu 0xfffe
	s_cbranch_vccnz .LBB513_32
; %bb.31:                               ;   in Loop: Header=BB513_8 Depth=1
	v_add_co_u32 v25, vcc_lo, v25, v12
	s_wait_alu 0xfffd
	v_add_co_ci_u32_e64 v26, null, v26, v13, vcc_lo
	flat_store_b64 v[25:26], v[16:17]
.LBB513_32:                             ;   in Loop: Header=BB513_8 Depth=1
	s_wait_alu 0xfffe
	s_or_b32 exec_lo, exec_lo, s20
	v_add_co_u32 v0, vcc_lo, v0, v8
	s_wait_alu 0xfffd
	v_add_co_ci_u32_e64 v24, null, v24, v9, vcc_lo
	s_and_saveexec_b32 s20, s1
	s_cbranch_execz .LBB513_37
; %bb.33:                               ;   in Loop: Header=BB513_8 Depth=1
	v_mul_f32_e32 v17, s10, v31
	v_mul_f32_e32 v16, s11, v31
	s_and_not1_b32 vcc_lo, exec_lo, s22
	s_mov_b32 s21, -1
	s_delay_alu instid0(VALU_DEP_2) | instskip(NEXT) | instid1(VALU_DEP_2)
	v_fmac_f32_e32 v17, s11, v30
	v_fma_f32 v16, v30, s10, -v16
	s_wait_alu 0xfffe
	s_cbranch_vccnz .LBB513_35
; %bb.34:                               ;   in Loop: Header=BB513_8 Depth=1
	v_add_co_u32 v25, vcc_lo, v0, v10
	s_wait_alu 0xfffd
	v_add_co_ci_u32_e64 v26, null, v24, v11, vcc_lo
	s_mov_b32 s21, 0
	flat_load_b64 v[30:31], v[25:26]
	s_wait_loadcnt_dscnt 0x0
	v_mul_f32_e32 v27, s7, v31
	v_mul_f32_e32 v31, s6, v31
	s_delay_alu instid0(VALU_DEP_2) | instskip(NEXT) | instid1(VALU_DEP_1)
	v_fma_f32 v27, v30, s6, -v27
	v_dual_fmac_f32 v31, s7, v30 :: v_dual_add_f32 v30, v16, v27
	s_delay_alu instid0(VALU_DEP_1)
	v_add_f32_e32 v31, v17, v31
	flat_store_b64 v[25:26], v[30:31]
.LBB513_35:                             ;   in Loop: Header=BB513_8 Depth=1
	s_wait_alu 0xfffe
	s_and_not1_b32 vcc_lo, exec_lo, s21
	s_wait_alu 0xfffe
	s_cbranch_vccnz .LBB513_37
; %bb.36:                               ;   in Loop: Header=BB513_8 Depth=1
	v_add_co_u32 v25, vcc_lo, v0, v10
	s_wait_alu 0xfffd
	v_add_co_ci_u32_e64 v26, null, v24, v11, vcc_lo
	flat_store_b64 v[25:26], v[16:17]
.LBB513_37:                             ;   in Loop: Header=BB513_8 Depth=1
	s_wait_alu 0xfffe
	s_or_b32 exec_lo, exec_lo, s20
	s_and_saveexec_b32 s20, s35
	s_cbranch_execz .LBB513_7
; %bb.38:                               ;   in Loop: Header=BB513_8 Depth=1
	v_mul_f32_e32 v17, s10, v28
	v_mul_f32_e32 v16, s11, v28
	s_and_not1_b32 vcc_lo, exec_lo, s22
	s_mov_b32 s21, -1
	s_delay_alu instid0(VALU_DEP_2) | instskip(NEXT) | instid1(VALU_DEP_2)
	v_fmac_f32_e32 v17, s11, v29
	v_fma_f32 v16, v29, s10, -v16
	s_wait_alu 0xfffe
	s_cbranch_vccnz .LBB513_40
; %bb.39:                               ;   in Loop: Header=BB513_8 Depth=1
	v_add_co_u32 v25, vcc_lo, v0, v12
	s_wait_alu 0xfffd
	v_add_co_ci_u32_e64 v26, null, v24, v13, vcc_lo
	s_mov_b32 s21, 0
	flat_load_b64 v[27:28], v[25:26]
	s_wait_loadcnt_dscnt 0x0
	v_mul_f32_e32 v29, s7, v28
	v_mul_f32_e32 v28, s6, v28
	s_delay_alu instid0(VALU_DEP_1) | instskip(NEXT) | instid1(VALU_DEP_3)
	v_fmac_f32_e32 v28, s7, v27
	v_fma_f32 v29, v27, s6, -v29
	s_delay_alu instid0(VALU_DEP_1)
	v_dual_add_f32 v28, v17, v28 :: v_dual_add_f32 v27, v16, v29
	flat_store_b64 v[25:26], v[27:28]
.LBB513_40:                             ;   in Loop: Header=BB513_8 Depth=1
	s_wait_alu 0xfffe
	s_and_not1_b32 vcc_lo, exec_lo, s21
	s_wait_alu 0xfffe
	s_cbranch_vccnz .LBB513_7
; %bb.41:                               ;   in Loop: Header=BB513_8 Depth=1
	v_add_co_u32 v25, vcc_lo, v0, v12
	s_wait_alu 0xfffd
	v_add_co_ci_u32_e64 v26, null, v24, v13, vcc_lo
	flat_store_b64 v[25:26], v[16:17]
	s_branch .LBB513_7
.LBB513_42:
	s_endpgm
	.section	.rodata,"a",@progbits
	.p2align	6, 0x0
	.amdhsa_kernel _ZL29rocblas_internal_gemmt_kernelIlLi16ELi32ELi8ELc78ELc78ELc76ELb0ELb0E19rocblas_complex_numIfEPKS1_PKS3_PKPS1_EviT_T9_T10_S9_lSB_S9_lSA_T11_S9_li
		.amdhsa_group_segment_fixed_size 4096
		.amdhsa_private_segment_fixed_size 0
		.amdhsa_kernarg_size 108
		.amdhsa_user_sgpr_count 2
		.amdhsa_user_sgpr_dispatch_ptr 0
		.amdhsa_user_sgpr_queue_ptr 0
		.amdhsa_user_sgpr_kernarg_segment_ptr 1
		.amdhsa_user_sgpr_dispatch_id 0
		.amdhsa_user_sgpr_private_segment_size 0
		.amdhsa_wavefront_size32 1
		.amdhsa_uses_dynamic_stack 0
		.amdhsa_enable_private_segment 0
		.amdhsa_system_sgpr_workgroup_id_x 1
		.amdhsa_system_sgpr_workgroup_id_y 1
		.amdhsa_system_sgpr_workgroup_id_z 1
		.amdhsa_system_sgpr_workgroup_info 0
		.amdhsa_system_vgpr_workitem_id 1
		.amdhsa_next_free_vgpr 73
		.amdhsa_next_free_sgpr 39
		.amdhsa_reserve_vcc 1
		.amdhsa_float_round_mode_32 0
		.amdhsa_float_round_mode_16_64 0
		.amdhsa_float_denorm_mode_32 3
		.amdhsa_float_denorm_mode_16_64 3
		.amdhsa_fp16_overflow 0
		.amdhsa_workgroup_processor_mode 1
		.amdhsa_memory_ordered 1
		.amdhsa_forward_progress 1
		.amdhsa_inst_pref_size 26
		.amdhsa_round_robin_scheduling 0
		.amdhsa_exception_fp_ieee_invalid_op 0
		.amdhsa_exception_fp_denorm_src 0
		.amdhsa_exception_fp_ieee_div_zero 0
		.amdhsa_exception_fp_ieee_overflow 0
		.amdhsa_exception_fp_ieee_underflow 0
		.amdhsa_exception_fp_ieee_inexact 0
		.amdhsa_exception_int_div_zero 0
	.end_amdhsa_kernel
	.section	.text._ZL29rocblas_internal_gemmt_kernelIlLi16ELi32ELi8ELc78ELc78ELc76ELb0ELb0E19rocblas_complex_numIfEPKS1_PKS3_PKPS1_EviT_T9_T10_S9_lSB_S9_lSA_T11_S9_li,"axG",@progbits,_ZL29rocblas_internal_gemmt_kernelIlLi16ELi32ELi8ELc78ELc78ELc76ELb0ELb0E19rocblas_complex_numIfEPKS1_PKS3_PKPS1_EviT_T9_T10_S9_lSB_S9_lSA_T11_S9_li,comdat
.Lfunc_end513:
	.size	_ZL29rocblas_internal_gemmt_kernelIlLi16ELi32ELi8ELc78ELc78ELc76ELb0ELb0E19rocblas_complex_numIfEPKS1_PKS3_PKPS1_EviT_T9_T10_S9_lSB_S9_lSA_T11_S9_li, .Lfunc_end513-_ZL29rocblas_internal_gemmt_kernelIlLi16ELi32ELi8ELc78ELc78ELc76ELb0ELb0E19rocblas_complex_numIfEPKS1_PKS3_PKPS1_EviT_T9_T10_S9_lSB_S9_lSA_T11_S9_li
                                        ; -- End function
	.set _ZL29rocblas_internal_gemmt_kernelIlLi16ELi32ELi8ELc78ELc78ELc76ELb0ELb0E19rocblas_complex_numIfEPKS1_PKS3_PKPS1_EviT_T9_T10_S9_lSB_S9_lSA_T11_S9_li.num_vgpr, 73
	.set _ZL29rocblas_internal_gemmt_kernelIlLi16ELi32ELi8ELc78ELc78ELc76ELb0ELb0E19rocblas_complex_numIfEPKS1_PKS3_PKPS1_EviT_T9_T10_S9_lSB_S9_lSA_T11_S9_li.num_agpr, 0
	.set _ZL29rocblas_internal_gemmt_kernelIlLi16ELi32ELi8ELc78ELc78ELc76ELb0ELb0E19rocblas_complex_numIfEPKS1_PKS3_PKPS1_EviT_T9_T10_S9_lSB_S9_lSA_T11_S9_li.numbered_sgpr, 39
	.set _ZL29rocblas_internal_gemmt_kernelIlLi16ELi32ELi8ELc78ELc78ELc76ELb0ELb0E19rocblas_complex_numIfEPKS1_PKS3_PKPS1_EviT_T9_T10_S9_lSB_S9_lSA_T11_S9_li.num_named_barrier, 0
	.set _ZL29rocblas_internal_gemmt_kernelIlLi16ELi32ELi8ELc78ELc78ELc76ELb0ELb0E19rocblas_complex_numIfEPKS1_PKS3_PKPS1_EviT_T9_T10_S9_lSB_S9_lSA_T11_S9_li.private_seg_size, 0
	.set _ZL29rocblas_internal_gemmt_kernelIlLi16ELi32ELi8ELc78ELc78ELc76ELb0ELb0E19rocblas_complex_numIfEPKS1_PKS3_PKPS1_EviT_T9_T10_S9_lSB_S9_lSA_T11_S9_li.uses_vcc, 1
	.set _ZL29rocblas_internal_gemmt_kernelIlLi16ELi32ELi8ELc78ELc78ELc76ELb0ELb0E19rocblas_complex_numIfEPKS1_PKS3_PKPS1_EviT_T9_T10_S9_lSB_S9_lSA_T11_S9_li.uses_flat_scratch, 0
	.set _ZL29rocblas_internal_gemmt_kernelIlLi16ELi32ELi8ELc78ELc78ELc76ELb0ELb0E19rocblas_complex_numIfEPKS1_PKS3_PKPS1_EviT_T9_T10_S9_lSB_S9_lSA_T11_S9_li.has_dyn_sized_stack, 0
	.set _ZL29rocblas_internal_gemmt_kernelIlLi16ELi32ELi8ELc78ELc78ELc76ELb0ELb0E19rocblas_complex_numIfEPKS1_PKS3_PKPS1_EviT_T9_T10_S9_lSB_S9_lSA_T11_S9_li.has_recursion, 0
	.set _ZL29rocblas_internal_gemmt_kernelIlLi16ELi32ELi8ELc78ELc78ELc76ELb0ELb0E19rocblas_complex_numIfEPKS1_PKS3_PKPS1_EviT_T9_T10_S9_lSB_S9_lSA_T11_S9_li.has_indirect_call, 0
	.section	.AMDGPU.csdata,"",@progbits
; Kernel info:
; codeLenInByte = 3304
; TotalNumSgprs: 41
; NumVgprs: 73
; ScratchSize: 0
; MemoryBound: 0
; FloatMode: 240
; IeeeMode: 1
; LDSByteSize: 4096 bytes/workgroup (compile time only)
; SGPRBlocks: 0
; VGPRBlocks: 9
; NumSGPRsForWavesPerEU: 41
; NumVGPRsForWavesPerEU: 73
; Occupancy: 16
; WaveLimiterHint : 1
; COMPUTE_PGM_RSRC2:SCRATCH_EN: 0
; COMPUTE_PGM_RSRC2:USER_SGPR: 2
; COMPUTE_PGM_RSRC2:TRAP_HANDLER: 0
; COMPUTE_PGM_RSRC2:TGID_X_EN: 1
; COMPUTE_PGM_RSRC2:TGID_Y_EN: 1
; COMPUTE_PGM_RSRC2:TGID_Z_EN: 1
; COMPUTE_PGM_RSRC2:TIDIG_COMP_CNT: 1
	.section	.text._ZL29rocblas_internal_gemmt_kernelIlLi16ELi32ELi8ELc78ELc84ELc76ELb0ELb0E19rocblas_complex_numIfEPKS1_PKS3_PKPS1_EviT_T9_T10_S9_lSB_S9_lSA_T11_S9_li,"axG",@progbits,_ZL29rocblas_internal_gemmt_kernelIlLi16ELi32ELi8ELc78ELc84ELc76ELb0ELb0E19rocblas_complex_numIfEPKS1_PKS3_PKPS1_EviT_T9_T10_S9_lSB_S9_lSA_T11_S9_li,comdat
	.globl	_ZL29rocblas_internal_gemmt_kernelIlLi16ELi32ELi8ELc78ELc84ELc76ELb0ELb0E19rocblas_complex_numIfEPKS1_PKS3_PKPS1_EviT_T9_T10_S9_lSB_S9_lSA_T11_S9_li ; -- Begin function _ZL29rocblas_internal_gemmt_kernelIlLi16ELi32ELi8ELc78ELc84ELc76ELb0ELb0E19rocblas_complex_numIfEPKS1_PKS3_PKPS1_EviT_T9_T10_S9_lSB_S9_lSA_T11_S9_li
	.p2align	8
	.type	_ZL29rocblas_internal_gemmt_kernelIlLi16ELi32ELi8ELc78ELc84ELc76ELb0ELb0E19rocblas_complex_numIfEPKS1_PKS3_PKPS1_EviT_T9_T10_S9_lSB_S9_lSA_T11_S9_li,@function
_ZL29rocblas_internal_gemmt_kernelIlLi16ELi32ELi8ELc78ELc84ELc76ELb0ELb0E19rocblas_complex_numIfEPKS1_PKS3_PKPS1_EviT_T9_T10_S9_lSB_S9_lSA_T11_S9_li: ; @_ZL29rocblas_internal_gemmt_kernelIlLi16ELi32ELi8ELc78ELc84ELc76ELb0ELb0E19rocblas_complex_numIfEPKS1_PKS3_PKPS1_EviT_T9_T10_S9_lSB_S9_lSA_T11_S9_li
; %bb.0:
	s_load_b256 s[24:31], s[0:1], 0x48
	s_wait_kmcnt 0x0
	s_load_b64 s[6:7], s[24:25], 0x0
	s_load_b512 s[8:23], s[0:1], 0x8
	s_wait_kmcnt 0x0
	s_cmp_eq_f32 s6, 1.0
	s_load_b64 s[10:11], s[10:11], 0x0
	s_cselect_b32 s3, -1, 0
	s_and_b32 s2, s7, 0x7fffffff
	s_delay_alu instid0(SALU_CYCLE_1) | instskip(SKIP_1) | instid1(SALU_CYCLE_1)
	s_cmp_eq_u32 s2, 0
	s_cselect_b32 s2, -1, 0
	s_and_b32 s4, s3, s2
	s_mov_b32 s3, 0
	s_and_not1_b32 vcc_lo, exec_lo, s4
	s_mov_b32 s4, -1
	s_cbranch_vccnz .LBB514_4
; %bb.1:
	s_cmp_lg_u64 s[8:9], 0
	s_cbranch_scc0 .LBB514_3
; %bb.2:
	s_wait_kmcnt 0x0
	s_cmp_neq_f32 s10, 0
	s_cselect_b32 s3, -1, 0
	s_cmp_neq_f32 s11, 0
	s_cselect_b32 s4, -1, 0
	s_delay_alu instid0(SALU_CYCLE_1)
	s_or_b32 s3, s3, s4
.LBB514_3:
	s_delay_alu instid0(SALU_CYCLE_1)
	s_mov_b32 s4, s3
.LBB514_4:
	s_delay_alu instid0(SALU_CYCLE_1)
	s_and_b32 vcc_lo, exec_lo, s4
	s_cbranch_vccz .LBB514_42
; %bb.5:
	s_load_b32 s33, s[0:1], 0x68
	s_lshr_b32 s24, ttmp7, 16
	s_wait_kmcnt 0x0
	s_cmp_ge_u32 s24, s33
	s_cbranch_scc1 .LBB514_42
; %bb.6:
	v_bfe_u32 v10, v0, 10, 10
	s_load_b32 s4, s[0:1], 0x0
	s_lshl_b32 s0, ttmp7, 5
	v_and_b32_e32 v16, 7, v0
	s_and_b32 s0, s0, 0x1fffe0
	s_lshl_b32 s1, ttmp9, 5
	v_add_nc_u32_e32 v11, s0, v10
	s_cmp_neq_f32 s10, 0
	v_lshl_add_u32 v21, v10, 6, 0x800
	v_cmp_gt_i64_e64 s37, s[8:9], 0
	s_mov_b32 s25, 0
	v_mad_co_u64_u32 v[4:5], null, s28, v11, 0
	v_and_b32_e32 v9, 0x3ff, v0
	v_add_nc_u32_e32 v15, 16, v11
	s_cselect_b32 s3, -1, 0
	s_cmp_neq_f32 s11, 0
	s_delay_alu instid0(VALU_DEP_2) | instskip(SKIP_1) | instid1(SALU_CYCLE_1)
	v_lshl_add_u32 v1, v10, 4, v9
	s_cselect_b32 s5, -1, 0
	s_or_b32 s36, s3, s5
	s_delay_alu instid0(VALU_DEP_1)
	v_and_b32_e32 v0, 31, v1
	v_lshrrev_b32_e32 v3, 3, v1
	v_lshrrev_b32_e32 v17, 5, v1
	v_lshlrev_b32_e32 v1, 3, v16
	s_cmp_neq_f32 s6, 0
	v_or_b32_e32 v2, s1, v0
	v_lshlrev_b32_e32 v0, 3, v0
	v_add_nc_u32_e32 v14, s0, v3
	v_lshl_or_b32 v1, v3, 6, v1
	s_cselect_b32 s38, -1, 0
	s_xor_b32 s39, s2, -1
	v_lshl_or_b32 v18, v17, 8, v0
	s_delay_alu instid0(VALU_DEP_2)
	v_dual_mov_b32 v0, v5 :: v_dual_add_nc_u32 v19, 0x800, v1
	v_dual_mov_b32 v1, 0 :: v_dual_add_nc_u32 v8, s1, v9
	v_ashrrev_i32_e32 v3, 31, v2
	v_lshlrev_b32_e32 v20, 3, v9
	s_wait_kmcnt 0x0
	v_cmp_gt_i32_e64 s0, s4, v2
	v_mad_co_u64_u32 v[5:6], null, s29, v11, v[0:1]
	v_mad_co_u64_u32 v[6:7], null, s28, v15, 0
	v_add_nc_u32_e32 v10, 16, v8
	v_cmp_gt_i32_e64 s2, s4, v8
	v_ashrrev_i32_e32 v9, 31, v8
	v_cmp_le_i32_e64 s34, s4, v2
	v_cmp_gt_i32_e32 vcc_lo, s4, v14
	v_cmp_gt_i32_e64 s4, s4, v10
	v_mov_b32_e32 v0, v7
	v_cmp_le_i32_e64 s1, v11, v8
	v_cmp_le_i32_e64 s3, v11, v10
	v_ashrrev_i32_e32 v11, 31, v10
	v_cmp_le_i32_e64 s5, v15, v10
	v_mad_co_u64_u32 v[12:13], null, s29, v15, v[0:1]
	s_and_b32 s28, s1, s2
	v_cmp_le_i32_e64 s1, v15, v8
	v_lshlrev_b64_e32 v[2:3], 3, v[2:3]
	v_lshlrev_b64_e32 v[4:5], 3, v[4:5]
	v_lshlrev_b64_e32 v[8:9], 3, v[8:9]
	v_lshlrev_b64_e32 v[10:11], 3, v[10:11]
	v_dual_mov_b32 v7, v12 :: v_dual_lshlrev_b32 v22, 3, v14
	s_and_b32 s29, s3, s4
	s_and_b32 s1, s1, s2
	;; [unrolled: 1-line block ×3, first 2 shown]
	s_delay_alu instid0(VALU_DEP_1)
	v_lshlrev_b64_e32 v[6:7], 3, v[6:7]
	s_and_b32 s36, s36, s37
	s_lshl_b64 s[2:3], s[22:23], 3
	s_or_b32 s37, s38, s39
	s_lshl_b64 s[4:5], s[16:17], 3
	s_xor_b32 s38, vcc_lo, -1
	s_lshl_b64 s[16:17], s[30:31], 3
                                        ; implicit-def: $vgpr12_vgpr13
	s_branch .LBB514_8
.LBB514_7:                              ;   in Loop: Header=BB514_8 Depth=1
	s_wait_alu 0xfffe
	s_or_b32 exec_lo, exec_lo, s22
	s_add_co_i32 s24, s24, 0x10000
	s_delay_alu instid0(SALU_CYCLE_1)
	s_cmp_lt_u32 s24, s33
	s_cbranch_scc0 .LBB514_42
.LBB514_8:                              ; =>This Loop Header: Depth=1
                                        ;     Child Loop BB514_11 Depth 2
	s_lshl_b64 s[22:23], s[24:25], 3
	s_and_not1_b32 vcc_lo, exec_lo, s36
	s_wait_alu 0xfffe
	s_add_nc_u64 s[30:31], s[26:27], s[22:23]
	global_load_b64 v[14:15], v1, s[30:31]
	s_cbranch_vccnz .LBB514_21
; %bb.9:                                ;   in Loop: Header=BB514_8 Depth=1
	s_add_nc_u64 s[30:31], s[12:13], s[22:23]
	s_add_nc_u64 s[22:23], s[18:19], s[22:23]
	s_clause 0x1
	global_load_b64 v[23:24], v1, s[30:31]
	global_load_b64 v[25:26], v1, s[22:23]
	v_dual_mov_b32 v27, 0 :: v_dual_mov_b32 v28, 0
	v_dual_mov_b32 v30, 0 :: v_dual_mov_b32 v29, 0
	;; [unrolled: 1-line block ×4, first 2 shown]
	s_mov_b64 s[22:23], 0
	s_wait_loadcnt 0x1
	v_add_co_u32 v0, vcc_lo, v23, s4
	s_wait_alu 0xfffd
	v_add_co_ci_u32_e64 v24, null, s5, v24, vcc_lo
	s_wait_loadcnt 0x0
	v_add_co_u32 v25, vcc_lo, v25, s2
	s_wait_alu 0xfffd
	v_add_co_ci_u32_e64 v26, null, s3, v26, vcc_lo
	v_add_co_u32 v23, vcc_lo, v0, v2
	s_wait_alu 0xfffd
	v_add_co_ci_u32_e64 v24, null, v24, v3, vcc_lo
	;; [unrolled: 3-line block ×3, first 2 shown]
	s_branch .LBB514_11
.LBB514_10:                             ;   in Loop: Header=BB514_11 Depth=2
	s_or_b32 exec_lo, exec_lo, s30
	s_wait_dscnt 0x0
	s_barrier_signal -1
	s_barrier_wait -1
	global_inv scope:SCOPE_SE
	ds_load_b128 v[35:38], v21
	ds_load_2addr_b64 v[39:42], v20 offset1:16
	ds_load_b128 v[43:46], v21 offset:1024
	ds_load_b128 v[47:50], v21 offset:16
	;; [unrolled: 1-line block ×4, first 2 shown]
	ds_load_2addr_b64 v[59:62], v20 offset0:32 offset1:48
	ds_load_b128 v[63:66], v21 offset:1040
	s_add_nc_u64 s[22:23], s[22:23], 8
	s_wait_alu 0xfffe
	v_cmp_gt_i64_e64 s30, s[8:9], s[22:23]
	s_and_b32 vcc_lo, exec_lo, s30
	s_wait_dscnt 0x6
	v_dual_mul_f32 v0, v36, v40 :: v_dual_mul_f32 v69, v35, v42
	v_dual_mul_f32 v67, v35, v40 :: v_dual_mul_f32 v68, v36, v42
	s_wait_dscnt 0x5
	v_mul_f32_e32 v71, v44, v42
	s_delay_alu instid0(VALU_DEP_3) | instskip(SKIP_3) | instid1(VALU_DEP_4)
	v_fma_f32 v0, v35, v39, -v0
	v_dual_mul_f32 v42, v43, v42 :: v_dual_fmac_f32 v69, v36, v41
	v_fmac_f32_e32 v67, v36, v39
	v_fma_f32 v35, v35, v41, -v68
	v_add_f32_e32 v0, v33, v0
	v_mul_f32_e32 v70, v44, v40
	s_delay_alu instid0(VALU_DEP_4) | instskip(NEXT) | instid1(VALU_DEP_4)
	v_dual_mul_f32 v40, v43, v40 :: v_dual_add_f32 v33, v34, v67
	v_add_f32_e32 v34, v31, v35
	v_fmac_f32_e32 v42, v44, v41
	s_delay_alu instid0(VALU_DEP_4) | instskip(NEXT) | instid1(VALU_DEP_4)
	v_fma_f32 v36, v43, v39, -v70
	v_fmac_f32_e32 v40, v44, v39
	v_fma_f32 v39, v43, v41, -v71
	s_wait_dscnt 0x1
	v_dual_mul_f32 v41, v37, v60 :: v_dual_add_f32 v32, v32, v69
	v_mul_f32_e32 v43, v38, v62
	v_add_f32_e32 v35, v29, v36
	v_dual_add_f32 v36, v30, v40 :: v_dual_add_f32 v39, v28, v39
	ds_load_2addr_b64 v[28:31], v20 offset0:64 offset1:80
	v_fmac_f32_e32 v41, v38, v59
	v_dual_mul_f32 v40, v38, v60 :: v_dual_add_f32 v27, v27, v42
	v_mul_f32_e32 v42, v37, v62
	s_delay_alu instid0(VALU_DEP_3) | instskip(NEXT) | instid1(VALU_DEP_3)
	v_add_f32_e32 v41, v33, v41
	v_fma_f32 v40, v37, v59, -v40
	v_fma_f32 v37, v37, v61, -v43
	v_mul_f32_e32 v33, v45, v60
	s_delay_alu instid0(VALU_DEP_3) | instskip(SKIP_1) | instid1(VALU_DEP_4)
	v_add_f32_e32 v0, v0, v40
	v_mul_f32_e32 v40, v46, v60
	v_add_f32_e32 v37, v34, v37
	v_fmac_f32_e32 v42, v38, v61
	v_mul_f32_e32 v38, v46, v62
	v_fmac_f32_e32 v33, v46, v59
	v_fma_f32 v34, v45, v59, -v40
	s_delay_alu instid0(VALU_DEP_4) | instskip(SKIP_4) | instid1(VALU_DEP_3)
	v_add_f32_e32 v40, v32, v42
	v_mul_f32_e32 v42, v45, v62
	v_fma_f32 v32, v45, v61, -v38
	s_wait_dscnt 0x0
	v_dual_add_f32 v43, v35, v34 :: v_dual_mul_f32 v34, v48, v29
	v_dual_mul_f32 v45, v48, v31 :: v_dual_fmac_f32 v42, v46, v61
	v_mul_f32_e32 v38, v47, v29
	v_add_f32_e32 v39, v39, v32
	s_delay_alu instid0(VALU_DEP_3) | instskip(SKIP_3) | instid1(VALU_DEP_3)
	v_add_f32_e32 v42, v27, v42
	v_mul_f32_e32 v27, v47, v31
	v_fma_f32 v44, v47, v28, -v34
	v_fmac_f32_e32 v38, v48, v28
	v_fmac_f32_e32 v27, v48, v30
	s_delay_alu instid0(VALU_DEP_3)
	v_add_f32_e32 v0, v0, v44
	v_fma_f32 v44, v47, v30, -v45
	v_add_f32_e32 v36, v36, v33
	ds_load_2addr_b64 v[32:35], v20 offset0:96 offset1:112
	v_dual_add_f32 v38, v41, v38 :: v_dual_mul_f32 v41, v64, v29
	v_mul_f32_e32 v29, v63, v29
	v_dual_add_f32 v37, v37, v44 :: v_dual_mul_f32 v44, v64, v31
	v_mul_f32_e32 v31, v63, v31
	s_delay_alu instid0(VALU_DEP_4) | instskip(NEXT) | instid1(VALU_DEP_4)
	v_fma_f32 v41, v63, v28, -v41
	v_fmac_f32_e32 v29, v64, v28
	v_add_f32_e32 v40, v40, v27
	v_fma_f32 v27, v63, v30, -v44
	v_fmac_f32_e32 v31, v64, v30
	v_add_f32_e32 v41, v43, v41
	s_delay_alu instid0(VALU_DEP_3) | instskip(SKIP_4) | instid1(VALU_DEP_2)
	v_dual_add_f32 v43, v36, v29 :: v_dual_add_f32 v44, v39, v27
	ds_load_2addr_b64 v[27:30], v20 offset0:128 offset1:144
	s_wait_dscnt 0x1
	v_mul_f32_e32 v36, v50, v33
	v_dual_mul_f32 v39, v49, v33 :: v_dual_mul_f32 v48, v66, v35
	v_fma_f32 v36, v49, v32, -v36
	v_mul_f32_e32 v45, v50, v35
	s_delay_alu instid0(VALU_DEP_3) | instskip(NEXT) | instid1(VALU_DEP_3)
	v_fmac_f32_e32 v39, v50, v32
	v_add_f32_e32 v0, v0, v36
	s_delay_alu instid0(VALU_DEP_3) | instskip(SKIP_3) | instid1(VALU_DEP_4)
	v_fma_f32 v45, v49, v34, -v45
	v_add_f32_e32 v42, v42, v31
	v_dual_mul_f32 v31, v49, v35 :: v_dual_mul_f32 v36, v66, v33
	v_dual_add_f32 v46, v38, v39 :: v_dual_mul_f32 v33, v65, v33
	v_add_f32_e32 v45, v37, v45
	s_delay_alu instid0(VALU_DEP_3) | instskip(NEXT) | instid1(VALU_DEP_4)
	v_fmac_f32_e32 v31, v50, v34
	v_fma_f32 v47, v65, v32, -v36
	ds_load_b128 v[36:39], v21 offset:1056
	v_fmac_f32_e32 v33, v66, v32
	s_wait_dscnt 0x1
	v_mul_f32_e32 v32, v52, v28
	v_add_f32_e32 v49, v40, v31
	v_dual_mul_f32 v35, v65, v35 :: v_dual_mul_f32 v50, v51, v28
	s_delay_alu instid0(VALU_DEP_3)
	v_fma_f32 v40, v51, v27, -v32
	v_add_f32_e32 v47, v41, v47
	v_mul_f32_e32 v41, v52, v30
	v_fma_f32 v31, v65, v34, -v48
	v_dual_fmac_f32 v35, v66, v34 :: v_dual_fmac_f32 v50, v52, v27
	v_add_f32_e32 v0, v0, v40
	s_delay_alu instid0(VALU_DEP_4) | instskip(NEXT) | instid1(VALU_DEP_4)
	v_fma_f32 v59, v51, v29, -v41
	v_add_f32_e32 v44, v44, v31
	v_add_f32_e32 v48, v43, v33
	ds_load_2addr_b64 v[31:34], v20 offset0:160 offset1:176
	v_add_f32_e32 v35, v42, v35
	ds_load_b128 v[40:43], v21 offset:1072
	s_wait_dscnt 0x2
	v_dual_mul_f32 v51, v51, v30 :: v_dual_mul_f32 v60, v37, v28
	v_mul_f32_e32 v28, v36, v28
	s_delay_alu instid0(VALU_DEP_2) | instskip(SKIP_1) | instid1(VALU_DEP_3)
	v_dual_add_f32 v46, v46, v50 :: v_dual_fmac_f32 v51, v52, v29
	v_mul_f32_e32 v52, v37, v30
	v_fmac_f32_e32 v28, v37, v27
	v_fma_f32 v50, v36, v27, -v60
	s_delay_alu instid0(VALU_DEP_4) | instskip(SKIP_2) | instid1(VALU_DEP_2)
	v_add_f32_e32 v49, v49, v51
	v_mul_f32_e32 v51, v36, v30
	v_add_f32_e32 v45, v45, v59
	v_fmac_f32_e32 v51, v37, v29
	s_wait_dscnt 0x1
	v_mul_f32_e32 v37, v53, v32
	s_delay_alu instid0(VALU_DEP_1) | instskip(SKIP_4) | instid1(VALU_DEP_4)
	v_fmac_f32_e32 v37, v54, v31
	v_fma_f32 v27, v36, v29, -v52
	v_add_f32_e32 v36, v48, v28
	v_dual_mul_f32 v48, v54, v32 :: v_dual_add_f32 v47, v47, v50
	v_mul_f32_e32 v50, v54, v34
	v_add_f32_e32 v44, v44, v27
	ds_load_2addr_b64 v[27:30], v20 offset0:192 offset1:208
	v_fma_f32 v48, v53, v31, -v48
	v_add_f32_e32 v51, v35, v51
	v_dual_mul_f32 v35, v53, v34 :: v_dual_add_f32 v46, v46, v37
	v_mul_f32_e32 v37, v39, v32
	s_delay_alu instid0(VALU_DEP_4) | instskip(SKIP_4) | instid1(VALU_DEP_4)
	v_add_f32_e32 v0, v0, v48
	v_fma_f32 v48, v53, v33, -v50
	v_mul_f32_e32 v32, v38, v32
	v_fmac_f32_e32 v35, v54, v33
	v_fma_f32 v37, v38, v31, -v37
	v_dual_add_f32 v45, v45, v48 :: v_dual_mul_f32 v48, v39, v34
	s_delay_alu instid0(VALU_DEP_4) | instskip(NEXT) | instid1(VALU_DEP_4)
	v_dual_fmac_f32 v32, v39, v31 :: v_dual_mul_f32 v31, v38, v34
	v_add_f32_e32 v49, v49, v35
	s_delay_alu instid0(VALU_DEP_3) | instskip(NEXT) | instid1(VALU_DEP_3)
	v_fma_f32 v34, v38, v33, -v48
	v_dual_add_f32 v32, v36, v32 :: v_dual_fmac_f32 v31, v39, v33
	s_wait_dscnt 0x0
	s_delay_alu instid0(VALU_DEP_2) | instskip(SKIP_1) | instid1(VALU_DEP_3)
	v_dual_mul_f32 v48, v41, v28 :: v_dual_add_f32 v33, v44, v34
	v_mul_f32_e32 v34, v55, v28
	v_dual_mul_f32 v44, v56, v30 :: v_dual_add_f32 v31, v51, v31
	s_delay_alu instid0(VALU_DEP_2) | instskip(SKIP_1) | instid1(VALU_DEP_3)
	v_fmac_f32_e32 v34, v56, v27
	v_mul_f32_e32 v35, v56, v28
	v_fma_f32 v44, v55, v29, -v44
	v_mul_f32_e32 v28, v40, v28
	s_delay_alu instid0(VALU_DEP_4) | instskip(NEXT) | instid1(VALU_DEP_4)
	v_add_f32_e32 v34, v46, v34
	v_fma_f32 v39, v55, v27, -v35
	v_add_f32_e32 v47, v47, v37
	ds_load_2addr_b64 v[35:38], v20 offset0:224 offset1:240
	v_add_f32_e32 v44, v45, v44
	v_mul_f32_e32 v46, v41, v30
	v_dual_add_f32 v0, v0, v39 :: v_dual_mul_f32 v39, v55, v30
	v_fma_f32 v45, v40, v27, -v48
	v_fmac_f32_e32 v28, v41, v27
	v_mul_f32_e32 v30, v40, v30
	v_fma_f32 v40, v40, v29, -v46
	v_fmac_f32_e32 v39, v56, v29
	s_wait_loadcnt_dscnt 0x0
	s_barrier_signal -1
	v_fmac_f32_e32 v30, v41, v29
	v_add_f32_e32 v40, v33, v40
	v_add_f32_e32 v27, v49, v39
	v_dual_add_f32 v39, v47, v45 :: v_dual_add_f32 v28, v32, v28
	s_barrier_wait -1
	global_inv scope:SCOPE_SE
	v_mul_f32_e32 v29, v57, v36
	v_mul_f32_e32 v33, v58, v38
	s_delay_alu instid0(VALU_DEP_2) | instskip(SKIP_1) | instid1(VALU_DEP_3)
	v_fmac_f32_e32 v29, v58, v35
	v_dual_mul_f32 v32, v58, v36 :: v_dual_add_f32 v41, v31, v30
	v_fma_f32 v31, v57, v37, -v33
	s_delay_alu instid0(VALU_DEP_2) | instskip(NEXT) | instid1(VALU_DEP_2)
	v_fma_f32 v32, v57, v35, -v32
	v_dual_mul_f32 v30, v57, v38 :: v_dual_add_f32 v31, v44, v31
	v_mul_f32_e32 v44, v43, v38
	s_delay_alu instid0(VALU_DEP_3) | instskip(NEXT) | instid1(VALU_DEP_3)
	v_dual_mul_f32 v38, v42, v38 :: v_dual_add_f32 v33, v0, v32
	v_fmac_f32_e32 v30, v58, v37
	s_delay_alu instid0(VALU_DEP_2) | instskip(SKIP_2) | instid1(VALU_DEP_4)
	v_fmac_f32_e32 v38, v43, v37
	v_mul_f32_e32 v0, v43, v36
	v_mul_f32_e32 v36, v42, v36
	v_add_f32_e32 v32, v27, v30
	s_delay_alu instid0(VALU_DEP_4) | instskip(NEXT) | instid1(VALU_DEP_4)
	v_add_f32_e32 v27, v41, v38
	v_fma_f32 v0, v42, v35, -v0
	v_add_f32_e32 v34, v34, v29
	v_fmac_f32_e32 v36, v43, v35
	s_delay_alu instid0(VALU_DEP_3) | instskip(SKIP_1) | instid1(VALU_DEP_3)
	v_add_f32_e32 v29, v39, v0
	v_fma_f32 v0, v42, v37, -v44
	v_add_f32_e32 v30, v28, v36
	s_delay_alu instid0(VALU_DEP_2)
	v_add_f32_e32 v28, v40, v0
	s_wait_alu 0xfffe
	s_cbranch_vccz .LBB514_22
.LBB514_11:                             ;   Parent Loop BB514_8 Depth=1
                                        ; =>  This Inner Loop Header: Depth=2
	s_mov_b32 s30, 0
	s_mov_b32 s39, s34
	s_and_saveexec_b32 s31, s0
	s_cbranch_execnz .LBB514_19
; %bb.12:                               ;   in Loop: Header=BB514_11 Depth=2
	s_or_b32 exec_lo, exec_lo, s31
	s_and_saveexec_b32 s31, s39
	s_delay_alu instid0(SALU_CYCLE_1)
	s_xor_b32 s31, exec_lo, s31
	s_cbranch_execnz .LBB514_20
.LBB514_13:                             ;   in Loop: Header=BB514_11 Depth=2
	s_or_b32 exec_lo, exec_lo, s31
	s_and_saveexec_b32 s31, s30
	s_cbranch_execz .LBB514_15
.LBB514_14:                             ;   in Loop: Header=BB514_11 Depth=2
	v_mul_lo_u32 v0, s15, v12
	v_mul_lo_u32 v37, s14, v13
	v_mad_co_u64_u32 v[35:36], null, s14, v12, 0
	s_delay_alu instid0(VALU_DEP_1) | instskip(NEXT) | instid1(VALU_DEP_1)
	v_add3_u32 v36, v36, v37, v0
	v_lshlrev_b64_e32 v[35:36], 3, v[35:36]
	s_delay_alu instid0(VALU_DEP_1) | instskip(SKIP_1) | instid1(VALU_DEP_2)
	v_add_co_u32 v35, vcc_lo, v23, v35
	s_wait_alu 0xfffd
	v_add_co_ci_u32_e64 v36, null, v24, v36, vcc_lo
	flat_load_b64 v[35:36], v[35:36]
	s_wait_loadcnt_dscnt 0x0
	ds_store_b64 v18, v[35:36]
.LBB514_15:                             ;   in Loop: Header=BB514_11 Depth=2
	s_or_b32 exec_lo, exec_lo, s31
	s_wait_alu 0xfffe
	v_add_nc_u32_e32 v0, s22, v16
	s_delay_alu instid0(VALU_DEP_1) | instskip(SKIP_1) | instid1(SALU_CYCLE_1)
	v_cmp_le_u64_e32 vcc_lo, s[8:9], v[0:1]
	s_or_b32 s30, vcc_lo, s38
	s_and_saveexec_b32 s31, s30
	s_delay_alu instid0(SALU_CYCLE_1)
	s_xor_b32 s30, exec_lo, s31
; %bb.16:                               ;   in Loop: Header=BB514_11 Depth=2
	v_mov_b32_e32 v0, v1
	ds_store_b64 v19, v[0:1]
; %bb.17:                               ;   in Loop: Header=BB514_11 Depth=2
	s_and_not1_saveexec_b32 s30, s30
	s_cbranch_execz .LBB514_10
; %bb.18:                               ;   in Loop: Header=BB514_11 Depth=2
	v_mad_co_u64_u32 v[35:36], null, s20, v0, 0
	s_delay_alu instid0(VALU_DEP_1) | instskip(NEXT) | instid1(VALU_DEP_1)
	v_mad_co_u64_u32 v[36:37], null, s21, v0, v[36:37]
	v_lshlrev_b64_e32 v[35:36], 3, v[35:36]
	s_delay_alu instid0(VALU_DEP_1) | instskip(SKIP_1) | instid1(VALU_DEP_2)
	v_add_co_u32 v35, vcc_lo, v25, v35
	s_wait_alu 0xfffd
	v_add_co_ci_u32_e64 v36, null, v26, v36, vcc_lo
	flat_load_b64 v[35:36], v[35:36]
	s_wait_loadcnt_dscnt 0x0
	ds_store_b64 v19, v[35:36]
	s_branch .LBB514_10
.LBB514_19:                             ;   in Loop: Header=BB514_11 Depth=2
	s_wait_alu 0xfffe
	v_add_nc_u32_e32 v0, s22, v17
	v_mov_b32_e32 v13, v1
	s_and_not1_b32 s39, s34, exec_lo
	s_mov_b32 s30, exec_lo
	s_delay_alu instid0(VALU_DEP_2) | instskip(SKIP_2) | instid1(SALU_CYCLE_1)
	v_cmp_le_u64_e32 vcc_lo, s[8:9], v[0:1]
	v_mov_b32_e32 v12, v0
	s_and_b32 s40, vcc_lo, exec_lo
	s_or_b32 s39, s39, s40
	s_or_b32 exec_lo, exec_lo, s31
	s_and_saveexec_b32 s31, s39
	s_delay_alu instid0(SALU_CYCLE_1)
	s_xor_b32 s31, exec_lo, s31
	s_cbranch_execz .LBB514_13
.LBB514_20:                             ;   in Loop: Header=BB514_11 Depth=2
	v_mov_b32_e32 v0, v1
	s_and_not1_b32 s30, s30, exec_lo
	ds_store_b64 v18, v[0:1]
	s_or_b32 exec_lo, exec_lo, s31
	s_and_saveexec_b32 s31, s30
	s_cbranch_execnz .LBB514_14
	s_branch .LBB514_15
.LBB514_21:                             ;   in Loop: Header=BB514_8 Depth=1
	v_dual_mov_b32 v33, v1 :: v_dual_mov_b32 v34, v1
	v_dual_mov_b32 v31, v1 :: v_dual_mov_b32 v32, v1
	;; [unrolled: 1-line block ×4, first 2 shown]
.LBB514_22:                             ;   in Loop: Header=BB514_8 Depth=1
	s_wait_loadcnt 0x0
	v_add_co_u32 v0, vcc_lo, v14, s16
	s_wait_alu 0xfffd
	v_add_co_ci_u32_e64 v23, null, s17, v15, vcc_lo
	s_delay_alu instid0(VALU_DEP_2) | instskip(SKIP_1) | instid1(VALU_DEP_2)
	v_add_co_u32 v24, vcc_lo, v0, v4
	s_wait_alu 0xfffd
	v_add_co_ci_u32_e64 v25, null, v23, v5, vcc_lo
	s_wait_alu 0xfffe
	s_and_saveexec_b32 s22, s28
	s_cbranch_execz .LBB514_27
; %bb.23:                               ;   in Loop: Header=BB514_8 Depth=1
	v_mul_f32_e32 v15, s10, v34
	v_mul_f32_e32 v14, s11, v34
	s_and_b32 vcc_lo, exec_lo, s37
	s_mov_b32 s23, -1
	s_delay_alu instid0(VALU_DEP_2) | instskip(NEXT) | instid1(VALU_DEP_2)
	v_fmac_f32_e32 v15, s11, v33
	v_fma_f32 v14, v33, s10, -v14
	s_wait_alu 0xfffe
	s_cbranch_vccz .LBB514_25
; %bb.24:                               ;   in Loop: Header=BB514_8 Depth=1
	v_add_co_u32 v33, vcc_lo, v24, v8
	s_wait_alu 0xfffd
	v_add_co_ci_u32_e64 v34, null, v25, v9, vcc_lo
	s_mov_b32 s23, 0
	flat_load_b64 v[35:36], v[33:34]
	s_wait_loadcnt_dscnt 0x0
	v_mul_f32_e32 v26, s7, v36
	s_delay_alu instid0(VALU_DEP_1) | instskip(SKIP_1) | instid1(VALU_DEP_1)
	v_fma_f32 v26, v35, s6, -v26
	v_mul_f32_e32 v36, s6, v36
	v_dual_fmac_f32 v36, s7, v35 :: v_dual_add_f32 v35, v14, v26
	s_delay_alu instid0(VALU_DEP_1)
	v_add_f32_e32 v36, v15, v36
	flat_store_b64 v[33:34], v[35:36]
.LBB514_25:                             ;   in Loop: Header=BB514_8 Depth=1
	s_wait_alu 0xfffe
	s_and_not1_b32 vcc_lo, exec_lo, s23
	s_wait_alu 0xfffe
	s_cbranch_vccnz .LBB514_27
; %bb.26:                               ;   in Loop: Header=BB514_8 Depth=1
	v_add_co_u32 v33, vcc_lo, v24, v8
	s_wait_alu 0xfffd
	v_add_co_ci_u32_e64 v34, null, v25, v9, vcc_lo
	flat_store_b64 v[33:34], v[14:15]
.LBB514_27:                             ;   in Loop: Header=BB514_8 Depth=1
	s_wait_alu 0xfffe
	s_or_b32 exec_lo, exec_lo, s22
	s_and_saveexec_b32 s22, s29
	s_cbranch_execz .LBB514_32
; %bb.28:                               ;   in Loop: Header=BB514_8 Depth=1
	v_mul_f32_e32 v15, s10, v32
	v_mul_f32_e32 v14, s11, v32
	s_and_not1_b32 vcc_lo, exec_lo, s37
	s_mov_b32 s23, -1
	s_delay_alu instid0(VALU_DEP_2) | instskip(NEXT) | instid1(VALU_DEP_2)
	v_fmac_f32_e32 v15, s11, v31
	v_fma_f32 v14, v31, s10, -v14
	s_wait_alu 0xfffe
	s_cbranch_vccnz .LBB514_30
; %bb.29:                               ;   in Loop: Header=BB514_8 Depth=1
	v_add_co_u32 v31, vcc_lo, v24, v10
	s_wait_alu 0xfffd
	v_add_co_ci_u32_e64 v32, null, v25, v11, vcc_lo
	s_mov_b32 s23, 0
	flat_load_b64 v[33:34], v[31:32]
	s_wait_loadcnt_dscnt 0x0
	v_mul_f32_e32 v26, s7, v34
	v_mul_f32_e32 v34, s6, v34
	s_delay_alu instid0(VALU_DEP_2) | instskip(NEXT) | instid1(VALU_DEP_1)
	v_fma_f32 v26, v33, s6, -v26
	v_dual_fmac_f32 v34, s7, v33 :: v_dual_add_f32 v33, v14, v26
	s_delay_alu instid0(VALU_DEP_1)
	v_add_f32_e32 v34, v15, v34
	flat_store_b64 v[31:32], v[33:34]
.LBB514_30:                             ;   in Loop: Header=BB514_8 Depth=1
	s_wait_alu 0xfffe
	s_and_not1_b32 vcc_lo, exec_lo, s23
	s_wait_alu 0xfffe
	s_cbranch_vccnz .LBB514_32
; %bb.31:                               ;   in Loop: Header=BB514_8 Depth=1
	v_add_co_u32 v24, vcc_lo, v24, v10
	s_wait_alu 0xfffd
	v_add_co_ci_u32_e64 v25, null, v25, v11, vcc_lo
	flat_store_b64 v[24:25], v[14:15]
.LBB514_32:                             ;   in Loop: Header=BB514_8 Depth=1
	s_wait_alu 0xfffe
	s_or_b32 exec_lo, exec_lo, s22
	v_add_co_u32 v0, vcc_lo, v0, v6
	s_wait_alu 0xfffd
	v_add_co_ci_u32_e64 v23, null, v23, v7, vcc_lo
	s_and_saveexec_b32 s22, s1
	s_cbranch_execz .LBB514_37
; %bb.33:                               ;   in Loop: Header=BB514_8 Depth=1
	v_mul_f32_e32 v15, s10, v30
	v_mul_f32_e32 v14, s11, v30
	s_and_not1_b32 vcc_lo, exec_lo, s37
	s_mov_b32 s23, -1
	s_delay_alu instid0(VALU_DEP_2) | instskip(NEXT) | instid1(VALU_DEP_2)
	v_fmac_f32_e32 v15, s11, v29
	v_fma_f32 v14, v29, s10, -v14
	s_wait_alu 0xfffe
	s_cbranch_vccnz .LBB514_35
; %bb.34:                               ;   in Loop: Header=BB514_8 Depth=1
	v_add_co_u32 v24, vcc_lo, v0, v8
	s_wait_alu 0xfffd
	v_add_co_ci_u32_e64 v25, null, v23, v9, vcc_lo
	s_mov_b32 s23, 0
	flat_load_b64 v[29:30], v[24:25]
	s_wait_loadcnt_dscnt 0x0
	v_mul_f32_e32 v26, s7, v30
	v_mul_f32_e32 v30, s6, v30
	s_delay_alu instid0(VALU_DEP_2) | instskip(NEXT) | instid1(VALU_DEP_1)
	v_fma_f32 v26, v29, s6, -v26
	v_dual_fmac_f32 v30, s7, v29 :: v_dual_add_f32 v29, v14, v26
	s_delay_alu instid0(VALU_DEP_1)
	v_add_f32_e32 v30, v15, v30
	flat_store_b64 v[24:25], v[29:30]
.LBB514_35:                             ;   in Loop: Header=BB514_8 Depth=1
	s_wait_alu 0xfffe
	s_and_not1_b32 vcc_lo, exec_lo, s23
	s_wait_alu 0xfffe
	s_cbranch_vccnz .LBB514_37
; %bb.36:                               ;   in Loop: Header=BB514_8 Depth=1
	v_add_co_u32 v24, vcc_lo, v0, v8
	s_wait_alu 0xfffd
	v_add_co_ci_u32_e64 v25, null, v23, v9, vcc_lo
	flat_store_b64 v[24:25], v[14:15]
.LBB514_37:                             ;   in Loop: Header=BB514_8 Depth=1
	s_wait_alu 0xfffe
	s_or_b32 exec_lo, exec_lo, s22
	s_and_saveexec_b32 s22, s35
	s_cbranch_execz .LBB514_7
; %bb.38:                               ;   in Loop: Header=BB514_8 Depth=1
	v_mul_f32_e32 v15, s10, v27
	v_mul_f32_e32 v14, s11, v27
	s_and_not1_b32 vcc_lo, exec_lo, s37
	s_mov_b32 s23, -1
	s_delay_alu instid0(VALU_DEP_2) | instskip(NEXT) | instid1(VALU_DEP_2)
	v_fmac_f32_e32 v15, s11, v28
	v_fma_f32 v14, v28, s10, -v14
	s_wait_alu 0xfffe
	s_cbranch_vccnz .LBB514_40
; %bb.39:                               ;   in Loop: Header=BB514_8 Depth=1
	v_add_co_u32 v24, vcc_lo, v0, v10
	s_wait_alu 0xfffd
	v_add_co_ci_u32_e64 v25, null, v23, v11, vcc_lo
	s_mov_b32 s23, 0
	flat_load_b64 v[26:27], v[24:25]
	s_wait_loadcnt_dscnt 0x0
	v_mul_f32_e32 v28, s7, v27
	v_mul_f32_e32 v27, s6, v27
	s_delay_alu instid0(VALU_DEP_1) | instskip(NEXT) | instid1(VALU_DEP_3)
	v_fmac_f32_e32 v27, s7, v26
	v_fma_f32 v28, v26, s6, -v28
	s_delay_alu instid0(VALU_DEP_1)
	v_dual_add_f32 v27, v15, v27 :: v_dual_add_f32 v26, v14, v28
	flat_store_b64 v[24:25], v[26:27]
.LBB514_40:                             ;   in Loop: Header=BB514_8 Depth=1
	s_wait_alu 0xfffe
	s_and_not1_b32 vcc_lo, exec_lo, s23
	s_wait_alu 0xfffe
	s_cbranch_vccnz .LBB514_7
; %bb.41:                               ;   in Loop: Header=BB514_8 Depth=1
	v_add_co_u32 v24, vcc_lo, v0, v10
	s_wait_alu 0xfffd
	v_add_co_ci_u32_e64 v25, null, v23, v11, vcc_lo
	flat_store_b64 v[24:25], v[14:15]
	s_branch .LBB514_7
.LBB514_42:
	s_endpgm
	.section	.rodata,"a",@progbits
	.p2align	6, 0x0
	.amdhsa_kernel _ZL29rocblas_internal_gemmt_kernelIlLi16ELi32ELi8ELc78ELc84ELc76ELb0ELb0E19rocblas_complex_numIfEPKS1_PKS3_PKPS1_EviT_T9_T10_S9_lSB_S9_lSA_T11_S9_li
		.amdhsa_group_segment_fixed_size 4096
		.amdhsa_private_segment_fixed_size 0
		.amdhsa_kernarg_size 108
		.amdhsa_user_sgpr_count 2
		.amdhsa_user_sgpr_dispatch_ptr 0
		.amdhsa_user_sgpr_queue_ptr 0
		.amdhsa_user_sgpr_kernarg_segment_ptr 1
		.amdhsa_user_sgpr_dispatch_id 0
		.amdhsa_user_sgpr_private_segment_size 0
		.amdhsa_wavefront_size32 1
		.amdhsa_uses_dynamic_stack 0
		.amdhsa_enable_private_segment 0
		.amdhsa_system_sgpr_workgroup_id_x 1
		.amdhsa_system_sgpr_workgroup_id_y 1
		.amdhsa_system_sgpr_workgroup_id_z 1
		.amdhsa_system_sgpr_workgroup_info 0
		.amdhsa_system_vgpr_workitem_id 1
		.amdhsa_next_free_vgpr 72
		.amdhsa_next_free_sgpr 41
		.amdhsa_reserve_vcc 1
		.amdhsa_float_round_mode_32 0
		.amdhsa_float_round_mode_16_64 0
		.amdhsa_float_denorm_mode_32 3
		.amdhsa_float_denorm_mode_16_64 3
		.amdhsa_fp16_overflow 0
		.amdhsa_workgroup_processor_mode 1
		.amdhsa_memory_ordered 1
		.amdhsa_forward_progress 1
		.amdhsa_inst_pref_size 26
		.amdhsa_round_robin_scheduling 0
		.amdhsa_exception_fp_ieee_invalid_op 0
		.amdhsa_exception_fp_denorm_src 0
		.amdhsa_exception_fp_ieee_div_zero 0
		.amdhsa_exception_fp_ieee_overflow 0
		.amdhsa_exception_fp_ieee_underflow 0
		.amdhsa_exception_fp_ieee_inexact 0
		.amdhsa_exception_int_div_zero 0
	.end_amdhsa_kernel
	.section	.text._ZL29rocblas_internal_gemmt_kernelIlLi16ELi32ELi8ELc78ELc84ELc76ELb0ELb0E19rocblas_complex_numIfEPKS1_PKS3_PKPS1_EviT_T9_T10_S9_lSB_S9_lSA_T11_S9_li,"axG",@progbits,_ZL29rocblas_internal_gemmt_kernelIlLi16ELi32ELi8ELc78ELc84ELc76ELb0ELb0E19rocblas_complex_numIfEPKS1_PKS3_PKPS1_EviT_T9_T10_S9_lSB_S9_lSA_T11_S9_li,comdat
.Lfunc_end514:
	.size	_ZL29rocblas_internal_gemmt_kernelIlLi16ELi32ELi8ELc78ELc84ELc76ELb0ELb0E19rocblas_complex_numIfEPKS1_PKS3_PKPS1_EviT_T9_T10_S9_lSB_S9_lSA_T11_S9_li, .Lfunc_end514-_ZL29rocblas_internal_gemmt_kernelIlLi16ELi32ELi8ELc78ELc84ELc76ELb0ELb0E19rocblas_complex_numIfEPKS1_PKS3_PKPS1_EviT_T9_T10_S9_lSB_S9_lSA_T11_S9_li
                                        ; -- End function
	.set _ZL29rocblas_internal_gemmt_kernelIlLi16ELi32ELi8ELc78ELc84ELc76ELb0ELb0E19rocblas_complex_numIfEPKS1_PKS3_PKPS1_EviT_T9_T10_S9_lSB_S9_lSA_T11_S9_li.num_vgpr, 72
	.set _ZL29rocblas_internal_gemmt_kernelIlLi16ELi32ELi8ELc78ELc84ELc76ELb0ELb0E19rocblas_complex_numIfEPKS1_PKS3_PKPS1_EviT_T9_T10_S9_lSB_S9_lSA_T11_S9_li.num_agpr, 0
	.set _ZL29rocblas_internal_gemmt_kernelIlLi16ELi32ELi8ELc78ELc84ELc76ELb0ELb0E19rocblas_complex_numIfEPKS1_PKS3_PKPS1_EviT_T9_T10_S9_lSB_S9_lSA_T11_S9_li.numbered_sgpr, 41
	.set _ZL29rocblas_internal_gemmt_kernelIlLi16ELi32ELi8ELc78ELc84ELc76ELb0ELb0E19rocblas_complex_numIfEPKS1_PKS3_PKPS1_EviT_T9_T10_S9_lSB_S9_lSA_T11_S9_li.num_named_barrier, 0
	.set _ZL29rocblas_internal_gemmt_kernelIlLi16ELi32ELi8ELc78ELc84ELc76ELb0ELb0E19rocblas_complex_numIfEPKS1_PKS3_PKPS1_EviT_T9_T10_S9_lSB_S9_lSA_T11_S9_li.private_seg_size, 0
	.set _ZL29rocblas_internal_gemmt_kernelIlLi16ELi32ELi8ELc78ELc84ELc76ELb0ELb0E19rocblas_complex_numIfEPKS1_PKS3_PKPS1_EviT_T9_T10_S9_lSB_S9_lSA_T11_S9_li.uses_vcc, 1
	.set _ZL29rocblas_internal_gemmt_kernelIlLi16ELi32ELi8ELc78ELc84ELc76ELb0ELb0E19rocblas_complex_numIfEPKS1_PKS3_PKPS1_EviT_T9_T10_S9_lSB_S9_lSA_T11_S9_li.uses_flat_scratch, 0
	.set _ZL29rocblas_internal_gemmt_kernelIlLi16ELi32ELi8ELc78ELc84ELc76ELb0ELb0E19rocblas_complex_numIfEPKS1_PKS3_PKPS1_EviT_T9_T10_S9_lSB_S9_lSA_T11_S9_li.has_dyn_sized_stack, 0
	.set _ZL29rocblas_internal_gemmt_kernelIlLi16ELi32ELi8ELc78ELc84ELc76ELb0ELb0E19rocblas_complex_numIfEPKS1_PKS3_PKPS1_EviT_T9_T10_S9_lSB_S9_lSA_T11_S9_li.has_recursion, 0
	.set _ZL29rocblas_internal_gemmt_kernelIlLi16ELi32ELi8ELc78ELc84ELc76ELb0ELb0E19rocblas_complex_numIfEPKS1_PKS3_PKPS1_EviT_T9_T10_S9_lSB_S9_lSA_T11_S9_li.has_indirect_call, 0
	.section	.AMDGPU.csdata,"",@progbits
; Kernel info:
; codeLenInByte = 3284
; TotalNumSgprs: 43
; NumVgprs: 72
; ScratchSize: 0
; MemoryBound: 0
; FloatMode: 240
; IeeeMode: 1
; LDSByteSize: 4096 bytes/workgroup (compile time only)
; SGPRBlocks: 0
; VGPRBlocks: 8
; NumSGPRsForWavesPerEU: 43
; NumVGPRsForWavesPerEU: 72
; Occupancy: 16
; WaveLimiterHint : 1
; COMPUTE_PGM_RSRC2:SCRATCH_EN: 0
; COMPUTE_PGM_RSRC2:USER_SGPR: 2
; COMPUTE_PGM_RSRC2:TRAP_HANDLER: 0
; COMPUTE_PGM_RSRC2:TGID_X_EN: 1
; COMPUTE_PGM_RSRC2:TGID_Y_EN: 1
; COMPUTE_PGM_RSRC2:TGID_Z_EN: 1
; COMPUTE_PGM_RSRC2:TIDIG_COMP_CNT: 1
	.section	.text._ZL29rocblas_internal_gemmt_kernelIlLi16ELi32ELi8ELc78ELc67ELc76ELb0ELb1E19rocblas_complex_numIfEPKS1_PKS3_PKPS1_EviT_T9_T10_S9_lSB_S9_lSA_T11_S9_li,"axG",@progbits,_ZL29rocblas_internal_gemmt_kernelIlLi16ELi32ELi8ELc78ELc67ELc76ELb0ELb1E19rocblas_complex_numIfEPKS1_PKS3_PKPS1_EviT_T9_T10_S9_lSB_S9_lSA_T11_S9_li,comdat
	.globl	_ZL29rocblas_internal_gemmt_kernelIlLi16ELi32ELi8ELc78ELc67ELc76ELb0ELb1E19rocblas_complex_numIfEPKS1_PKS3_PKPS1_EviT_T9_T10_S9_lSB_S9_lSA_T11_S9_li ; -- Begin function _ZL29rocblas_internal_gemmt_kernelIlLi16ELi32ELi8ELc78ELc67ELc76ELb0ELb1E19rocblas_complex_numIfEPKS1_PKS3_PKPS1_EviT_T9_T10_S9_lSB_S9_lSA_T11_S9_li
	.p2align	8
	.type	_ZL29rocblas_internal_gemmt_kernelIlLi16ELi32ELi8ELc78ELc67ELc76ELb0ELb1E19rocblas_complex_numIfEPKS1_PKS3_PKPS1_EviT_T9_T10_S9_lSB_S9_lSA_T11_S9_li,@function
_ZL29rocblas_internal_gemmt_kernelIlLi16ELi32ELi8ELc78ELc67ELc76ELb0ELb1E19rocblas_complex_numIfEPKS1_PKS3_PKPS1_EviT_T9_T10_S9_lSB_S9_lSA_T11_S9_li: ; @_ZL29rocblas_internal_gemmt_kernelIlLi16ELi32ELi8ELc78ELc67ELc76ELb0ELb1E19rocblas_complex_numIfEPKS1_PKS3_PKPS1_EviT_T9_T10_S9_lSB_S9_lSA_T11_S9_li
; %bb.0:
	s_load_b256 s[24:31], s[0:1], 0x48
	s_wait_kmcnt 0x0
	s_load_b64 s[6:7], s[24:25], 0x0
	s_load_b512 s[8:23], s[0:1], 0x8
	s_wait_kmcnt 0x0
	s_cmp_eq_f32 s6, 1.0
	s_load_b64 s[10:11], s[10:11], 0x0
	s_cselect_b32 s3, -1, 0
	s_and_b32 s2, s7, 0x7fffffff
	s_delay_alu instid0(SALU_CYCLE_1) | instskip(SKIP_1) | instid1(SALU_CYCLE_1)
	s_cmp_eq_u32 s2, 0
	s_cselect_b32 s2, -1, 0
	s_and_b32 s4, s3, s2
	s_mov_b32 s3, 0
	s_and_not1_b32 vcc_lo, exec_lo, s4
	s_mov_b32 s4, -1
	s_cbranch_vccnz .LBB515_4
; %bb.1:
	s_cmp_lg_u64 s[8:9], 0
	s_cbranch_scc0 .LBB515_3
; %bb.2:
	s_wait_kmcnt 0x0
	s_cmp_neq_f32 s10, 0
	s_cselect_b32 s3, -1, 0
	s_cmp_neq_f32 s11, 0
	s_cselect_b32 s4, -1, 0
	s_delay_alu instid0(SALU_CYCLE_1)
	s_or_b32 s3, s3, s4
.LBB515_3:
	s_delay_alu instid0(SALU_CYCLE_1)
	s_mov_b32 s4, s3
.LBB515_4:
	s_delay_alu instid0(SALU_CYCLE_1)
	s_and_b32 vcc_lo, exec_lo, s4
	s_cbranch_vccz .LBB515_42
; %bb.5:
	s_load_b32 s33, s[0:1], 0x68
	s_lshr_b32 s24, ttmp7, 16
	s_wait_kmcnt 0x0
	s_cmp_ge_u32 s24, s33
	s_cbranch_scc1 .LBB515_42
; %bb.6:
	v_bfe_u32 v10, v0, 10, 10
	s_load_b32 s4, s[0:1], 0x0
	s_lshl_b32 s0, ttmp7, 5
	v_and_b32_e32 v16, 7, v0
	s_and_b32 s0, s0, 0x1fffe0
	s_lshl_b32 s1, ttmp9, 5
	v_add_nc_u32_e32 v11, s0, v10
	s_cmp_neq_f32 s10, 0
	v_lshl_add_u32 v21, v10, 6, 0x800
	v_cmp_gt_i64_e64 s37, s[8:9], 0
	s_mov_b32 s25, 0
	v_mad_co_u64_u32 v[4:5], null, s28, v11, 0
	v_and_b32_e32 v9, 0x3ff, v0
	v_add_nc_u32_e32 v15, 16, v11
	s_cselect_b32 s3, -1, 0
	s_cmp_neq_f32 s11, 0
	s_delay_alu instid0(VALU_DEP_2) | instskip(SKIP_1) | instid1(SALU_CYCLE_1)
	v_lshl_add_u32 v1, v10, 4, v9
	s_cselect_b32 s5, -1, 0
	s_or_b32 s36, s3, s5
	s_delay_alu instid0(VALU_DEP_1)
	v_and_b32_e32 v0, 31, v1
	v_lshrrev_b32_e32 v3, 3, v1
	v_lshrrev_b32_e32 v17, 5, v1
	v_lshlrev_b32_e32 v1, 3, v16
	s_cmp_neq_f32 s6, 0
	v_or_b32_e32 v2, s1, v0
	v_lshlrev_b32_e32 v0, 3, v0
	v_add_nc_u32_e32 v14, s0, v3
	v_lshl_or_b32 v1, v3, 6, v1
	s_cselect_b32 s38, -1, 0
	s_xor_b32 s39, s2, -1
	v_lshl_or_b32 v18, v17, 8, v0
	s_delay_alu instid0(VALU_DEP_2)
	v_dual_mov_b32 v0, v5 :: v_dual_add_nc_u32 v19, 0x800, v1
	v_dual_mov_b32 v1, 0 :: v_dual_add_nc_u32 v8, s1, v9
	v_ashrrev_i32_e32 v3, 31, v2
	v_lshlrev_b32_e32 v20, 3, v9
	s_wait_kmcnt 0x0
	v_cmp_gt_i32_e64 s0, s4, v2
	v_mad_co_u64_u32 v[5:6], null, s29, v11, v[0:1]
	v_mad_co_u64_u32 v[6:7], null, s28, v15, 0
	v_add_nc_u32_e32 v10, 16, v8
	v_cmp_gt_i32_e64 s2, s4, v8
	v_ashrrev_i32_e32 v9, 31, v8
	v_cmp_le_i32_e64 s34, s4, v2
	v_cmp_gt_i32_e32 vcc_lo, s4, v14
	v_cmp_gt_i32_e64 s4, s4, v10
	v_mov_b32_e32 v0, v7
	v_cmp_le_i32_e64 s1, v11, v8
	v_cmp_le_i32_e64 s3, v11, v10
	v_ashrrev_i32_e32 v11, 31, v10
	v_cmp_le_i32_e64 s5, v15, v10
	v_mad_co_u64_u32 v[12:13], null, s29, v15, v[0:1]
	s_and_b32 s28, s1, s2
	v_cmp_le_i32_e64 s1, v15, v8
	v_lshlrev_b64_e32 v[2:3], 3, v[2:3]
	v_lshlrev_b64_e32 v[4:5], 3, v[4:5]
	v_lshlrev_b64_e32 v[8:9], 3, v[8:9]
	v_lshlrev_b64_e32 v[10:11], 3, v[10:11]
	v_dual_mov_b32 v7, v12 :: v_dual_lshlrev_b32 v22, 3, v14
	s_and_b32 s29, s3, s4
	s_and_b32 s1, s1, s2
	;; [unrolled: 1-line block ×3, first 2 shown]
	s_delay_alu instid0(VALU_DEP_1)
	v_lshlrev_b64_e32 v[6:7], 3, v[6:7]
	s_and_b32 s36, s36, s37
	s_lshl_b64 s[2:3], s[22:23], 3
	s_or_b32 s37, s38, s39
	s_lshl_b64 s[4:5], s[16:17], 3
	s_xor_b32 s38, vcc_lo, -1
	s_lshl_b64 s[16:17], s[30:31], 3
                                        ; implicit-def: $vgpr12_vgpr13
	s_branch .LBB515_8
.LBB515_7:                              ;   in Loop: Header=BB515_8 Depth=1
	s_wait_alu 0xfffe
	s_or_b32 exec_lo, exec_lo, s22
	s_add_co_i32 s24, s24, 0x10000
	s_delay_alu instid0(SALU_CYCLE_1)
	s_cmp_lt_u32 s24, s33
	s_cbranch_scc0 .LBB515_42
.LBB515_8:                              ; =>This Loop Header: Depth=1
                                        ;     Child Loop BB515_11 Depth 2
	s_lshl_b64 s[22:23], s[24:25], 3
	s_and_not1_b32 vcc_lo, exec_lo, s36
	s_wait_alu 0xfffe
	s_add_nc_u64 s[30:31], s[26:27], s[22:23]
	global_load_b64 v[14:15], v1, s[30:31]
	s_cbranch_vccnz .LBB515_21
; %bb.9:                                ;   in Loop: Header=BB515_8 Depth=1
	s_add_nc_u64 s[30:31], s[12:13], s[22:23]
	s_add_nc_u64 s[22:23], s[18:19], s[22:23]
	s_clause 0x1
	global_load_b64 v[23:24], v1, s[30:31]
	global_load_b64 v[25:26], v1, s[22:23]
	v_dual_mov_b32 v27, 0 :: v_dual_mov_b32 v28, 0
	v_dual_mov_b32 v30, 0 :: v_dual_mov_b32 v29, 0
	;; [unrolled: 1-line block ×4, first 2 shown]
	s_mov_b64 s[22:23], 0
	s_wait_loadcnt 0x1
	v_add_co_u32 v0, vcc_lo, v23, s4
	s_wait_alu 0xfffd
	v_add_co_ci_u32_e64 v24, null, s5, v24, vcc_lo
	s_wait_loadcnt 0x0
	v_add_co_u32 v25, vcc_lo, v25, s2
	s_wait_alu 0xfffd
	v_add_co_ci_u32_e64 v26, null, s3, v26, vcc_lo
	v_add_co_u32 v23, vcc_lo, v0, v2
	s_wait_alu 0xfffd
	v_add_co_ci_u32_e64 v24, null, v24, v3, vcc_lo
	;; [unrolled: 3-line block ×3, first 2 shown]
	s_branch .LBB515_11
.LBB515_10:                             ;   in Loop: Header=BB515_11 Depth=2
	s_or_b32 exec_lo, exec_lo, s30
	ds_store_b32 v19, v35 offset:4
	s_wait_dscnt 0x0
	s_barrier_signal -1
	s_barrier_wait -1
	global_inv scope:SCOPE_SE
	ds_load_b128 v[35:38], v21
	ds_load_2addr_b64 v[39:42], v20 offset1:16
	ds_load_b128 v[43:46], v21 offset:1024
	ds_load_b128 v[47:50], v21 offset:16
	;; [unrolled: 1-line block ×4, first 2 shown]
	ds_load_2addr_b64 v[59:62], v20 offset0:32 offset1:48
	ds_load_b128 v[63:66], v21 offset:1040
	s_add_nc_u64 s[22:23], s[22:23], 8
	s_wait_alu 0xfffe
	v_cmp_gt_i64_e64 s30, s[8:9], s[22:23]
	s_and_b32 vcc_lo, exec_lo, s30
	s_wait_dscnt 0x6
	v_dual_mul_f32 v0, v36, v40 :: v_dual_mul_f32 v69, v35, v42
	v_dual_mul_f32 v67, v35, v40 :: v_dual_mul_f32 v68, v36, v42
	s_wait_dscnt 0x5
	v_mul_f32_e32 v71, v44, v42
	s_delay_alu instid0(VALU_DEP_3) | instskip(SKIP_3) | instid1(VALU_DEP_4)
	v_fma_f32 v0, v35, v39, -v0
	v_dual_mul_f32 v42, v43, v42 :: v_dual_fmac_f32 v69, v36, v41
	v_fmac_f32_e32 v67, v36, v39
	v_fma_f32 v35, v35, v41, -v68
	v_add_f32_e32 v0, v33, v0
	v_mul_f32_e32 v70, v44, v40
	s_delay_alu instid0(VALU_DEP_4) | instskip(NEXT) | instid1(VALU_DEP_4)
	v_dual_mul_f32 v40, v43, v40 :: v_dual_add_f32 v33, v34, v67
	v_add_f32_e32 v34, v31, v35
	v_fma_f32 v31, v43, v41, -v71
	s_delay_alu instid0(VALU_DEP_4) | instskip(NEXT) | instid1(VALU_DEP_4)
	v_fma_f32 v36, v43, v39, -v70
	v_fmac_f32_e32 v40, v44, v39
	s_wait_dscnt 0x1
	v_dual_add_f32 v32, v32, v69 :: v_dual_mul_f32 v39, v38, v60
	v_dual_fmac_f32 v42, v44, v41 :: v_dual_mul_f32 v43, v38, v62
	v_add_f32_e32 v35, v29, v36
	v_add_f32_e32 v36, v30, v40
	v_dual_add_f32 v40, v28, v31 :: v_dual_mul_f32 v41, v37, v60
	ds_load_2addr_b64 v[28:31], v20 offset0:64 offset1:80
	v_fma_f32 v39, v37, v59, -v39
	v_add_f32_e32 v27, v27, v42
	v_dual_mul_f32 v42, v37, v62 :: v_dual_fmac_f32 v41, v38, v59
	v_fma_f32 v37, v37, v61, -v43
	s_delay_alu instid0(VALU_DEP_4) | instskip(NEXT) | instid1(VALU_DEP_3)
	v_dual_add_f32 v0, v0, v39 :: v_dual_mul_f32 v39, v46, v60
	v_fmac_f32_e32 v42, v38, v61
	s_delay_alu instid0(VALU_DEP_4)
	v_add_f32_e32 v41, v33, v41
	v_mul_f32_e32 v33, v45, v60
	v_add_f32_e32 v37, v34, v37
	v_fma_f32 v34, v45, v59, -v39
	v_mul_f32_e32 v38, v46, v62
	v_add_f32_e32 v39, v32, v42
	v_dual_mul_f32 v42, v45, v62 :: v_dual_fmac_f32 v33, v46, v59
	s_delay_alu instid0(VALU_DEP_4) | instskip(NEXT) | instid1(VALU_DEP_4)
	v_add_f32_e32 v43, v35, v34
	v_fma_f32 v32, v45, v61, -v38
	s_wait_dscnt 0x0
	v_mul_f32_e32 v34, v48, v29
	v_dual_fmac_f32 v42, v46, v61 :: v_dual_mul_f32 v45, v48, v31
	s_delay_alu instid0(VALU_DEP_3) | instskip(SKIP_1) | instid1(VALU_DEP_4)
	v_add_f32_e32 v40, v40, v32
	v_add_f32_e32 v36, v36, v33
	v_fma_f32 v44, v47, v28, -v34
	s_delay_alu instid0(VALU_DEP_4)
	v_add_f32_e32 v42, v27, v42
	v_mul_f32_e32 v27, v47, v31
	v_mul_f32_e32 v38, v47, v29
	ds_load_2addr_b64 v[32:35], v20 offset0:96 offset1:112
	v_add_f32_e32 v0, v0, v44
	v_fma_f32 v44, v47, v30, -v45
	v_fmac_f32_e32 v27, v48, v30
	v_fmac_f32_e32 v38, v48, v28
	s_delay_alu instid0(VALU_DEP_3) | instskip(NEXT) | instid1(VALU_DEP_2)
	v_dual_add_f32 v37, v37, v44 :: v_dual_mul_f32 v44, v64, v31
	v_dual_add_f32 v38, v41, v38 :: v_dual_mul_f32 v41, v64, v29
	v_mul_f32_e32 v29, v63, v29
	v_mul_f32_e32 v31, v63, v31
	v_add_f32_e32 v45, v39, v27
	v_fma_f32 v27, v63, v30, -v44
	v_fma_f32 v41, v63, v28, -v41
	v_fmac_f32_e32 v29, v64, v28
	v_fmac_f32_e32 v31, v64, v30
	s_delay_alu instid0(VALU_DEP_3) | instskip(SKIP_1) | instid1(VALU_DEP_3)
	v_dual_add_f32 v40, v40, v27 :: v_dual_add_f32 v41, v43, v41
	s_wait_dscnt 0x0
	v_dual_add_f32 v43, v36, v29 :: v_dual_mul_f32 v44, v50, v35
	ds_load_2addr_b64 v[27:30], v20 offset0:128 offset1:144
	v_mul_f32_e32 v36, v50, v33
	v_mul_f32_e32 v48, v66, v35
	v_fma_f32 v44, v49, v34, -v44
	s_delay_alu instid0(VALU_DEP_3) | instskip(NEXT) | instid1(VALU_DEP_1)
	v_fma_f32 v36, v49, v32, -v36
	v_add_f32_e32 v0, v0, v36
	v_mul_f32_e32 v36, v66, v33
	v_dual_mul_f32 v39, v49, v33 :: v_dual_add_f32 v42, v42, v31
	v_mul_f32_e32 v31, v49, v35
	v_mul_f32_e32 v33, v65, v33
	s_delay_alu instid0(VALU_DEP_4) | instskip(NEXT) | instid1(VALU_DEP_2)
	v_fma_f32 v47, v65, v32, -v36
	v_fmac_f32_e32 v33, v66, v32
	v_fmac_f32_e32 v39, v50, v32
	s_wait_dscnt 0x0
	v_dual_mul_f32 v32, v52, v28 :: v_dual_fmac_f32 v31, v50, v34
	s_delay_alu instid0(VALU_DEP_1) | instskip(SKIP_1) | instid1(VALU_DEP_2)
	v_dual_mul_f32 v50, v51, v28 :: v_dual_add_f32 v45, v45, v31
	v_fma_f32 v31, v65, v34, -v48
	v_fmac_f32_e32 v50, v52, v27
	v_add_f32_e32 v48, v43, v33
	v_add_f32_e32 v46, v38, v39
	;; [unrolled: 1-line block ×4, first 2 shown]
	v_fma_f32 v40, v51, v27, -v32
	v_mul_f32_e32 v35, v65, v35
	v_mul_f32_e32 v41, v52, v30
	v_add_f32_e32 v46, v46, v50
	s_delay_alu instid0(VALU_DEP_4) | instskip(NEXT) | instid1(VALU_DEP_4)
	v_add_f32_e32 v0, v0, v40
	v_dual_add_f32 v44, v37, v44 :: v_dual_fmac_f32 v35, v66, v34
	ds_load_b128 v[36:39], v21 offset:1056
	ds_load_2addr_b64 v[31:34], v20 offset0:160 offset1:176
	v_fma_f32 v59, v51, v29, -v41
	v_mul_f32_e32 v51, v51, v30
	v_add_f32_e32 v35, v42, v35
	ds_load_b128 v[40:43], v21 offset:1072
	v_add_f32_e32 v44, v44, v59
	s_wait_dscnt 0x2
	v_dual_fmac_f32 v51, v52, v29 :: v_dual_mul_f32 v52, v37, v30
	v_mul_f32_e32 v60, v37, v28
	v_mul_f32_e32 v28, v36, v28
	s_delay_alu instid0(VALU_DEP_2) | instskip(NEXT) | instid1(VALU_DEP_2)
	v_fma_f32 v50, v36, v27, -v60
	v_fmac_f32_e32 v28, v37, v27
	v_add_f32_e32 v45, v45, v51
	v_mul_f32_e32 v51, v36, v30
	v_fma_f32 v27, v36, v29, -v52
	s_delay_alu instid0(VALU_DEP_4) | instskip(SKIP_1) | instid1(VALU_DEP_3)
	v_dual_add_f32 v47, v47, v50 :: v_dual_add_f32 v36, v48, v28
	s_wait_dscnt 0x1
	v_dual_mul_f32 v48, v54, v32 :: v_dual_fmac_f32 v51, v37, v29
	v_dual_mul_f32 v50, v54, v34 :: v_dual_mul_f32 v37, v53, v32
	s_delay_alu instid0(VALU_DEP_2) | instskip(SKIP_4) | instid1(VALU_DEP_1)
	v_fma_f32 v48, v53, v31, -v48
	v_add_f32_e32 v49, v49, v27
	ds_load_2addr_b64 v[27:30], v20 offset0:192 offset1:208
	v_add_f32_e32 v0, v0, v48
	v_fma_f32 v48, v53, v33, -v50
	v_add_f32_e32 v44, v44, v48
	v_dual_mul_f32 v48, v39, v34 :: v_dual_fmac_f32 v37, v54, v31
	v_add_f32_e32 v51, v35, v51
	s_delay_alu instid0(VALU_DEP_2) | instskip(SKIP_2) | instid1(VALU_DEP_3)
	v_dual_mul_f32 v35, v53, v34 :: v_dual_add_f32 v46, v46, v37
	v_mul_f32_e32 v37, v39, v32
	v_mul_f32_e32 v32, v38, v32
	v_fmac_f32_e32 v35, v54, v33
	s_delay_alu instid0(VALU_DEP_3) | instskip(NEXT) | instid1(VALU_DEP_3)
	v_fma_f32 v37, v38, v31, -v37
	v_dual_fmac_f32 v32, v39, v31 :: v_dual_mul_f32 v31, v38, v34
	v_fma_f32 v34, v38, v33, -v48
	s_wait_dscnt 0x0
	v_dual_add_f32 v45, v45, v35 :: v_dual_mul_f32 v48, v56, v30
	s_delay_alu instid0(VALU_DEP_3) | instskip(NEXT) | instid1(VALU_DEP_3)
	v_dual_add_f32 v32, v36, v32 :: v_dual_fmac_f32 v31, v39, v33
	v_dual_add_f32 v33, v49, v34 :: v_dual_mul_f32 v34, v55, v28
	v_add_f32_e32 v47, v47, v37
	s_delay_alu instid0(VALU_DEP_4) | instskip(NEXT) | instid1(VALU_DEP_3)
	v_fma_f32 v48, v55, v29, -v48
	v_dual_mul_f32 v49, v41, v28 :: v_dual_fmac_f32 v34, v56, v27
	v_mul_f32_e32 v35, v56, v28
	v_mul_f32_e32 v28, v40, v28
	s_delay_alu instid0(VALU_DEP_4)
	v_add_f32_e32 v44, v44, v48
	v_mul_f32_e32 v48, v41, v30
	v_add_f32_e32 v34, v46, v34
	v_fma_f32 v39, v55, v27, -v35
	ds_load_2addr_b64 v[35:38], v20 offset0:224 offset1:240
	v_fmac_f32_e32 v28, v41, v27
	s_wait_loadcnt_dscnt 0x0
	s_barrier_signal -1
	v_dual_add_f32 v0, v0, v39 :: v_dual_mul_f32 v39, v55, v30
	v_dual_add_f32 v31, v51, v31 :: v_dual_mul_f32 v30, v40, v30
	v_fma_f32 v46, v40, v27, -v49
	v_fma_f32 v40, v40, v29, -v48
	s_delay_alu instid0(VALU_DEP_4)
	v_fmac_f32_e32 v39, v56, v29
	v_add_f32_e32 v28, v32, v28
	v_fmac_f32_e32 v30, v41, v29
	s_barrier_wait -1
	v_add_f32_e32 v40, v33, v40
	v_add_f32_e32 v27, v45, v39
	v_add_f32_e32 v39, v47, v46
	global_inv scope:SCOPE_SE
	v_mul_f32_e32 v32, v58, v36
	v_mul_f32_e32 v33, v58, v38
	v_add_f32_e32 v41, v31, v30
	s_delay_alu instid0(VALU_DEP_3) | instskip(SKIP_1) | instid1(VALU_DEP_4)
	v_fma_f32 v32, v57, v35, -v32
	v_mul_f32_e32 v30, v57, v38
	v_fma_f32 v31, v57, v37, -v33
	s_delay_alu instid0(VALU_DEP_3) | instskip(NEXT) | instid1(VALU_DEP_3)
	v_add_f32_e32 v33, v0, v32
	v_dual_mul_f32 v29, v57, v36 :: v_dual_fmac_f32 v30, v58, v37
	s_delay_alu instid0(VALU_DEP_3) | instskip(NEXT) | instid1(VALU_DEP_2)
	v_dual_mul_f32 v0, v43, v36 :: v_dual_add_f32 v31, v44, v31
	v_dual_mul_f32 v44, v43, v38 :: v_dual_fmac_f32 v29, v58, v35
	s_delay_alu instid0(VALU_DEP_3) | instskip(NEXT) | instid1(VALU_DEP_3)
	v_add_f32_e32 v32, v27, v30
	v_fma_f32 v0, v42, v35, -v0
	v_mul_f32_e32 v38, v42, v38
	s_delay_alu instid0(VALU_DEP_2) | instskip(NEXT) | instid1(VALU_DEP_2)
	v_dual_add_f32 v34, v34, v29 :: v_dual_add_f32 v29, v39, v0
	v_fmac_f32_e32 v38, v43, v37
	v_mul_f32_e32 v36, v42, v36
	v_fma_f32 v0, v42, v37, -v44
	s_delay_alu instid0(VALU_DEP_2) | instskip(NEXT) | instid1(VALU_DEP_1)
	v_dual_add_f32 v27, v41, v38 :: v_dual_fmac_f32 v36, v43, v35
	v_add_f32_e32 v30, v28, v36
	s_delay_alu instid0(VALU_DEP_3)
	v_add_f32_e32 v28, v40, v0
	s_wait_alu 0xfffe
	s_cbranch_vccz .LBB515_22
.LBB515_11:                             ;   Parent Loop BB515_8 Depth=1
                                        ; =>  This Inner Loop Header: Depth=2
	s_mov_b32 s30, 0
	s_mov_b32 s39, s34
	s_and_saveexec_b32 s31, s0
	s_cbranch_execnz .LBB515_19
; %bb.12:                               ;   in Loop: Header=BB515_11 Depth=2
	s_or_b32 exec_lo, exec_lo, s31
	s_and_saveexec_b32 s31, s39
	s_delay_alu instid0(SALU_CYCLE_1)
	s_xor_b32 s31, exec_lo, s31
	s_cbranch_execnz .LBB515_20
.LBB515_13:                             ;   in Loop: Header=BB515_11 Depth=2
	s_or_b32 exec_lo, exec_lo, s31
	s_and_saveexec_b32 s31, s30
	s_cbranch_execz .LBB515_15
.LBB515_14:                             ;   in Loop: Header=BB515_11 Depth=2
	v_mul_lo_u32 v0, s15, v12
	v_mul_lo_u32 v37, s14, v13
	v_mad_co_u64_u32 v[35:36], null, s14, v12, 0
	s_delay_alu instid0(VALU_DEP_1) | instskip(NEXT) | instid1(VALU_DEP_1)
	v_add3_u32 v36, v36, v37, v0
	v_lshlrev_b64_e32 v[35:36], 3, v[35:36]
	s_delay_alu instid0(VALU_DEP_1) | instskip(SKIP_1) | instid1(VALU_DEP_2)
	v_add_co_u32 v35, vcc_lo, v23, v35
	s_wait_alu 0xfffd
	v_add_co_ci_u32_e64 v36, null, v24, v36, vcc_lo
	flat_load_b64 v[35:36], v[35:36]
	s_wait_loadcnt_dscnt 0x0
	ds_store_b64 v18, v[35:36]
.LBB515_15:                             ;   in Loop: Header=BB515_11 Depth=2
	s_or_b32 exec_lo, exec_lo, s31
	s_wait_alu 0xfffe
	v_add_nc_u32_e32 v0, s22, v16
	s_delay_alu instid0(VALU_DEP_1) | instskip(SKIP_1) | instid1(SALU_CYCLE_1)
	v_cmp_le_u64_e32 vcc_lo, s[8:9], v[0:1]
	s_or_b32 s30, vcc_lo, s38
	s_and_saveexec_b32 s31, s30
	s_delay_alu instid0(SALU_CYCLE_1)
	s_xor_b32 s30, exec_lo, s31
; %bb.16:                               ;   in Loop: Header=BB515_11 Depth=2
	ds_store_b32 v19, v1
; %bb.17:                               ;   in Loop: Header=BB515_11 Depth=2
	s_or_saveexec_b32 s30, s30
	v_mov_b32_e32 v35, 0
	s_xor_b32 exec_lo, exec_lo, s30
	s_cbranch_execz .LBB515_10
; %bb.18:                               ;   in Loop: Header=BB515_11 Depth=2
	v_mad_co_u64_u32 v[35:36], null, s20, v0, 0
	s_delay_alu instid0(VALU_DEP_1) | instskip(NEXT) | instid1(VALU_DEP_1)
	v_mad_co_u64_u32 v[36:37], null, s21, v0, v[36:37]
	v_lshlrev_b64_e32 v[35:36], 3, v[35:36]
	s_delay_alu instid0(VALU_DEP_1) | instskip(SKIP_1) | instid1(VALU_DEP_2)
	v_add_co_u32 v35, vcc_lo, v25, v35
	s_wait_alu 0xfffd
	v_add_co_ci_u32_e64 v36, null, v26, v36, vcc_lo
	flat_load_b64 v[36:37], v[35:36]
	s_wait_loadcnt_dscnt 0x0
	v_xor_b32_e32 v35, 0x80000000, v37
	ds_store_b32 v19, v36
	s_branch .LBB515_10
.LBB515_19:                             ;   in Loop: Header=BB515_11 Depth=2
	s_wait_alu 0xfffe
	v_add_nc_u32_e32 v0, s22, v17
	v_mov_b32_e32 v13, v1
	s_and_not1_b32 s39, s34, exec_lo
	s_mov_b32 s30, exec_lo
	s_delay_alu instid0(VALU_DEP_2) | instskip(SKIP_2) | instid1(SALU_CYCLE_1)
	v_cmp_le_u64_e32 vcc_lo, s[8:9], v[0:1]
	v_mov_b32_e32 v12, v0
	s_and_b32 s40, vcc_lo, exec_lo
	s_or_b32 s39, s39, s40
	s_or_b32 exec_lo, exec_lo, s31
	s_and_saveexec_b32 s31, s39
	s_delay_alu instid0(SALU_CYCLE_1)
	s_xor_b32 s31, exec_lo, s31
	s_cbranch_execz .LBB515_13
.LBB515_20:                             ;   in Loop: Header=BB515_11 Depth=2
	v_mov_b32_e32 v0, v1
	s_and_not1_b32 s30, s30, exec_lo
	ds_store_b64 v18, v[0:1]
	s_or_b32 exec_lo, exec_lo, s31
	s_and_saveexec_b32 s31, s30
	s_cbranch_execnz .LBB515_14
	s_branch .LBB515_15
.LBB515_21:                             ;   in Loop: Header=BB515_8 Depth=1
	v_dual_mov_b32 v33, v1 :: v_dual_mov_b32 v34, v1
	v_dual_mov_b32 v31, v1 :: v_dual_mov_b32 v32, v1
	;; [unrolled: 1-line block ×4, first 2 shown]
.LBB515_22:                             ;   in Loop: Header=BB515_8 Depth=1
	s_wait_loadcnt 0x0
	v_add_co_u32 v0, vcc_lo, v14, s16
	s_wait_alu 0xfffd
	v_add_co_ci_u32_e64 v23, null, s17, v15, vcc_lo
	s_delay_alu instid0(VALU_DEP_2) | instskip(SKIP_1) | instid1(VALU_DEP_2)
	v_add_co_u32 v24, vcc_lo, v0, v4
	s_wait_alu 0xfffd
	v_add_co_ci_u32_e64 v25, null, v23, v5, vcc_lo
	s_wait_alu 0xfffe
	s_and_saveexec_b32 s22, s28
	s_cbranch_execz .LBB515_27
; %bb.23:                               ;   in Loop: Header=BB515_8 Depth=1
	v_mul_f32_e32 v15, s10, v34
	v_mul_f32_e32 v14, s11, v34
	s_and_b32 vcc_lo, exec_lo, s37
	s_mov_b32 s23, -1
	s_delay_alu instid0(VALU_DEP_2) | instskip(NEXT) | instid1(VALU_DEP_2)
	v_fmac_f32_e32 v15, s11, v33
	v_fma_f32 v14, v33, s10, -v14
	s_wait_alu 0xfffe
	s_cbranch_vccz .LBB515_25
; %bb.24:                               ;   in Loop: Header=BB515_8 Depth=1
	v_add_co_u32 v33, vcc_lo, v24, v8
	s_wait_alu 0xfffd
	v_add_co_ci_u32_e64 v34, null, v25, v9, vcc_lo
	s_mov_b32 s23, 0
	flat_load_b64 v[35:36], v[33:34]
	s_wait_loadcnt_dscnt 0x0
	v_mul_f32_e32 v26, s7, v36
	s_delay_alu instid0(VALU_DEP_1) | instskip(SKIP_1) | instid1(VALU_DEP_1)
	v_fma_f32 v26, v35, s6, -v26
	v_mul_f32_e32 v36, s6, v36
	v_dual_fmac_f32 v36, s7, v35 :: v_dual_add_f32 v35, v14, v26
	s_delay_alu instid0(VALU_DEP_1)
	v_add_f32_e32 v36, v15, v36
	flat_store_b64 v[33:34], v[35:36]
.LBB515_25:                             ;   in Loop: Header=BB515_8 Depth=1
	s_wait_alu 0xfffe
	s_and_not1_b32 vcc_lo, exec_lo, s23
	s_wait_alu 0xfffe
	s_cbranch_vccnz .LBB515_27
; %bb.26:                               ;   in Loop: Header=BB515_8 Depth=1
	v_add_co_u32 v33, vcc_lo, v24, v8
	s_wait_alu 0xfffd
	v_add_co_ci_u32_e64 v34, null, v25, v9, vcc_lo
	flat_store_b64 v[33:34], v[14:15]
.LBB515_27:                             ;   in Loop: Header=BB515_8 Depth=1
	s_wait_alu 0xfffe
	s_or_b32 exec_lo, exec_lo, s22
	s_and_saveexec_b32 s22, s29
	s_cbranch_execz .LBB515_32
; %bb.28:                               ;   in Loop: Header=BB515_8 Depth=1
	v_mul_f32_e32 v15, s10, v32
	v_mul_f32_e32 v14, s11, v32
	s_and_not1_b32 vcc_lo, exec_lo, s37
	s_mov_b32 s23, -1
	s_delay_alu instid0(VALU_DEP_2) | instskip(NEXT) | instid1(VALU_DEP_2)
	v_fmac_f32_e32 v15, s11, v31
	v_fma_f32 v14, v31, s10, -v14
	s_wait_alu 0xfffe
	s_cbranch_vccnz .LBB515_30
; %bb.29:                               ;   in Loop: Header=BB515_8 Depth=1
	v_add_co_u32 v31, vcc_lo, v24, v10
	s_wait_alu 0xfffd
	v_add_co_ci_u32_e64 v32, null, v25, v11, vcc_lo
	s_mov_b32 s23, 0
	flat_load_b64 v[33:34], v[31:32]
	s_wait_loadcnt_dscnt 0x0
	v_mul_f32_e32 v26, s7, v34
	v_mul_f32_e32 v34, s6, v34
	s_delay_alu instid0(VALU_DEP_2) | instskip(NEXT) | instid1(VALU_DEP_1)
	v_fma_f32 v26, v33, s6, -v26
	v_dual_fmac_f32 v34, s7, v33 :: v_dual_add_f32 v33, v14, v26
	s_delay_alu instid0(VALU_DEP_1)
	v_add_f32_e32 v34, v15, v34
	flat_store_b64 v[31:32], v[33:34]
.LBB515_30:                             ;   in Loop: Header=BB515_8 Depth=1
	s_wait_alu 0xfffe
	s_and_not1_b32 vcc_lo, exec_lo, s23
	s_wait_alu 0xfffe
	s_cbranch_vccnz .LBB515_32
; %bb.31:                               ;   in Loop: Header=BB515_8 Depth=1
	v_add_co_u32 v24, vcc_lo, v24, v10
	s_wait_alu 0xfffd
	v_add_co_ci_u32_e64 v25, null, v25, v11, vcc_lo
	flat_store_b64 v[24:25], v[14:15]
.LBB515_32:                             ;   in Loop: Header=BB515_8 Depth=1
	s_wait_alu 0xfffe
	s_or_b32 exec_lo, exec_lo, s22
	v_add_co_u32 v0, vcc_lo, v0, v6
	s_wait_alu 0xfffd
	v_add_co_ci_u32_e64 v23, null, v23, v7, vcc_lo
	s_and_saveexec_b32 s22, s1
	s_cbranch_execz .LBB515_37
; %bb.33:                               ;   in Loop: Header=BB515_8 Depth=1
	v_mul_f32_e32 v15, s10, v30
	v_mul_f32_e32 v14, s11, v30
	s_and_not1_b32 vcc_lo, exec_lo, s37
	s_mov_b32 s23, -1
	s_delay_alu instid0(VALU_DEP_2) | instskip(NEXT) | instid1(VALU_DEP_2)
	v_fmac_f32_e32 v15, s11, v29
	v_fma_f32 v14, v29, s10, -v14
	s_wait_alu 0xfffe
	s_cbranch_vccnz .LBB515_35
; %bb.34:                               ;   in Loop: Header=BB515_8 Depth=1
	v_add_co_u32 v24, vcc_lo, v0, v8
	s_wait_alu 0xfffd
	v_add_co_ci_u32_e64 v25, null, v23, v9, vcc_lo
	s_mov_b32 s23, 0
	flat_load_b64 v[29:30], v[24:25]
	s_wait_loadcnt_dscnt 0x0
	v_mul_f32_e32 v26, s7, v30
	v_mul_f32_e32 v30, s6, v30
	s_delay_alu instid0(VALU_DEP_2) | instskip(NEXT) | instid1(VALU_DEP_1)
	v_fma_f32 v26, v29, s6, -v26
	v_dual_fmac_f32 v30, s7, v29 :: v_dual_add_f32 v29, v14, v26
	s_delay_alu instid0(VALU_DEP_1)
	v_add_f32_e32 v30, v15, v30
	flat_store_b64 v[24:25], v[29:30]
.LBB515_35:                             ;   in Loop: Header=BB515_8 Depth=1
	s_wait_alu 0xfffe
	s_and_not1_b32 vcc_lo, exec_lo, s23
	s_wait_alu 0xfffe
	s_cbranch_vccnz .LBB515_37
; %bb.36:                               ;   in Loop: Header=BB515_8 Depth=1
	v_add_co_u32 v24, vcc_lo, v0, v8
	s_wait_alu 0xfffd
	v_add_co_ci_u32_e64 v25, null, v23, v9, vcc_lo
	flat_store_b64 v[24:25], v[14:15]
.LBB515_37:                             ;   in Loop: Header=BB515_8 Depth=1
	s_wait_alu 0xfffe
	s_or_b32 exec_lo, exec_lo, s22
	s_and_saveexec_b32 s22, s35
	s_cbranch_execz .LBB515_7
; %bb.38:                               ;   in Loop: Header=BB515_8 Depth=1
	v_mul_f32_e32 v15, s10, v27
	v_mul_f32_e32 v14, s11, v27
	s_and_not1_b32 vcc_lo, exec_lo, s37
	s_mov_b32 s23, -1
	s_delay_alu instid0(VALU_DEP_2) | instskip(NEXT) | instid1(VALU_DEP_2)
	v_fmac_f32_e32 v15, s11, v28
	v_fma_f32 v14, v28, s10, -v14
	s_wait_alu 0xfffe
	s_cbranch_vccnz .LBB515_40
; %bb.39:                               ;   in Loop: Header=BB515_8 Depth=1
	v_add_co_u32 v24, vcc_lo, v0, v10
	s_wait_alu 0xfffd
	v_add_co_ci_u32_e64 v25, null, v23, v11, vcc_lo
	s_mov_b32 s23, 0
	flat_load_b64 v[26:27], v[24:25]
	s_wait_loadcnt_dscnt 0x0
	v_mul_f32_e32 v28, s7, v27
	v_mul_f32_e32 v27, s6, v27
	s_delay_alu instid0(VALU_DEP_1) | instskip(NEXT) | instid1(VALU_DEP_3)
	v_fmac_f32_e32 v27, s7, v26
	v_fma_f32 v28, v26, s6, -v28
	s_delay_alu instid0(VALU_DEP_1)
	v_dual_add_f32 v27, v15, v27 :: v_dual_add_f32 v26, v14, v28
	flat_store_b64 v[24:25], v[26:27]
.LBB515_40:                             ;   in Loop: Header=BB515_8 Depth=1
	s_wait_alu 0xfffe
	s_and_not1_b32 vcc_lo, exec_lo, s23
	s_wait_alu 0xfffe
	s_cbranch_vccnz .LBB515_7
; %bb.41:                               ;   in Loop: Header=BB515_8 Depth=1
	v_add_co_u32 v24, vcc_lo, v0, v10
	s_wait_alu 0xfffd
	v_add_co_ci_u32_e64 v25, null, v23, v11, vcc_lo
	flat_store_b64 v[24:25], v[14:15]
	s_branch .LBB515_7
.LBB515_42:
	s_endpgm
	.section	.rodata,"a",@progbits
	.p2align	6, 0x0
	.amdhsa_kernel _ZL29rocblas_internal_gemmt_kernelIlLi16ELi32ELi8ELc78ELc67ELc76ELb0ELb1E19rocblas_complex_numIfEPKS1_PKS3_PKPS1_EviT_T9_T10_S9_lSB_S9_lSA_T11_S9_li
		.amdhsa_group_segment_fixed_size 4096
		.amdhsa_private_segment_fixed_size 0
		.amdhsa_kernarg_size 108
		.amdhsa_user_sgpr_count 2
		.amdhsa_user_sgpr_dispatch_ptr 0
		.amdhsa_user_sgpr_queue_ptr 0
		.amdhsa_user_sgpr_kernarg_segment_ptr 1
		.amdhsa_user_sgpr_dispatch_id 0
		.amdhsa_user_sgpr_private_segment_size 0
		.amdhsa_wavefront_size32 1
		.amdhsa_uses_dynamic_stack 0
		.amdhsa_enable_private_segment 0
		.amdhsa_system_sgpr_workgroup_id_x 1
		.amdhsa_system_sgpr_workgroup_id_y 1
		.amdhsa_system_sgpr_workgroup_id_z 1
		.amdhsa_system_sgpr_workgroup_info 0
		.amdhsa_system_vgpr_workitem_id 1
		.amdhsa_next_free_vgpr 72
		.amdhsa_next_free_sgpr 41
		.amdhsa_reserve_vcc 1
		.amdhsa_float_round_mode_32 0
		.amdhsa_float_round_mode_16_64 0
		.amdhsa_float_denorm_mode_32 3
		.amdhsa_float_denorm_mode_16_64 3
		.amdhsa_fp16_overflow 0
		.amdhsa_workgroup_processor_mode 1
		.amdhsa_memory_ordered 1
		.amdhsa_forward_progress 1
		.amdhsa_inst_pref_size 26
		.amdhsa_round_robin_scheduling 0
		.amdhsa_exception_fp_ieee_invalid_op 0
		.amdhsa_exception_fp_denorm_src 0
		.amdhsa_exception_fp_ieee_div_zero 0
		.amdhsa_exception_fp_ieee_overflow 0
		.amdhsa_exception_fp_ieee_underflow 0
		.amdhsa_exception_fp_ieee_inexact 0
		.amdhsa_exception_int_div_zero 0
	.end_amdhsa_kernel
	.section	.text._ZL29rocblas_internal_gemmt_kernelIlLi16ELi32ELi8ELc78ELc67ELc76ELb0ELb1E19rocblas_complex_numIfEPKS1_PKS3_PKPS1_EviT_T9_T10_S9_lSB_S9_lSA_T11_S9_li,"axG",@progbits,_ZL29rocblas_internal_gemmt_kernelIlLi16ELi32ELi8ELc78ELc67ELc76ELb0ELb1E19rocblas_complex_numIfEPKS1_PKS3_PKPS1_EviT_T9_T10_S9_lSB_S9_lSA_T11_S9_li,comdat
.Lfunc_end515:
	.size	_ZL29rocblas_internal_gemmt_kernelIlLi16ELi32ELi8ELc78ELc67ELc76ELb0ELb1E19rocblas_complex_numIfEPKS1_PKS3_PKPS1_EviT_T9_T10_S9_lSB_S9_lSA_T11_S9_li, .Lfunc_end515-_ZL29rocblas_internal_gemmt_kernelIlLi16ELi32ELi8ELc78ELc67ELc76ELb0ELb1E19rocblas_complex_numIfEPKS1_PKS3_PKPS1_EviT_T9_T10_S9_lSB_S9_lSA_T11_S9_li
                                        ; -- End function
	.set _ZL29rocblas_internal_gemmt_kernelIlLi16ELi32ELi8ELc78ELc67ELc76ELb0ELb1E19rocblas_complex_numIfEPKS1_PKS3_PKPS1_EviT_T9_T10_S9_lSB_S9_lSA_T11_S9_li.num_vgpr, 72
	.set _ZL29rocblas_internal_gemmt_kernelIlLi16ELi32ELi8ELc78ELc67ELc76ELb0ELb1E19rocblas_complex_numIfEPKS1_PKS3_PKPS1_EviT_T9_T10_S9_lSB_S9_lSA_T11_S9_li.num_agpr, 0
	.set _ZL29rocblas_internal_gemmt_kernelIlLi16ELi32ELi8ELc78ELc67ELc76ELb0ELb1E19rocblas_complex_numIfEPKS1_PKS3_PKPS1_EviT_T9_T10_S9_lSB_S9_lSA_T11_S9_li.numbered_sgpr, 41
	.set _ZL29rocblas_internal_gemmt_kernelIlLi16ELi32ELi8ELc78ELc67ELc76ELb0ELb1E19rocblas_complex_numIfEPKS1_PKS3_PKPS1_EviT_T9_T10_S9_lSB_S9_lSA_T11_S9_li.num_named_barrier, 0
	.set _ZL29rocblas_internal_gemmt_kernelIlLi16ELi32ELi8ELc78ELc67ELc76ELb0ELb1E19rocblas_complex_numIfEPKS1_PKS3_PKPS1_EviT_T9_T10_S9_lSB_S9_lSA_T11_S9_li.private_seg_size, 0
	.set _ZL29rocblas_internal_gemmt_kernelIlLi16ELi32ELi8ELc78ELc67ELc76ELb0ELb1E19rocblas_complex_numIfEPKS1_PKS3_PKPS1_EviT_T9_T10_S9_lSB_S9_lSA_T11_S9_li.uses_vcc, 1
	.set _ZL29rocblas_internal_gemmt_kernelIlLi16ELi32ELi8ELc78ELc67ELc76ELb0ELb1E19rocblas_complex_numIfEPKS1_PKS3_PKPS1_EviT_T9_T10_S9_lSB_S9_lSA_T11_S9_li.uses_flat_scratch, 0
	.set _ZL29rocblas_internal_gemmt_kernelIlLi16ELi32ELi8ELc78ELc67ELc76ELb0ELb1E19rocblas_complex_numIfEPKS1_PKS3_PKPS1_EviT_T9_T10_S9_lSB_S9_lSA_T11_S9_li.has_dyn_sized_stack, 0
	.set _ZL29rocblas_internal_gemmt_kernelIlLi16ELi32ELi8ELc78ELc67ELc76ELb0ELb1E19rocblas_complex_numIfEPKS1_PKS3_PKPS1_EviT_T9_T10_S9_lSB_S9_lSA_T11_S9_li.has_recursion, 0
	.set _ZL29rocblas_internal_gemmt_kernelIlLi16ELi32ELi8ELc78ELc67ELc76ELb0ELb1E19rocblas_complex_numIfEPKS1_PKS3_PKPS1_EviT_T9_T10_S9_lSB_S9_lSA_T11_S9_li.has_indirect_call, 0
	.section	.AMDGPU.csdata,"",@progbits
; Kernel info:
; codeLenInByte = 3300
; TotalNumSgprs: 43
; NumVgprs: 72
; ScratchSize: 0
; MemoryBound: 0
; FloatMode: 240
; IeeeMode: 1
; LDSByteSize: 4096 bytes/workgroup (compile time only)
; SGPRBlocks: 0
; VGPRBlocks: 8
; NumSGPRsForWavesPerEU: 43
; NumVGPRsForWavesPerEU: 72
; Occupancy: 16
; WaveLimiterHint : 1
; COMPUTE_PGM_RSRC2:SCRATCH_EN: 0
; COMPUTE_PGM_RSRC2:USER_SGPR: 2
; COMPUTE_PGM_RSRC2:TRAP_HANDLER: 0
; COMPUTE_PGM_RSRC2:TGID_X_EN: 1
; COMPUTE_PGM_RSRC2:TGID_Y_EN: 1
; COMPUTE_PGM_RSRC2:TGID_Z_EN: 1
; COMPUTE_PGM_RSRC2:TIDIG_COMP_CNT: 1
	.section	.text._ZL29rocblas_internal_gemmt_kernelIlLi16ELi32ELi8ELc84ELc78ELc76ELb0ELb0E19rocblas_complex_numIfEPKS1_PKS3_PKPS1_EviT_T9_T10_S9_lSB_S9_lSA_T11_S9_li,"axG",@progbits,_ZL29rocblas_internal_gemmt_kernelIlLi16ELi32ELi8ELc84ELc78ELc76ELb0ELb0E19rocblas_complex_numIfEPKS1_PKS3_PKPS1_EviT_T9_T10_S9_lSB_S9_lSA_T11_S9_li,comdat
	.globl	_ZL29rocblas_internal_gemmt_kernelIlLi16ELi32ELi8ELc84ELc78ELc76ELb0ELb0E19rocblas_complex_numIfEPKS1_PKS3_PKPS1_EviT_T9_T10_S9_lSB_S9_lSA_T11_S9_li ; -- Begin function _ZL29rocblas_internal_gemmt_kernelIlLi16ELi32ELi8ELc84ELc78ELc76ELb0ELb0E19rocblas_complex_numIfEPKS1_PKS3_PKPS1_EviT_T9_T10_S9_lSB_S9_lSA_T11_S9_li
	.p2align	8
	.type	_ZL29rocblas_internal_gemmt_kernelIlLi16ELi32ELi8ELc84ELc78ELc76ELb0ELb0E19rocblas_complex_numIfEPKS1_PKS3_PKPS1_EviT_T9_T10_S9_lSB_S9_lSA_T11_S9_li,@function
_ZL29rocblas_internal_gemmt_kernelIlLi16ELi32ELi8ELc84ELc78ELc76ELb0ELb0E19rocblas_complex_numIfEPKS1_PKS3_PKPS1_EviT_T9_T10_S9_lSB_S9_lSA_T11_S9_li: ; @_ZL29rocblas_internal_gemmt_kernelIlLi16ELi32ELi8ELc84ELc78ELc76ELb0ELb0E19rocblas_complex_numIfEPKS1_PKS3_PKPS1_EviT_T9_T10_S9_lSB_S9_lSA_T11_S9_li
; %bb.0:
	s_load_b256 s[24:31], s[0:1], 0x48
	s_wait_kmcnt 0x0
	s_load_b64 s[6:7], s[24:25], 0x0
	s_load_b512 s[8:23], s[0:1], 0x8
	s_wait_kmcnt 0x0
	s_cmp_eq_f32 s6, 1.0
	s_load_b64 s[10:11], s[10:11], 0x0
	s_cselect_b32 s3, -1, 0
	s_and_b32 s2, s7, 0x7fffffff
	s_delay_alu instid0(SALU_CYCLE_1) | instskip(SKIP_1) | instid1(SALU_CYCLE_1)
	s_cmp_eq_u32 s2, 0
	s_cselect_b32 s2, -1, 0
	s_and_b32 s4, s3, s2
	s_mov_b32 s3, 0
	s_and_not1_b32 vcc_lo, exec_lo, s4
	s_mov_b32 s4, -1
	s_cbranch_vccnz .LBB516_4
; %bb.1:
	s_cmp_lg_u64 s[8:9], 0
	s_cbranch_scc0 .LBB516_3
; %bb.2:
	s_wait_kmcnt 0x0
	s_cmp_neq_f32 s10, 0
	s_cselect_b32 s3, -1, 0
	s_cmp_neq_f32 s11, 0
	s_cselect_b32 s4, -1, 0
	s_delay_alu instid0(SALU_CYCLE_1)
	s_or_b32 s3, s3, s4
.LBB516_3:
	s_delay_alu instid0(SALU_CYCLE_1)
	s_mov_b32 s4, s3
.LBB516_4:
	s_delay_alu instid0(SALU_CYCLE_1)
	s_and_b32 vcc_lo, exec_lo, s4
	s_cbranch_vccz .LBB516_42
; %bb.5:
	s_load_b32 s33, s[0:1], 0x68
	s_lshr_b32 s24, ttmp7, 16
	s_wait_kmcnt 0x0
	s_cmp_ge_u32 s24, s33
	s_cbranch_scc1 .LBB516_42
; %bb.6:
	v_and_b32_e32 v11, 0x3ff, v0
	v_bfe_u32 v12, v0, 10, 10
	s_load_b32 s4, s[0:1], 0x0
	s_lshl_b32 s0, ttmp7, 5
	s_lshl_b32 s1, ttmp9, 5
	s_and_b32 s3, s0, 0x1fffe0
	v_lshl_add_u32 v1, v12, 4, v11
	v_add_nc_u32_e32 v14, s3, v12
	s_cmp_neq_f32 s10, 0
	v_lshl_add_u32 v23, v12, 6, 0x800
	v_cmp_gt_i64_e64 s34, s[8:9], 0
	v_lshrrev_b32_e32 v8, 3, v1
	v_mad_co_u64_u32 v[6:7], null, s28, v14, 0
	v_and_b32_e32 v18, 7, v0
	v_and_b32_e32 v0, 31, v1
	s_delay_alu instid0(VALU_DEP_4)
	v_add_nc_u32_e32 v9, s3, v8
	s_cselect_b32 s0, -1, 0
	s_cmp_neq_f32 s11, 0
	v_lshrrev_b32_e32 v19, 5, v1
	v_or_b32_e32 v2, s1, v0
	v_mad_co_u64_u32 v[4:5], null, s20, v9, 0
	v_lshlrev_b32_e32 v10, 3, v0
	s_cselect_b32 s5, -1, 0
	s_wait_kmcnt 0x0
	v_cmp_le_i32_e64 s20, s4, v2
	s_or_b32 s35, s0, s5
	v_cmp_gt_i32_e64 s0, s4, v2
	v_mul_lo_u32 v13, s15, v2
	v_dual_mov_b32 v0, v5 :: v_dual_lshlrev_b32 v5, 3, v18
	v_mad_co_u64_u32 v[2:3], null, s14, v2, 0
	s_ashr_i32 s5, s1, 31
	v_mad_co_u64_u32 v[0:1], null, s21, v9, v[0:1]
	v_lshl_or_b32 v1, v8, 6, v5
	s_wait_alu 0xfffe
	s_mul_i32 s3, s14, s5
	v_cmp_gt_i32_e32 vcc_lo, s4, v9
	s_wait_alu 0xfffe
	v_add3_u32 v3, v3, s3, v13
	s_cmp_neq_f32 s6, 0
	v_add_nc_u32_e32 v21, 0x800, v1
	v_mov_b32_e32 v1, v7
	v_mov_b32_e32 v5, v0
	v_lshl_or_b32 v20, v19, 8, v10
	s_cselect_b32 s14, -1, 0
	s_xor_b32 s15, s2, -1
	v_mad_co_u64_u32 v[0:1], null, s29, v14, v[1:2]
	v_lshlrev_b32_e32 v22, 3, v11
	v_lshlrev_b64_e32 v[2:3], 3, v[2:3]
	v_lshlrev_b64_e32 v[4:5], 3, v[4:5]
	s_mov_b32 s25, 0
	s_and_b32 s34, s35, s34
	s_delay_alu instid0(VALU_DEP_4) | instskip(SKIP_1) | instid1(VALU_DEP_2)
	v_mov_b32_e32 v7, v0
	v_add_nc_u32_e32 v13, 16, v14
	v_lshlrev_b64_e32 v[6:7], 3, v[6:7]
	s_delay_alu instid0(VALU_DEP_2) | instskip(NEXT) | instid1(VALU_DEP_1)
	v_mad_co_u64_u32 v[8:9], null, s28, v13, 0
	v_mov_b32_e32 v0, v9
	s_delay_alu instid0(VALU_DEP_1) | instskip(SKIP_1) | instid1(VALU_DEP_1)
	v_mad_co_u64_u32 v[0:1], null, s29, v13, v[0:1]
	v_dual_mov_b32 v1, 0 :: v_dual_add_nc_u32 v10, s1, v11
	v_dual_mov_b32 v9, v0 :: v_dual_add_nc_u32 v12, 16, v10
	v_cmp_le_i32_e64 s1, v14, v10
	v_cmp_gt_i32_e64 s2, s4, v10
	v_ashrrev_i32_e32 v11, 31, v10
	s_delay_alu instid0(VALU_DEP_4)
	v_lshlrev_b64_e32 v[8:9], 3, v[8:9]
	v_cmp_le_i32_e64 s5, v13, v12
	v_cmp_le_i32_e64 s3, v14, v12
	s_and_b32 s21, s1, s2
	v_cmp_le_i32_e64 s1, v13, v10
	v_ashrrev_i32_e32 v13, 31, v12
	v_cmp_gt_i32_e64 s4, s4, v12
	v_lshlrev_b64_e32 v[10:11], 3, v[10:11]
                                        ; implicit-def: $vgpr14_vgpr15
	s_and_b32 s1, s1, s2
	v_lshlrev_b64_e32 v[12:13], 3, v[12:13]
	s_and_b32 s28, s3, s4
	s_and_b32 s29, s5, s4
	s_lshl_b64 s[2:3], s[22:23], 3
	s_wait_alu 0xfffe
	s_or_b32 s22, s14, s15
	s_lshl_b64 s[4:5], s[16:17], 3
	s_xor_b32 s23, vcc_lo, -1
	s_lshl_b64 s[14:15], s[30:31], 3
	s_branch .LBB516_8
.LBB516_7:                              ;   in Loop: Header=BB516_8 Depth=1
	s_wait_alu 0xfffe
	s_or_b32 exec_lo, exec_lo, s16
	s_add_co_i32 s24, s24, 0x10000
	s_delay_alu instid0(SALU_CYCLE_1)
	s_cmp_lt_u32 s24, s33
	s_cbranch_scc0 .LBB516_42
.LBB516_8:                              ; =>This Loop Header: Depth=1
                                        ;     Child Loop BB516_11 Depth 2
	s_lshl_b64 s[16:17], s[24:25], 3
	s_and_not1_b32 vcc_lo, exec_lo, s34
	s_wait_alu 0xfffe
	s_add_nc_u64 s[30:31], s[26:27], s[16:17]
	global_load_b64 v[16:17], v1, s[30:31]
	s_cbranch_vccnz .LBB516_21
; %bb.9:                                ;   in Loop: Header=BB516_8 Depth=1
	s_add_nc_u64 s[30:31], s[12:13], s[16:17]
	s_add_nc_u64 s[16:17], s[18:19], s[16:17]
	s_clause 0x1
	global_load_b64 v[24:25], v1, s[30:31]
	global_load_b64 v[26:27], v1, s[16:17]
	v_dual_mov_b32 v28, 0 :: v_dual_mov_b32 v29, 0
	v_dual_mov_b32 v31, 0 :: v_dual_mov_b32 v30, 0
	;; [unrolled: 1-line block ×4, first 2 shown]
	s_mov_b64 s[16:17], 0
	s_wait_loadcnt 0x1
	v_add_co_u32 v0, vcc_lo, v24, s4
	s_wait_alu 0xfffd
	v_add_co_ci_u32_e64 v25, null, s5, v25, vcc_lo
	s_wait_loadcnt 0x0
	v_add_co_u32 v26, vcc_lo, v26, s2
	s_wait_alu 0xfffd
	v_add_co_ci_u32_e64 v27, null, s3, v27, vcc_lo
	v_add_co_u32 v24, vcc_lo, v0, v2
	s_wait_alu 0xfffd
	v_add_co_ci_u32_e64 v25, null, v25, v3, vcc_lo
	;; [unrolled: 3-line block ×3, first 2 shown]
	s_branch .LBB516_11
.LBB516_10:                             ;   in Loop: Header=BB516_11 Depth=2
	s_or_b32 exec_lo, exec_lo, s30
	s_wait_dscnt 0x0
	s_barrier_signal -1
	s_barrier_wait -1
	global_inv scope:SCOPE_SE
	ds_load_b128 v[36:39], v23
	ds_load_2addr_b64 v[40:43], v22 offset1:16
	ds_load_b128 v[44:47], v23 offset:1024
	ds_load_b128 v[48:51], v23 offset:16
	;; [unrolled: 1-line block ×4, first 2 shown]
	ds_load_2addr_b64 v[60:63], v22 offset0:32 offset1:48
	ds_load_b128 v[64:67], v23 offset:1040
	s_add_nc_u64 s[16:17], s[16:17], 8
	s_wait_alu 0xfffe
	v_cmp_gt_i64_e64 s30, s[8:9], s[16:17]
	s_and_b32 vcc_lo, exec_lo, s30
	s_wait_dscnt 0x6
	v_mul_f32_e32 v0, v37, v41
	v_dual_mul_f32 v68, v36, v41 :: v_dual_mul_f32 v69, v37, v43
	s_wait_dscnt 0x5
	v_dual_mul_f32 v70, v36, v43 :: v_dual_mul_f32 v71, v45, v41
	v_dual_mul_f32 v41, v44, v41 :: v_dual_mul_f32 v72, v45, v43
	v_mul_f32_e32 v43, v44, v43
	v_fma_f32 v0, v36, v40, -v0
	v_fma_f32 v36, v36, v42, -v69
	v_fmac_f32_e32 v70, v37, v42
	v_fmac_f32_e32 v41, v45, v40
	;; [unrolled: 1-line block ×3, first 2 shown]
	v_fma_f32 v37, v44, v40, -v71
	v_fma_f32 v40, v44, v42, -v72
	v_dual_add_f32 v0, v34, v0 :: v_dual_fmac_f32 v43, v45, v42
	s_delay_alu instid0(VALU_DEP_4) | instskip(NEXT) | instid1(VALU_DEP_4)
	v_add_f32_e32 v34, v35, v68
	v_dual_add_f32 v35, v32, v36 :: v_dual_add_f32 v36, v30, v37
	v_add_f32_e32 v37, v31, v41
	s_wait_dscnt 0x1
	v_dual_mul_f32 v41, v39, v61 :: v_dual_add_f32 v40, v29, v40
	ds_load_2addr_b64 v[29:32], v22 offset0:64 offset1:80
	v_dual_add_f32 v33, v33, v70 :: v_dual_mul_f32 v44, v39, v63
	v_fma_f32 v41, v38, v60, -v41
	v_add_f32_e32 v28, v28, v43
	s_delay_alu instid0(VALU_DEP_2) | instskip(NEXT) | instid1(VALU_DEP_1)
	v_dual_mul_f32 v43, v38, v63 :: v_dual_add_f32 v0, v0, v41
	v_dual_mul_f32 v42, v38, v61 :: v_dual_fmac_f32 v43, v39, v62
	v_fma_f32 v38, v38, v62, -v44
	v_mul_f32_e32 v41, v47, v61
	s_delay_alu instid0(VALU_DEP_3) | instskip(SKIP_1) | instid1(VALU_DEP_4)
	v_fmac_f32_e32 v42, v39, v60
	v_mul_f32_e32 v39, v47, v63
	v_add_f32_e32 v38, v35, v38
	s_delay_alu instid0(VALU_DEP_4) | instskip(NEXT) | instid1(VALU_DEP_4)
	v_fma_f32 v35, v46, v60, -v41
	v_dual_add_f32 v41, v33, v43 :: v_dual_add_f32 v42, v34, v42
	v_mul_f32_e32 v43, v46, v63
	v_mul_f32_e32 v34, v46, v61
	v_fma_f32 v33, v46, v62, -v39
	s_wait_dscnt 0x0
	v_mul_f32_e32 v39, v48, v30
	v_fmac_f32_e32 v43, v47, v62
	v_fmac_f32_e32 v34, v47, v60
	v_dual_add_f32 v44, v36, v35 :: v_dual_mul_f32 v35, v49, v30
	s_delay_alu instid0(VALU_DEP_3) | instskip(NEXT) | instid1(VALU_DEP_3)
	v_dual_mul_f32 v46, v49, v32 :: v_dual_add_f32 v43, v28, v43
	v_add_f32_e32 v37, v37, v34
	v_dual_fmac_f32 v39, v49, v29 :: v_dual_mul_f32 v28, v48, v32
	v_add_f32_e32 v40, v40, v33
	v_fma_f32 v45, v48, v29, -v35
	ds_load_2addr_b64 v[33:36], v22 offset0:96 offset1:112
	v_add_f32_e32 v39, v42, v39
	v_fmac_f32_e32 v28, v49, v31
	v_add_f32_e32 v0, v0, v45
	v_fma_f32 v45, v48, v31, -v46
	s_delay_alu instid0(VALU_DEP_1) | instskip(SKIP_2) | instid1(VALU_DEP_2)
	v_dual_add_f32 v41, v41, v28 :: v_dual_add_f32 v38, v38, v45
	v_mul_f32_e32 v45, v65, v32
	v_mul_f32_e32 v32, v64, v32
	v_fma_f32 v28, v64, v31, -v45
	v_mul_f32_e32 v42, v65, v30
	s_delay_alu instid0(VALU_DEP_3)
	v_fmac_f32_e32 v32, v65, v31
	s_wait_dscnt 0x0
	v_dual_mul_f32 v30, v64, v30 :: v_dual_mul_f32 v49, v67, v36
	v_add_f32_e32 v45, v40, v28
	v_fma_f32 v42, v64, v29, -v42
	v_dual_mul_f32 v40, v50, v34 :: v_dual_add_f32 v43, v43, v32
	s_delay_alu instid0(VALU_DEP_4) | instskip(SKIP_1) | instid1(VALU_DEP_3)
	v_fmac_f32_e32 v30, v65, v29
	v_mul_f32_e32 v32, v50, v36
	v_fmac_f32_e32 v40, v51, v33
	v_add_f32_e32 v42, v44, v42
	s_delay_alu instid0(VALU_DEP_4)
	v_add_f32_e32 v44, v37, v30
	ds_load_2addr_b64 v[28:31], v22 offset0:128 offset1:144
	v_mul_f32_e32 v37, v51, v34
	v_mul_f32_e32 v46, v51, v36
	v_fmac_f32_e32 v32, v51, v35
	v_mul_f32_e32 v36, v66, v36
	s_delay_alu instid0(VALU_DEP_4) | instskip(NEXT) | instid1(VALU_DEP_1)
	v_fma_f32 v37, v50, v33, -v37
	v_dual_add_f32 v0, v0, v37 :: v_dual_mul_f32 v37, v67, v34
	v_mul_f32_e32 v34, v66, v34
	s_delay_alu instid0(VALU_DEP_2)
	v_fma_f32 v48, v66, v33, -v37
	s_wait_dscnt 0x0
	v_mul_f32_e32 v51, v52, v29
	v_fma_f32 v46, v50, v35, -v46
	v_add_f32_e32 v50, v41, v32
	v_fma_f32 v32, v66, v35, -v49
	s_delay_alu instid0(VALU_DEP_4) | instskip(NEXT) | instid1(VALU_DEP_4)
	v_fmac_f32_e32 v51, v53, v28
	v_dual_add_f32 v47, v39, v40 :: v_dual_add_f32 v46, v38, v46
	ds_load_b128 v[37:40], v23 offset:1056
	v_fmac_f32_e32 v34, v67, v33
	v_mul_f32_e32 v33, v53, v29
	v_dual_add_f32 v45, v45, v32 :: v_dual_fmac_f32 v36, v67, v35
	v_dual_add_f32 v47, v47, v51 :: v_dual_add_f32 v48, v42, v48
	s_delay_alu instid0(VALU_DEP_4) | instskip(NEXT) | instid1(VALU_DEP_4)
	v_add_f32_e32 v49, v44, v34
	v_fma_f32 v41, v52, v28, -v33
	ds_load_2addr_b64 v[32:35], v22 offset0:160 offset1:176
	v_mul_f32_e32 v42, v53, v31
	v_add_f32_e32 v36, v43, v36
	v_add_f32_e32 v0, v0, v41
	s_delay_alu instid0(VALU_DEP_3)
	v_fma_f32 v60, v52, v30, -v42
	v_mul_f32_e32 v52, v52, v31
	ds_load_b128 v[41:44], v23 offset:1072
	s_wait_dscnt 0x2
	v_mul_f32_e32 v61, v38, v29
	v_mul_f32_e32 v29, v37, v29
	v_dual_fmac_f32 v52, v53, v30 :: v_dual_mul_f32 v53, v38, v31
	s_delay_alu instid0(VALU_DEP_3) | instskip(NEXT) | instid1(VALU_DEP_3)
	v_fma_f32 v51, v37, v28, -v61
	v_fmac_f32_e32 v29, v38, v28
	s_delay_alu instid0(VALU_DEP_3) | instskip(SKIP_2) | instid1(VALU_DEP_4)
	v_add_f32_e32 v50, v50, v52
	v_mul_f32_e32 v52, v37, v31
	v_fma_f32 v28, v37, v30, -v53
	v_add_f32_e32 v37, v49, v29
	s_wait_dscnt 0x1
	s_delay_alu instid0(VALU_DEP_3) | instskip(NEXT) | instid1(VALU_DEP_3)
	v_dual_mul_f32 v49, v55, v33 :: v_dual_fmac_f32 v52, v38, v30
	v_add_f32_e32 v45, v45, v28
	ds_load_2addr_b64 v[28:31], v22 offset0:192 offset1:208
	v_mul_f32_e32 v38, v54, v33
	v_fma_f32 v49, v54, v32, -v49
	v_add_f32_e32 v46, v46, v60
	s_delay_alu instid0(VALU_DEP_3) | instskip(NEXT) | instid1(VALU_DEP_1)
	v_fmac_f32_e32 v38, v55, v32
	v_dual_add_f32 v0, v0, v49 :: v_dual_add_f32 v47, v47, v38
	v_add_f32_e32 v48, v48, v51
	v_dual_mul_f32 v51, v55, v35 :: v_dual_mul_f32 v38, v40, v33
	v_mul_f32_e32 v33, v39, v33
	s_delay_alu instid0(VALU_DEP_2) | instskip(NEXT) | instid1(VALU_DEP_3)
	v_fma_f32 v49, v54, v34, -v51
	v_fma_f32 v38, v39, v32, -v38
	s_delay_alu instid0(VALU_DEP_3) | instskip(NEXT) | instid1(VALU_DEP_3)
	v_dual_fmac_f32 v33, v40, v32 :: v_dual_mul_f32 v32, v39, v35
	v_dual_add_f32 v46, v46, v49 :: v_dual_mul_f32 v49, v40, v35
	s_delay_alu instid0(VALU_DEP_2) | instskip(SKIP_1) | instid1(VALU_DEP_4)
	v_dual_add_f32 v52, v36, v52 :: v_dual_add_f32 v33, v37, v33
	v_mul_f32_e32 v36, v54, v35
	v_fmac_f32_e32 v32, v40, v34
	s_delay_alu instid0(VALU_DEP_4) | instskip(SKIP_1) | instid1(VALU_DEP_3)
	v_fma_f32 v35, v39, v34, -v49
	s_wait_dscnt 0x0
	v_dual_mul_f32 v49, v42, v29 :: v_dual_fmac_f32 v36, v55, v34
	s_delay_alu instid0(VALU_DEP_2) | instskip(SKIP_1) | instid1(VALU_DEP_2)
	v_dual_add_f32 v34, v45, v35 :: v_dual_mul_f32 v35, v56, v29
	v_mul_f32_e32 v45, v57, v31
	v_dual_fmac_f32 v35, v57, v28 :: v_dual_add_f32 v48, v48, v38
	s_delay_alu instid0(VALU_DEP_2) | instskip(NEXT) | instid1(VALU_DEP_2)
	v_fma_f32 v45, v56, v30, -v45
	v_dual_add_f32 v35, v47, v35 :: v_dual_add_f32 v50, v50, v36
	v_mul_f32_e32 v36, v57, v29
	v_mul_f32_e32 v29, v41, v29
	;; [unrolled: 1-line block ×3, first 2 shown]
	v_add_f32_e32 v45, v46, v45
	v_fma_f32 v46, v41, v28, -v49
	v_fma_f32 v40, v56, v28, -v36
	ds_load_2addr_b64 v[36:39], v22 offset0:224 offset1:240
	v_fmac_f32_e32 v29, v42, v28
	v_add_f32_e32 v32, v52, v32
	s_wait_loadcnt_dscnt 0x0
	s_barrier_signal -1
	s_barrier_wait -1
	v_dual_add_f32 v29, v33, v29 :: v_dual_add_f32 v0, v0, v40
	v_mul_f32_e32 v40, v56, v31
	v_mul_f32_e32 v31, v41, v31
	v_fma_f32 v41, v41, v30, -v47
	global_inv scope:SCOPE_SE
	v_fmac_f32_e32 v40, v57, v30
	v_fmac_f32_e32 v31, v42, v30
	s_delay_alu instid0(VALU_DEP_1) | instskip(SKIP_3) | instid1(VALU_DEP_3)
	v_dual_add_f32 v41, v34, v41 :: v_dual_add_f32 v42, v32, v31
	v_mul_f32_e32 v33, v59, v37
	v_mul_f32_e32 v34, v59, v39
	;; [unrolled: 1-line block ×3, first 2 shown]
	v_fma_f32 v33, v58, v36, -v33
	s_delay_alu instid0(VALU_DEP_3) | instskip(NEXT) | instid1(VALU_DEP_2)
	v_fma_f32 v32, v58, v38, -v34
	v_dual_fmac_f32 v31, v59, v38 :: v_dual_add_f32 v34, v0, v33
	v_mul_f32_e32 v0, v44, v37
	s_delay_alu instid0(VALU_DEP_3)
	v_dual_add_f32 v32, v45, v32 :: v_dual_mul_f32 v45, v44, v39
	v_add_f32_e32 v28, v50, v40
	v_mul_f32_e32 v30, v58, v37
	v_dual_add_f32 v40, v48, v46 :: v_dual_mul_f32 v37, v43, v37
	v_fma_f32 v0, v43, v36, -v0
	v_mul_f32_e32 v39, v43, v39
	s_delay_alu instid0(VALU_DEP_4) | instskip(NEXT) | instid1(VALU_DEP_4)
	v_dual_add_f32 v33, v28, v31 :: v_dual_fmac_f32 v30, v59, v36
	v_fmac_f32_e32 v37, v44, v36
	s_delay_alu instid0(VALU_DEP_3) | instskip(NEXT) | instid1(VALU_DEP_3)
	v_fmac_f32_e32 v39, v44, v38
	v_dual_add_f32 v35, v35, v30 :: v_dual_add_f32 v30, v40, v0
	v_fma_f32 v0, v43, v38, -v45
	s_delay_alu instid0(VALU_DEP_3) | instskip(NEXT) | instid1(VALU_DEP_2)
	v_dual_add_f32 v31, v29, v37 :: v_dual_add_f32 v28, v42, v39
	v_add_f32_e32 v29, v41, v0
	s_wait_alu 0xfffe
	s_cbranch_vccz .LBB516_22
.LBB516_11:                             ;   Parent Loop BB516_8 Depth=1
                                        ; =>  This Inner Loop Header: Depth=2
	s_mov_b32 s30, 0
	s_mov_b32 s35, s20
	s_and_saveexec_b32 s31, s0
	s_cbranch_execnz .LBB516_19
; %bb.12:                               ;   in Loop: Header=BB516_11 Depth=2
	s_or_b32 exec_lo, exec_lo, s31
	s_and_saveexec_b32 s31, s35
	s_delay_alu instid0(SALU_CYCLE_1)
	s_xor_b32 s31, exec_lo, s31
	s_cbranch_execnz .LBB516_20
.LBB516_13:                             ;   in Loop: Header=BB516_11 Depth=2
	s_or_b32 exec_lo, exec_lo, s31
	s_and_saveexec_b32 s31, s30
	s_cbranch_execz .LBB516_15
.LBB516_14:                             ;   in Loop: Header=BB516_11 Depth=2
	v_lshlrev_b64_e32 v[36:37], 3, v[14:15]
	s_delay_alu instid0(VALU_DEP_1) | instskip(SKIP_1) | instid1(VALU_DEP_2)
	v_add_co_u32 v36, vcc_lo, v24, v36
	s_wait_alu 0xfffd
	v_add_co_ci_u32_e64 v37, null, v25, v37, vcc_lo
	flat_load_b64 v[36:37], v[36:37]
	s_wait_loadcnt_dscnt 0x0
	ds_store_b64 v20, v[36:37]
.LBB516_15:                             ;   in Loop: Header=BB516_11 Depth=2
	s_or_b32 exec_lo, exec_lo, s31
	s_wait_alu 0xfffe
	v_add_nc_u32_e32 v0, s16, v18
	s_delay_alu instid0(VALU_DEP_1) | instskip(SKIP_1) | instid1(SALU_CYCLE_1)
	v_cmp_le_u64_e32 vcc_lo, s[8:9], v[0:1]
	s_or_b32 s30, vcc_lo, s23
	s_and_saveexec_b32 s31, s30
	s_delay_alu instid0(SALU_CYCLE_1)
	s_xor_b32 s30, exec_lo, s31
; %bb.16:                               ;   in Loop: Header=BB516_11 Depth=2
	v_mov_b32_e32 v0, v1
	ds_store_b64 v21, v[0:1]
; %bb.17:                               ;   in Loop: Header=BB516_11 Depth=2
	s_and_not1_saveexec_b32 s30, s30
	s_cbranch_execz .LBB516_10
; %bb.18:                               ;   in Loop: Header=BB516_11 Depth=2
	v_lshlrev_b64_e32 v[36:37], 3, v[0:1]
	s_delay_alu instid0(VALU_DEP_1) | instskip(SKIP_1) | instid1(VALU_DEP_2)
	v_add_co_u32 v36, vcc_lo, v26, v36
	s_wait_alu 0xfffd
	v_add_co_ci_u32_e64 v37, null, v27, v37, vcc_lo
	flat_load_b64 v[36:37], v[36:37]
	s_wait_loadcnt_dscnt 0x0
	ds_store_b64 v21, v[36:37]
	s_branch .LBB516_10
.LBB516_19:                             ;   in Loop: Header=BB516_11 Depth=2
	s_wait_alu 0xfffe
	v_add_nc_u32_e32 v0, s16, v19
	v_mov_b32_e32 v15, v1
	s_and_not1_b32 s35, s20, exec_lo
	s_mov_b32 s30, exec_lo
	s_delay_alu instid0(VALU_DEP_2) | instskip(SKIP_2) | instid1(SALU_CYCLE_1)
	v_cmp_le_u64_e32 vcc_lo, s[8:9], v[0:1]
	v_mov_b32_e32 v14, v0
	s_and_b32 s36, vcc_lo, exec_lo
	s_or_b32 s35, s35, s36
	s_or_b32 exec_lo, exec_lo, s31
	s_and_saveexec_b32 s31, s35
	s_delay_alu instid0(SALU_CYCLE_1)
	s_xor_b32 s31, exec_lo, s31
	s_cbranch_execz .LBB516_13
.LBB516_20:                             ;   in Loop: Header=BB516_11 Depth=2
	v_mov_b32_e32 v0, v1
	s_and_not1_b32 s30, s30, exec_lo
	ds_store_b64 v20, v[0:1]
	s_or_b32 exec_lo, exec_lo, s31
	s_and_saveexec_b32 s31, s30
	s_cbranch_execnz .LBB516_14
	s_branch .LBB516_15
.LBB516_21:                             ;   in Loop: Header=BB516_8 Depth=1
	v_dual_mov_b32 v34, v1 :: v_dual_mov_b32 v35, v1
	v_dual_mov_b32 v32, v1 :: v_dual_mov_b32 v33, v1
	;; [unrolled: 1-line block ×4, first 2 shown]
.LBB516_22:                             ;   in Loop: Header=BB516_8 Depth=1
	s_wait_loadcnt 0x0
	s_wait_alu 0xfffe
	v_add_co_u32 v0, vcc_lo, v16, s14
	s_wait_alu 0xfffd
	v_add_co_ci_u32_e64 v24, null, s15, v17, vcc_lo
	s_delay_alu instid0(VALU_DEP_2) | instskip(SKIP_1) | instid1(VALU_DEP_2)
	v_add_co_u32 v25, vcc_lo, v0, v6
	s_wait_alu 0xfffd
	v_add_co_ci_u32_e64 v26, null, v24, v7, vcc_lo
	s_and_saveexec_b32 s16, s21
	s_cbranch_execz .LBB516_27
; %bb.23:                               ;   in Loop: Header=BB516_8 Depth=1
	v_mul_f32_e32 v17, s10, v35
	v_mul_f32_e32 v16, s11, v35
	s_and_b32 vcc_lo, exec_lo, s22
	s_mov_b32 s17, -1
	s_delay_alu instid0(VALU_DEP_2) | instskip(NEXT) | instid1(VALU_DEP_2)
	v_fmac_f32_e32 v17, s11, v34
	v_fma_f32 v16, v34, s10, -v16
	s_wait_alu 0xfffe
	s_cbranch_vccz .LBB516_25
; %bb.24:                               ;   in Loop: Header=BB516_8 Depth=1
	v_add_co_u32 v34, vcc_lo, v25, v10
	s_wait_alu 0xfffd
	v_add_co_ci_u32_e64 v35, null, v26, v11, vcc_lo
	s_mov_b32 s17, 0
	flat_load_b64 v[36:37], v[34:35]
	s_wait_loadcnt_dscnt 0x0
	v_mul_f32_e32 v27, s7, v37
	s_delay_alu instid0(VALU_DEP_1) | instskip(SKIP_1) | instid1(VALU_DEP_1)
	v_fma_f32 v27, v36, s6, -v27
	v_mul_f32_e32 v37, s6, v37
	v_dual_fmac_f32 v37, s7, v36 :: v_dual_add_f32 v36, v16, v27
	s_delay_alu instid0(VALU_DEP_1)
	v_add_f32_e32 v37, v17, v37
	flat_store_b64 v[34:35], v[36:37]
.LBB516_25:                             ;   in Loop: Header=BB516_8 Depth=1
	s_wait_alu 0xfffe
	s_and_not1_b32 vcc_lo, exec_lo, s17
	s_wait_alu 0xfffe
	s_cbranch_vccnz .LBB516_27
; %bb.26:                               ;   in Loop: Header=BB516_8 Depth=1
	v_add_co_u32 v34, vcc_lo, v25, v10
	s_wait_alu 0xfffd
	v_add_co_ci_u32_e64 v35, null, v26, v11, vcc_lo
	flat_store_b64 v[34:35], v[16:17]
.LBB516_27:                             ;   in Loop: Header=BB516_8 Depth=1
	s_wait_alu 0xfffe
	s_or_b32 exec_lo, exec_lo, s16
	s_and_saveexec_b32 s16, s28
	s_cbranch_execz .LBB516_32
; %bb.28:                               ;   in Loop: Header=BB516_8 Depth=1
	v_mul_f32_e32 v17, s10, v33
	v_mul_f32_e32 v16, s11, v33
	s_and_not1_b32 vcc_lo, exec_lo, s22
	s_mov_b32 s17, -1
	s_delay_alu instid0(VALU_DEP_2) | instskip(NEXT) | instid1(VALU_DEP_2)
	v_fmac_f32_e32 v17, s11, v32
	v_fma_f32 v16, v32, s10, -v16
	s_wait_alu 0xfffe
	s_cbranch_vccnz .LBB516_30
; %bb.29:                               ;   in Loop: Header=BB516_8 Depth=1
	v_add_co_u32 v32, vcc_lo, v25, v12
	s_wait_alu 0xfffd
	v_add_co_ci_u32_e64 v33, null, v26, v13, vcc_lo
	s_mov_b32 s17, 0
	flat_load_b64 v[34:35], v[32:33]
	s_wait_loadcnt_dscnt 0x0
	v_mul_f32_e32 v27, s7, v35
	v_mul_f32_e32 v35, s6, v35
	s_delay_alu instid0(VALU_DEP_2) | instskip(NEXT) | instid1(VALU_DEP_1)
	v_fma_f32 v27, v34, s6, -v27
	v_dual_fmac_f32 v35, s7, v34 :: v_dual_add_f32 v34, v16, v27
	s_delay_alu instid0(VALU_DEP_1)
	v_add_f32_e32 v35, v17, v35
	flat_store_b64 v[32:33], v[34:35]
.LBB516_30:                             ;   in Loop: Header=BB516_8 Depth=1
	s_wait_alu 0xfffe
	s_and_not1_b32 vcc_lo, exec_lo, s17
	s_wait_alu 0xfffe
	s_cbranch_vccnz .LBB516_32
; %bb.31:                               ;   in Loop: Header=BB516_8 Depth=1
	v_add_co_u32 v25, vcc_lo, v25, v12
	s_wait_alu 0xfffd
	v_add_co_ci_u32_e64 v26, null, v26, v13, vcc_lo
	flat_store_b64 v[25:26], v[16:17]
.LBB516_32:                             ;   in Loop: Header=BB516_8 Depth=1
	s_wait_alu 0xfffe
	s_or_b32 exec_lo, exec_lo, s16
	v_add_co_u32 v0, vcc_lo, v0, v8
	s_wait_alu 0xfffd
	v_add_co_ci_u32_e64 v24, null, v24, v9, vcc_lo
	s_and_saveexec_b32 s16, s1
	s_cbranch_execz .LBB516_37
; %bb.33:                               ;   in Loop: Header=BB516_8 Depth=1
	v_mul_f32_e32 v17, s10, v31
	v_mul_f32_e32 v16, s11, v31
	s_and_not1_b32 vcc_lo, exec_lo, s22
	s_mov_b32 s17, -1
	s_delay_alu instid0(VALU_DEP_2) | instskip(NEXT) | instid1(VALU_DEP_2)
	v_fmac_f32_e32 v17, s11, v30
	v_fma_f32 v16, v30, s10, -v16
	s_wait_alu 0xfffe
	s_cbranch_vccnz .LBB516_35
; %bb.34:                               ;   in Loop: Header=BB516_8 Depth=1
	v_add_co_u32 v25, vcc_lo, v0, v10
	s_wait_alu 0xfffd
	v_add_co_ci_u32_e64 v26, null, v24, v11, vcc_lo
	s_mov_b32 s17, 0
	flat_load_b64 v[30:31], v[25:26]
	s_wait_loadcnt_dscnt 0x0
	v_mul_f32_e32 v27, s7, v31
	v_mul_f32_e32 v31, s6, v31
	s_delay_alu instid0(VALU_DEP_2) | instskip(NEXT) | instid1(VALU_DEP_1)
	v_fma_f32 v27, v30, s6, -v27
	v_dual_fmac_f32 v31, s7, v30 :: v_dual_add_f32 v30, v16, v27
	s_delay_alu instid0(VALU_DEP_1)
	v_add_f32_e32 v31, v17, v31
	flat_store_b64 v[25:26], v[30:31]
.LBB516_35:                             ;   in Loop: Header=BB516_8 Depth=1
	s_wait_alu 0xfffe
	s_and_not1_b32 vcc_lo, exec_lo, s17
	s_wait_alu 0xfffe
	s_cbranch_vccnz .LBB516_37
; %bb.36:                               ;   in Loop: Header=BB516_8 Depth=1
	v_add_co_u32 v25, vcc_lo, v0, v10
	s_wait_alu 0xfffd
	v_add_co_ci_u32_e64 v26, null, v24, v11, vcc_lo
	flat_store_b64 v[25:26], v[16:17]
.LBB516_37:                             ;   in Loop: Header=BB516_8 Depth=1
	s_wait_alu 0xfffe
	s_or_b32 exec_lo, exec_lo, s16
	s_and_saveexec_b32 s16, s29
	s_cbranch_execz .LBB516_7
; %bb.38:                               ;   in Loop: Header=BB516_8 Depth=1
	v_mul_f32_e32 v17, s10, v28
	v_mul_f32_e32 v16, s11, v28
	s_and_not1_b32 vcc_lo, exec_lo, s22
	s_mov_b32 s17, -1
	s_delay_alu instid0(VALU_DEP_2) | instskip(NEXT) | instid1(VALU_DEP_2)
	v_fmac_f32_e32 v17, s11, v29
	v_fma_f32 v16, v29, s10, -v16
	s_wait_alu 0xfffe
	s_cbranch_vccnz .LBB516_40
; %bb.39:                               ;   in Loop: Header=BB516_8 Depth=1
	v_add_co_u32 v25, vcc_lo, v0, v12
	s_wait_alu 0xfffd
	v_add_co_ci_u32_e64 v26, null, v24, v13, vcc_lo
	s_mov_b32 s17, 0
	flat_load_b64 v[27:28], v[25:26]
	s_wait_loadcnt_dscnt 0x0
	v_mul_f32_e32 v29, s7, v28
	v_mul_f32_e32 v28, s6, v28
	s_delay_alu instid0(VALU_DEP_1) | instskip(NEXT) | instid1(VALU_DEP_3)
	v_fmac_f32_e32 v28, s7, v27
	v_fma_f32 v29, v27, s6, -v29
	s_delay_alu instid0(VALU_DEP_1)
	v_dual_add_f32 v28, v17, v28 :: v_dual_add_f32 v27, v16, v29
	flat_store_b64 v[25:26], v[27:28]
.LBB516_40:                             ;   in Loop: Header=BB516_8 Depth=1
	s_wait_alu 0xfffe
	s_and_not1_b32 vcc_lo, exec_lo, s17
	s_wait_alu 0xfffe
	s_cbranch_vccnz .LBB516_7
; %bb.41:                               ;   in Loop: Header=BB516_8 Depth=1
	v_add_co_u32 v25, vcc_lo, v0, v12
	s_wait_alu 0xfffd
	v_add_co_ci_u32_e64 v26, null, v24, v13, vcc_lo
	flat_store_b64 v[25:26], v[16:17]
	s_branch .LBB516_7
.LBB516_42:
	s_endpgm
	.section	.rodata,"a",@progbits
	.p2align	6, 0x0
	.amdhsa_kernel _ZL29rocblas_internal_gemmt_kernelIlLi16ELi32ELi8ELc84ELc78ELc76ELb0ELb0E19rocblas_complex_numIfEPKS1_PKS3_PKPS1_EviT_T9_T10_S9_lSB_S9_lSA_T11_S9_li
		.amdhsa_group_segment_fixed_size 4096
		.amdhsa_private_segment_fixed_size 0
		.amdhsa_kernarg_size 108
		.amdhsa_user_sgpr_count 2
		.amdhsa_user_sgpr_dispatch_ptr 0
		.amdhsa_user_sgpr_queue_ptr 0
		.amdhsa_user_sgpr_kernarg_segment_ptr 1
		.amdhsa_user_sgpr_dispatch_id 0
		.amdhsa_user_sgpr_private_segment_size 0
		.amdhsa_wavefront_size32 1
		.amdhsa_uses_dynamic_stack 0
		.amdhsa_enable_private_segment 0
		.amdhsa_system_sgpr_workgroup_id_x 1
		.amdhsa_system_sgpr_workgroup_id_y 1
		.amdhsa_system_sgpr_workgroup_id_z 1
		.amdhsa_system_sgpr_workgroup_info 0
		.amdhsa_system_vgpr_workitem_id 1
		.amdhsa_next_free_vgpr 73
		.amdhsa_next_free_sgpr 37
		.amdhsa_reserve_vcc 1
		.amdhsa_float_round_mode_32 0
		.amdhsa_float_round_mode_16_64 0
		.amdhsa_float_denorm_mode_32 3
		.amdhsa_float_denorm_mode_16_64 3
		.amdhsa_fp16_overflow 0
		.amdhsa_workgroup_processor_mode 1
		.amdhsa_memory_ordered 1
		.amdhsa_forward_progress 1
		.amdhsa_inst_pref_size 26
		.amdhsa_round_robin_scheduling 0
		.amdhsa_exception_fp_ieee_invalid_op 0
		.amdhsa_exception_fp_denorm_src 0
		.amdhsa_exception_fp_ieee_div_zero 0
		.amdhsa_exception_fp_ieee_overflow 0
		.amdhsa_exception_fp_ieee_underflow 0
		.amdhsa_exception_fp_ieee_inexact 0
		.amdhsa_exception_int_div_zero 0
	.end_amdhsa_kernel
	.section	.text._ZL29rocblas_internal_gemmt_kernelIlLi16ELi32ELi8ELc84ELc78ELc76ELb0ELb0E19rocblas_complex_numIfEPKS1_PKS3_PKPS1_EviT_T9_T10_S9_lSB_S9_lSA_T11_S9_li,"axG",@progbits,_ZL29rocblas_internal_gemmt_kernelIlLi16ELi32ELi8ELc84ELc78ELc76ELb0ELb0E19rocblas_complex_numIfEPKS1_PKS3_PKPS1_EviT_T9_T10_S9_lSB_S9_lSA_T11_S9_li,comdat
.Lfunc_end516:
	.size	_ZL29rocblas_internal_gemmt_kernelIlLi16ELi32ELi8ELc84ELc78ELc76ELb0ELb0E19rocblas_complex_numIfEPKS1_PKS3_PKPS1_EviT_T9_T10_S9_lSB_S9_lSA_T11_S9_li, .Lfunc_end516-_ZL29rocblas_internal_gemmt_kernelIlLi16ELi32ELi8ELc84ELc78ELc76ELb0ELb0E19rocblas_complex_numIfEPKS1_PKS3_PKPS1_EviT_T9_T10_S9_lSB_S9_lSA_T11_S9_li
                                        ; -- End function
	.set _ZL29rocblas_internal_gemmt_kernelIlLi16ELi32ELi8ELc84ELc78ELc76ELb0ELb0E19rocblas_complex_numIfEPKS1_PKS3_PKPS1_EviT_T9_T10_S9_lSB_S9_lSA_T11_S9_li.num_vgpr, 73
	.set _ZL29rocblas_internal_gemmt_kernelIlLi16ELi32ELi8ELc84ELc78ELc76ELb0ELb0E19rocblas_complex_numIfEPKS1_PKS3_PKPS1_EviT_T9_T10_S9_lSB_S9_lSA_T11_S9_li.num_agpr, 0
	.set _ZL29rocblas_internal_gemmt_kernelIlLi16ELi32ELi8ELc84ELc78ELc76ELb0ELb0E19rocblas_complex_numIfEPKS1_PKS3_PKPS1_EviT_T9_T10_S9_lSB_S9_lSA_T11_S9_li.numbered_sgpr, 37
	.set _ZL29rocblas_internal_gemmt_kernelIlLi16ELi32ELi8ELc84ELc78ELc76ELb0ELb0E19rocblas_complex_numIfEPKS1_PKS3_PKPS1_EviT_T9_T10_S9_lSB_S9_lSA_T11_S9_li.num_named_barrier, 0
	.set _ZL29rocblas_internal_gemmt_kernelIlLi16ELi32ELi8ELc84ELc78ELc76ELb0ELb0E19rocblas_complex_numIfEPKS1_PKS3_PKPS1_EviT_T9_T10_S9_lSB_S9_lSA_T11_S9_li.private_seg_size, 0
	.set _ZL29rocblas_internal_gemmt_kernelIlLi16ELi32ELi8ELc84ELc78ELc76ELb0ELb0E19rocblas_complex_numIfEPKS1_PKS3_PKPS1_EviT_T9_T10_S9_lSB_S9_lSA_T11_S9_li.uses_vcc, 1
	.set _ZL29rocblas_internal_gemmt_kernelIlLi16ELi32ELi8ELc84ELc78ELc76ELb0ELb0E19rocblas_complex_numIfEPKS1_PKS3_PKPS1_EviT_T9_T10_S9_lSB_S9_lSA_T11_S9_li.uses_flat_scratch, 0
	.set _ZL29rocblas_internal_gemmt_kernelIlLi16ELi32ELi8ELc84ELc78ELc76ELb0ELb0E19rocblas_complex_numIfEPKS1_PKS3_PKPS1_EviT_T9_T10_S9_lSB_S9_lSA_T11_S9_li.has_dyn_sized_stack, 0
	.set _ZL29rocblas_internal_gemmt_kernelIlLi16ELi32ELi8ELc84ELc78ELc76ELb0ELb0E19rocblas_complex_numIfEPKS1_PKS3_PKPS1_EviT_T9_T10_S9_lSB_S9_lSA_T11_S9_li.has_recursion, 0
	.set _ZL29rocblas_internal_gemmt_kernelIlLi16ELi32ELi8ELc84ELc78ELc76ELb0ELb0E19rocblas_complex_numIfEPKS1_PKS3_PKPS1_EviT_T9_T10_S9_lSB_S9_lSA_T11_S9_li.has_indirect_call, 0
	.section	.AMDGPU.csdata,"",@progbits
; Kernel info:
; codeLenInByte = 3296
; TotalNumSgprs: 39
; NumVgprs: 73
; ScratchSize: 0
; MemoryBound: 0
; FloatMode: 240
; IeeeMode: 1
; LDSByteSize: 4096 bytes/workgroup (compile time only)
; SGPRBlocks: 0
; VGPRBlocks: 9
; NumSGPRsForWavesPerEU: 39
; NumVGPRsForWavesPerEU: 73
; Occupancy: 16
; WaveLimiterHint : 1
; COMPUTE_PGM_RSRC2:SCRATCH_EN: 0
; COMPUTE_PGM_RSRC2:USER_SGPR: 2
; COMPUTE_PGM_RSRC2:TRAP_HANDLER: 0
; COMPUTE_PGM_RSRC2:TGID_X_EN: 1
; COMPUTE_PGM_RSRC2:TGID_Y_EN: 1
; COMPUTE_PGM_RSRC2:TGID_Z_EN: 1
; COMPUTE_PGM_RSRC2:TIDIG_COMP_CNT: 1
	.section	.text._ZL29rocblas_internal_gemmt_kernelIlLi16ELi32ELi8ELc84ELc84ELc76ELb0ELb0E19rocblas_complex_numIfEPKS1_PKS3_PKPS1_EviT_T9_T10_S9_lSB_S9_lSA_T11_S9_li,"axG",@progbits,_ZL29rocblas_internal_gemmt_kernelIlLi16ELi32ELi8ELc84ELc84ELc76ELb0ELb0E19rocblas_complex_numIfEPKS1_PKS3_PKPS1_EviT_T9_T10_S9_lSB_S9_lSA_T11_S9_li,comdat
	.globl	_ZL29rocblas_internal_gemmt_kernelIlLi16ELi32ELi8ELc84ELc84ELc76ELb0ELb0E19rocblas_complex_numIfEPKS1_PKS3_PKPS1_EviT_T9_T10_S9_lSB_S9_lSA_T11_S9_li ; -- Begin function _ZL29rocblas_internal_gemmt_kernelIlLi16ELi32ELi8ELc84ELc84ELc76ELb0ELb0E19rocblas_complex_numIfEPKS1_PKS3_PKPS1_EviT_T9_T10_S9_lSB_S9_lSA_T11_S9_li
	.p2align	8
	.type	_ZL29rocblas_internal_gemmt_kernelIlLi16ELi32ELi8ELc84ELc84ELc76ELb0ELb0E19rocblas_complex_numIfEPKS1_PKS3_PKPS1_EviT_T9_T10_S9_lSB_S9_lSA_T11_S9_li,@function
_ZL29rocblas_internal_gemmt_kernelIlLi16ELi32ELi8ELc84ELc84ELc76ELb0ELb0E19rocblas_complex_numIfEPKS1_PKS3_PKPS1_EviT_T9_T10_S9_lSB_S9_lSA_T11_S9_li: ; @_ZL29rocblas_internal_gemmt_kernelIlLi16ELi32ELi8ELc84ELc84ELc76ELb0ELb0E19rocblas_complex_numIfEPKS1_PKS3_PKPS1_EviT_T9_T10_S9_lSB_S9_lSA_T11_S9_li
; %bb.0:
	s_load_b256 s[24:31], s[0:1], 0x48
	s_wait_kmcnt 0x0
	s_load_b64 s[6:7], s[24:25], 0x0
	s_load_b512 s[8:23], s[0:1], 0x8
	s_wait_kmcnt 0x0
	s_cmp_eq_f32 s6, 1.0
	s_load_b64 s[10:11], s[10:11], 0x0
	s_cselect_b32 s3, -1, 0
	s_and_b32 s2, s7, 0x7fffffff
	s_delay_alu instid0(SALU_CYCLE_1) | instskip(SKIP_1) | instid1(SALU_CYCLE_1)
	s_cmp_eq_u32 s2, 0
	s_cselect_b32 s2, -1, 0
	s_and_b32 s4, s3, s2
	s_mov_b32 s3, 0
	s_and_not1_b32 vcc_lo, exec_lo, s4
	s_mov_b32 s4, -1
	s_cbranch_vccnz .LBB517_4
; %bb.1:
	s_cmp_lg_u64 s[8:9], 0
	s_cbranch_scc0 .LBB517_3
; %bb.2:
	s_wait_kmcnt 0x0
	s_cmp_neq_f32 s10, 0
	s_cselect_b32 s3, -1, 0
	s_cmp_neq_f32 s11, 0
	s_cselect_b32 s4, -1, 0
	s_delay_alu instid0(SALU_CYCLE_1)
	s_or_b32 s3, s3, s4
.LBB517_3:
	s_delay_alu instid0(SALU_CYCLE_1)
	s_mov_b32 s4, s3
.LBB517_4:
	s_delay_alu instid0(SALU_CYCLE_1)
	s_and_b32 vcc_lo, exec_lo, s4
	s_cbranch_vccz .LBB517_42
; %bb.5:
	s_load_b32 s33, s[0:1], 0x68
	s_lshr_b32 s24, ttmp7, 16
	s_wait_kmcnt 0x0
	s_cmp_ge_u32 s24, s33
	s_cbranch_scc1 .LBB517_42
; %bb.6:
	v_bfe_u32 v10, v0, 10, 10
	s_load_b32 s4, s[0:1], 0x0
	s_lshl_b32 s0, ttmp7, 5
	s_lshl_b32 s1, ttmp9, 5
	s_and_b32 s3, s0, 0x1fffe0
	s_cmp_neq_f32 s10, 0
	v_add_nc_u32_e32 v11, s3, v10
	v_and_b32_e32 v16, 7, v0
	v_lshl_add_u32 v21, v10, 6, 0x800
	s_cselect_b32 s0, -1, 0
	s_cmp_neq_f32 s11, 0
	v_mad_co_u64_u32 v[4:5], null, s28, v11, 0
	v_and_b32_e32 v9, 0x3ff, v0
	s_cselect_b32 s5, -1, 0
	v_add_nc_u32_e32 v15, 16, v11
	s_or_b32 s37, s0, s5
	v_cmp_gt_i64_e64 s36, s[8:9], 0
	v_lshl_add_u32 v1, v10, 4, v9
	s_mov_b32 s25, 0
	s_delay_alu instid0(VALU_DEP_1) | instskip(SKIP_2) | instid1(VALU_DEP_3)
	v_and_b32_e32 v0, 31, v1
	v_lshrrev_b32_e32 v6, 3, v1
	v_lshrrev_b32_e32 v17, 5, v1
	v_or_b32_e32 v2, s1, v0
	s_delay_alu instid0(VALU_DEP_3)
	v_add_nc_u32_e32 v14, s3, v6
	s_ashr_i32 s3, s1, 31
	v_lshlrev_b32_e32 v0, 3, v0
	s_wait_alu 0xfffe
	s_mul_i32 s3, s14, s3
	s_wait_kmcnt 0x0
	v_cmp_gt_i32_e64 s0, s4, v2
	v_cmp_le_i32_e64 s34, s4, v2
	v_mul_lo_u32 v1, s15, v2
	v_mad_co_u64_u32 v[2:3], null, s14, v2, 0
	v_lshl_or_b32 v18, v17, 8, v0
	v_mov_b32_e32 v0, v5
	v_add_nc_u32_e32 v8, s1, v9
	s_cmp_neq_f32 s6, 0
	v_lshlrev_b32_e32 v20, 3, v9
	v_cmp_gt_i32_e32 vcc_lo, s4, v14
	s_wait_alu 0xfffe
	v_add3_u32 v3, v3, s3, v1
	v_mov_b32_e32 v1, 0
	v_lshlrev_b32_e32 v7, 3, v16
	v_add_nc_u32_e32 v10, 16, v8
	s_cselect_b32 s14, -1, 0
	s_xor_b32 s15, s2, -1
	v_cmp_gt_i32_e64 s2, s4, v8
	v_lshl_or_b32 v6, v6, 6, v7
	v_ashrrev_i32_e32 v9, 31, v8
	v_cmp_gt_i32_e64 s4, s4, v10
	v_cmp_le_i32_e64 s5, v15, v10
	v_lshlrev_b64_e32 v[2:3], 3, v[2:3]
	v_add_nc_u32_e32 v19, 0x800, v6
	v_mad_co_u64_u32 v[5:6], null, s29, v11, v[0:1]
	v_mad_co_u64_u32 v[6:7], null, s28, v15, 0
	v_lshlrev_b32_e32 v22, 3, v14
	s_and_b32 s35, s5, s4
	s_and_b32 s36, s37, s36
	s_delay_alu instid0(VALU_DEP_3) | instskip(NEXT) | instid1(VALU_DEP_3)
	v_lshlrev_b64_e32 v[4:5], 3, v[4:5]
	v_mov_b32_e32 v0, v7
	v_cmp_le_i32_e64 s1, v11, v8
	v_cmp_le_i32_e64 s3, v11, v10
	v_ashrrev_i32_e32 v11, 31, v10
	s_delay_alu instid0(VALU_DEP_4)
	v_mad_co_u64_u32 v[12:13], null, s29, v15, v[0:1]
	s_and_b32 s28, s1, s2
	v_cmp_le_i32_e64 s1, v15, v8
	v_lshlrev_b64_e32 v[8:9], 3, v[8:9]
	v_lshlrev_b64_e32 v[10:11], 3, v[10:11]
	s_and_b32 s29, s3, s4
	s_lshl_b64 s[4:5], s[16:17], 3
	v_mov_b32_e32 v7, v12
	s_and_b32 s1, s1, s2
	s_lshl_b64 s[2:3], s[22:23], 3
	s_wait_alu 0xfffe
	s_or_b32 s22, s14, s15
	s_xor_b32 s23, vcc_lo, -1
	v_lshlrev_b64_e32 v[6:7], 3, v[6:7]
	s_lshl_b64 s[14:15], s[30:31], 3
                                        ; implicit-def: $vgpr12_vgpr13
	s_branch .LBB517_8
.LBB517_7:                              ;   in Loop: Header=BB517_8 Depth=1
	s_wait_alu 0xfffe
	s_or_b32 exec_lo, exec_lo, s16
	s_add_co_i32 s24, s24, 0x10000
	s_delay_alu instid0(SALU_CYCLE_1)
	s_cmp_lt_u32 s24, s33
	s_cbranch_scc0 .LBB517_42
.LBB517_8:                              ; =>This Loop Header: Depth=1
                                        ;     Child Loop BB517_11 Depth 2
	s_lshl_b64 s[16:17], s[24:25], 3
	s_and_not1_b32 vcc_lo, exec_lo, s36
	s_wait_alu 0xfffe
	s_add_nc_u64 s[30:31], s[26:27], s[16:17]
	global_load_b64 v[14:15], v1, s[30:31]
	s_cbranch_vccnz .LBB517_21
; %bb.9:                                ;   in Loop: Header=BB517_8 Depth=1
	s_add_nc_u64 s[30:31], s[12:13], s[16:17]
	s_add_nc_u64 s[16:17], s[18:19], s[16:17]
	s_clause 0x1
	global_load_b64 v[23:24], v1, s[30:31]
	global_load_b64 v[25:26], v1, s[16:17]
	v_dual_mov_b32 v27, 0 :: v_dual_mov_b32 v28, 0
	v_dual_mov_b32 v30, 0 :: v_dual_mov_b32 v29, 0
	;; [unrolled: 1-line block ×4, first 2 shown]
	s_mov_b64 s[16:17], 0
	s_wait_loadcnt 0x1
	v_add_co_u32 v0, vcc_lo, v23, s4
	s_wait_alu 0xfffd
	v_add_co_ci_u32_e64 v24, null, s5, v24, vcc_lo
	s_wait_loadcnt 0x0
	v_add_co_u32 v25, vcc_lo, v25, s2
	s_wait_alu 0xfffd
	v_add_co_ci_u32_e64 v26, null, s3, v26, vcc_lo
	v_add_co_u32 v23, vcc_lo, v0, v2
	s_wait_alu 0xfffd
	v_add_co_ci_u32_e64 v24, null, v24, v3, vcc_lo
	v_add_co_u32 v25, vcc_lo, v25, v22
	s_wait_alu 0xfffd
	v_add_co_ci_u32_e64 v26, null, 0, v26, vcc_lo
	s_branch .LBB517_11
.LBB517_10:                             ;   in Loop: Header=BB517_11 Depth=2
	s_or_b32 exec_lo, exec_lo, s30
	s_wait_dscnt 0x0
	s_barrier_signal -1
	s_barrier_wait -1
	global_inv scope:SCOPE_SE
	ds_load_b128 v[35:38], v21
	ds_load_2addr_b64 v[39:42], v20 offset1:16
	ds_load_b128 v[43:46], v21 offset:1024
	ds_load_b128 v[47:50], v21 offset:16
	;; [unrolled: 1-line block ×4, first 2 shown]
	ds_load_2addr_b64 v[59:62], v20 offset0:32 offset1:48
	ds_load_b128 v[63:66], v21 offset:1040
	s_add_nc_u64 s[16:17], s[16:17], 8
	s_wait_alu 0xfffe
	v_cmp_gt_i64_e64 s30, s[8:9], s[16:17]
	s_and_b32 vcc_lo, exec_lo, s30
	s_wait_dscnt 0x6
	v_dual_mul_f32 v0, v36, v40 :: v_dual_mul_f32 v69, v35, v42
	v_dual_mul_f32 v67, v35, v40 :: v_dual_mul_f32 v68, v36, v42
	s_wait_dscnt 0x5
	v_mul_f32_e32 v71, v44, v42
	s_delay_alu instid0(VALU_DEP_3) | instskip(SKIP_3) | instid1(VALU_DEP_4)
	v_fma_f32 v0, v35, v39, -v0
	v_dual_mul_f32 v42, v43, v42 :: v_dual_fmac_f32 v69, v36, v41
	v_fmac_f32_e32 v67, v36, v39
	v_fma_f32 v35, v35, v41, -v68
	v_add_f32_e32 v0, v33, v0
	v_mul_f32_e32 v70, v44, v40
	s_delay_alu instid0(VALU_DEP_4) | instskip(NEXT) | instid1(VALU_DEP_4)
	v_dual_mul_f32 v40, v43, v40 :: v_dual_add_f32 v33, v34, v67
	v_add_f32_e32 v34, v31, v35
	v_fmac_f32_e32 v42, v44, v41
	s_delay_alu instid0(VALU_DEP_4) | instskip(NEXT) | instid1(VALU_DEP_4)
	v_fma_f32 v36, v43, v39, -v70
	v_fmac_f32_e32 v40, v44, v39
	v_fma_f32 v39, v43, v41, -v71
	s_wait_dscnt 0x1
	v_dual_mul_f32 v41, v37, v60 :: v_dual_add_f32 v32, v32, v69
	v_mul_f32_e32 v43, v38, v62
	v_add_f32_e32 v35, v29, v36
	v_dual_add_f32 v36, v30, v40 :: v_dual_add_f32 v39, v28, v39
	ds_load_2addr_b64 v[28:31], v20 offset0:64 offset1:80
	v_fmac_f32_e32 v41, v38, v59
	v_dual_mul_f32 v40, v38, v60 :: v_dual_add_f32 v27, v27, v42
	v_mul_f32_e32 v42, v37, v62
	s_delay_alu instid0(VALU_DEP_3) | instskip(NEXT) | instid1(VALU_DEP_3)
	v_add_f32_e32 v41, v33, v41
	v_fma_f32 v40, v37, v59, -v40
	v_fma_f32 v37, v37, v61, -v43
	v_mul_f32_e32 v33, v45, v60
	s_delay_alu instid0(VALU_DEP_3) | instskip(SKIP_1) | instid1(VALU_DEP_4)
	v_add_f32_e32 v0, v0, v40
	v_mul_f32_e32 v40, v46, v60
	v_add_f32_e32 v37, v34, v37
	v_fmac_f32_e32 v42, v38, v61
	v_mul_f32_e32 v38, v46, v62
	v_fmac_f32_e32 v33, v46, v59
	v_fma_f32 v34, v45, v59, -v40
	s_delay_alu instid0(VALU_DEP_4) | instskip(SKIP_4) | instid1(VALU_DEP_3)
	v_add_f32_e32 v40, v32, v42
	v_mul_f32_e32 v42, v45, v62
	v_fma_f32 v32, v45, v61, -v38
	s_wait_dscnt 0x0
	v_dual_add_f32 v43, v35, v34 :: v_dual_mul_f32 v34, v48, v29
	v_dual_mul_f32 v45, v48, v31 :: v_dual_fmac_f32 v42, v46, v61
	v_mul_f32_e32 v38, v47, v29
	v_add_f32_e32 v39, v39, v32
	s_delay_alu instid0(VALU_DEP_3) | instskip(SKIP_3) | instid1(VALU_DEP_3)
	v_add_f32_e32 v42, v27, v42
	v_mul_f32_e32 v27, v47, v31
	v_fma_f32 v44, v47, v28, -v34
	v_fmac_f32_e32 v38, v48, v28
	v_fmac_f32_e32 v27, v48, v30
	s_delay_alu instid0(VALU_DEP_3)
	v_add_f32_e32 v0, v0, v44
	v_fma_f32 v44, v47, v30, -v45
	v_add_f32_e32 v36, v36, v33
	ds_load_2addr_b64 v[32:35], v20 offset0:96 offset1:112
	v_dual_add_f32 v38, v41, v38 :: v_dual_mul_f32 v41, v64, v29
	v_mul_f32_e32 v29, v63, v29
	v_dual_add_f32 v37, v37, v44 :: v_dual_mul_f32 v44, v64, v31
	v_mul_f32_e32 v31, v63, v31
	s_delay_alu instid0(VALU_DEP_4) | instskip(NEXT) | instid1(VALU_DEP_4)
	v_fma_f32 v41, v63, v28, -v41
	v_fmac_f32_e32 v29, v64, v28
	v_add_f32_e32 v40, v40, v27
	v_fma_f32 v27, v63, v30, -v44
	v_fmac_f32_e32 v31, v64, v30
	v_add_f32_e32 v41, v43, v41
	s_delay_alu instid0(VALU_DEP_3) | instskip(SKIP_4) | instid1(VALU_DEP_2)
	v_dual_add_f32 v43, v36, v29 :: v_dual_add_f32 v44, v39, v27
	ds_load_2addr_b64 v[27:30], v20 offset0:128 offset1:144
	s_wait_dscnt 0x1
	v_mul_f32_e32 v36, v50, v33
	v_dual_mul_f32 v39, v49, v33 :: v_dual_mul_f32 v48, v66, v35
	v_fma_f32 v36, v49, v32, -v36
	v_mul_f32_e32 v45, v50, v35
	s_delay_alu instid0(VALU_DEP_3) | instskip(NEXT) | instid1(VALU_DEP_3)
	v_fmac_f32_e32 v39, v50, v32
	v_add_f32_e32 v0, v0, v36
	s_delay_alu instid0(VALU_DEP_3) | instskip(SKIP_3) | instid1(VALU_DEP_4)
	v_fma_f32 v45, v49, v34, -v45
	v_add_f32_e32 v42, v42, v31
	v_dual_mul_f32 v31, v49, v35 :: v_dual_mul_f32 v36, v66, v33
	v_dual_add_f32 v46, v38, v39 :: v_dual_mul_f32 v33, v65, v33
	v_add_f32_e32 v45, v37, v45
	s_delay_alu instid0(VALU_DEP_3) | instskip(NEXT) | instid1(VALU_DEP_4)
	v_fmac_f32_e32 v31, v50, v34
	v_fma_f32 v47, v65, v32, -v36
	ds_load_b128 v[36:39], v21 offset:1056
	v_fmac_f32_e32 v33, v66, v32
	s_wait_dscnt 0x1
	v_mul_f32_e32 v32, v52, v28
	v_add_f32_e32 v49, v40, v31
	v_dual_mul_f32 v35, v65, v35 :: v_dual_mul_f32 v50, v51, v28
	s_delay_alu instid0(VALU_DEP_3)
	v_fma_f32 v40, v51, v27, -v32
	v_add_f32_e32 v47, v41, v47
	v_mul_f32_e32 v41, v52, v30
	v_fma_f32 v31, v65, v34, -v48
	v_dual_fmac_f32 v35, v66, v34 :: v_dual_fmac_f32 v50, v52, v27
	v_add_f32_e32 v0, v0, v40
	s_delay_alu instid0(VALU_DEP_4) | instskip(NEXT) | instid1(VALU_DEP_4)
	v_fma_f32 v59, v51, v29, -v41
	v_add_f32_e32 v44, v44, v31
	v_add_f32_e32 v48, v43, v33
	ds_load_2addr_b64 v[31:34], v20 offset0:160 offset1:176
	v_add_f32_e32 v35, v42, v35
	ds_load_b128 v[40:43], v21 offset:1072
	s_wait_dscnt 0x2
	v_dual_mul_f32 v51, v51, v30 :: v_dual_mul_f32 v60, v37, v28
	v_mul_f32_e32 v28, v36, v28
	s_delay_alu instid0(VALU_DEP_2) | instskip(SKIP_1) | instid1(VALU_DEP_3)
	v_dual_add_f32 v46, v46, v50 :: v_dual_fmac_f32 v51, v52, v29
	v_mul_f32_e32 v52, v37, v30
	v_fmac_f32_e32 v28, v37, v27
	v_fma_f32 v50, v36, v27, -v60
	s_delay_alu instid0(VALU_DEP_4) | instskip(SKIP_2) | instid1(VALU_DEP_2)
	v_add_f32_e32 v49, v49, v51
	v_mul_f32_e32 v51, v36, v30
	v_add_f32_e32 v45, v45, v59
	v_fmac_f32_e32 v51, v37, v29
	s_wait_dscnt 0x1
	v_mul_f32_e32 v37, v53, v32
	s_delay_alu instid0(VALU_DEP_1) | instskip(SKIP_4) | instid1(VALU_DEP_4)
	v_fmac_f32_e32 v37, v54, v31
	v_fma_f32 v27, v36, v29, -v52
	v_add_f32_e32 v36, v48, v28
	v_dual_mul_f32 v48, v54, v32 :: v_dual_add_f32 v47, v47, v50
	v_mul_f32_e32 v50, v54, v34
	v_add_f32_e32 v44, v44, v27
	ds_load_2addr_b64 v[27:30], v20 offset0:192 offset1:208
	v_fma_f32 v48, v53, v31, -v48
	v_add_f32_e32 v51, v35, v51
	v_dual_mul_f32 v35, v53, v34 :: v_dual_add_f32 v46, v46, v37
	v_mul_f32_e32 v37, v39, v32
	s_delay_alu instid0(VALU_DEP_4) | instskip(SKIP_4) | instid1(VALU_DEP_4)
	v_add_f32_e32 v0, v0, v48
	v_fma_f32 v48, v53, v33, -v50
	v_mul_f32_e32 v32, v38, v32
	v_fmac_f32_e32 v35, v54, v33
	v_fma_f32 v37, v38, v31, -v37
	v_dual_add_f32 v45, v45, v48 :: v_dual_mul_f32 v48, v39, v34
	s_delay_alu instid0(VALU_DEP_4) | instskip(NEXT) | instid1(VALU_DEP_4)
	v_dual_fmac_f32 v32, v39, v31 :: v_dual_mul_f32 v31, v38, v34
	v_add_f32_e32 v49, v49, v35
	s_delay_alu instid0(VALU_DEP_3) | instskip(NEXT) | instid1(VALU_DEP_3)
	v_fma_f32 v34, v38, v33, -v48
	v_dual_add_f32 v32, v36, v32 :: v_dual_fmac_f32 v31, v39, v33
	s_wait_dscnt 0x0
	s_delay_alu instid0(VALU_DEP_2) | instskip(SKIP_1) | instid1(VALU_DEP_3)
	v_dual_mul_f32 v48, v41, v28 :: v_dual_add_f32 v33, v44, v34
	v_mul_f32_e32 v34, v55, v28
	v_dual_mul_f32 v44, v56, v30 :: v_dual_add_f32 v31, v51, v31
	s_delay_alu instid0(VALU_DEP_2) | instskip(SKIP_1) | instid1(VALU_DEP_3)
	v_fmac_f32_e32 v34, v56, v27
	v_mul_f32_e32 v35, v56, v28
	v_fma_f32 v44, v55, v29, -v44
	v_mul_f32_e32 v28, v40, v28
	s_delay_alu instid0(VALU_DEP_4) | instskip(NEXT) | instid1(VALU_DEP_4)
	v_add_f32_e32 v34, v46, v34
	v_fma_f32 v39, v55, v27, -v35
	v_add_f32_e32 v47, v47, v37
	ds_load_2addr_b64 v[35:38], v20 offset0:224 offset1:240
	v_add_f32_e32 v44, v45, v44
	v_mul_f32_e32 v46, v41, v30
	v_dual_add_f32 v0, v0, v39 :: v_dual_mul_f32 v39, v55, v30
	v_fma_f32 v45, v40, v27, -v48
	v_fmac_f32_e32 v28, v41, v27
	v_mul_f32_e32 v30, v40, v30
	v_fma_f32 v40, v40, v29, -v46
	v_fmac_f32_e32 v39, v56, v29
	s_wait_loadcnt_dscnt 0x0
	s_barrier_signal -1
	v_fmac_f32_e32 v30, v41, v29
	v_add_f32_e32 v40, v33, v40
	v_add_f32_e32 v27, v49, v39
	v_dual_add_f32 v39, v47, v45 :: v_dual_add_f32 v28, v32, v28
	s_barrier_wait -1
	global_inv scope:SCOPE_SE
	v_mul_f32_e32 v29, v57, v36
	v_mul_f32_e32 v33, v58, v38
	s_delay_alu instid0(VALU_DEP_2) | instskip(SKIP_1) | instid1(VALU_DEP_3)
	v_fmac_f32_e32 v29, v58, v35
	v_dual_mul_f32 v32, v58, v36 :: v_dual_add_f32 v41, v31, v30
	v_fma_f32 v31, v57, v37, -v33
	s_delay_alu instid0(VALU_DEP_2) | instskip(NEXT) | instid1(VALU_DEP_2)
	v_fma_f32 v32, v57, v35, -v32
	v_dual_mul_f32 v30, v57, v38 :: v_dual_add_f32 v31, v44, v31
	v_mul_f32_e32 v44, v43, v38
	s_delay_alu instid0(VALU_DEP_3) | instskip(NEXT) | instid1(VALU_DEP_3)
	v_dual_mul_f32 v38, v42, v38 :: v_dual_add_f32 v33, v0, v32
	v_fmac_f32_e32 v30, v58, v37
	s_delay_alu instid0(VALU_DEP_2) | instskip(SKIP_2) | instid1(VALU_DEP_4)
	v_fmac_f32_e32 v38, v43, v37
	v_mul_f32_e32 v0, v43, v36
	v_mul_f32_e32 v36, v42, v36
	v_add_f32_e32 v32, v27, v30
	s_delay_alu instid0(VALU_DEP_4) | instskip(NEXT) | instid1(VALU_DEP_4)
	v_add_f32_e32 v27, v41, v38
	v_fma_f32 v0, v42, v35, -v0
	v_add_f32_e32 v34, v34, v29
	v_fmac_f32_e32 v36, v43, v35
	s_delay_alu instid0(VALU_DEP_3) | instskip(SKIP_1) | instid1(VALU_DEP_3)
	v_add_f32_e32 v29, v39, v0
	v_fma_f32 v0, v42, v37, -v44
	v_add_f32_e32 v30, v28, v36
	s_delay_alu instid0(VALU_DEP_2)
	v_add_f32_e32 v28, v40, v0
	s_wait_alu 0xfffe
	s_cbranch_vccz .LBB517_22
.LBB517_11:                             ;   Parent Loop BB517_8 Depth=1
                                        ; =>  This Inner Loop Header: Depth=2
	s_mov_b32 s30, 0
	s_mov_b32 s37, s34
	s_and_saveexec_b32 s31, s0
	s_cbranch_execnz .LBB517_19
; %bb.12:                               ;   in Loop: Header=BB517_11 Depth=2
	s_or_b32 exec_lo, exec_lo, s31
	s_and_saveexec_b32 s31, s37
	s_delay_alu instid0(SALU_CYCLE_1)
	s_xor_b32 s31, exec_lo, s31
	s_cbranch_execnz .LBB517_20
.LBB517_13:                             ;   in Loop: Header=BB517_11 Depth=2
	s_or_b32 exec_lo, exec_lo, s31
	s_and_saveexec_b32 s31, s30
	s_cbranch_execz .LBB517_15
.LBB517_14:                             ;   in Loop: Header=BB517_11 Depth=2
	v_lshlrev_b64_e32 v[35:36], 3, v[12:13]
	s_delay_alu instid0(VALU_DEP_1) | instskip(SKIP_1) | instid1(VALU_DEP_2)
	v_add_co_u32 v35, vcc_lo, v23, v35
	s_wait_alu 0xfffd
	v_add_co_ci_u32_e64 v36, null, v24, v36, vcc_lo
	flat_load_b64 v[35:36], v[35:36]
	s_wait_loadcnt_dscnt 0x0
	ds_store_b64 v18, v[35:36]
.LBB517_15:                             ;   in Loop: Header=BB517_11 Depth=2
	s_or_b32 exec_lo, exec_lo, s31
	s_wait_alu 0xfffe
	v_add_nc_u32_e32 v0, s16, v16
	s_delay_alu instid0(VALU_DEP_1) | instskip(SKIP_1) | instid1(SALU_CYCLE_1)
	v_cmp_le_u64_e32 vcc_lo, s[8:9], v[0:1]
	s_or_b32 s30, vcc_lo, s23
	s_and_saveexec_b32 s31, s30
	s_delay_alu instid0(SALU_CYCLE_1)
	s_xor_b32 s30, exec_lo, s31
; %bb.16:                               ;   in Loop: Header=BB517_11 Depth=2
	v_mov_b32_e32 v0, v1
	ds_store_b64 v19, v[0:1]
; %bb.17:                               ;   in Loop: Header=BB517_11 Depth=2
	s_and_not1_saveexec_b32 s30, s30
	s_cbranch_execz .LBB517_10
; %bb.18:                               ;   in Loop: Header=BB517_11 Depth=2
	v_mad_co_u64_u32 v[35:36], null, s20, v0, 0
	s_delay_alu instid0(VALU_DEP_1) | instskip(NEXT) | instid1(VALU_DEP_1)
	v_mad_co_u64_u32 v[36:37], null, s21, v0, v[36:37]
	v_lshlrev_b64_e32 v[35:36], 3, v[35:36]
	s_delay_alu instid0(VALU_DEP_1) | instskip(SKIP_1) | instid1(VALU_DEP_2)
	v_add_co_u32 v35, vcc_lo, v25, v35
	s_wait_alu 0xfffd
	v_add_co_ci_u32_e64 v36, null, v26, v36, vcc_lo
	flat_load_b64 v[35:36], v[35:36]
	s_wait_loadcnt_dscnt 0x0
	ds_store_b64 v19, v[35:36]
	s_branch .LBB517_10
.LBB517_19:                             ;   in Loop: Header=BB517_11 Depth=2
	s_wait_alu 0xfffe
	v_add_nc_u32_e32 v0, s16, v17
	v_mov_b32_e32 v13, v1
	s_and_not1_b32 s37, s34, exec_lo
	s_mov_b32 s30, exec_lo
	s_delay_alu instid0(VALU_DEP_2) | instskip(SKIP_2) | instid1(SALU_CYCLE_1)
	v_cmp_le_u64_e32 vcc_lo, s[8:9], v[0:1]
	v_mov_b32_e32 v12, v0
	s_and_b32 s38, vcc_lo, exec_lo
	s_or_b32 s37, s37, s38
	s_or_b32 exec_lo, exec_lo, s31
	s_and_saveexec_b32 s31, s37
	s_delay_alu instid0(SALU_CYCLE_1)
	s_xor_b32 s31, exec_lo, s31
	s_cbranch_execz .LBB517_13
.LBB517_20:                             ;   in Loop: Header=BB517_11 Depth=2
	v_mov_b32_e32 v0, v1
	s_and_not1_b32 s30, s30, exec_lo
	ds_store_b64 v18, v[0:1]
	s_or_b32 exec_lo, exec_lo, s31
	s_and_saveexec_b32 s31, s30
	s_cbranch_execnz .LBB517_14
	s_branch .LBB517_15
.LBB517_21:                             ;   in Loop: Header=BB517_8 Depth=1
	v_dual_mov_b32 v33, v1 :: v_dual_mov_b32 v34, v1
	v_dual_mov_b32 v31, v1 :: v_dual_mov_b32 v32, v1
	v_dual_mov_b32 v29, v1 :: v_dual_mov_b32 v30, v1
	v_dual_mov_b32 v28, v1 :: v_dual_mov_b32 v27, v1
.LBB517_22:                             ;   in Loop: Header=BB517_8 Depth=1
	s_wait_loadcnt 0x0
	s_wait_alu 0xfffe
	v_add_co_u32 v0, vcc_lo, v14, s14
	s_wait_alu 0xfffd
	v_add_co_ci_u32_e64 v23, null, s15, v15, vcc_lo
	s_delay_alu instid0(VALU_DEP_2) | instskip(SKIP_1) | instid1(VALU_DEP_2)
	v_add_co_u32 v24, vcc_lo, v0, v4
	s_wait_alu 0xfffd
	v_add_co_ci_u32_e64 v25, null, v23, v5, vcc_lo
	s_and_saveexec_b32 s16, s28
	s_cbranch_execz .LBB517_27
; %bb.23:                               ;   in Loop: Header=BB517_8 Depth=1
	v_mul_f32_e32 v15, s10, v34
	v_mul_f32_e32 v14, s11, v34
	s_and_b32 vcc_lo, exec_lo, s22
	s_mov_b32 s17, -1
	s_delay_alu instid0(VALU_DEP_2) | instskip(NEXT) | instid1(VALU_DEP_2)
	v_fmac_f32_e32 v15, s11, v33
	v_fma_f32 v14, v33, s10, -v14
	s_wait_alu 0xfffe
	s_cbranch_vccz .LBB517_25
; %bb.24:                               ;   in Loop: Header=BB517_8 Depth=1
	v_add_co_u32 v33, vcc_lo, v24, v8
	s_wait_alu 0xfffd
	v_add_co_ci_u32_e64 v34, null, v25, v9, vcc_lo
	s_mov_b32 s17, 0
	flat_load_b64 v[35:36], v[33:34]
	s_wait_loadcnt_dscnt 0x0
	v_mul_f32_e32 v26, s7, v36
	s_delay_alu instid0(VALU_DEP_1) | instskip(SKIP_1) | instid1(VALU_DEP_1)
	v_fma_f32 v26, v35, s6, -v26
	v_mul_f32_e32 v36, s6, v36
	v_dual_fmac_f32 v36, s7, v35 :: v_dual_add_f32 v35, v14, v26
	s_delay_alu instid0(VALU_DEP_1)
	v_add_f32_e32 v36, v15, v36
	flat_store_b64 v[33:34], v[35:36]
.LBB517_25:                             ;   in Loop: Header=BB517_8 Depth=1
	s_wait_alu 0xfffe
	s_and_not1_b32 vcc_lo, exec_lo, s17
	s_wait_alu 0xfffe
	s_cbranch_vccnz .LBB517_27
; %bb.26:                               ;   in Loop: Header=BB517_8 Depth=1
	v_add_co_u32 v33, vcc_lo, v24, v8
	s_wait_alu 0xfffd
	v_add_co_ci_u32_e64 v34, null, v25, v9, vcc_lo
	flat_store_b64 v[33:34], v[14:15]
.LBB517_27:                             ;   in Loop: Header=BB517_8 Depth=1
	s_wait_alu 0xfffe
	s_or_b32 exec_lo, exec_lo, s16
	s_and_saveexec_b32 s16, s29
	s_cbranch_execz .LBB517_32
; %bb.28:                               ;   in Loop: Header=BB517_8 Depth=1
	v_mul_f32_e32 v15, s10, v32
	v_mul_f32_e32 v14, s11, v32
	s_and_not1_b32 vcc_lo, exec_lo, s22
	s_mov_b32 s17, -1
	s_delay_alu instid0(VALU_DEP_2) | instskip(NEXT) | instid1(VALU_DEP_2)
	v_fmac_f32_e32 v15, s11, v31
	v_fma_f32 v14, v31, s10, -v14
	s_wait_alu 0xfffe
	s_cbranch_vccnz .LBB517_30
; %bb.29:                               ;   in Loop: Header=BB517_8 Depth=1
	v_add_co_u32 v31, vcc_lo, v24, v10
	s_wait_alu 0xfffd
	v_add_co_ci_u32_e64 v32, null, v25, v11, vcc_lo
	s_mov_b32 s17, 0
	flat_load_b64 v[33:34], v[31:32]
	s_wait_loadcnt_dscnt 0x0
	v_mul_f32_e32 v26, s7, v34
	v_mul_f32_e32 v34, s6, v34
	s_delay_alu instid0(VALU_DEP_2) | instskip(NEXT) | instid1(VALU_DEP_1)
	v_fma_f32 v26, v33, s6, -v26
	v_dual_fmac_f32 v34, s7, v33 :: v_dual_add_f32 v33, v14, v26
	s_delay_alu instid0(VALU_DEP_1)
	v_add_f32_e32 v34, v15, v34
	flat_store_b64 v[31:32], v[33:34]
.LBB517_30:                             ;   in Loop: Header=BB517_8 Depth=1
	s_wait_alu 0xfffe
	s_and_not1_b32 vcc_lo, exec_lo, s17
	s_wait_alu 0xfffe
	s_cbranch_vccnz .LBB517_32
; %bb.31:                               ;   in Loop: Header=BB517_8 Depth=1
	v_add_co_u32 v24, vcc_lo, v24, v10
	s_wait_alu 0xfffd
	v_add_co_ci_u32_e64 v25, null, v25, v11, vcc_lo
	flat_store_b64 v[24:25], v[14:15]
.LBB517_32:                             ;   in Loop: Header=BB517_8 Depth=1
	s_wait_alu 0xfffe
	s_or_b32 exec_lo, exec_lo, s16
	v_add_co_u32 v0, vcc_lo, v0, v6
	s_wait_alu 0xfffd
	v_add_co_ci_u32_e64 v23, null, v23, v7, vcc_lo
	s_and_saveexec_b32 s16, s1
	s_cbranch_execz .LBB517_37
; %bb.33:                               ;   in Loop: Header=BB517_8 Depth=1
	v_mul_f32_e32 v15, s10, v30
	v_mul_f32_e32 v14, s11, v30
	s_and_not1_b32 vcc_lo, exec_lo, s22
	s_mov_b32 s17, -1
	s_delay_alu instid0(VALU_DEP_2) | instskip(NEXT) | instid1(VALU_DEP_2)
	v_fmac_f32_e32 v15, s11, v29
	v_fma_f32 v14, v29, s10, -v14
	s_wait_alu 0xfffe
	s_cbranch_vccnz .LBB517_35
; %bb.34:                               ;   in Loop: Header=BB517_8 Depth=1
	v_add_co_u32 v24, vcc_lo, v0, v8
	s_wait_alu 0xfffd
	v_add_co_ci_u32_e64 v25, null, v23, v9, vcc_lo
	s_mov_b32 s17, 0
	flat_load_b64 v[29:30], v[24:25]
	s_wait_loadcnt_dscnt 0x0
	v_mul_f32_e32 v26, s7, v30
	v_mul_f32_e32 v30, s6, v30
	s_delay_alu instid0(VALU_DEP_2) | instskip(NEXT) | instid1(VALU_DEP_1)
	v_fma_f32 v26, v29, s6, -v26
	v_dual_fmac_f32 v30, s7, v29 :: v_dual_add_f32 v29, v14, v26
	s_delay_alu instid0(VALU_DEP_1)
	v_add_f32_e32 v30, v15, v30
	flat_store_b64 v[24:25], v[29:30]
.LBB517_35:                             ;   in Loop: Header=BB517_8 Depth=1
	s_wait_alu 0xfffe
	s_and_not1_b32 vcc_lo, exec_lo, s17
	s_wait_alu 0xfffe
	s_cbranch_vccnz .LBB517_37
; %bb.36:                               ;   in Loop: Header=BB517_8 Depth=1
	v_add_co_u32 v24, vcc_lo, v0, v8
	s_wait_alu 0xfffd
	v_add_co_ci_u32_e64 v25, null, v23, v9, vcc_lo
	flat_store_b64 v[24:25], v[14:15]
.LBB517_37:                             ;   in Loop: Header=BB517_8 Depth=1
	s_wait_alu 0xfffe
	s_or_b32 exec_lo, exec_lo, s16
	s_and_saveexec_b32 s16, s35
	s_cbranch_execz .LBB517_7
; %bb.38:                               ;   in Loop: Header=BB517_8 Depth=1
	v_mul_f32_e32 v15, s10, v27
	v_mul_f32_e32 v14, s11, v27
	s_and_not1_b32 vcc_lo, exec_lo, s22
	s_mov_b32 s17, -1
	s_delay_alu instid0(VALU_DEP_2) | instskip(NEXT) | instid1(VALU_DEP_2)
	v_fmac_f32_e32 v15, s11, v28
	v_fma_f32 v14, v28, s10, -v14
	s_wait_alu 0xfffe
	s_cbranch_vccnz .LBB517_40
; %bb.39:                               ;   in Loop: Header=BB517_8 Depth=1
	v_add_co_u32 v24, vcc_lo, v0, v10
	s_wait_alu 0xfffd
	v_add_co_ci_u32_e64 v25, null, v23, v11, vcc_lo
	s_mov_b32 s17, 0
	flat_load_b64 v[26:27], v[24:25]
	s_wait_loadcnt_dscnt 0x0
	v_mul_f32_e32 v28, s7, v27
	v_mul_f32_e32 v27, s6, v27
	s_delay_alu instid0(VALU_DEP_1) | instskip(NEXT) | instid1(VALU_DEP_3)
	v_fmac_f32_e32 v27, s7, v26
	v_fma_f32 v28, v26, s6, -v28
	s_delay_alu instid0(VALU_DEP_1)
	v_dual_add_f32 v27, v15, v27 :: v_dual_add_f32 v26, v14, v28
	flat_store_b64 v[24:25], v[26:27]
.LBB517_40:                             ;   in Loop: Header=BB517_8 Depth=1
	s_wait_alu 0xfffe
	s_and_not1_b32 vcc_lo, exec_lo, s17
	s_wait_alu 0xfffe
	s_cbranch_vccnz .LBB517_7
; %bb.41:                               ;   in Loop: Header=BB517_8 Depth=1
	v_add_co_u32 v24, vcc_lo, v0, v10
	s_wait_alu 0xfffd
	v_add_co_ci_u32_e64 v25, null, v23, v11, vcc_lo
	flat_store_b64 v[24:25], v[14:15]
	s_branch .LBB517_7
.LBB517_42:
	s_endpgm
	.section	.rodata,"a",@progbits
	.p2align	6, 0x0
	.amdhsa_kernel _ZL29rocblas_internal_gemmt_kernelIlLi16ELi32ELi8ELc84ELc84ELc76ELb0ELb0E19rocblas_complex_numIfEPKS1_PKS3_PKPS1_EviT_T9_T10_S9_lSB_S9_lSA_T11_S9_li
		.amdhsa_group_segment_fixed_size 4096
		.amdhsa_private_segment_fixed_size 0
		.amdhsa_kernarg_size 108
		.amdhsa_user_sgpr_count 2
		.amdhsa_user_sgpr_dispatch_ptr 0
		.amdhsa_user_sgpr_queue_ptr 0
		.amdhsa_user_sgpr_kernarg_segment_ptr 1
		.amdhsa_user_sgpr_dispatch_id 0
		.amdhsa_user_sgpr_private_segment_size 0
		.amdhsa_wavefront_size32 1
		.amdhsa_uses_dynamic_stack 0
		.amdhsa_enable_private_segment 0
		.amdhsa_system_sgpr_workgroup_id_x 1
		.amdhsa_system_sgpr_workgroup_id_y 1
		.amdhsa_system_sgpr_workgroup_id_z 1
		.amdhsa_system_sgpr_workgroup_info 0
		.amdhsa_system_vgpr_workitem_id 1
		.amdhsa_next_free_vgpr 72
		.amdhsa_next_free_sgpr 39
		.amdhsa_reserve_vcc 1
		.amdhsa_float_round_mode_32 0
		.amdhsa_float_round_mode_16_64 0
		.amdhsa_float_denorm_mode_32 3
		.amdhsa_float_denorm_mode_16_64 3
		.amdhsa_fp16_overflow 0
		.amdhsa_workgroup_processor_mode 1
		.amdhsa_memory_ordered 1
		.amdhsa_forward_progress 1
		.amdhsa_inst_pref_size 26
		.amdhsa_round_robin_scheduling 0
		.amdhsa_exception_fp_ieee_invalid_op 0
		.amdhsa_exception_fp_denorm_src 0
		.amdhsa_exception_fp_ieee_div_zero 0
		.amdhsa_exception_fp_ieee_overflow 0
		.amdhsa_exception_fp_ieee_underflow 0
		.amdhsa_exception_fp_ieee_inexact 0
		.amdhsa_exception_int_div_zero 0
	.end_amdhsa_kernel
	.section	.text._ZL29rocblas_internal_gemmt_kernelIlLi16ELi32ELi8ELc84ELc84ELc76ELb0ELb0E19rocblas_complex_numIfEPKS1_PKS3_PKPS1_EviT_T9_T10_S9_lSB_S9_lSA_T11_S9_li,"axG",@progbits,_ZL29rocblas_internal_gemmt_kernelIlLi16ELi32ELi8ELc84ELc84ELc76ELb0ELb0E19rocblas_complex_numIfEPKS1_PKS3_PKPS1_EviT_T9_T10_S9_lSB_S9_lSA_T11_S9_li,comdat
.Lfunc_end517:
	.size	_ZL29rocblas_internal_gemmt_kernelIlLi16ELi32ELi8ELc84ELc84ELc76ELb0ELb0E19rocblas_complex_numIfEPKS1_PKS3_PKPS1_EviT_T9_T10_S9_lSB_S9_lSA_T11_S9_li, .Lfunc_end517-_ZL29rocblas_internal_gemmt_kernelIlLi16ELi32ELi8ELc84ELc84ELc76ELb0ELb0E19rocblas_complex_numIfEPKS1_PKS3_PKPS1_EviT_T9_T10_S9_lSB_S9_lSA_T11_S9_li
                                        ; -- End function
	.set _ZL29rocblas_internal_gemmt_kernelIlLi16ELi32ELi8ELc84ELc84ELc76ELb0ELb0E19rocblas_complex_numIfEPKS1_PKS3_PKPS1_EviT_T9_T10_S9_lSB_S9_lSA_T11_S9_li.num_vgpr, 72
	.set _ZL29rocblas_internal_gemmt_kernelIlLi16ELi32ELi8ELc84ELc84ELc76ELb0ELb0E19rocblas_complex_numIfEPKS1_PKS3_PKPS1_EviT_T9_T10_S9_lSB_S9_lSA_T11_S9_li.num_agpr, 0
	.set _ZL29rocblas_internal_gemmt_kernelIlLi16ELi32ELi8ELc84ELc84ELc76ELb0ELb0E19rocblas_complex_numIfEPKS1_PKS3_PKPS1_EviT_T9_T10_S9_lSB_S9_lSA_T11_S9_li.numbered_sgpr, 39
	.set _ZL29rocblas_internal_gemmt_kernelIlLi16ELi32ELi8ELc84ELc84ELc76ELb0ELb0E19rocblas_complex_numIfEPKS1_PKS3_PKPS1_EviT_T9_T10_S9_lSB_S9_lSA_T11_S9_li.num_named_barrier, 0
	.set _ZL29rocblas_internal_gemmt_kernelIlLi16ELi32ELi8ELc84ELc84ELc76ELb0ELb0E19rocblas_complex_numIfEPKS1_PKS3_PKPS1_EviT_T9_T10_S9_lSB_S9_lSA_T11_S9_li.private_seg_size, 0
	.set _ZL29rocblas_internal_gemmt_kernelIlLi16ELi32ELi8ELc84ELc84ELc76ELb0ELb0E19rocblas_complex_numIfEPKS1_PKS3_PKPS1_EviT_T9_T10_S9_lSB_S9_lSA_T11_S9_li.uses_vcc, 1
	.set _ZL29rocblas_internal_gemmt_kernelIlLi16ELi32ELi8ELc84ELc84ELc76ELb0ELb0E19rocblas_complex_numIfEPKS1_PKS3_PKPS1_EviT_T9_T10_S9_lSB_S9_lSA_T11_S9_li.uses_flat_scratch, 0
	.set _ZL29rocblas_internal_gemmt_kernelIlLi16ELi32ELi8ELc84ELc84ELc76ELb0ELb0E19rocblas_complex_numIfEPKS1_PKS3_PKPS1_EviT_T9_T10_S9_lSB_S9_lSA_T11_S9_li.has_dyn_sized_stack, 0
	.set _ZL29rocblas_internal_gemmt_kernelIlLi16ELi32ELi8ELc84ELc84ELc76ELb0ELb0E19rocblas_complex_numIfEPKS1_PKS3_PKPS1_EviT_T9_T10_S9_lSB_S9_lSA_T11_S9_li.has_recursion, 0
	.set _ZL29rocblas_internal_gemmt_kernelIlLi16ELi32ELi8ELc84ELc84ELc76ELb0ELb0E19rocblas_complex_numIfEPKS1_PKS3_PKPS1_EviT_T9_T10_S9_lSB_S9_lSA_T11_S9_li.has_indirect_call, 0
	.section	.AMDGPU.csdata,"",@progbits
; Kernel info:
; codeLenInByte = 3288
; TotalNumSgprs: 41
; NumVgprs: 72
; ScratchSize: 0
; MemoryBound: 0
; FloatMode: 240
; IeeeMode: 1
; LDSByteSize: 4096 bytes/workgroup (compile time only)
; SGPRBlocks: 0
; VGPRBlocks: 8
; NumSGPRsForWavesPerEU: 41
; NumVGPRsForWavesPerEU: 72
; Occupancy: 16
; WaveLimiterHint : 1
; COMPUTE_PGM_RSRC2:SCRATCH_EN: 0
; COMPUTE_PGM_RSRC2:USER_SGPR: 2
; COMPUTE_PGM_RSRC2:TRAP_HANDLER: 0
; COMPUTE_PGM_RSRC2:TGID_X_EN: 1
; COMPUTE_PGM_RSRC2:TGID_Y_EN: 1
; COMPUTE_PGM_RSRC2:TGID_Z_EN: 1
; COMPUTE_PGM_RSRC2:TIDIG_COMP_CNT: 1
	.section	.text._ZL29rocblas_internal_gemmt_kernelIlLi16ELi32ELi8ELc84ELc67ELc76ELb0ELb1E19rocblas_complex_numIfEPKS1_PKS3_PKPS1_EviT_T9_T10_S9_lSB_S9_lSA_T11_S9_li,"axG",@progbits,_ZL29rocblas_internal_gemmt_kernelIlLi16ELi32ELi8ELc84ELc67ELc76ELb0ELb1E19rocblas_complex_numIfEPKS1_PKS3_PKPS1_EviT_T9_T10_S9_lSB_S9_lSA_T11_S9_li,comdat
	.globl	_ZL29rocblas_internal_gemmt_kernelIlLi16ELi32ELi8ELc84ELc67ELc76ELb0ELb1E19rocblas_complex_numIfEPKS1_PKS3_PKPS1_EviT_T9_T10_S9_lSB_S9_lSA_T11_S9_li ; -- Begin function _ZL29rocblas_internal_gemmt_kernelIlLi16ELi32ELi8ELc84ELc67ELc76ELb0ELb1E19rocblas_complex_numIfEPKS1_PKS3_PKPS1_EviT_T9_T10_S9_lSB_S9_lSA_T11_S9_li
	.p2align	8
	.type	_ZL29rocblas_internal_gemmt_kernelIlLi16ELi32ELi8ELc84ELc67ELc76ELb0ELb1E19rocblas_complex_numIfEPKS1_PKS3_PKPS1_EviT_T9_T10_S9_lSB_S9_lSA_T11_S9_li,@function
_ZL29rocblas_internal_gemmt_kernelIlLi16ELi32ELi8ELc84ELc67ELc76ELb0ELb1E19rocblas_complex_numIfEPKS1_PKS3_PKPS1_EviT_T9_T10_S9_lSB_S9_lSA_T11_S9_li: ; @_ZL29rocblas_internal_gemmt_kernelIlLi16ELi32ELi8ELc84ELc67ELc76ELb0ELb1E19rocblas_complex_numIfEPKS1_PKS3_PKPS1_EviT_T9_T10_S9_lSB_S9_lSA_T11_S9_li
; %bb.0:
	s_load_b256 s[24:31], s[0:1], 0x48
	s_wait_kmcnt 0x0
	s_load_b64 s[6:7], s[24:25], 0x0
	s_load_b512 s[8:23], s[0:1], 0x8
	s_wait_kmcnt 0x0
	s_cmp_eq_f32 s6, 1.0
	s_load_b64 s[10:11], s[10:11], 0x0
	s_cselect_b32 s3, -1, 0
	s_and_b32 s2, s7, 0x7fffffff
	s_delay_alu instid0(SALU_CYCLE_1) | instskip(SKIP_1) | instid1(SALU_CYCLE_1)
	s_cmp_eq_u32 s2, 0
	s_cselect_b32 s2, -1, 0
	s_and_b32 s4, s3, s2
	s_mov_b32 s3, 0
	s_and_not1_b32 vcc_lo, exec_lo, s4
	s_mov_b32 s4, -1
	s_cbranch_vccnz .LBB518_4
; %bb.1:
	s_cmp_lg_u64 s[8:9], 0
	s_cbranch_scc0 .LBB518_3
; %bb.2:
	s_wait_kmcnt 0x0
	s_cmp_neq_f32 s10, 0
	s_cselect_b32 s3, -1, 0
	s_cmp_neq_f32 s11, 0
	s_cselect_b32 s4, -1, 0
	s_delay_alu instid0(SALU_CYCLE_1)
	s_or_b32 s3, s3, s4
.LBB518_3:
	s_delay_alu instid0(SALU_CYCLE_1)
	s_mov_b32 s4, s3
.LBB518_4:
	s_delay_alu instid0(SALU_CYCLE_1)
	s_and_b32 vcc_lo, exec_lo, s4
	s_cbranch_vccz .LBB518_42
; %bb.5:
	s_load_b32 s33, s[0:1], 0x68
	s_lshr_b32 s24, ttmp7, 16
	s_wait_kmcnt 0x0
	s_cmp_ge_u32 s24, s33
	s_cbranch_scc1 .LBB518_42
; %bb.6:
	v_bfe_u32 v10, v0, 10, 10
	s_load_b32 s4, s[0:1], 0x0
	s_lshl_b32 s0, ttmp7, 5
	s_lshl_b32 s1, ttmp9, 5
	s_and_b32 s3, s0, 0x1fffe0
	s_cmp_neq_f32 s10, 0
	v_add_nc_u32_e32 v11, s3, v10
	v_and_b32_e32 v16, 7, v0
	v_lshl_add_u32 v21, v10, 6, 0x800
	s_cselect_b32 s0, -1, 0
	s_cmp_neq_f32 s11, 0
	v_mad_co_u64_u32 v[4:5], null, s28, v11, 0
	v_and_b32_e32 v9, 0x3ff, v0
	s_cselect_b32 s5, -1, 0
	v_add_nc_u32_e32 v15, 16, v11
	s_or_b32 s37, s0, s5
	v_cmp_gt_i64_e64 s36, s[8:9], 0
	v_lshl_add_u32 v1, v10, 4, v9
	s_mov_b32 s25, 0
	s_delay_alu instid0(VALU_DEP_1) | instskip(SKIP_2) | instid1(VALU_DEP_3)
	v_and_b32_e32 v0, 31, v1
	v_lshrrev_b32_e32 v6, 3, v1
	v_lshrrev_b32_e32 v17, 5, v1
	v_or_b32_e32 v2, s1, v0
	s_delay_alu instid0(VALU_DEP_3)
	v_add_nc_u32_e32 v14, s3, v6
	s_ashr_i32 s3, s1, 31
	v_lshlrev_b32_e32 v0, 3, v0
	s_wait_alu 0xfffe
	s_mul_i32 s3, s14, s3
	s_wait_kmcnt 0x0
	v_cmp_gt_i32_e64 s0, s4, v2
	v_cmp_le_i32_e64 s34, s4, v2
	v_mul_lo_u32 v1, s15, v2
	v_mad_co_u64_u32 v[2:3], null, s14, v2, 0
	v_lshl_or_b32 v18, v17, 8, v0
	v_mov_b32_e32 v0, v5
	v_add_nc_u32_e32 v8, s1, v9
	s_cmp_neq_f32 s6, 0
	v_lshlrev_b32_e32 v20, 3, v9
	v_cmp_gt_i32_e32 vcc_lo, s4, v14
	s_wait_alu 0xfffe
	v_add3_u32 v3, v3, s3, v1
	v_mov_b32_e32 v1, 0
	v_lshlrev_b32_e32 v7, 3, v16
	v_add_nc_u32_e32 v10, 16, v8
	s_cselect_b32 s14, -1, 0
	s_xor_b32 s15, s2, -1
	v_cmp_gt_i32_e64 s2, s4, v8
	v_lshl_or_b32 v6, v6, 6, v7
	v_ashrrev_i32_e32 v9, 31, v8
	v_cmp_gt_i32_e64 s4, s4, v10
	v_cmp_le_i32_e64 s5, v15, v10
	v_lshlrev_b64_e32 v[2:3], 3, v[2:3]
	v_add_nc_u32_e32 v19, 0x800, v6
	v_mad_co_u64_u32 v[5:6], null, s29, v11, v[0:1]
	v_mad_co_u64_u32 v[6:7], null, s28, v15, 0
	v_lshlrev_b32_e32 v22, 3, v14
	s_and_b32 s35, s5, s4
	s_and_b32 s36, s37, s36
	s_delay_alu instid0(VALU_DEP_3) | instskip(NEXT) | instid1(VALU_DEP_3)
	v_lshlrev_b64_e32 v[4:5], 3, v[4:5]
	v_mov_b32_e32 v0, v7
	v_cmp_le_i32_e64 s1, v11, v8
	v_cmp_le_i32_e64 s3, v11, v10
	v_ashrrev_i32_e32 v11, 31, v10
	s_delay_alu instid0(VALU_DEP_4)
	v_mad_co_u64_u32 v[12:13], null, s29, v15, v[0:1]
	s_and_b32 s28, s1, s2
	v_cmp_le_i32_e64 s1, v15, v8
	v_lshlrev_b64_e32 v[8:9], 3, v[8:9]
	v_lshlrev_b64_e32 v[10:11], 3, v[10:11]
	s_and_b32 s29, s3, s4
	s_lshl_b64 s[4:5], s[16:17], 3
	v_mov_b32_e32 v7, v12
	s_and_b32 s1, s1, s2
	s_lshl_b64 s[2:3], s[22:23], 3
	s_wait_alu 0xfffe
	s_or_b32 s22, s14, s15
	s_xor_b32 s23, vcc_lo, -1
	v_lshlrev_b64_e32 v[6:7], 3, v[6:7]
	s_lshl_b64 s[14:15], s[30:31], 3
                                        ; implicit-def: $vgpr12_vgpr13
	s_branch .LBB518_8
.LBB518_7:                              ;   in Loop: Header=BB518_8 Depth=1
	s_wait_alu 0xfffe
	s_or_b32 exec_lo, exec_lo, s16
	s_add_co_i32 s24, s24, 0x10000
	s_delay_alu instid0(SALU_CYCLE_1)
	s_cmp_lt_u32 s24, s33
	s_cbranch_scc0 .LBB518_42
.LBB518_8:                              ; =>This Loop Header: Depth=1
                                        ;     Child Loop BB518_11 Depth 2
	s_lshl_b64 s[16:17], s[24:25], 3
	s_and_not1_b32 vcc_lo, exec_lo, s36
	s_wait_alu 0xfffe
	s_add_nc_u64 s[30:31], s[26:27], s[16:17]
	global_load_b64 v[14:15], v1, s[30:31]
	s_cbranch_vccnz .LBB518_21
; %bb.9:                                ;   in Loop: Header=BB518_8 Depth=1
	s_add_nc_u64 s[30:31], s[12:13], s[16:17]
	s_add_nc_u64 s[16:17], s[18:19], s[16:17]
	s_clause 0x1
	global_load_b64 v[23:24], v1, s[30:31]
	global_load_b64 v[25:26], v1, s[16:17]
	v_dual_mov_b32 v27, 0 :: v_dual_mov_b32 v28, 0
	v_dual_mov_b32 v30, 0 :: v_dual_mov_b32 v29, 0
	;; [unrolled: 1-line block ×4, first 2 shown]
	s_mov_b64 s[16:17], 0
	s_wait_loadcnt 0x1
	v_add_co_u32 v0, vcc_lo, v23, s4
	s_wait_alu 0xfffd
	v_add_co_ci_u32_e64 v24, null, s5, v24, vcc_lo
	s_wait_loadcnt 0x0
	v_add_co_u32 v25, vcc_lo, v25, s2
	s_wait_alu 0xfffd
	v_add_co_ci_u32_e64 v26, null, s3, v26, vcc_lo
	v_add_co_u32 v23, vcc_lo, v0, v2
	s_wait_alu 0xfffd
	v_add_co_ci_u32_e64 v24, null, v24, v3, vcc_lo
	;; [unrolled: 3-line block ×3, first 2 shown]
	s_branch .LBB518_11
.LBB518_10:                             ;   in Loop: Header=BB518_11 Depth=2
	s_or_b32 exec_lo, exec_lo, s30
	ds_store_b32 v19, v35 offset:4
	s_wait_dscnt 0x0
	s_barrier_signal -1
	s_barrier_wait -1
	global_inv scope:SCOPE_SE
	ds_load_b128 v[35:38], v21
	ds_load_2addr_b64 v[39:42], v20 offset1:16
	ds_load_b128 v[43:46], v21 offset:1024
	ds_load_b128 v[47:50], v21 offset:16
	;; [unrolled: 1-line block ×4, first 2 shown]
	ds_load_2addr_b64 v[59:62], v20 offset0:32 offset1:48
	ds_load_b128 v[63:66], v21 offset:1040
	s_add_nc_u64 s[16:17], s[16:17], 8
	s_wait_alu 0xfffe
	v_cmp_gt_i64_e64 s30, s[8:9], s[16:17]
	s_and_b32 vcc_lo, exec_lo, s30
	s_wait_dscnt 0x6
	v_dual_mul_f32 v0, v36, v40 :: v_dual_mul_f32 v69, v35, v42
	v_dual_mul_f32 v67, v35, v40 :: v_dual_mul_f32 v68, v36, v42
	s_wait_dscnt 0x5
	v_mul_f32_e32 v71, v44, v42
	s_delay_alu instid0(VALU_DEP_3) | instskip(SKIP_3) | instid1(VALU_DEP_4)
	v_fma_f32 v0, v35, v39, -v0
	v_dual_mul_f32 v42, v43, v42 :: v_dual_fmac_f32 v69, v36, v41
	v_fmac_f32_e32 v67, v36, v39
	v_fma_f32 v35, v35, v41, -v68
	v_add_f32_e32 v0, v33, v0
	v_mul_f32_e32 v70, v44, v40
	s_delay_alu instid0(VALU_DEP_4) | instskip(NEXT) | instid1(VALU_DEP_4)
	v_dual_mul_f32 v40, v43, v40 :: v_dual_add_f32 v33, v34, v67
	v_add_f32_e32 v34, v31, v35
	v_fma_f32 v31, v43, v41, -v71
	s_delay_alu instid0(VALU_DEP_4) | instskip(NEXT) | instid1(VALU_DEP_4)
	v_fma_f32 v36, v43, v39, -v70
	v_fmac_f32_e32 v40, v44, v39
	s_wait_dscnt 0x1
	v_dual_add_f32 v32, v32, v69 :: v_dual_mul_f32 v39, v38, v60
	v_dual_fmac_f32 v42, v44, v41 :: v_dual_mul_f32 v43, v38, v62
	v_add_f32_e32 v35, v29, v36
	v_add_f32_e32 v36, v30, v40
	v_dual_add_f32 v40, v28, v31 :: v_dual_mul_f32 v41, v37, v60
	ds_load_2addr_b64 v[28:31], v20 offset0:64 offset1:80
	v_fma_f32 v39, v37, v59, -v39
	v_add_f32_e32 v27, v27, v42
	v_dual_mul_f32 v42, v37, v62 :: v_dual_fmac_f32 v41, v38, v59
	v_fma_f32 v37, v37, v61, -v43
	s_delay_alu instid0(VALU_DEP_4) | instskip(NEXT) | instid1(VALU_DEP_3)
	v_dual_add_f32 v0, v0, v39 :: v_dual_mul_f32 v39, v46, v60
	v_fmac_f32_e32 v42, v38, v61
	s_delay_alu instid0(VALU_DEP_4)
	v_add_f32_e32 v41, v33, v41
	v_mul_f32_e32 v33, v45, v60
	v_add_f32_e32 v37, v34, v37
	v_fma_f32 v34, v45, v59, -v39
	v_mul_f32_e32 v38, v46, v62
	v_add_f32_e32 v39, v32, v42
	v_dual_mul_f32 v42, v45, v62 :: v_dual_fmac_f32 v33, v46, v59
	s_delay_alu instid0(VALU_DEP_4) | instskip(NEXT) | instid1(VALU_DEP_4)
	v_add_f32_e32 v43, v35, v34
	v_fma_f32 v32, v45, v61, -v38
	s_wait_dscnt 0x0
	v_mul_f32_e32 v34, v48, v29
	v_dual_fmac_f32 v42, v46, v61 :: v_dual_mul_f32 v45, v48, v31
	s_delay_alu instid0(VALU_DEP_3) | instskip(SKIP_1) | instid1(VALU_DEP_4)
	v_add_f32_e32 v40, v40, v32
	v_add_f32_e32 v36, v36, v33
	v_fma_f32 v44, v47, v28, -v34
	s_delay_alu instid0(VALU_DEP_4)
	v_add_f32_e32 v42, v27, v42
	v_mul_f32_e32 v27, v47, v31
	v_mul_f32_e32 v38, v47, v29
	ds_load_2addr_b64 v[32:35], v20 offset0:96 offset1:112
	v_add_f32_e32 v0, v0, v44
	v_fma_f32 v44, v47, v30, -v45
	v_fmac_f32_e32 v27, v48, v30
	v_fmac_f32_e32 v38, v48, v28
	s_delay_alu instid0(VALU_DEP_3) | instskip(NEXT) | instid1(VALU_DEP_2)
	v_dual_add_f32 v37, v37, v44 :: v_dual_mul_f32 v44, v64, v31
	v_dual_add_f32 v38, v41, v38 :: v_dual_mul_f32 v41, v64, v29
	v_mul_f32_e32 v29, v63, v29
	v_mul_f32_e32 v31, v63, v31
	v_add_f32_e32 v45, v39, v27
	v_fma_f32 v27, v63, v30, -v44
	v_fma_f32 v41, v63, v28, -v41
	v_fmac_f32_e32 v29, v64, v28
	v_fmac_f32_e32 v31, v64, v30
	s_delay_alu instid0(VALU_DEP_3) | instskip(SKIP_1) | instid1(VALU_DEP_3)
	v_dual_add_f32 v40, v40, v27 :: v_dual_add_f32 v41, v43, v41
	s_wait_dscnt 0x0
	v_dual_add_f32 v43, v36, v29 :: v_dual_mul_f32 v44, v50, v35
	ds_load_2addr_b64 v[27:30], v20 offset0:128 offset1:144
	v_mul_f32_e32 v36, v50, v33
	v_mul_f32_e32 v48, v66, v35
	v_fma_f32 v44, v49, v34, -v44
	s_delay_alu instid0(VALU_DEP_3) | instskip(NEXT) | instid1(VALU_DEP_1)
	v_fma_f32 v36, v49, v32, -v36
	v_add_f32_e32 v0, v0, v36
	v_mul_f32_e32 v36, v66, v33
	v_dual_mul_f32 v39, v49, v33 :: v_dual_add_f32 v42, v42, v31
	v_mul_f32_e32 v31, v49, v35
	v_mul_f32_e32 v33, v65, v33
	s_delay_alu instid0(VALU_DEP_4) | instskip(NEXT) | instid1(VALU_DEP_2)
	v_fma_f32 v47, v65, v32, -v36
	v_fmac_f32_e32 v33, v66, v32
	v_fmac_f32_e32 v39, v50, v32
	s_wait_dscnt 0x0
	v_dual_mul_f32 v32, v52, v28 :: v_dual_fmac_f32 v31, v50, v34
	s_delay_alu instid0(VALU_DEP_1) | instskip(SKIP_1) | instid1(VALU_DEP_2)
	v_dual_mul_f32 v50, v51, v28 :: v_dual_add_f32 v45, v45, v31
	v_fma_f32 v31, v65, v34, -v48
	v_fmac_f32_e32 v50, v52, v27
	v_add_f32_e32 v48, v43, v33
	v_add_f32_e32 v46, v38, v39
	;; [unrolled: 1-line block ×4, first 2 shown]
	v_fma_f32 v40, v51, v27, -v32
	v_mul_f32_e32 v35, v65, v35
	v_mul_f32_e32 v41, v52, v30
	v_add_f32_e32 v46, v46, v50
	s_delay_alu instid0(VALU_DEP_4) | instskip(NEXT) | instid1(VALU_DEP_4)
	v_add_f32_e32 v0, v0, v40
	v_dual_add_f32 v44, v37, v44 :: v_dual_fmac_f32 v35, v66, v34
	ds_load_b128 v[36:39], v21 offset:1056
	ds_load_2addr_b64 v[31:34], v20 offset0:160 offset1:176
	v_fma_f32 v59, v51, v29, -v41
	v_mul_f32_e32 v51, v51, v30
	v_add_f32_e32 v35, v42, v35
	ds_load_b128 v[40:43], v21 offset:1072
	v_add_f32_e32 v44, v44, v59
	s_wait_dscnt 0x2
	v_dual_fmac_f32 v51, v52, v29 :: v_dual_mul_f32 v52, v37, v30
	v_mul_f32_e32 v60, v37, v28
	v_mul_f32_e32 v28, v36, v28
	s_delay_alu instid0(VALU_DEP_2) | instskip(NEXT) | instid1(VALU_DEP_2)
	v_fma_f32 v50, v36, v27, -v60
	v_fmac_f32_e32 v28, v37, v27
	v_add_f32_e32 v45, v45, v51
	v_mul_f32_e32 v51, v36, v30
	v_fma_f32 v27, v36, v29, -v52
	s_delay_alu instid0(VALU_DEP_4) | instskip(SKIP_1) | instid1(VALU_DEP_3)
	v_dual_add_f32 v47, v47, v50 :: v_dual_add_f32 v36, v48, v28
	s_wait_dscnt 0x1
	v_dual_mul_f32 v48, v54, v32 :: v_dual_fmac_f32 v51, v37, v29
	v_dual_mul_f32 v50, v54, v34 :: v_dual_mul_f32 v37, v53, v32
	s_delay_alu instid0(VALU_DEP_2) | instskip(SKIP_4) | instid1(VALU_DEP_1)
	v_fma_f32 v48, v53, v31, -v48
	v_add_f32_e32 v49, v49, v27
	ds_load_2addr_b64 v[27:30], v20 offset0:192 offset1:208
	v_add_f32_e32 v0, v0, v48
	v_fma_f32 v48, v53, v33, -v50
	v_add_f32_e32 v44, v44, v48
	v_dual_mul_f32 v48, v39, v34 :: v_dual_fmac_f32 v37, v54, v31
	v_add_f32_e32 v51, v35, v51
	s_delay_alu instid0(VALU_DEP_2) | instskip(SKIP_2) | instid1(VALU_DEP_3)
	v_dual_mul_f32 v35, v53, v34 :: v_dual_add_f32 v46, v46, v37
	v_mul_f32_e32 v37, v39, v32
	v_mul_f32_e32 v32, v38, v32
	v_fmac_f32_e32 v35, v54, v33
	s_delay_alu instid0(VALU_DEP_3) | instskip(NEXT) | instid1(VALU_DEP_3)
	v_fma_f32 v37, v38, v31, -v37
	v_dual_fmac_f32 v32, v39, v31 :: v_dual_mul_f32 v31, v38, v34
	v_fma_f32 v34, v38, v33, -v48
	s_wait_dscnt 0x0
	v_dual_add_f32 v45, v45, v35 :: v_dual_mul_f32 v48, v56, v30
	s_delay_alu instid0(VALU_DEP_3) | instskip(NEXT) | instid1(VALU_DEP_3)
	v_dual_add_f32 v32, v36, v32 :: v_dual_fmac_f32 v31, v39, v33
	v_dual_add_f32 v33, v49, v34 :: v_dual_mul_f32 v34, v55, v28
	v_add_f32_e32 v47, v47, v37
	s_delay_alu instid0(VALU_DEP_4) | instskip(NEXT) | instid1(VALU_DEP_3)
	v_fma_f32 v48, v55, v29, -v48
	v_dual_mul_f32 v49, v41, v28 :: v_dual_fmac_f32 v34, v56, v27
	v_mul_f32_e32 v35, v56, v28
	v_mul_f32_e32 v28, v40, v28
	s_delay_alu instid0(VALU_DEP_4)
	v_add_f32_e32 v44, v44, v48
	v_mul_f32_e32 v48, v41, v30
	v_add_f32_e32 v34, v46, v34
	v_fma_f32 v39, v55, v27, -v35
	ds_load_2addr_b64 v[35:38], v20 offset0:224 offset1:240
	v_fmac_f32_e32 v28, v41, v27
	s_wait_loadcnt_dscnt 0x0
	s_barrier_signal -1
	v_dual_add_f32 v0, v0, v39 :: v_dual_mul_f32 v39, v55, v30
	v_dual_add_f32 v31, v51, v31 :: v_dual_mul_f32 v30, v40, v30
	v_fma_f32 v46, v40, v27, -v49
	v_fma_f32 v40, v40, v29, -v48
	s_delay_alu instid0(VALU_DEP_4)
	v_fmac_f32_e32 v39, v56, v29
	v_add_f32_e32 v28, v32, v28
	v_fmac_f32_e32 v30, v41, v29
	s_barrier_wait -1
	v_add_f32_e32 v40, v33, v40
	v_add_f32_e32 v27, v45, v39
	;; [unrolled: 1-line block ×3, first 2 shown]
	global_inv scope:SCOPE_SE
	v_mul_f32_e32 v32, v58, v36
	v_mul_f32_e32 v33, v58, v38
	v_add_f32_e32 v41, v31, v30
	s_delay_alu instid0(VALU_DEP_3) | instskip(SKIP_1) | instid1(VALU_DEP_4)
	v_fma_f32 v32, v57, v35, -v32
	v_mul_f32_e32 v30, v57, v38
	v_fma_f32 v31, v57, v37, -v33
	s_delay_alu instid0(VALU_DEP_3) | instskip(NEXT) | instid1(VALU_DEP_3)
	v_add_f32_e32 v33, v0, v32
	v_dual_mul_f32 v29, v57, v36 :: v_dual_fmac_f32 v30, v58, v37
	s_delay_alu instid0(VALU_DEP_3) | instskip(NEXT) | instid1(VALU_DEP_2)
	v_dual_mul_f32 v0, v43, v36 :: v_dual_add_f32 v31, v44, v31
	v_dual_mul_f32 v44, v43, v38 :: v_dual_fmac_f32 v29, v58, v35
	s_delay_alu instid0(VALU_DEP_3) | instskip(NEXT) | instid1(VALU_DEP_3)
	v_add_f32_e32 v32, v27, v30
	v_fma_f32 v0, v42, v35, -v0
	v_mul_f32_e32 v38, v42, v38
	s_delay_alu instid0(VALU_DEP_2) | instskip(NEXT) | instid1(VALU_DEP_2)
	v_dual_add_f32 v34, v34, v29 :: v_dual_add_f32 v29, v39, v0
	v_fmac_f32_e32 v38, v43, v37
	v_mul_f32_e32 v36, v42, v36
	v_fma_f32 v0, v42, v37, -v44
	s_delay_alu instid0(VALU_DEP_2) | instskip(NEXT) | instid1(VALU_DEP_1)
	v_dual_add_f32 v27, v41, v38 :: v_dual_fmac_f32 v36, v43, v35
	v_add_f32_e32 v30, v28, v36
	s_delay_alu instid0(VALU_DEP_3)
	v_add_f32_e32 v28, v40, v0
	s_wait_alu 0xfffe
	s_cbranch_vccz .LBB518_22
.LBB518_11:                             ;   Parent Loop BB518_8 Depth=1
                                        ; =>  This Inner Loop Header: Depth=2
	s_mov_b32 s30, 0
	s_mov_b32 s37, s34
	s_and_saveexec_b32 s31, s0
	s_cbranch_execnz .LBB518_19
; %bb.12:                               ;   in Loop: Header=BB518_11 Depth=2
	s_or_b32 exec_lo, exec_lo, s31
	s_and_saveexec_b32 s31, s37
	s_delay_alu instid0(SALU_CYCLE_1)
	s_xor_b32 s31, exec_lo, s31
	s_cbranch_execnz .LBB518_20
.LBB518_13:                             ;   in Loop: Header=BB518_11 Depth=2
	s_or_b32 exec_lo, exec_lo, s31
	s_and_saveexec_b32 s31, s30
	s_cbranch_execz .LBB518_15
.LBB518_14:                             ;   in Loop: Header=BB518_11 Depth=2
	v_lshlrev_b64_e32 v[35:36], 3, v[12:13]
	s_delay_alu instid0(VALU_DEP_1) | instskip(SKIP_1) | instid1(VALU_DEP_2)
	v_add_co_u32 v35, vcc_lo, v23, v35
	s_wait_alu 0xfffd
	v_add_co_ci_u32_e64 v36, null, v24, v36, vcc_lo
	flat_load_b64 v[35:36], v[35:36]
	s_wait_loadcnt_dscnt 0x0
	ds_store_b64 v18, v[35:36]
.LBB518_15:                             ;   in Loop: Header=BB518_11 Depth=2
	s_or_b32 exec_lo, exec_lo, s31
	s_wait_alu 0xfffe
	v_add_nc_u32_e32 v0, s16, v16
	s_delay_alu instid0(VALU_DEP_1) | instskip(SKIP_1) | instid1(SALU_CYCLE_1)
	v_cmp_le_u64_e32 vcc_lo, s[8:9], v[0:1]
	s_or_b32 s30, vcc_lo, s23
	s_and_saveexec_b32 s31, s30
	s_delay_alu instid0(SALU_CYCLE_1)
	s_xor_b32 s30, exec_lo, s31
; %bb.16:                               ;   in Loop: Header=BB518_11 Depth=2
	ds_store_b32 v19, v1
; %bb.17:                               ;   in Loop: Header=BB518_11 Depth=2
	s_or_saveexec_b32 s30, s30
	v_mov_b32_e32 v35, 0
	s_xor_b32 exec_lo, exec_lo, s30
	s_cbranch_execz .LBB518_10
; %bb.18:                               ;   in Loop: Header=BB518_11 Depth=2
	v_mad_co_u64_u32 v[35:36], null, s20, v0, 0
	s_delay_alu instid0(VALU_DEP_1) | instskip(NEXT) | instid1(VALU_DEP_1)
	v_mad_co_u64_u32 v[36:37], null, s21, v0, v[36:37]
	v_lshlrev_b64_e32 v[35:36], 3, v[35:36]
	s_delay_alu instid0(VALU_DEP_1) | instskip(SKIP_1) | instid1(VALU_DEP_2)
	v_add_co_u32 v35, vcc_lo, v25, v35
	s_wait_alu 0xfffd
	v_add_co_ci_u32_e64 v36, null, v26, v36, vcc_lo
	flat_load_b64 v[36:37], v[35:36]
	s_wait_loadcnt_dscnt 0x0
	v_xor_b32_e32 v35, 0x80000000, v37
	ds_store_b32 v19, v36
	s_branch .LBB518_10
.LBB518_19:                             ;   in Loop: Header=BB518_11 Depth=2
	s_wait_alu 0xfffe
	v_add_nc_u32_e32 v0, s16, v17
	v_mov_b32_e32 v13, v1
	s_and_not1_b32 s37, s34, exec_lo
	s_mov_b32 s30, exec_lo
	s_delay_alu instid0(VALU_DEP_2) | instskip(SKIP_2) | instid1(SALU_CYCLE_1)
	v_cmp_le_u64_e32 vcc_lo, s[8:9], v[0:1]
	v_mov_b32_e32 v12, v0
	s_and_b32 s38, vcc_lo, exec_lo
	s_or_b32 s37, s37, s38
	s_or_b32 exec_lo, exec_lo, s31
	s_and_saveexec_b32 s31, s37
	s_delay_alu instid0(SALU_CYCLE_1)
	s_xor_b32 s31, exec_lo, s31
	s_cbranch_execz .LBB518_13
.LBB518_20:                             ;   in Loop: Header=BB518_11 Depth=2
	v_mov_b32_e32 v0, v1
	s_and_not1_b32 s30, s30, exec_lo
	ds_store_b64 v18, v[0:1]
	s_or_b32 exec_lo, exec_lo, s31
	s_and_saveexec_b32 s31, s30
	s_cbranch_execnz .LBB518_14
	s_branch .LBB518_15
.LBB518_21:                             ;   in Loop: Header=BB518_8 Depth=1
	v_dual_mov_b32 v33, v1 :: v_dual_mov_b32 v34, v1
	v_dual_mov_b32 v31, v1 :: v_dual_mov_b32 v32, v1
	;; [unrolled: 1-line block ×4, first 2 shown]
.LBB518_22:                             ;   in Loop: Header=BB518_8 Depth=1
	s_wait_loadcnt 0x0
	s_wait_alu 0xfffe
	v_add_co_u32 v0, vcc_lo, v14, s14
	s_wait_alu 0xfffd
	v_add_co_ci_u32_e64 v23, null, s15, v15, vcc_lo
	s_delay_alu instid0(VALU_DEP_2) | instskip(SKIP_1) | instid1(VALU_DEP_2)
	v_add_co_u32 v24, vcc_lo, v0, v4
	s_wait_alu 0xfffd
	v_add_co_ci_u32_e64 v25, null, v23, v5, vcc_lo
	s_and_saveexec_b32 s16, s28
	s_cbranch_execz .LBB518_27
; %bb.23:                               ;   in Loop: Header=BB518_8 Depth=1
	v_mul_f32_e32 v15, s10, v34
	v_mul_f32_e32 v14, s11, v34
	s_and_b32 vcc_lo, exec_lo, s22
	s_mov_b32 s17, -1
	s_delay_alu instid0(VALU_DEP_2) | instskip(NEXT) | instid1(VALU_DEP_2)
	v_fmac_f32_e32 v15, s11, v33
	v_fma_f32 v14, v33, s10, -v14
	s_wait_alu 0xfffe
	s_cbranch_vccz .LBB518_25
; %bb.24:                               ;   in Loop: Header=BB518_8 Depth=1
	v_add_co_u32 v33, vcc_lo, v24, v8
	s_wait_alu 0xfffd
	v_add_co_ci_u32_e64 v34, null, v25, v9, vcc_lo
	s_mov_b32 s17, 0
	flat_load_b64 v[35:36], v[33:34]
	s_wait_loadcnt_dscnt 0x0
	v_mul_f32_e32 v26, s7, v36
	s_delay_alu instid0(VALU_DEP_1) | instskip(SKIP_1) | instid1(VALU_DEP_1)
	v_fma_f32 v26, v35, s6, -v26
	v_mul_f32_e32 v36, s6, v36
	v_dual_fmac_f32 v36, s7, v35 :: v_dual_add_f32 v35, v14, v26
	s_delay_alu instid0(VALU_DEP_1)
	v_add_f32_e32 v36, v15, v36
	flat_store_b64 v[33:34], v[35:36]
.LBB518_25:                             ;   in Loop: Header=BB518_8 Depth=1
	s_wait_alu 0xfffe
	s_and_not1_b32 vcc_lo, exec_lo, s17
	s_wait_alu 0xfffe
	s_cbranch_vccnz .LBB518_27
; %bb.26:                               ;   in Loop: Header=BB518_8 Depth=1
	v_add_co_u32 v33, vcc_lo, v24, v8
	s_wait_alu 0xfffd
	v_add_co_ci_u32_e64 v34, null, v25, v9, vcc_lo
	flat_store_b64 v[33:34], v[14:15]
.LBB518_27:                             ;   in Loop: Header=BB518_8 Depth=1
	s_wait_alu 0xfffe
	s_or_b32 exec_lo, exec_lo, s16
	s_and_saveexec_b32 s16, s29
	s_cbranch_execz .LBB518_32
; %bb.28:                               ;   in Loop: Header=BB518_8 Depth=1
	v_mul_f32_e32 v15, s10, v32
	v_mul_f32_e32 v14, s11, v32
	s_and_not1_b32 vcc_lo, exec_lo, s22
	s_mov_b32 s17, -1
	s_delay_alu instid0(VALU_DEP_2) | instskip(NEXT) | instid1(VALU_DEP_2)
	v_fmac_f32_e32 v15, s11, v31
	v_fma_f32 v14, v31, s10, -v14
	s_wait_alu 0xfffe
	s_cbranch_vccnz .LBB518_30
; %bb.29:                               ;   in Loop: Header=BB518_8 Depth=1
	v_add_co_u32 v31, vcc_lo, v24, v10
	s_wait_alu 0xfffd
	v_add_co_ci_u32_e64 v32, null, v25, v11, vcc_lo
	s_mov_b32 s17, 0
	flat_load_b64 v[33:34], v[31:32]
	s_wait_loadcnt_dscnt 0x0
	v_mul_f32_e32 v26, s7, v34
	v_mul_f32_e32 v34, s6, v34
	s_delay_alu instid0(VALU_DEP_2) | instskip(NEXT) | instid1(VALU_DEP_1)
	v_fma_f32 v26, v33, s6, -v26
	v_dual_fmac_f32 v34, s7, v33 :: v_dual_add_f32 v33, v14, v26
	s_delay_alu instid0(VALU_DEP_1)
	v_add_f32_e32 v34, v15, v34
	flat_store_b64 v[31:32], v[33:34]
.LBB518_30:                             ;   in Loop: Header=BB518_8 Depth=1
	s_wait_alu 0xfffe
	s_and_not1_b32 vcc_lo, exec_lo, s17
	s_wait_alu 0xfffe
	s_cbranch_vccnz .LBB518_32
; %bb.31:                               ;   in Loop: Header=BB518_8 Depth=1
	v_add_co_u32 v24, vcc_lo, v24, v10
	s_wait_alu 0xfffd
	v_add_co_ci_u32_e64 v25, null, v25, v11, vcc_lo
	flat_store_b64 v[24:25], v[14:15]
.LBB518_32:                             ;   in Loop: Header=BB518_8 Depth=1
	s_wait_alu 0xfffe
	s_or_b32 exec_lo, exec_lo, s16
	v_add_co_u32 v0, vcc_lo, v0, v6
	s_wait_alu 0xfffd
	v_add_co_ci_u32_e64 v23, null, v23, v7, vcc_lo
	s_and_saveexec_b32 s16, s1
	s_cbranch_execz .LBB518_37
; %bb.33:                               ;   in Loop: Header=BB518_8 Depth=1
	v_mul_f32_e32 v15, s10, v30
	v_mul_f32_e32 v14, s11, v30
	s_and_not1_b32 vcc_lo, exec_lo, s22
	s_mov_b32 s17, -1
	s_delay_alu instid0(VALU_DEP_2) | instskip(NEXT) | instid1(VALU_DEP_2)
	v_fmac_f32_e32 v15, s11, v29
	v_fma_f32 v14, v29, s10, -v14
	s_wait_alu 0xfffe
	s_cbranch_vccnz .LBB518_35
; %bb.34:                               ;   in Loop: Header=BB518_8 Depth=1
	v_add_co_u32 v24, vcc_lo, v0, v8
	s_wait_alu 0xfffd
	v_add_co_ci_u32_e64 v25, null, v23, v9, vcc_lo
	s_mov_b32 s17, 0
	flat_load_b64 v[29:30], v[24:25]
	s_wait_loadcnt_dscnt 0x0
	v_mul_f32_e32 v26, s7, v30
	v_mul_f32_e32 v30, s6, v30
	s_delay_alu instid0(VALU_DEP_2) | instskip(NEXT) | instid1(VALU_DEP_1)
	v_fma_f32 v26, v29, s6, -v26
	v_dual_fmac_f32 v30, s7, v29 :: v_dual_add_f32 v29, v14, v26
	s_delay_alu instid0(VALU_DEP_1)
	v_add_f32_e32 v30, v15, v30
	flat_store_b64 v[24:25], v[29:30]
.LBB518_35:                             ;   in Loop: Header=BB518_8 Depth=1
	s_wait_alu 0xfffe
	s_and_not1_b32 vcc_lo, exec_lo, s17
	s_wait_alu 0xfffe
	s_cbranch_vccnz .LBB518_37
; %bb.36:                               ;   in Loop: Header=BB518_8 Depth=1
	v_add_co_u32 v24, vcc_lo, v0, v8
	s_wait_alu 0xfffd
	v_add_co_ci_u32_e64 v25, null, v23, v9, vcc_lo
	flat_store_b64 v[24:25], v[14:15]
.LBB518_37:                             ;   in Loop: Header=BB518_8 Depth=1
	s_wait_alu 0xfffe
	s_or_b32 exec_lo, exec_lo, s16
	s_and_saveexec_b32 s16, s35
	s_cbranch_execz .LBB518_7
; %bb.38:                               ;   in Loop: Header=BB518_8 Depth=1
	v_mul_f32_e32 v15, s10, v27
	v_mul_f32_e32 v14, s11, v27
	s_and_not1_b32 vcc_lo, exec_lo, s22
	s_mov_b32 s17, -1
	s_delay_alu instid0(VALU_DEP_2) | instskip(NEXT) | instid1(VALU_DEP_2)
	v_fmac_f32_e32 v15, s11, v28
	v_fma_f32 v14, v28, s10, -v14
	s_wait_alu 0xfffe
	s_cbranch_vccnz .LBB518_40
; %bb.39:                               ;   in Loop: Header=BB518_8 Depth=1
	v_add_co_u32 v24, vcc_lo, v0, v10
	s_wait_alu 0xfffd
	v_add_co_ci_u32_e64 v25, null, v23, v11, vcc_lo
	s_mov_b32 s17, 0
	flat_load_b64 v[26:27], v[24:25]
	s_wait_loadcnt_dscnt 0x0
	v_mul_f32_e32 v28, s7, v27
	v_mul_f32_e32 v27, s6, v27
	s_delay_alu instid0(VALU_DEP_1) | instskip(NEXT) | instid1(VALU_DEP_3)
	v_fmac_f32_e32 v27, s7, v26
	v_fma_f32 v28, v26, s6, -v28
	s_delay_alu instid0(VALU_DEP_1)
	v_dual_add_f32 v27, v15, v27 :: v_dual_add_f32 v26, v14, v28
	flat_store_b64 v[24:25], v[26:27]
.LBB518_40:                             ;   in Loop: Header=BB518_8 Depth=1
	s_wait_alu 0xfffe
	s_and_not1_b32 vcc_lo, exec_lo, s17
	s_wait_alu 0xfffe
	s_cbranch_vccnz .LBB518_7
; %bb.41:                               ;   in Loop: Header=BB518_8 Depth=1
	v_add_co_u32 v24, vcc_lo, v0, v10
	s_wait_alu 0xfffd
	v_add_co_ci_u32_e64 v25, null, v23, v11, vcc_lo
	flat_store_b64 v[24:25], v[14:15]
	s_branch .LBB518_7
.LBB518_42:
	s_endpgm
	.section	.rodata,"a",@progbits
	.p2align	6, 0x0
	.amdhsa_kernel _ZL29rocblas_internal_gemmt_kernelIlLi16ELi32ELi8ELc84ELc67ELc76ELb0ELb1E19rocblas_complex_numIfEPKS1_PKS3_PKPS1_EviT_T9_T10_S9_lSB_S9_lSA_T11_S9_li
		.amdhsa_group_segment_fixed_size 4096
		.amdhsa_private_segment_fixed_size 0
		.amdhsa_kernarg_size 108
		.amdhsa_user_sgpr_count 2
		.amdhsa_user_sgpr_dispatch_ptr 0
		.amdhsa_user_sgpr_queue_ptr 0
		.amdhsa_user_sgpr_kernarg_segment_ptr 1
		.amdhsa_user_sgpr_dispatch_id 0
		.amdhsa_user_sgpr_private_segment_size 0
		.amdhsa_wavefront_size32 1
		.amdhsa_uses_dynamic_stack 0
		.amdhsa_enable_private_segment 0
		.amdhsa_system_sgpr_workgroup_id_x 1
		.amdhsa_system_sgpr_workgroup_id_y 1
		.amdhsa_system_sgpr_workgroup_id_z 1
		.amdhsa_system_sgpr_workgroup_info 0
		.amdhsa_system_vgpr_workitem_id 1
		.amdhsa_next_free_vgpr 72
		.amdhsa_next_free_sgpr 39
		.amdhsa_reserve_vcc 1
		.amdhsa_float_round_mode_32 0
		.amdhsa_float_round_mode_16_64 0
		.amdhsa_float_denorm_mode_32 3
		.amdhsa_float_denorm_mode_16_64 3
		.amdhsa_fp16_overflow 0
		.amdhsa_workgroup_processor_mode 1
		.amdhsa_memory_ordered 1
		.amdhsa_forward_progress 1
		.amdhsa_inst_pref_size 26
		.amdhsa_round_robin_scheduling 0
		.amdhsa_exception_fp_ieee_invalid_op 0
		.amdhsa_exception_fp_denorm_src 0
		.amdhsa_exception_fp_ieee_div_zero 0
		.amdhsa_exception_fp_ieee_overflow 0
		.amdhsa_exception_fp_ieee_underflow 0
		.amdhsa_exception_fp_ieee_inexact 0
		.amdhsa_exception_int_div_zero 0
	.end_amdhsa_kernel
	.section	.text._ZL29rocblas_internal_gemmt_kernelIlLi16ELi32ELi8ELc84ELc67ELc76ELb0ELb1E19rocblas_complex_numIfEPKS1_PKS3_PKPS1_EviT_T9_T10_S9_lSB_S9_lSA_T11_S9_li,"axG",@progbits,_ZL29rocblas_internal_gemmt_kernelIlLi16ELi32ELi8ELc84ELc67ELc76ELb0ELb1E19rocblas_complex_numIfEPKS1_PKS3_PKPS1_EviT_T9_T10_S9_lSB_S9_lSA_T11_S9_li,comdat
.Lfunc_end518:
	.size	_ZL29rocblas_internal_gemmt_kernelIlLi16ELi32ELi8ELc84ELc67ELc76ELb0ELb1E19rocblas_complex_numIfEPKS1_PKS3_PKPS1_EviT_T9_T10_S9_lSB_S9_lSA_T11_S9_li, .Lfunc_end518-_ZL29rocblas_internal_gemmt_kernelIlLi16ELi32ELi8ELc84ELc67ELc76ELb0ELb1E19rocblas_complex_numIfEPKS1_PKS3_PKPS1_EviT_T9_T10_S9_lSB_S9_lSA_T11_S9_li
                                        ; -- End function
	.set _ZL29rocblas_internal_gemmt_kernelIlLi16ELi32ELi8ELc84ELc67ELc76ELb0ELb1E19rocblas_complex_numIfEPKS1_PKS3_PKPS1_EviT_T9_T10_S9_lSB_S9_lSA_T11_S9_li.num_vgpr, 72
	.set _ZL29rocblas_internal_gemmt_kernelIlLi16ELi32ELi8ELc84ELc67ELc76ELb0ELb1E19rocblas_complex_numIfEPKS1_PKS3_PKPS1_EviT_T9_T10_S9_lSB_S9_lSA_T11_S9_li.num_agpr, 0
	.set _ZL29rocblas_internal_gemmt_kernelIlLi16ELi32ELi8ELc84ELc67ELc76ELb0ELb1E19rocblas_complex_numIfEPKS1_PKS3_PKPS1_EviT_T9_T10_S9_lSB_S9_lSA_T11_S9_li.numbered_sgpr, 39
	.set _ZL29rocblas_internal_gemmt_kernelIlLi16ELi32ELi8ELc84ELc67ELc76ELb0ELb1E19rocblas_complex_numIfEPKS1_PKS3_PKPS1_EviT_T9_T10_S9_lSB_S9_lSA_T11_S9_li.num_named_barrier, 0
	.set _ZL29rocblas_internal_gemmt_kernelIlLi16ELi32ELi8ELc84ELc67ELc76ELb0ELb1E19rocblas_complex_numIfEPKS1_PKS3_PKPS1_EviT_T9_T10_S9_lSB_S9_lSA_T11_S9_li.private_seg_size, 0
	.set _ZL29rocblas_internal_gemmt_kernelIlLi16ELi32ELi8ELc84ELc67ELc76ELb0ELb1E19rocblas_complex_numIfEPKS1_PKS3_PKPS1_EviT_T9_T10_S9_lSB_S9_lSA_T11_S9_li.uses_vcc, 1
	.set _ZL29rocblas_internal_gemmt_kernelIlLi16ELi32ELi8ELc84ELc67ELc76ELb0ELb1E19rocblas_complex_numIfEPKS1_PKS3_PKPS1_EviT_T9_T10_S9_lSB_S9_lSA_T11_S9_li.uses_flat_scratch, 0
	.set _ZL29rocblas_internal_gemmt_kernelIlLi16ELi32ELi8ELc84ELc67ELc76ELb0ELb1E19rocblas_complex_numIfEPKS1_PKS3_PKPS1_EviT_T9_T10_S9_lSB_S9_lSA_T11_S9_li.has_dyn_sized_stack, 0
	.set _ZL29rocblas_internal_gemmt_kernelIlLi16ELi32ELi8ELc84ELc67ELc76ELb0ELb1E19rocblas_complex_numIfEPKS1_PKS3_PKPS1_EviT_T9_T10_S9_lSB_S9_lSA_T11_S9_li.has_recursion, 0
	.set _ZL29rocblas_internal_gemmt_kernelIlLi16ELi32ELi8ELc84ELc67ELc76ELb0ELb1E19rocblas_complex_numIfEPKS1_PKS3_PKPS1_EviT_T9_T10_S9_lSB_S9_lSA_T11_S9_li.has_indirect_call, 0
	.section	.AMDGPU.csdata,"",@progbits
; Kernel info:
; codeLenInByte = 3304
; TotalNumSgprs: 41
; NumVgprs: 72
; ScratchSize: 0
; MemoryBound: 0
; FloatMode: 240
; IeeeMode: 1
; LDSByteSize: 4096 bytes/workgroup (compile time only)
; SGPRBlocks: 0
; VGPRBlocks: 8
; NumSGPRsForWavesPerEU: 41
; NumVGPRsForWavesPerEU: 72
; Occupancy: 16
; WaveLimiterHint : 1
; COMPUTE_PGM_RSRC2:SCRATCH_EN: 0
; COMPUTE_PGM_RSRC2:USER_SGPR: 2
; COMPUTE_PGM_RSRC2:TRAP_HANDLER: 0
; COMPUTE_PGM_RSRC2:TGID_X_EN: 1
; COMPUTE_PGM_RSRC2:TGID_Y_EN: 1
; COMPUTE_PGM_RSRC2:TGID_Z_EN: 1
; COMPUTE_PGM_RSRC2:TIDIG_COMP_CNT: 1
	.section	.text._ZL29rocblas_internal_gemmt_kernelIlLi16ELi32ELi8ELc67ELc78ELc76ELb1ELb0E19rocblas_complex_numIfEPKS1_PKS3_PKPS1_EviT_T9_T10_S9_lSB_S9_lSA_T11_S9_li,"axG",@progbits,_ZL29rocblas_internal_gemmt_kernelIlLi16ELi32ELi8ELc67ELc78ELc76ELb1ELb0E19rocblas_complex_numIfEPKS1_PKS3_PKPS1_EviT_T9_T10_S9_lSB_S9_lSA_T11_S9_li,comdat
	.globl	_ZL29rocblas_internal_gemmt_kernelIlLi16ELi32ELi8ELc67ELc78ELc76ELb1ELb0E19rocblas_complex_numIfEPKS1_PKS3_PKPS1_EviT_T9_T10_S9_lSB_S9_lSA_T11_S9_li ; -- Begin function _ZL29rocblas_internal_gemmt_kernelIlLi16ELi32ELi8ELc67ELc78ELc76ELb1ELb0E19rocblas_complex_numIfEPKS1_PKS3_PKPS1_EviT_T9_T10_S9_lSB_S9_lSA_T11_S9_li
	.p2align	8
	.type	_ZL29rocblas_internal_gemmt_kernelIlLi16ELi32ELi8ELc67ELc78ELc76ELb1ELb0E19rocblas_complex_numIfEPKS1_PKS3_PKPS1_EviT_T9_T10_S9_lSB_S9_lSA_T11_S9_li,@function
_ZL29rocblas_internal_gemmt_kernelIlLi16ELi32ELi8ELc67ELc78ELc76ELb1ELb0E19rocblas_complex_numIfEPKS1_PKS3_PKPS1_EviT_T9_T10_S9_lSB_S9_lSA_T11_S9_li: ; @_ZL29rocblas_internal_gemmt_kernelIlLi16ELi32ELi8ELc67ELc78ELc76ELb1ELb0E19rocblas_complex_numIfEPKS1_PKS3_PKPS1_EviT_T9_T10_S9_lSB_S9_lSA_T11_S9_li
; %bb.0:
	s_load_b256 s[24:31], s[0:1], 0x48
	s_wait_kmcnt 0x0
	s_load_b64 s[6:7], s[24:25], 0x0
	s_load_b512 s[8:23], s[0:1], 0x8
	s_wait_kmcnt 0x0
	s_cmp_eq_f32 s6, 1.0
	s_load_b64 s[10:11], s[10:11], 0x0
	s_cselect_b32 s3, -1, 0
	s_and_b32 s2, s7, 0x7fffffff
	s_delay_alu instid0(SALU_CYCLE_1) | instskip(SKIP_1) | instid1(SALU_CYCLE_1)
	s_cmp_eq_u32 s2, 0
	s_cselect_b32 s2, -1, 0
	s_and_b32 s4, s3, s2
	s_mov_b32 s3, 0
	s_and_not1_b32 vcc_lo, exec_lo, s4
	s_mov_b32 s4, -1
	s_cbranch_vccnz .LBB519_4
; %bb.1:
	s_cmp_lg_u64 s[8:9], 0
	s_cbranch_scc0 .LBB519_3
; %bb.2:
	s_wait_kmcnt 0x0
	s_cmp_neq_f32 s10, 0
	s_cselect_b32 s3, -1, 0
	s_cmp_neq_f32 s11, 0
	s_cselect_b32 s4, -1, 0
	s_delay_alu instid0(SALU_CYCLE_1)
	s_or_b32 s3, s3, s4
.LBB519_3:
	s_delay_alu instid0(SALU_CYCLE_1)
	s_mov_b32 s4, s3
.LBB519_4:
	s_delay_alu instid0(SALU_CYCLE_1)
	s_and_b32 vcc_lo, exec_lo, s4
	s_cbranch_vccz .LBB519_42
; %bb.5:
	s_load_b32 s33, s[0:1], 0x68
	s_lshr_b32 s24, ttmp7, 16
	s_wait_kmcnt 0x0
	s_cmp_ge_u32 s24, s33
	s_cbranch_scc1 .LBB519_42
; %bb.6:
	v_and_b32_e32 v11, 0x3ff, v0
	v_bfe_u32 v12, v0, 10, 10
	s_load_b32 s4, s[0:1], 0x0
	s_lshl_b32 s0, ttmp7, 5
	s_lshl_b32 s1, ttmp9, 5
	s_and_b32 s3, s0, 0x1fffe0
	v_lshl_add_u32 v1, v12, 4, v11
	v_add_nc_u32_e32 v14, s3, v12
	s_cmp_neq_f32 s10, 0
	v_lshl_add_u32 v23, v12, 6, 0x800
	v_cmp_gt_i64_e64 s34, s[8:9], 0
	v_lshrrev_b32_e32 v8, 3, v1
	v_mad_co_u64_u32 v[6:7], null, s28, v14, 0
	v_and_b32_e32 v18, 7, v0
	v_and_b32_e32 v0, 31, v1
	s_delay_alu instid0(VALU_DEP_4)
	v_add_nc_u32_e32 v9, s3, v8
	s_cselect_b32 s0, -1, 0
	s_cmp_neq_f32 s11, 0
	v_lshrrev_b32_e32 v19, 5, v1
	v_or_b32_e32 v2, s1, v0
	v_mad_co_u64_u32 v[4:5], null, s20, v9, 0
	v_lshlrev_b32_e32 v10, 3, v0
	s_cselect_b32 s5, -1, 0
	s_wait_kmcnt 0x0
	v_cmp_le_i32_e64 s20, s4, v2
	s_or_b32 s35, s0, s5
	v_cmp_gt_i32_e64 s0, s4, v2
	v_mul_lo_u32 v13, s15, v2
	v_dual_mov_b32 v0, v5 :: v_dual_lshlrev_b32 v5, 3, v18
	v_mad_co_u64_u32 v[2:3], null, s14, v2, 0
	s_ashr_i32 s5, s1, 31
	v_mad_co_u64_u32 v[0:1], null, s21, v9, v[0:1]
	v_lshl_or_b32 v1, v8, 6, v5
	s_wait_alu 0xfffe
	s_mul_i32 s3, s14, s5
	v_cmp_gt_i32_e32 vcc_lo, s4, v9
	s_wait_alu 0xfffe
	v_add3_u32 v3, v3, s3, v13
	s_cmp_neq_f32 s6, 0
	v_add_nc_u32_e32 v21, 0x800, v1
	v_mov_b32_e32 v1, v7
	v_mov_b32_e32 v5, v0
	v_lshl_or_b32 v20, v19, 8, v10
	s_cselect_b32 s14, -1, 0
	s_xor_b32 s15, s2, -1
	v_mad_co_u64_u32 v[0:1], null, s29, v14, v[1:2]
	v_lshlrev_b32_e32 v22, 3, v11
	v_lshlrev_b64_e32 v[2:3], 3, v[2:3]
	v_lshlrev_b64_e32 v[4:5], 3, v[4:5]
	s_mov_b32 s25, 0
	s_and_b32 s34, s35, s34
	s_delay_alu instid0(VALU_DEP_4) | instskip(SKIP_1) | instid1(VALU_DEP_2)
	v_mov_b32_e32 v7, v0
	v_add_nc_u32_e32 v13, 16, v14
	v_lshlrev_b64_e32 v[6:7], 3, v[6:7]
	s_delay_alu instid0(VALU_DEP_2) | instskip(NEXT) | instid1(VALU_DEP_1)
	v_mad_co_u64_u32 v[8:9], null, s28, v13, 0
	v_mov_b32_e32 v0, v9
	s_delay_alu instid0(VALU_DEP_1) | instskip(SKIP_1) | instid1(VALU_DEP_1)
	v_mad_co_u64_u32 v[0:1], null, s29, v13, v[0:1]
	v_dual_mov_b32 v1, 0 :: v_dual_add_nc_u32 v10, s1, v11
	v_dual_mov_b32 v9, v0 :: v_dual_add_nc_u32 v12, 16, v10
	v_cmp_le_i32_e64 s1, v14, v10
	v_cmp_gt_i32_e64 s2, s4, v10
	v_ashrrev_i32_e32 v11, 31, v10
	s_delay_alu instid0(VALU_DEP_4)
	v_lshlrev_b64_e32 v[8:9], 3, v[8:9]
	v_cmp_le_i32_e64 s5, v13, v12
	v_cmp_le_i32_e64 s3, v14, v12
	s_and_b32 s21, s1, s2
	v_cmp_le_i32_e64 s1, v13, v10
	v_ashrrev_i32_e32 v13, 31, v12
	v_cmp_gt_i32_e64 s4, s4, v12
	v_lshlrev_b64_e32 v[10:11], 3, v[10:11]
                                        ; implicit-def: $vgpr14_vgpr15
	s_and_b32 s1, s1, s2
	v_lshlrev_b64_e32 v[12:13], 3, v[12:13]
	s_and_b32 s28, s3, s4
	s_and_b32 s29, s5, s4
	s_lshl_b64 s[2:3], s[22:23], 3
	s_wait_alu 0xfffe
	s_or_b32 s22, s14, s15
	s_lshl_b64 s[4:5], s[16:17], 3
	s_xor_b32 s23, vcc_lo, -1
	s_lshl_b64 s[14:15], s[30:31], 3
	s_branch .LBB519_8
.LBB519_7:                              ;   in Loop: Header=BB519_8 Depth=1
	s_wait_alu 0xfffe
	s_or_b32 exec_lo, exec_lo, s16
	s_add_co_i32 s24, s24, 0x10000
	s_delay_alu instid0(SALU_CYCLE_1)
	s_cmp_lt_u32 s24, s33
	s_cbranch_scc0 .LBB519_42
.LBB519_8:                              ; =>This Loop Header: Depth=1
                                        ;     Child Loop BB519_11 Depth 2
	s_lshl_b64 s[16:17], s[24:25], 3
	s_and_not1_b32 vcc_lo, exec_lo, s34
	s_wait_alu 0xfffe
	s_add_nc_u64 s[30:31], s[26:27], s[16:17]
	global_load_b64 v[16:17], v1, s[30:31]
	s_cbranch_vccnz .LBB519_21
; %bb.9:                                ;   in Loop: Header=BB519_8 Depth=1
	s_add_nc_u64 s[30:31], s[12:13], s[16:17]
	s_add_nc_u64 s[16:17], s[18:19], s[16:17]
	s_clause 0x1
	global_load_b64 v[24:25], v1, s[30:31]
	global_load_b64 v[26:27], v1, s[16:17]
	v_dual_mov_b32 v28, 0 :: v_dual_mov_b32 v29, 0
	v_dual_mov_b32 v31, 0 :: v_dual_mov_b32 v30, 0
	;; [unrolled: 1-line block ×4, first 2 shown]
	s_mov_b64 s[16:17], 0
	s_wait_loadcnt 0x1
	v_add_co_u32 v0, vcc_lo, v24, s4
	s_wait_alu 0xfffd
	v_add_co_ci_u32_e64 v25, null, s5, v25, vcc_lo
	s_wait_loadcnt 0x0
	v_add_co_u32 v26, vcc_lo, v26, s2
	s_wait_alu 0xfffd
	v_add_co_ci_u32_e64 v27, null, s3, v27, vcc_lo
	v_add_co_u32 v24, vcc_lo, v0, v2
	s_wait_alu 0xfffd
	v_add_co_ci_u32_e64 v25, null, v25, v3, vcc_lo
	;; [unrolled: 3-line block ×3, first 2 shown]
	s_branch .LBB519_11
.LBB519_10:                             ;   in Loop: Header=BB519_11 Depth=2
	s_or_b32 exec_lo, exec_lo, s30
	s_wait_dscnt 0x0
	s_barrier_signal -1
	s_barrier_wait -1
	global_inv scope:SCOPE_SE
	ds_load_b128 v[36:39], v23
	ds_load_2addr_b64 v[40:43], v22 offset1:16
	ds_load_b128 v[44:47], v23 offset:1024
	ds_load_b128 v[48:51], v23 offset:16
	;; [unrolled: 1-line block ×4, first 2 shown]
	ds_load_2addr_b64 v[60:63], v22 offset0:32 offset1:48
	ds_load_b128 v[64:67], v23 offset:1040
	s_add_nc_u64 s[16:17], s[16:17], 8
	s_wait_alu 0xfffe
	v_cmp_gt_i64_e64 s30, s[8:9], s[16:17]
	s_and_b32 vcc_lo, exec_lo, s30
	s_wait_dscnt 0x6
	v_mul_f32_e32 v0, v37, v41
	v_dual_mul_f32 v68, v36, v41 :: v_dual_mul_f32 v69, v37, v43
	s_wait_dscnt 0x5
	v_dual_mul_f32 v70, v36, v43 :: v_dual_mul_f32 v71, v45, v41
	v_dual_mul_f32 v41, v44, v41 :: v_dual_mul_f32 v72, v45, v43
	v_mul_f32_e32 v43, v44, v43
	v_fma_f32 v0, v36, v40, -v0
	v_fma_f32 v36, v36, v42, -v69
	v_fmac_f32_e32 v70, v37, v42
	v_fmac_f32_e32 v41, v45, v40
	;; [unrolled: 1-line block ×3, first 2 shown]
	v_fma_f32 v37, v44, v40, -v71
	v_fma_f32 v40, v44, v42, -v72
	v_dual_add_f32 v0, v34, v0 :: v_dual_fmac_f32 v43, v45, v42
	s_delay_alu instid0(VALU_DEP_4) | instskip(NEXT) | instid1(VALU_DEP_4)
	v_add_f32_e32 v34, v35, v68
	v_dual_add_f32 v35, v32, v36 :: v_dual_add_f32 v36, v30, v37
	v_add_f32_e32 v37, v31, v41
	s_wait_dscnt 0x1
	v_dual_mul_f32 v41, v39, v61 :: v_dual_add_f32 v40, v29, v40
	ds_load_2addr_b64 v[29:32], v22 offset0:64 offset1:80
	v_dual_add_f32 v33, v33, v70 :: v_dual_mul_f32 v44, v39, v63
	v_fma_f32 v41, v38, v60, -v41
	v_add_f32_e32 v28, v28, v43
	s_delay_alu instid0(VALU_DEP_2) | instskip(NEXT) | instid1(VALU_DEP_1)
	v_dual_mul_f32 v43, v38, v63 :: v_dual_add_f32 v0, v0, v41
	v_dual_mul_f32 v42, v38, v61 :: v_dual_fmac_f32 v43, v39, v62
	v_fma_f32 v38, v38, v62, -v44
	v_mul_f32_e32 v41, v47, v61
	s_delay_alu instid0(VALU_DEP_3) | instskip(SKIP_1) | instid1(VALU_DEP_4)
	v_fmac_f32_e32 v42, v39, v60
	v_mul_f32_e32 v39, v47, v63
	v_add_f32_e32 v38, v35, v38
	s_delay_alu instid0(VALU_DEP_4) | instskip(NEXT) | instid1(VALU_DEP_4)
	v_fma_f32 v35, v46, v60, -v41
	v_dual_add_f32 v41, v33, v43 :: v_dual_add_f32 v42, v34, v42
	v_mul_f32_e32 v43, v46, v63
	v_mul_f32_e32 v34, v46, v61
	v_fma_f32 v33, v46, v62, -v39
	s_wait_dscnt 0x0
	v_mul_f32_e32 v39, v48, v30
	v_fmac_f32_e32 v43, v47, v62
	v_fmac_f32_e32 v34, v47, v60
	v_dual_add_f32 v44, v36, v35 :: v_dual_mul_f32 v35, v49, v30
	s_delay_alu instid0(VALU_DEP_3) | instskip(NEXT) | instid1(VALU_DEP_3)
	v_dual_mul_f32 v46, v49, v32 :: v_dual_add_f32 v43, v28, v43
	v_add_f32_e32 v37, v37, v34
	v_dual_fmac_f32 v39, v49, v29 :: v_dual_mul_f32 v28, v48, v32
	v_add_f32_e32 v40, v40, v33
	v_fma_f32 v45, v48, v29, -v35
	ds_load_2addr_b64 v[33:36], v22 offset0:96 offset1:112
	v_add_f32_e32 v39, v42, v39
	v_fmac_f32_e32 v28, v49, v31
	v_add_f32_e32 v0, v0, v45
	v_fma_f32 v45, v48, v31, -v46
	s_delay_alu instid0(VALU_DEP_1) | instskip(SKIP_2) | instid1(VALU_DEP_2)
	v_dual_add_f32 v41, v41, v28 :: v_dual_add_f32 v38, v38, v45
	v_mul_f32_e32 v45, v65, v32
	v_mul_f32_e32 v32, v64, v32
	v_fma_f32 v28, v64, v31, -v45
	v_mul_f32_e32 v42, v65, v30
	s_delay_alu instid0(VALU_DEP_3)
	v_fmac_f32_e32 v32, v65, v31
	s_wait_dscnt 0x0
	v_dual_mul_f32 v30, v64, v30 :: v_dual_mul_f32 v49, v67, v36
	v_add_f32_e32 v45, v40, v28
	v_fma_f32 v42, v64, v29, -v42
	v_dual_mul_f32 v40, v50, v34 :: v_dual_add_f32 v43, v43, v32
	s_delay_alu instid0(VALU_DEP_4) | instskip(SKIP_1) | instid1(VALU_DEP_3)
	v_fmac_f32_e32 v30, v65, v29
	v_mul_f32_e32 v32, v50, v36
	v_fmac_f32_e32 v40, v51, v33
	v_add_f32_e32 v42, v44, v42
	s_delay_alu instid0(VALU_DEP_4)
	v_add_f32_e32 v44, v37, v30
	ds_load_2addr_b64 v[28:31], v22 offset0:128 offset1:144
	v_mul_f32_e32 v37, v51, v34
	v_mul_f32_e32 v46, v51, v36
	v_fmac_f32_e32 v32, v51, v35
	v_mul_f32_e32 v36, v66, v36
	s_delay_alu instid0(VALU_DEP_4) | instskip(NEXT) | instid1(VALU_DEP_1)
	v_fma_f32 v37, v50, v33, -v37
	v_dual_add_f32 v0, v0, v37 :: v_dual_mul_f32 v37, v67, v34
	v_mul_f32_e32 v34, v66, v34
	s_delay_alu instid0(VALU_DEP_2)
	v_fma_f32 v48, v66, v33, -v37
	s_wait_dscnt 0x0
	v_mul_f32_e32 v51, v52, v29
	v_fma_f32 v46, v50, v35, -v46
	v_add_f32_e32 v50, v41, v32
	v_fma_f32 v32, v66, v35, -v49
	s_delay_alu instid0(VALU_DEP_4) | instskip(NEXT) | instid1(VALU_DEP_4)
	v_fmac_f32_e32 v51, v53, v28
	v_dual_add_f32 v47, v39, v40 :: v_dual_add_f32 v46, v38, v46
	ds_load_b128 v[37:40], v23 offset:1056
	v_fmac_f32_e32 v34, v67, v33
	v_mul_f32_e32 v33, v53, v29
	v_dual_add_f32 v45, v45, v32 :: v_dual_fmac_f32 v36, v67, v35
	v_dual_add_f32 v47, v47, v51 :: v_dual_add_f32 v48, v42, v48
	s_delay_alu instid0(VALU_DEP_4) | instskip(NEXT) | instid1(VALU_DEP_4)
	v_add_f32_e32 v49, v44, v34
	v_fma_f32 v41, v52, v28, -v33
	ds_load_2addr_b64 v[32:35], v22 offset0:160 offset1:176
	v_mul_f32_e32 v42, v53, v31
	v_add_f32_e32 v36, v43, v36
	v_add_f32_e32 v0, v0, v41
	s_delay_alu instid0(VALU_DEP_3)
	v_fma_f32 v60, v52, v30, -v42
	v_mul_f32_e32 v52, v52, v31
	ds_load_b128 v[41:44], v23 offset:1072
	s_wait_dscnt 0x2
	v_mul_f32_e32 v61, v38, v29
	v_mul_f32_e32 v29, v37, v29
	v_dual_fmac_f32 v52, v53, v30 :: v_dual_mul_f32 v53, v38, v31
	s_delay_alu instid0(VALU_DEP_3) | instskip(NEXT) | instid1(VALU_DEP_3)
	v_fma_f32 v51, v37, v28, -v61
	v_fmac_f32_e32 v29, v38, v28
	s_delay_alu instid0(VALU_DEP_3) | instskip(SKIP_2) | instid1(VALU_DEP_4)
	v_add_f32_e32 v50, v50, v52
	v_mul_f32_e32 v52, v37, v31
	v_fma_f32 v28, v37, v30, -v53
	v_add_f32_e32 v37, v49, v29
	s_wait_dscnt 0x1
	s_delay_alu instid0(VALU_DEP_3) | instskip(NEXT) | instid1(VALU_DEP_3)
	v_dual_mul_f32 v49, v55, v33 :: v_dual_fmac_f32 v52, v38, v30
	v_add_f32_e32 v45, v45, v28
	ds_load_2addr_b64 v[28:31], v22 offset0:192 offset1:208
	v_mul_f32_e32 v38, v54, v33
	v_fma_f32 v49, v54, v32, -v49
	v_add_f32_e32 v46, v46, v60
	s_delay_alu instid0(VALU_DEP_3) | instskip(NEXT) | instid1(VALU_DEP_1)
	v_fmac_f32_e32 v38, v55, v32
	v_dual_add_f32 v0, v0, v49 :: v_dual_add_f32 v47, v47, v38
	v_add_f32_e32 v48, v48, v51
	v_dual_mul_f32 v51, v55, v35 :: v_dual_mul_f32 v38, v40, v33
	v_mul_f32_e32 v33, v39, v33
	s_delay_alu instid0(VALU_DEP_2) | instskip(NEXT) | instid1(VALU_DEP_3)
	v_fma_f32 v49, v54, v34, -v51
	v_fma_f32 v38, v39, v32, -v38
	s_delay_alu instid0(VALU_DEP_3) | instskip(NEXT) | instid1(VALU_DEP_3)
	v_dual_fmac_f32 v33, v40, v32 :: v_dual_mul_f32 v32, v39, v35
	v_dual_add_f32 v46, v46, v49 :: v_dual_mul_f32 v49, v40, v35
	s_delay_alu instid0(VALU_DEP_2) | instskip(SKIP_1) | instid1(VALU_DEP_4)
	v_dual_add_f32 v52, v36, v52 :: v_dual_add_f32 v33, v37, v33
	v_mul_f32_e32 v36, v54, v35
	v_fmac_f32_e32 v32, v40, v34
	s_delay_alu instid0(VALU_DEP_4) | instskip(SKIP_1) | instid1(VALU_DEP_3)
	v_fma_f32 v35, v39, v34, -v49
	s_wait_dscnt 0x0
	v_dual_mul_f32 v49, v42, v29 :: v_dual_fmac_f32 v36, v55, v34
	s_delay_alu instid0(VALU_DEP_2) | instskip(SKIP_1) | instid1(VALU_DEP_2)
	v_dual_add_f32 v34, v45, v35 :: v_dual_mul_f32 v35, v56, v29
	v_mul_f32_e32 v45, v57, v31
	v_dual_fmac_f32 v35, v57, v28 :: v_dual_add_f32 v48, v48, v38
	s_delay_alu instid0(VALU_DEP_2) | instskip(NEXT) | instid1(VALU_DEP_2)
	v_fma_f32 v45, v56, v30, -v45
	v_dual_add_f32 v35, v47, v35 :: v_dual_add_f32 v50, v50, v36
	v_mul_f32_e32 v36, v57, v29
	v_mul_f32_e32 v29, v41, v29
	;; [unrolled: 1-line block ×3, first 2 shown]
	v_add_f32_e32 v45, v46, v45
	v_fma_f32 v46, v41, v28, -v49
	v_fma_f32 v40, v56, v28, -v36
	ds_load_2addr_b64 v[36:39], v22 offset0:224 offset1:240
	v_fmac_f32_e32 v29, v42, v28
	v_add_f32_e32 v32, v52, v32
	s_wait_loadcnt_dscnt 0x0
	s_barrier_signal -1
	s_barrier_wait -1
	v_dual_add_f32 v29, v33, v29 :: v_dual_add_f32 v0, v0, v40
	v_mul_f32_e32 v40, v56, v31
	v_mul_f32_e32 v31, v41, v31
	v_fma_f32 v41, v41, v30, -v47
	global_inv scope:SCOPE_SE
	v_fmac_f32_e32 v40, v57, v30
	v_fmac_f32_e32 v31, v42, v30
	s_delay_alu instid0(VALU_DEP_1) | instskip(SKIP_3) | instid1(VALU_DEP_3)
	v_dual_add_f32 v41, v34, v41 :: v_dual_add_f32 v42, v32, v31
	v_mul_f32_e32 v33, v59, v37
	v_mul_f32_e32 v34, v59, v39
	;; [unrolled: 1-line block ×3, first 2 shown]
	v_fma_f32 v33, v58, v36, -v33
	s_delay_alu instid0(VALU_DEP_3) | instskip(NEXT) | instid1(VALU_DEP_2)
	v_fma_f32 v32, v58, v38, -v34
	v_dual_fmac_f32 v31, v59, v38 :: v_dual_add_f32 v34, v0, v33
	v_mul_f32_e32 v0, v44, v37
	s_delay_alu instid0(VALU_DEP_3)
	v_dual_add_f32 v32, v45, v32 :: v_dual_mul_f32 v45, v44, v39
	v_add_f32_e32 v28, v50, v40
	v_mul_f32_e32 v30, v58, v37
	v_dual_add_f32 v40, v48, v46 :: v_dual_mul_f32 v37, v43, v37
	v_fma_f32 v0, v43, v36, -v0
	v_mul_f32_e32 v39, v43, v39
	s_delay_alu instid0(VALU_DEP_4) | instskip(NEXT) | instid1(VALU_DEP_4)
	v_dual_add_f32 v33, v28, v31 :: v_dual_fmac_f32 v30, v59, v36
	v_fmac_f32_e32 v37, v44, v36
	s_delay_alu instid0(VALU_DEP_3) | instskip(NEXT) | instid1(VALU_DEP_3)
	v_fmac_f32_e32 v39, v44, v38
	v_dual_add_f32 v35, v35, v30 :: v_dual_add_f32 v30, v40, v0
	v_fma_f32 v0, v43, v38, -v45
	s_delay_alu instid0(VALU_DEP_3) | instskip(NEXT) | instid1(VALU_DEP_2)
	v_dual_add_f32 v31, v29, v37 :: v_dual_add_f32 v28, v42, v39
	v_add_f32_e32 v29, v41, v0
	s_wait_alu 0xfffe
	s_cbranch_vccz .LBB519_22
.LBB519_11:                             ;   Parent Loop BB519_8 Depth=1
                                        ; =>  This Inner Loop Header: Depth=2
	s_mov_b32 s30, 0
	s_mov_b32 s35, s20
	s_and_saveexec_b32 s31, s0
	s_cbranch_execnz .LBB519_19
; %bb.12:                               ;   in Loop: Header=BB519_11 Depth=2
	s_or_b32 exec_lo, exec_lo, s31
	s_and_saveexec_b32 s31, s35
	s_delay_alu instid0(SALU_CYCLE_1)
	s_xor_b32 s31, exec_lo, s31
	s_cbranch_execnz .LBB519_20
.LBB519_13:                             ;   in Loop: Header=BB519_11 Depth=2
	s_or_b32 exec_lo, exec_lo, s31
	v_mov_b32_e32 v36, 0
	s_and_saveexec_b32 s31, s30
	s_cbranch_execz .LBB519_15
.LBB519_14:                             ;   in Loop: Header=BB519_11 Depth=2
	v_lshlrev_b64_e32 v[36:37], 3, v[14:15]
	s_delay_alu instid0(VALU_DEP_1) | instskip(SKIP_1) | instid1(VALU_DEP_2)
	v_add_co_u32 v36, vcc_lo, v24, v36
	s_wait_alu 0xfffd
	v_add_co_ci_u32_e64 v37, null, v25, v37, vcc_lo
	flat_load_b64 v[37:38], v[36:37]
	s_wait_loadcnt_dscnt 0x0
	v_xor_b32_e32 v36, 0x80000000, v38
	ds_store_b32 v20, v37
.LBB519_15:                             ;   in Loop: Header=BB519_11 Depth=2
	s_or_b32 exec_lo, exec_lo, s31
	s_wait_alu 0xfffe
	v_add_nc_u32_e32 v0, s16, v18
	ds_store_b32 v20, v36 offset:4
	v_cmp_le_u64_e32 vcc_lo, s[8:9], v[0:1]
	s_or_b32 s30, vcc_lo, s23
	s_delay_alu instid0(SALU_CYCLE_1) | instskip(NEXT) | instid1(SALU_CYCLE_1)
	s_and_saveexec_b32 s31, s30
	s_xor_b32 s30, exec_lo, s31
; %bb.16:                               ;   in Loop: Header=BB519_11 Depth=2
	v_mov_b32_e32 v0, v1
	ds_store_b64 v21, v[0:1]
; %bb.17:                               ;   in Loop: Header=BB519_11 Depth=2
	s_and_not1_saveexec_b32 s30, s30
	s_cbranch_execz .LBB519_10
; %bb.18:                               ;   in Loop: Header=BB519_11 Depth=2
	v_lshlrev_b64_e32 v[36:37], 3, v[0:1]
	s_delay_alu instid0(VALU_DEP_1) | instskip(SKIP_1) | instid1(VALU_DEP_2)
	v_add_co_u32 v36, vcc_lo, v26, v36
	s_wait_alu 0xfffd
	v_add_co_ci_u32_e64 v37, null, v27, v37, vcc_lo
	flat_load_b64 v[36:37], v[36:37]
	s_wait_loadcnt_dscnt 0x0
	ds_store_b64 v21, v[36:37]
	s_branch .LBB519_10
.LBB519_19:                             ;   in Loop: Header=BB519_11 Depth=2
	s_wait_alu 0xfffe
	v_add_nc_u32_e32 v0, s16, v19
	v_mov_b32_e32 v15, v1
	s_and_not1_b32 s35, s20, exec_lo
	s_mov_b32 s30, exec_lo
	s_delay_alu instid0(VALU_DEP_2) | instskip(SKIP_2) | instid1(SALU_CYCLE_1)
	v_cmp_le_u64_e32 vcc_lo, s[8:9], v[0:1]
	v_mov_b32_e32 v14, v0
	s_and_b32 s36, vcc_lo, exec_lo
	s_or_b32 s35, s35, s36
	s_or_b32 exec_lo, exec_lo, s31
	s_and_saveexec_b32 s31, s35
	s_delay_alu instid0(SALU_CYCLE_1)
	s_xor_b32 s31, exec_lo, s31
	s_cbranch_execz .LBB519_13
.LBB519_20:                             ;   in Loop: Header=BB519_11 Depth=2
	s_and_not1_b32 s30, s30, exec_lo
	ds_store_b32 v20, v1
	s_or_b32 exec_lo, exec_lo, s31
	v_mov_b32_e32 v36, 0
	s_and_saveexec_b32 s31, s30
	s_cbranch_execnz .LBB519_14
	s_branch .LBB519_15
.LBB519_21:                             ;   in Loop: Header=BB519_8 Depth=1
	v_dual_mov_b32 v34, v1 :: v_dual_mov_b32 v35, v1
	v_dual_mov_b32 v32, v1 :: v_dual_mov_b32 v33, v1
	;; [unrolled: 1-line block ×4, first 2 shown]
.LBB519_22:                             ;   in Loop: Header=BB519_8 Depth=1
	s_wait_loadcnt 0x0
	s_wait_alu 0xfffe
	v_add_co_u32 v0, vcc_lo, v16, s14
	s_wait_alu 0xfffd
	v_add_co_ci_u32_e64 v24, null, s15, v17, vcc_lo
	s_delay_alu instid0(VALU_DEP_2) | instskip(SKIP_1) | instid1(VALU_DEP_2)
	v_add_co_u32 v25, vcc_lo, v0, v6
	s_wait_alu 0xfffd
	v_add_co_ci_u32_e64 v26, null, v24, v7, vcc_lo
	s_and_saveexec_b32 s16, s21
	s_cbranch_execz .LBB519_27
; %bb.23:                               ;   in Loop: Header=BB519_8 Depth=1
	v_mul_f32_e32 v17, s10, v35
	v_mul_f32_e32 v16, s11, v35
	s_and_b32 vcc_lo, exec_lo, s22
	s_mov_b32 s17, -1
	s_delay_alu instid0(VALU_DEP_2) | instskip(NEXT) | instid1(VALU_DEP_2)
	v_fmac_f32_e32 v17, s11, v34
	v_fma_f32 v16, v34, s10, -v16
	s_wait_alu 0xfffe
	s_cbranch_vccz .LBB519_25
; %bb.24:                               ;   in Loop: Header=BB519_8 Depth=1
	v_add_co_u32 v34, vcc_lo, v25, v10
	s_wait_alu 0xfffd
	v_add_co_ci_u32_e64 v35, null, v26, v11, vcc_lo
	s_mov_b32 s17, 0
	flat_load_b64 v[36:37], v[34:35]
	s_wait_loadcnt_dscnt 0x0
	v_mul_f32_e32 v27, s7, v37
	s_delay_alu instid0(VALU_DEP_1) | instskip(SKIP_1) | instid1(VALU_DEP_1)
	v_fma_f32 v27, v36, s6, -v27
	v_mul_f32_e32 v37, s6, v37
	v_dual_fmac_f32 v37, s7, v36 :: v_dual_add_f32 v36, v16, v27
	s_delay_alu instid0(VALU_DEP_1)
	v_add_f32_e32 v37, v17, v37
	flat_store_b64 v[34:35], v[36:37]
.LBB519_25:                             ;   in Loop: Header=BB519_8 Depth=1
	s_wait_alu 0xfffe
	s_and_not1_b32 vcc_lo, exec_lo, s17
	s_wait_alu 0xfffe
	s_cbranch_vccnz .LBB519_27
; %bb.26:                               ;   in Loop: Header=BB519_8 Depth=1
	v_add_co_u32 v34, vcc_lo, v25, v10
	s_wait_alu 0xfffd
	v_add_co_ci_u32_e64 v35, null, v26, v11, vcc_lo
	flat_store_b64 v[34:35], v[16:17]
.LBB519_27:                             ;   in Loop: Header=BB519_8 Depth=1
	s_wait_alu 0xfffe
	s_or_b32 exec_lo, exec_lo, s16
	s_and_saveexec_b32 s16, s28
	s_cbranch_execz .LBB519_32
; %bb.28:                               ;   in Loop: Header=BB519_8 Depth=1
	v_mul_f32_e32 v17, s10, v33
	v_mul_f32_e32 v16, s11, v33
	s_and_not1_b32 vcc_lo, exec_lo, s22
	s_mov_b32 s17, -1
	s_delay_alu instid0(VALU_DEP_2) | instskip(NEXT) | instid1(VALU_DEP_2)
	v_fmac_f32_e32 v17, s11, v32
	v_fma_f32 v16, v32, s10, -v16
	s_wait_alu 0xfffe
	s_cbranch_vccnz .LBB519_30
; %bb.29:                               ;   in Loop: Header=BB519_8 Depth=1
	v_add_co_u32 v32, vcc_lo, v25, v12
	s_wait_alu 0xfffd
	v_add_co_ci_u32_e64 v33, null, v26, v13, vcc_lo
	s_mov_b32 s17, 0
	flat_load_b64 v[34:35], v[32:33]
	s_wait_loadcnt_dscnt 0x0
	v_mul_f32_e32 v27, s7, v35
	v_mul_f32_e32 v35, s6, v35
	s_delay_alu instid0(VALU_DEP_2) | instskip(NEXT) | instid1(VALU_DEP_1)
	v_fma_f32 v27, v34, s6, -v27
	v_dual_fmac_f32 v35, s7, v34 :: v_dual_add_f32 v34, v16, v27
	s_delay_alu instid0(VALU_DEP_1)
	v_add_f32_e32 v35, v17, v35
	flat_store_b64 v[32:33], v[34:35]
.LBB519_30:                             ;   in Loop: Header=BB519_8 Depth=1
	s_wait_alu 0xfffe
	s_and_not1_b32 vcc_lo, exec_lo, s17
	s_wait_alu 0xfffe
	s_cbranch_vccnz .LBB519_32
; %bb.31:                               ;   in Loop: Header=BB519_8 Depth=1
	v_add_co_u32 v25, vcc_lo, v25, v12
	s_wait_alu 0xfffd
	v_add_co_ci_u32_e64 v26, null, v26, v13, vcc_lo
	flat_store_b64 v[25:26], v[16:17]
.LBB519_32:                             ;   in Loop: Header=BB519_8 Depth=1
	s_wait_alu 0xfffe
	s_or_b32 exec_lo, exec_lo, s16
	v_add_co_u32 v0, vcc_lo, v0, v8
	s_wait_alu 0xfffd
	v_add_co_ci_u32_e64 v24, null, v24, v9, vcc_lo
	s_and_saveexec_b32 s16, s1
	s_cbranch_execz .LBB519_37
; %bb.33:                               ;   in Loop: Header=BB519_8 Depth=1
	v_mul_f32_e32 v17, s10, v31
	v_mul_f32_e32 v16, s11, v31
	s_and_not1_b32 vcc_lo, exec_lo, s22
	s_mov_b32 s17, -1
	s_delay_alu instid0(VALU_DEP_2) | instskip(NEXT) | instid1(VALU_DEP_2)
	v_fmac_f32_e32 v17, s11, v30
	v_fma_f32 v16, v30, s10, -v16
	s_wait_alu 0xfffe
	s_cbranch_vccnz .LBB519_35
; %bb.34:                               ;   in Loop: Header=BB519_8 Depth=1
	v_add_co_u32 v25, vcc_lo, v0, v10
	s_wait_alu 0xfffd
	v_add_co_ci_u32_e64 v26, null, v24, v11, vcc_lo
	s_mov_b32 s17, 0
	flat_load_b64 v[30:31], v[25:26]
	s_wait_loadcnt_dscnt 0x0
	v_mul_f32_e32 v27, s7, v31
	v_mul_f32_e32 v31, s6, v31
	s_delay_alu instid0(VALU_DEP_2) | instskip(NEXT) | instid1(VALU_DEP_1)
	v_fma_f32 v27, v30, s6, -v27
	v_dual_fmac_f32 v31, s7, v30 :: v_dual_add_f32 v30, v16, v27
	s_delay_alu instid0(VALU_DEP_1)
	v_add_f32_e32 v31, v17, v31
	flat_store_b64 v[25:26], v[30:31]
.LBB519_35:                             ;   in Loop: Header=BB519_8 Depth=1
	s_wait_alu 0xfffe
	s_and_not1_b32 vcc_lo, exec_lo, s17
	s_wait_alu 0xfffe
	s_cbranch_vccnz .LBB519_37
; %bb.36:                               ;   in Loop: Header=BB519_8 Depth=1
	v_add_co_u32 v25, vcc_lo, v0, v10
	s_wait_alu 0xfffd
	v_add_co_ci_u32_e64 v26, null, v24, v11, vcc_lo
	flat_store_b64 v[25:26], v[16:17]
.LBB519_37:                             ;   in Loop: Header=BB519_8 Depth=1
	s_wait_alu 0xfffe
	s_or_b32 exec_lo, exec_lo, s16
	s_and_saveexec_b32 s16, s29
	s_cbranch_execz .LBB519_7
; %bb.38:                               ;   in Loop: Header=BB519_8 Depth=1
	v_mul_f32_e32 v17, s10, v28
	v_mul_f32_e32 v16, s11, v28
	s_and_not1_b32 vcc_lo, exec_lo, s22
	s_mov_b32 s17, -1
	s_delay_alu instid0(VALU_DEP_2) | instskip(NEXT) | instid1(VALU_DEP_2)
	v_fmac_f32_e32 v17, s11, v29
	v_fma_f32 v16, v29, s10, -v16
	s_wait_alu 0xfffe
	s_cbranch_vccnz .LBB519_40
; %bb.39:                               ;   in Loop: Header=BB519_8 Depth=1
	v_add_co_u32 v25, vcc_lo, v0, v12
	s_wait_alu 0xfffd
	v_add_co_ci_u32_e64 v26, null, v24, v13, vcc_lo
	s_mov_b32 s17, 0
	flat_load_b64 v[27:28], v[25:26]
	s_wait_loadcnt_dscnt 0x0
	v_mul_f32_e32 v29, s7, v28
	v_mul_f32_e32 v28, s6, v28
	s_delay_alu instid0(VALU_DEP_1) | instskip(NEXT) | instid1(VALU_DEP_3)
	v_fmac_f32_e32 v28, s7, v27
	v_fma_f32 v29, v27, s6, -v29
	s_delay_alu instid0(VALU_DEP_1)
	v_dual_add_f32 v28, v17, v28 :: v_dual_add_f32 v27, v16, v29
	flat_store_b64 v[25:26], v[27:28]
.LBB519_40:                             ;   in Loop: Header=BB519_8 Depth=1
	s_wait_alu 0xfffe
	s_and_not1_b32 vcc_lo, exec_lo, s17
	s_wait_alu 0xfffe
	s_cbranch_vccnz .LBB519_7
; %bb.41:                               ;   in Loop: Header=BB519_8 Depth=1
	v_add_co_u32 v25, vcc_lo, v0, v12
	s_wait_alu 0xfffd
	v_add_co_ci_u32_e64 v26, null, v24, v13, vcc_lo
	flat_store_b64 v[25:26], v[16:17]
	s_branch .LBB519_7
.LBB519_42:
	s_endpgm
	.section	.rodata,"a",@progbits
	.p2align	6, 0x0
	.amdhsa_kernel _ZL29rocblas_internal_gemmt_kernelIlLi16ELi32ELi8ELc67ELc78ELc76ELb1ELb0E19rocblas_complex_numIfEPKS1_PKS3_PKPS1_EviT_T9_T10_S9_lSB_S9_lSA_T11_S9_li
		.amdhsa_group_segment_fixed_size 4096
		.amdhsa_private_segment_fixed_size 0
		.amdhsa_kernarg_size 108
		.amdhsa_user_sgpr_count 2
		.amdhsa_user_sgpr_dispatch_ptr 0
		.amdhsa_user_sgpr_queue_ptr 0
		.amdhsa_user_sgpr_kernarg_segment_ptr 1
		.amdhsa_user_sgpr_dispatch_id 0
		.amdhsa_user_sgpr_private_segment_size 0
		.amdhsa_wavefront_size32 1
		.amdhsa_uses_dynamic_stack 0
		.amdhsa_enable_private_segment 0
		.amdhsa_system_sgpr_workgroup_id_x 1
		.amdhsa_system_sgpr_workgroup_id_y 1
		.amdhsa_system_sgpr_workgroup_id_z 1
		.amdhsa_system_sgpr_workgroup_info 0
		.amdhsa_system_vgpr_workitem_id 1
		.amdhsa_next_free_vgpr 73
		.amdhsa_next_free_sgpr 37
		.amdhsa_reserve_vcc 1
		.amdhsa_float_round_mode_32 0
		.amdhsa_float_round_mode_16_64 0
		.amdhsa_float_denorm_mode_32 3
		.amdhsa_float_denorm_mode_16_64 3
		.amdhsa_fp16_overflow 0
		.amdhsa_workgroup_processor_mode 1
		.amdhsa_memory_ordered 1
		.amdhsa_forward_progress 1
		.amdhsa_inst_pref_size 26
		.amdhsa_round_robin_scheduling 0
		.amdhsa_exception_fp_ieee_invalid_op 0
		.amdhsa_exception_fp_denorm_src 0
		.amdhsa_exception_fp_ieee_div_zero 0
		.amdhsa_exception_fp_ieee_overflow 0
		.amdhsa_exception_fp_ieee_underflow 0
		.amdhsa_exception_fp_ieee_inexact 0
		.amdhsa_exception_int_div_zero 0
	.end_amdhsa_kernel
	.section	.text._ZL29rocblas_internal_gemmt_kernelIlLi16ELi32ELi8ELc67ELc78ELc76ELb1ELb0E19rocblas_complex_numIfEPKS1_PKS3_PKPS1_EviT_T9_T10_S9_lSB_S9_lSA_T11_S9_li,"axG",@progbits,_ZL29rocblas_internal_gemmt_kernelIlLi16ELi32ELi8ELc67ELc78ELc76ELb1ELb0E19rocblas_complex_numIfEPKS1_PKS3_PKPS1_EviT_T9_T10_S9_lSB_S9_lSA_T11_S9_li,comdat
.Lfunc_end519:
	.size	_ZL29rocblas_internal_gemmt_kernelIlLi16ELi32ELi8ELc67ELc78ELc76ELb1ELb0E19rocblas_complex_numIfEPKS1_PKS3_PKPS1_EviT_T9_T10_S9_lSB_S9_lSA_T11_S9_li, .Lfunc_end519-_ZL29rocblas_internal_gemmt_kernelIlLi16ELi32ELi8ELc67ELc78ELc76ELb1ELb0E19rocblas_complex_numIfEPKS1_PKS3_PKPS1_EviT_T9_T10_S9_lSB_S9_lSA_T11_S9_li
                                        ; -- End function
	.set _ZL29rocblas_internal_gemmt_kernelIlLi16ELi32ELi8ELc67ELc78ELc76ELb1ELb0E19rocblas_complex_numIfEPKS1_PKS3_PKPS1_EviT_T9_T10_S9_lSB_S9_lSA_T11_S9_li.num_vgpr, 73
	.set _ZL29rocblas_internal_gemmt_kernelIlLi16ELi32ELi8ELc67ELc78ELc76ELb1ELb0E19rocblas_complex_numIfEPKS1_PKS3_PKPS1_EviT_T9_T10_S9_lSB_S9_lSA_T11_S9_li.num_agpr, 0
	.set _ZL29rocblas_internal_gemmt_kernelIlLi16ELi32ELi8ELc67ELc78ELc76ELb1ELb0E19rocblas_complex_numIfEPKS1_PKS3_PKPS1_EviT_T9_T10_S9_lSB_S9_lSA_T11_S9_li.numbered_sgpr, 37
	.set _ZL29rocblas_internal_gemmt_kernelIlLi16ELi32ELi8ELc67ELc78ELc76ELb1ELb0E19rocblas_complex_numIfEPKS1_PKS3_PKPS1_EviT_T9_T10_S9_lSB_S9_lSA_T11_S9_li.num_named_barrier, 0
	.set _ZL29rocblas_internal_gemmt_kernelIlLi16ELi32ELi8ELc67ELc78ELc76ELb1ELb0E19rocblas_complex_numIfEPKS1_PKS3_PKPS1_EviT_T9_T10_S9_lSB_S9_lSA_T11_S9_li.private_seg_size, 0
	.set _ZL29rocblas_internal_gemmt_kernelIlLi16ELi32ELi8ELc67ELc78ELc76ELb1ELb0E19rocblas_complex_numIfEPKS1_PKS3_PKPS1_EviT_T9_T10_S9_lSB_S9_lSA_T11_S9_li.uses_vcc, 1
	.set _ZL29rocblas_internal_gemmt_kernelIlLi16ELi32ELi8ELc67ELc78ELc76ELb1ELb0E19rocblas_complex_numIfEPKS1_PKS3_PKPS1_EviT_T9_T10_S9_lSB_S9_lSA_T11_S9_li.uses_flat_scratch, 0
	.set _ZL29rocblas_internal_gemmt_kernelIlLi16ELi32ELi8ELc67ELc78ELc76ELb1ELb0E19rocblas_complex_numIfEPKS1_PKS3_PKPS1_EviT_T9_T10_S9_lSB_S9_lSA_T11_S9_li.has_dyn_sized_stack, 0
	.set _ZL29rocblas_internal_gemmt_kernelIlLi16ELi32ELi8ELc67ELc78ELc76ELb1ELb0E19rocblas_complex_numIfEPKS1_PKS3_PKPS1_EviT_T9_T10_S9_lSB_S9_lSA_T11_S9_li.has_recursion, 0
	.set _ZL29rocblas_internal_gemmt_kernelIlLi16ELi32ELi8ELc67ELc78ELc76ELb1ELb0E19rocblas_complex_numIfEPKS1_PKS3_PKPS1_EviT_T9_T10_S9_lSB_S9_lSA_T11_S9_li.has_indirect_call, 0
	.section	.AMDGPU.csdata,"",@progbits
; Kernel info:
; codeLenInByte = 3312
; TotalNumSgprs: 39
; NumVgprs: 73
; ScratchSize: 0
; MemoryBound: 0
; FloatMode: 240
; IeeeMode: 1
; LDSByteSize: 4096 bytes/workgroup (compile time only)
; SGPRBlocks: 0
; VGPRBlocks: 9
; NumSGPRsForWavesPerEU: 39
; NumVGPRsForWavesPerEU: 73
; Occupancy: 16
; WaveLimiterHint : 1
; COMPUTE_PGM_RSRC2:SCRATCH_EN: 0
; COMPUTE_PGM_RSRC2:USER_SGPR: 2
; COMPUTE_PGM_RSRC2:TRAP_HANDLER: 0
; COMPUTE_PGM_RSRC2:TGID_X_EN: 1
; COMPUTE_PGM_RSRC2:TGID_Y_EN: 1
; COMPUTE_PGM_RSRC2:TGID_Z_EN: 1
; COMPUTE_PGM_RSRC2:TIDIG_COMP_CNT: 1
	.section	.text._ZL29rocblas_internal_gemmt_kernelIlLi16ELi32ELi8ELc67ELc84ELc76ELb1ELb0E19rocblas_complex_numIfEPKS1_PKS3_PKPS1_EviT_T9_T10_S9_lSB_S9_lSA_T11_S9_li,"axG",@progbits,_ZL29rocblas_internal_gemmt_kernelIlLi16ELi32ELi8ELc67ELc84ELc76ELb1ELb0E19rocblas_complex_numIfEPKS1_PKS3_PKPS1_EviT_T9_T10_S9_lSB_S9_lSA_T11_S9_li,comdat
	.globl	_ZL29rocblas_internal_gemmt_kernelIlLi16ELi32ELi8ELc67ELc84ELc76ELb1ELb0E19rocblas_complex_numIfEPKS1_PKS3_PKPS1_EviT_T9_T10_S9_lSB_S9_lSA_T11_S9_li ; -- Begin function _ZL29rocblas_internal_gemmt_kernelIlLi16ELi32ELi8ELc67ELc84ELc76ELb1ELb0E19rocblas_complex_numIfEPKS1_PKS3_PKPS1_EviT_T9_T10_S9_lSB_S9_lSA_T11_S9_li
	.p2align	8
	.type	_ZL29rocblas_internal_gemmt_kernelIlLi16ELi32ELi8ELc67ELc84ELc76ELb1ELb0E19rocblas_complex_numIfEPKS1_PKS3_PKPS1_EviT_T9_T10_S9_lSB_S9_lSA_T11_S9_li,@function
_ZL29rocblas_internal_gemmt_kernelIlLi16ELi32ELi8ELc67ELc84ELc76ELb1ELb0E19rocblas_complex_numIfEPKS1_PKS3_PKPS1_EviT_T9_T10_S9_lSB_S9_lSA_T11_S9_li: ; @_ZL29rocblas_internal_gemmt_kernelIlLi16ELi32ELi8ELc67ELc84ELc76ELb1ELb0E19rocblas_complex_numIfEPKS1_PKS3_PKPS1_EviT_T9_T10_S9_lSB_S9_lSA_T11_S9_li
; %bb.0:
	s_load_b256 s[24:31], s[0:1], 0x48
	s_wait_kmcnt 0x0
	s_load_b64 s[6:7], s[24:25], 0x0
	s_load_b512 s[8:23], s[0:1], 0x8
	s_wait_kmcnt 0x0
	s_cmp_eq_f32 s6, 1.0
	s_load_b64 s[10:11], s[10:11], 0x0
	s_cselect_b32 s3, -1, 0
	s_and_b32 s2, s7, 0x7fffffff
	s_delay_alu instid0(SALU_CYCLE_1) | instskip(SKIP_1) | instid1(SALU_CYCLE_1)
	s_cmp_eq_u32 s2, 0
	s_cselect_b32 s2, -1, 0
	s_and_b32 s4, s3, s2
	s_mov_b32 s3, 0
	s_and_not1_b32 vcc_lo, exec_lo, s4
	s_mov_b32 s4, -1
	s_cbranch_vccnz .LBB520_4
; %bb.1:
	s_cmp_lg_u64 s[8:9], 0
	s_cbranch_scc0 .LBB520_3
; %bb.2:
	s_wait_kmcnt 0x0
	s_cmp_neq_f32 s10, 0
	s_cselect_b32 s3, -1, 0
	s_cmp_neq_f32 s11, 0
	s_cselect_b32 s4, -1, 0
	s_delay_alu instid0(SALU_CYCLE_1)
	s_or_b32 s3, s3, s4
.LBB520_3:
	s_delay_alu instid0(SALU_CYCLE_1)
	s_mov_b32 s4, s3
.LBB520_4:
	s_delay_alu instid0(SALU_CYCLE_1)
	s_and_b32 vcc_lo, exec_lo, s4
	s_cbranch_vccz .LBB520_42
; %bb.5:
	s_load_b32 s33, s[0:1], 0x68
	s_lshr_b32 s24, ttmp7, 16
	s_wait_kmcnt 0x0
	s_cmp_ge_u32 s24, s33
	s_cbranch_scc1 .LBB520_42
; %bb.6:
	v_bfe_u32 v10, v0, 10, 10
	s_load_b32 s4, s[0:1], 0x0
	s_lshl_b32 s0, ttmp7, 5
	s_lshl_b32 s1, ttmp9, 5
	s_and_b32 s3, s0, 0x1fffe0
	s_cmp_neq_f32 s10, 0
	v_add_nc_u32_e32 v11, s3, v10
	v_and_b32_e32 v16, 7, v0
	v_lshl_add_u32 v21, v10, 6, 0x800
	s_cselect_b32 s0, -1, 0
	s_cmp_neq_f32 s11, 0
	v_mad_co_u64_u32 v[4:5], null, s28, v11, 0
	v_and_b32_e32 v9, 0x3ff, v0
	s_cselect_b32 s5, -1, 0
	v_add_nc_u32_e32 v15, 16, v11
	s_or_b32 s37, s0, s5
	v_cmp_gt_i64_e64 s36, s[8:9], 0
	v_lshl_add_u32 v1, v10, 4, v9
	s_mov_b32 s25, 0
	s_delay_alu instid0(VALU_DEP_1) | instskip(SKIP_2) | instid1(VALU_DEP_3)
	v_and_b32_e32 v0, 31, v1
	v_lshrrev_b32_e32 v6, 3, v1
	v_lshrrev_b32_e32 v17, 5, v1
	v_or_b32_e32 v2, s1, v0
	s_delay_alu instid0(VALU_DEP_3)
	v_add_nc_u32_e32 v14, s3, v6
	s_ashr_i32 s3, s1, 31
	v_lshlrev_b32_e32 v0, 3, v0
	s_wait_alu 0xfffe
	s_mul_i32 s3, s14, s3
	s_wait_kmcnt 0x0
	v_cmp_gt_i32_e64 s0, s4, v2
	v_cmp_le_i32_e64 s34, s4, v2
	v_mul_lo_u32 v1, s15, v2
	v_mad_co_u64_u32 v[2:3], null, s14, v2, 0
	v_lshl_or_b32 v18, v17, 8, v0
	v_mov_b32_e32 v0, v5
	v_add_nc_u32_e32 v8, s1, v9
	s_cmp_neq_f32 s6, 0
	v_lshlrev_b32_e32 v20, 3, v9
	v_cmp_gt_i32_e32 vcc_lo, s4, v14
	s_wait_alu 0xfffe
	v_add3_u32 v3, v3, s3, v1
	v_mov_b32_e32 v1, 0
	v_lshlrev_b32_e32 v7, 3, v16
	v_add_nc_u32_e32 v10, 16, v8
	s_cselect_b32 s14, -1, 0
	s_xor_b32 s15, s2, -1
	v_cmp_gt_i32_e64 s2, s4, v8
	v_lshl_or_b32 v6, v6, 6, v7
	v_ashrrev_i32_e32 v9, 31, v8
	v_cmp_gt_i32_e64 s4, s4, v10
	v_cmp_le_i32_e64 s5, v15, v10
	v_lshlrev_b64_e32 v[2:3], 3, v[2:3]
	v_add_nc_u32_e32 v19, 0x800, v6
	v_mad_co_u64_u32 v[5:6], null, s29, v11, v[0:1]
	v_mad_co_u64_u32 v[6:7], null, s28, v15, 0
	v_lshlrev_b32_e32 v22, 3, v14
	s_and_b32 s35, s5, s4
	s_and_b32 s36, s37, s36
	s_delay_alu instid0(VALU_DEP_3) | instskip(NEXT) | instid1(VALU_DEP_3)
	v_lshlrev_b64_e32 v[4:5], 3, v[4:5]
	v_mov_b32_e32 v0, v7
	v_cmp_le_i32_e64 s1, v11, v8
	v_cmp_le_i32_e64 s3, v11, v10
	v_ashrrev_i32_e32 v11, 31, v10
	s_delay_alu instid0(VALU_DEP_4)
	v_mad_co_u64_u32 v[12:13], null, s29, v15, v[0:1]
	s_and_b32 s28, s1, s2
	v_cmp_le_i32_e64 s1, v15, v8
	v_lshlrev_b64_e32 v[8:9], 3, v[8:9]
	v_lshlrev_b64_e32 v[10:11], 3, v[10:11]
	s_and_b32 s29, s3, s4
	s_lshl_b64 s[4:5], s[16:17], 3
	v_mov_b32_e32 v7, v12
	s_and_b32 s1, s1, s2
	s_lshl_b64 s[2:3], s[22:23], 3
	s_wait_alu 0xfffe
	s_or_b32 s22, s14, s15
	s_xor_b32 s23, vcc_lo, -1
	v_lshlrev_b64_e32 v[6:7], 3, v[6:7]
	s_lshl_b64 s[14:15], s[30:31], 3
                                        ; implicit-def: $vgpr12_vgpr13
	s_branch .LBB520_8
.LBB520_7:                              ;   in Loop: Header=BB520_8 Depth=1
	s_wait_alu 0xfffe
	s_or_b32 exec_lo, exec_lo, s16
	s_add_co_i32 s24, s24, 0x10000
	s_delay_alu instid0(SALU_CYCLE_1)
	s_cmp_lt_u32 s24, s33
	s_cbranch_scc0 .LBB520_42
.LBB520_8:                              ; =>This Loop Header: Depth=1
                                        ;     Child Loop BB520_11 Depth 2
	s_lshl_b64 s[16:17], s[24:25], 3
	s_and_not1_b32 vcc_lo, exec_lo, s36
	s_wait_alu 0xfffe
	s_add_nc_u64 s[30:31], s[26:27], s[16:17]
	global_load_b64 v[14:15], v1, s[30:31]
	s_cbranch_vccnz .LBB520_21
; %bb.9:                                ;   in Loop: Header=BB520_8 Depth=1
	s_add_nc_u64 s[30:31], s[12:13], s[16:17]
	s_add_nc_u64 s[16:17], s[18:19], s[16:17]
	s_clause 0x1
	global_load_b64 v[23:24], v1, s[30:31]
	global_load_b64 v[25:26], v1, s[16:17]
	v_dual_mov_b32 v27, 0 :: v_dual_mov_b32 v28, 0
	v_dual_mov_b32 v30, 0 :: v_dual_mov_b32 v29, 0
	;; [unrolled: 1-line block ×4, first 2 shown]
	s_mov_b64 s[16:17], 0
	s_wait_loadcnt 0x1
	v_add_co_u32 v0, vcc_lo, v23, s4
	s_wait_alu 0xfffd
	v_add_co_ci_u32_e64 v24, null, s5, v24, vcc_lo
	s_wait_loadcnt 0x0
	v_add_co_u32 v25, vcc_lo, v25, s2
	s_wait_alu 0xfffd
	v_add_co_ci_u32_e64 v26, null, s3, v26, vcc_lo
	v_add_co_u32 v23, vcc_lo, v0, v2
	s_wait_alu 0xfffd
	v_add_co_ci_u32_e64 v24, null, v24, v3, vcc_lo
	;; [unrolled: 3-line block ×3, first 2 shown]
	s_branch .LBB520_11
.LBB520_10:                             ;   in Loop: Header=BB520_11 Depth=2
	s_or_b32 exec_lo, exec_lo, s30
	s_wait_dscnt 0x0
	s_barrier_signal -1
	s_barrier_wait -1
	global_inv scope:SCOPE_SE
	ds_load_b128 v[35:38], v21
	ds_load_2addr_b64 v[39:42], v20 offset1:16
	ds_load_b128 v[43:46], v21 offset:1024
	ds_load_b128 v[47:50], v21 offset:16
	;; [unrolled: 1-line block ×4, first 2 shown]
	ds_load_2addr_b64 v[59:62], v20 offset0:32 offset1:48
	ds_load_b128 v[63:66], v21 offset:1040
	s_add_nc_u64 s[16:17], s[16:17], 8
	s_wait_alu 0xfffe
	v_cmp_gt_i64_e64 s30, s[8:9], s[16:17]
	s_and_b32 vcc_lo, exec_lo, s30
	s_wait_dscnt 0x6
	v_dual_mul_f32 v0, v36, v40 :: v_dual_mul_f32 v69, v35, v42
	v_dual_mul_f32 v67, v35, v40 :: v_dual_mul_f32 v68, v36, v42
	s_wait_dscnt 0x5
	v_mul_f32_e32 v71, v44, v42
	s_delay_alu instid0(VALU_DEP_3) | instskip(SKIP_3) | instid1(VALU_DEP_4)
	v_fma_f32 v0, v35, v39, -v0
	v_dual_mul_f32 v42, v43, v42 :: v_dual_fmac_f32 v69, v36, v41
	v_fmac_f32_e32 v67, v36, v39
	v_fma_f32 v35, v35, v41, -v68
	v_add_f32_e32 v0, v33, v0
	v_mul_f32_e32 v70, v44, v40
	s_delay_alu instid0(VALU_DEP_4) | instskip(NEXT) | instid1(VALU_DEP_4)
	v_dual_mul_f32 v40, v43, v40 :: v_dual_add_f32 v33, v34, v67
	v_add_f32_e32 v34, v31, v35
	v_fmac_f32_e32 v42, v44, v41
	s_delay_alu instid0(VALU_DEP_4) | instskip(NEXT) | instid1(VALU_DEP_4)
	v_fma_f32 v36, v43, v39, -v70
	v_fmac_f32_e32 v40, v44, v39
	v_fma_f32 v39, v43, v41, -v71
	s_wait_dscnt 0x1
	v_dual_mul_f32 v41, v37, v60 :: v_dual_add_f32 v32, v32, v69
	v_mul_f32_e32 v43, v38, v62
	v_add_f32_e32 v35, v29, v36
	v_dual_add_f32 v36, v30, v40 :: v_dual_add_f32 v39, v28, v39
	ds_load_2addr_b64 v[28:31], v20 offset0:64 offset1:80
	v_fmac_f32_e32 v41, v38, v59
	v_dual_mul_f32 v40, v38, v60 :: v_dual_add_f32 v27, v27, v42
	v_mul_f32_e32 v42, v37, v62
	s_delay_alu instid0(VALU_DEP_3) | instskip(NEXT) | instid1(VALU_DEP_3)
	v_add_f32_e32 v41, v33, v41
	v_fma_f32 v40, v37, v59, -v40
	v_fma_f32 v37, v37, v61, -v43
	v_mul_f32_e32 v33, v45, v60
	s_delay_alu instid0(VALU_DEP_3) | instskip(SKIP_1) | instid1(VALU_DEP_4)
	v_add_f32_e32 v0, v0, v40
	v_mul_f32_e32 v40, v46, v60
	v_add_f32_e32 v37, v34, v37
	v_fmac_f32_e32 v42, v38, v61
	v_mul_f32_e32 v38, v46, v62
	v_fmac_f32_e32 v33, v46, v59
	v_fma_f32 v34, v45, v59, -v40
	s_delay_alu instid0(VALU_DEP_4) | instskip(SKIP_4) | instid1(VALU_DEP_3)
	v_add_f32_e32 v40, v32, v42
	v_mul_f32_e32 v42, v45, v62
	v_fma_f32 v32, v45, v61, -v38
	s_wait_dscnt 0x0
	v_dual_add_f32 v43, v35, v34 :: v_dual_mul_f32 v34, v48, v29
	v_dual_mul_f32 v45, v48, v31 :: v_dual_fmac_f32 v42, v46, v61
	v_mul_f32_e32 v38, v47, v29
	v_add_f32_e32 v39, v39, v32
	s_delay_alu instid0(VALU_DEP_3) | instskip(SKIP_3) | instid1(VALU_DEP_3)
	v_add_f32_e32 v42, v27, v42
	v_mul_f32_e32 v27, v47, v31
	v_fma_f32 v44, v47, v28, -v34
	v_fmac_f32_e32 v38, v48, v28
	v_fmac_f32_e32 v27, v48, v30
	s_delay_alu instid0(VALU_DEP_3)
	v_add_f32_e32 v0, v0, v44
	v_fma_f32 v44, v47, v30, -v45
	v_add_f32_e32 v36, v36, v33
	ds_load_2addr_b64 v[32:35], v20 offset0:96 offset1:112
	v_dual_add_f32 v38, v41, v38 :: v_dual_mul_f32 v41, v64, v29
	v_mul_f32_e32 v29, v63, v29
	v_dual_add_f32 v37, v37, v44 :: v_dual_mul_f32 v44, v64, v31
	v_mul_f32_e32 v31, v63, v31
	s_delay_alu instid0(VALU_DEP_4) | instskip(NEXT) | instid1(VALU_DEP_4)
	v_fma_f32 v41, v63, v28, -v41
	v_fmac_f32_e32 v29, v64, v28
	v_add_f32_e32 v40, v40, v27
	v_fma_f32 v27, v63, v30, -v44
	v_fmac_f32_e32 v31, v64, v30
	v_add_f32_e32 v41, v43, v41
	s_delay_alu instid0(VALU_DEP_3) | instskip(SKIP_4) | instid1(VALU_DEP_2)
	v_dual_add_f32 v43, v36, v29 :: v_dual_add_f32 v44, v39, v27
	ds_load_2addr_b64 v[27:30], v20 offset0:128 offset1:144
	s_wait_dscnt 0x1
	v_mul_f32_e32 v36, v50, v33
	v_dual_mul_f32 v39, v49, v33 :: v_dual_mul_f32 v48, v66, v35
	v_fma_f32 v36, v49, v32, -v36
	v_mul_f32_e32 v45, v50, v35
	s_delay_alu instid0(VALU_DEP_3) | instskip(NEXT) | instid1(VALU_DEP_3)
	v_fmac_f32_e32 v39, v50, v32
	v_add_f32_e32 v0, v0, v36
	s_delay_alu instid0(VALU_DEP_3) | instskip(SKIP_3) | instid1(VALU_DEP_4)
	v_fma_f32 v45, v49, v34, -v45
	v_add_f32_e32 v42, v42, v31
	v_dual_mul_f32 v31, v49, v35 :: v_dual_mul_f32 v36, v66, v33
	v_dual_add_f32 v46, v38, v39 :: v_dual_mul_f32 v33, v65, v33
	v_add_f32_e32 v45, v37, v45
	s_delay_alu instid0(VALU_DEP_3) | instskip(NEXT) | instid1(VALU_DEP_4)
	v_fmac_f32_e32 v31, v50, v34
	v_fma_f32 v47, v65, v32, -v36
	ds_load_b128 v[36:39], v21 offset:1056
	v_fmac_f32_e32 v33, v66, v32
	s_wait_dscnt 0x1
	v_mul_f32_e32 v32, v52, v28
	v_add_f32_e32 v49, v40, v31
	v_dual_mul_f32 v35, v65, v35 :: v_dual_mul_f32 v50, v51, v28
	s_delay_alu instid0(VALU_DEP_3)
	v_fma_f32 v40, v51, v27, -v32
	v_add_f32_e32 v47, v41, v47
	v_mul_f32_e32 v41, v52, v30
	v_fma_f32 v31, v65, v34, -v48
	v_dual_fmac_f32 v35, v66, v34 :: v_dual_fmac_f32 v50, v52, v27
	v_add_f32_e32 v0, v0, v40
	s_delay_alu instid0(VALU_DEP_4) | instskip(NEXT) | instid1(VALU_DEP_4)
	v_fma_f32 v59, v51, v29, -v41
	v_add_f32_e32 v44, v44, v31
	v_add_f32_e32 v48, v43, v33
	ds_load_2addr_b64 v[31:34], v20 offset0:160 offset1:176
	v_add_f32_e32 v35, v42, v35
	ds_load_b128 v[40:43], v21 offset:1072
	s_wait_dscnt 0x2
	v_dual_mul_f32 v51, v51, v30 :: v_dual_mul_f32 v60, v37, v28
	v_mul_f32_e32 v28, v36, v28
	s_delay_alu instid0(VALU_DEP_2) | instskip(SKIP_1) | instid1(VALU_DEP_3)
	v_dual_add_f32 v46, v46, v50 :: v_dual_fmac_f32 v51, v52, v29
	v_mul_f32_e32 v52, v37, v30
	v_fmac_f32_e32 v28, v37, v27
	v_fma_f32 v50, v36, v27, -v60
	s_delay_alu instid0(VALU_DEP_4) | instskip(SKIP_2) | instid1(VALU_DEP_2)
	v_add_f32_e32 v49, v49, v51
	v_mul_f32_e32 v51, v36, v30
	v_add_f32_e32 v45, v45, v59
	v_fmac_f32_e32 v51, v37, v29
	s_wait_dscnt 0x1
	v_mul_f32_e32 v37, v53, v32
	s_delay_alu instid0(VALU_DEP_1) | instskip(SKIP_4) | instid1(VALU_DEP_4)
	v_fmac_f32_e32 v37, v54, v31
	v_fma_f32 v27, v36, v29, -v52
	v_add_f32_e32 v36, v48, v28
	v_dual_mul_f32 v48, v54, v32 :: v_dual_add_f32 v47, v47, v50
	v_mul_f32_e32 v50, v54, v34
	v_add_f32_e32 v44, v44, v27
	ds_load_2addr_b64 v[27:30], v20 offset0:192 offset1:208
	v_fma_f32 v48, v53, v31, -v48
	v_add_f32_e32 v51, v35, v51
	v_dual_mul_f32 v35, v53, v34 :: v_dual_add_f32 v46, v46, v37
	v_mul_f32_e32 v37, v39, v32
	s_delay_alu instid0(VALU_DEP_4) | instskip(SKIP_4) | instid1(VALU_DEP_4)
	v_add_f32_e32 v0, v0, v48
	v_fma_f32 v48, v53, v33, -v50
	v_mul_f32_e32 v32, v38, v32
	v_fmac_f32_e32 v35, v54, v33
	v_fma_f32 v37, v38, v31, -v37
	v_dual_add_f32 v45, v45, v48 :: v_dual_mul_f32 v48, v39, v34
	s_delay_alu instid0(VALU_DEP_4) | instskip(NEXT) | instid1(VALU_DEP_4)
	v_dual_fmac_f32 v32, v39, v31 :: v_dual_mul_f32 v31, v38, v34
	v_add_f32_e32 v49, v49, v35
	s_delay_alu instid0(VALU_DEP_3) | instskip(NEXT) | instid1(VALU_DEP_3)
	v_fma_f32 v34, v38, v33, -v48
	v_dual_add_f32 v32, v36, v32 :: v_dual_fmac_f32 v31, v39, v33
	s_wait_dscnt 0x0
	s_delay_alu instid0(VALU_DEP_2) | instskip(SKIP_1) | instid1(VALU_DEP_3)
	v_dual_mul_f32 v48, v41, v28 :: v_dual_add_f32 v33, v44, v34
	v_mul_f32_e32 v34, v55, v28
	v_dual_mul_f32 v44, v56, v30 :: v_dual_add_f32 v31, v51, v31
	s_delay_alu instid0(VALU_DEP_2) | instskip(SKIP_1) | instid1(VALU_DEP_3)
	v_fmac_f32_e32 v34, v56, v27
	v_mul_f32_e32 v35, v56, v28
	v_fma_f32 v44, v55, v29, -v44
	v_mul_f32_e32 v28, v40, v28
	s_delay_alu instid0(VALU_DEP_4) | instskip(NEXT) | instid1(VALU_DEP_4)
	v_add_f32_e32 v34, v46, v34
	v_fma_f32 v39, v55, v27, -v35
	v_add_f32_e32 v47, v47, v37
	ds_load_2addr_b64 v[35:38], v20 offset0:224 offset1:240
	v_add_f32_e32 v44, v45, v44
	v_mul_f32_e32 v46, v41, v30
	v_dual_add_f32 v0, v0, v39 :: v_dual_mul_f32 v39, v55, v30
	v_fma_f32 v45, v40, v27, -v48
	v_fmac_f32_e32 v28, v41, v27
	v_mul_f32_e32 v30, v40, v30
	v_fma_f32 v40, v40, v29, -v46
	v_fmac_f32_e32 v39, v56, v29
	s_wait_loadcnt_dscnt 0x0
	s_barrier_signal -1
	v_fmac_f32_e32 v30, v41, v29
	v_add_f32_e32 v40, v33, v40
	v_add_f32_e32 v27, v49, v39
	v_dual_add_f32 v39, v47, v45 :: v_dual_add_f32 v28, v32, v28
	s_barrier_wait -1
	global_inv scope:SCOPE_SE
	v_mul_f32_e32 v29, v57, v36
	v_mul_f32_e32 v33, v58, v38
	s_delay_alu instid0(VALU_DEP_2) | instskip(SKIP_1) | instid1(VALU_DEP_3)
	v_fmac_f32_e32 v29, v58, v35
	v_dual_mul_f32 v32, v58, v36 :: v_dual_add_f32 v41, v31, v30
	v_fma_f32 v31, v57, v37, -v33
	s_delay_alu instid0(VALU_DEP_2) | instskip(NEXT) | instid1(VALU_DEP_2)
	v_fma_f32 v32, v57, v35, -v32
	v_dual_mul_f32 v30, v57, v38 :: v_dual_add_f32 v31, v44, v31
	v_mul_f32_e32 v44, v43, v38
	s_delay_alu instid0(VALU_DEP_3) | instskip(NEXT) | instid1(VALU_DEP_3)
	v_dual_mul_f32 v38, v42, v38 :: v_dual_add_f32 v33, v0, v32
	v_fmac_f32_e32 v30, v58, v37
	s_delay_alu instid0(VALU_DEP_2) | instskip(SKIP_2) | instid1(VALU_DEP_4)
	v_fmac_f32_e32 v38, v43, v37
	v_mul_f32_e32 v0, v43, v36
	v_mul_f32_e32 v36, v42, v36
	v_add_f32_e32 v32, v27, v30
	s_delay_alu instid0(VALU_DEP_4) | instskip(NEXT) | instid1(VALU_DEP_4)
	v_add_f32_e32 v27, v41, v38
	v_fma_f32 v0, v42, v35, -v0
	v_add_f32_e32 v34, v34, v29
	v_fmac_f32_e32 v36, v43, v35
	s_delay_alu instid0(VALU_DEP_3) | instskip(SKIP_1) | instid1(VALU_DEP_3)
	v_add_f32_e32 v29, v39, v0
	v_fma_f32 v0, v42, v37, -v44
	v_add_f32_e32 v30, v28, v36
	s_delay_alu instid0(VALU_DEP_2)
	v_add_f32_e32 v28, v40, v0
	s_wait_alu 0xfffe
	s_cbranch_vccz .LBB520_22
.LBB520_11:                             ;   Parent Loop BB520_8 Depth=1
                                        ; =>  This Inner Loop Header: Depth=2
	s_mov_b32 s30, 0
	s_mov_b32 s37, s34
	s_and_saveexec_b32 s31, s0
	s_cbranch_execnz .LBB520_19
; %bb.12:                               ;   in Loop: Header=BB520_11 Depth=2
	s_or_b32 exec_lo, exec_lo, s31
	s_and_saveexec_b32 s31, s37
	s_delay_alu instid0(SALU_CYCLE_1)
	s_xor_b32 s31, exec_lo, s31
	s_cbranch_execnz .LBB520_20
.LBB520_13:                             ;   in Loop: Header=BB520_11 Depth=2
	s_or_b32 exec_lo, exec_lo, s31
	v_mov_b32_e32 v35, 0
	s_and_saveexec_b32 s31, s30
	s_cbranch_execz .LBB520_15
.LBB520_14:                             ;   in Loop: Header=BB520_11 Depth=2
	v_lshlrev_b64_e32 v[35:36], 3, v[12:13]
	s_delay_alu instid0(VALU_DEP_1) | instskip(SKIP_1) | instid1(VALU_DEP_2)
	v_add_co_u32 v35, vcc_lo, v23, v35
	s_wait_alu 0xfffd
	v_add_co_ci_u32_e64 v36, null, v24, v36, vcc_lo
	flat_load_b64 v[36:37], v[35:36]
	s_wait_loadcnt_dscnt 0x0
	v_xor_b32_e32 v35, 0x80000000, v37
	ds_store_b32 v18, v36
.LBB520_15:                             ;   in Loop: Header=BB520_11 Depth=2
	s_or_b32 exec_lo, exec_lo, s31
	s_wait_alu 0xfffe
	v_add_nc_u32_e32 v0, s16, v16
	ds_store_b32 v18, v35 offset:4
	v_cmp_le_u64_e32 vcc_lo, s[8:9], v[0:1]
	s_or_b32 s30, vcc_lo, s23
	s_delay_alu instid0(SALU_CYCLE_1) | instskip(NEXT) | instid1(SALU_CYCLE_1)
	s_and_saveexec_b32 s31, s30
	s_xor_b32 s30, exec_lo, s31
; %bb.16:                               ;   in Loop: Header=BB520_11 Depth=2
	v_mov_b32_e32 v0, v1
	ds_store_b64 v19, v[0:1]
; %bb.17:                               ;   in Loop: Header=BB520_11 Depth=2
	s_and_not1_saveexec_b32 s30, s30
	s_cbranch_execz .LBB520_10
; %bb.18:                               ;   in Loop: Header=BB520_11 Depth=2
	v_mad_co_u64_u32 v[35:36], null, s20, v0, 0
	s_delay_alu instid0(VALU_DEP_1) | instskip(NEXT) | instid1(VALU_DEP_1)
	v_mad_co_u64_u32 v[36:37], null, s21, v0, v[36:37]
	v_lshlrev_b64_e32 v[35:36], 3, v[35:36]
	s_delay_alu instid0(VALU_DEP_1) | instskip(SKIP_1) | instid1(VALU_DEP_2)
	v_add_co_u32 v35, vcc_lo, v25, v35
	s_wait_alu 0xfffd
	v_add_co_ci_u32_e64 v36, null, v26, v36, vcc_lo
	flat_load_b64 v[35:36], v[35:36]
	s_wait_loadcnt_dscnt 0x0
	ds_store_b64 v19, v[35:36]
	s_branch .LBB520_10
.LBB520_19:                             ;   in Loop: Header=BB520_11 Depth=2
	s_wait_alu 0xfffe
	v_add_nc_u32_e32 v0, s16, v17
	v_mov_b32_e32 v13, v1
	s_and_not1_b32 s37, s34, exec_lo
	s_mov_b32 s30, exec_lo
	s_delay_alu instid0(VALU_DEP_2) | instskip(SKIP_2) | instid1(SALU_CYCLE_1)
	v_cmp_le_u64_e32 vcc_lo, s[8:9], v[0:1]
	v_mov_b32_e32 v12, v0
	s_and_b32 s38, vcc_lo, exec_lo
	s_or_b32 s37, s37, s38
	s_or_b32 exec_lo, exec_lo, s31
	s_and_saveexec_b32 s31, s37
	s_delay_alu instid0(SALU_CYCLE_1)
	s_xor_b32 s31, exec_lo, s31
	s_cbranch_execz .LBB520_13
.LBB520_20:                             ;   in Loop: Header=BB520_11 Depth=2
	s_and_not1_b32 s30, s30, exec_lo
	ds_store_b32 v18, v1
	s_or_b32 exec_lo, exec_lo, s31
	v_mov_b32_e32 v35, 0
	s_and_saveexec_b32 s31, s30
	s_cbranch_execnz .LBB520_14
	s_branch .LBB520_15
.LBB520_21:                             ;   in Loop: Header=BB520_8 Depth=1
	v_dual_mov_b32 v33, v1 :: v_dual_mov_b32 v34, v1
	v_dual_mov_b32 v31, v1 :: v_dual_mov_b32 v32, v1
	;; [unrolled: 1-line block ×4, first 2 shown]
.LBB520_22:                             ;   in Loop: Header=BB520_8 Depth=1
	s_wait_loadcnt 0x0
	s_wait_alu 0xfffe
	v_add_co_u32 v0, vcc_lo, v14, s14
	s_wait_alu 0xfffd
	v_add_co_ci_u32_e64 v23, null, s15, v15, vcc_lo
	s_delay_alu instid0(VALU_DEP_2) | instskip(SKIP_1) | instid1(VALU_DEP_2)
	v_add_co_u32 v24, vcc_lo, v0, v4
	s_wait_alu 0xfffd
	v_add_co_ci_u32_e64 v25, null, v23, v5, vcc_lo
	s_and_saveexec_b32 s16, s28
	s_cbranch_execz .LBB520_27
; %bb.23:                               ;   in Loop: Header=BB520_8 Depth=1
	v_mul_f32_e32 v15, s10, v34
	v_mul_f32_e32 v14, s11, v34
	s_and_b32 vcc_lo, exec_lo, s22
	s_mov_b32 s17, -1
	s_delay_alu instid0(VALU_DEP_2) | instskip(NEXT) | instid1(VALU_DEP_2)
	v_fmac_f32_e32 v15, s11, v33
	v_fma_f32 v14, v33, s10, -v14
	s_wait_alu 0xfffe
	s_cbranch_vccz .LBB520_25
; %bb.24:                               ;   in Loop: Header=BB520_8 Depth=1
	v_add_co_u32 v33, vcc_lo, v24, v8
	s_wait_alu 0xfffd
	v_add_co_ci_u32_e64 v34, null, v25, v9, vcc_lo
	s_mov_b32 s17, 0
	flat_load_b64 v[35:36], v[33:34]
	s_wait_loadcnt_dscnt 0x0
	v_mul_f32_e32 v26, s7, v36
	s_delay_alu instid0(VALU_DEP_1) | instskip(SKIP_1) | instid1(VALU_DEP_1)
	v_fma_f32 v26, v35, s6, -v26
	v_mul_f32_e32 v36, s6, v36
	v_dual_fmac_f32 v36, s7, v35 :: v_dual_add_f32 v35, v14, v26
	s_delay_alu instid0(VALU_DEP_1)
	v_add_f32_e32 v36, v15, v36
	flat_store_b64 v[33:34], v[35:36]
.LBB520_25:                             ;   in Loop: Header=BB520_8 Depth=1
	s_wait_alu 0xfffe
	s_and_not1_b32 vcc_lo, exec_lo, s17
	s_wait_alu 0xfffe
	s_cbranch_vccnz .LBB520_27
; %bb.26:                               ;   in Loop: Header=BB520_8 Depth=1
	v_add_co_u32 v33, vcc_lo, v24, v8
	s_wait_alu 0xfffd
	v_add_co_ci_u32_e64 v34, null, v25, v9, vcc_lo
	flat_store_b64 v[33:34], v[14:15]
.LBB520_27:                             ;   in Loop: Header=BB520_8 Depth=1
	s_wait_alu 0xfffe
	s_or_b32 exec_lo, exec_lo, s16
	s_and_saveexec_b32 s16, s29
	s_cbranch_execz .LBB520_32
; %bb.28:                               ;   in Loop: Header=BB520_8 Depth=1
	v_mul_f32_e32 v15, s10, v32
	v_mul_f32_e32 v14, s11, v32
	s_and_not1_b32 vcc_lo, exec_lo, s22
	s_mov_b32 s17, -1
	s_delay_alu instid0(VALU_DEP_2) | instskip(NEXT) | instid1(VALU_DEP_2)
	v_fmac_f32_e32 v15, s11, v31
	v_fma_f32 v14, v31, s10, -v14
	s_wait_alu 0xfffe
	s_cbranch_vccnz .LBB520_30
; %bb.29:                               ;   in Loop: Header=BB520_8 Depth=1
	v_add_co_u32 v31, vcc_lo, v24, v10
	s_wait_alu 0xfffd
	v_add_co_ci_u32_e64 v32, null, v25, v11, vcc_lo
	s_mov_b32 s17, 0
	flat_load_b64 v[33:34], v[31:32]
	s_wait_loadcnt_dscnt 0x0
	v_mul_f32_e32 v26, s7, v34
	v_mul_f32_e32 v34, s6, v34
	s_delay_alu instid0(VALU_DEP_2) | instskip(NEXT) | instid1(VALU_DEP_1)
	v_fma_f32 v26, v33, s6, -v26
	v_dual_fmac_f32 v34, s7, v33 :: v_dual_add_f32 v33, v14, v26
	s_delay_alu instid0(VALU_DEP_1)
	v_add_f32_e32 v34, v15, v34
	flat_store_b64 v[31:32], v[33:34]
.LBB520_30:                             ;   in Loop: Header=BB520_8 Depth=1
	s_wait_alu 0xfffe
	s_and_not1_b32 vcc_lo, exec_lo, s17
	s_wait_alu 0xfffe
	s_cbranch_vccnz .LBB520_32
; %bb.31:                               ;   in Loop: Header=BB520_8 Depth=1
	v_add_co_u32 v24, vcc_lo, v24, v10
	s_wait_alu 0xfffd
	v_add_co_ci_u32_e64 v25, null, v25, v11, vcc_lo
	flat_store_b64 v[24:25], v[14:15]
.LBB520_32:                             ;   in Loop: Header=BB520_8 Depth=1
	s_wait_alu 0xfffe
	s_or_b32 exec_lo, exec_lo, s16
	v_add_co_u32 v0, vcc_lo, v0, v6
	s_wait_alu 0xfffd
	v_add_co_ci_u32_e64 v23, null, v23, v7, vcc_lo
	s_and_saveexec_b32 s16, s1
	s_cbranch_execz .LBB520_37
; %bb.33:                               ;   in Loop: Header=BB520_8 Depth=1
	v_mul_f32_e32 v15, s10, v30
	v_mul_f32_e32 v14, s11, v30
	s_and_not1_b32 vcc_lo, exec_lo, s22
	s_mov_b32 s17, -1
	s_delay_alu instid0(VALU_DEP_2) | instskip(NEXT) | instid1(VALU_DEP_2)
	v_fmac_f32_e32 v15, s11, v29
	v_fma_f32 v14, v29, s10, -v14
	s_wait_alu 0xfffe
	s_cbranch_vccnz .LBB520_35
; %bb.34:                               ;   in Loop: Header=BB520_8 Depth=1
	v_add_co_u32 v24, vcc_lo, v0, v8
	s_wait_alu 0xfffd
	v_add_co_ci_u32_e64 v25, null, v23, v9, vcc_lo
	s_mov_b32 s17, 0
	flat_load_b64 v[29:30], v[24:25]
	s_wait_loadcnt_dscnt 0x0
	v_mul_f32_e32 v26, s7, v30
	v_mul_f32_e32 v30, s6, v30
	s_delay_alu instid0(VALU_DEP_2) | instskip(NEXT) | instid1(VALU_DEP_1)
	v_fma_f32 v26, v29, s6, -v26
	v_dual_fmac_f32 v30, s7, v29 :: v_dual_add_f32 v29, v14, v26
	s_delay_alu instid0(VALU_DEP_1)
	v_add_f32_e32 v30, v15, v30
	flat_store_b64 v[24:25], v[29:30]
.LBB520_35:                             ;   in Loop: Header=BB520_8 Depth=1
	s_wait_alu 0xfffe
	s_and_not1_b32 vcc_lo, exec_lo, s17
	s_wait_alu 0xfffe
	s_cbranch_vccnz .LBB520_37
; %bb.36:                               ;   in Loop: Header=BB520_8 Depth=1
	v_add_co_u32 v24, vcc_lo, v0, v8
	s_wait_alu 0xfffd
	v_add_co_ci_u32_e64 v25, null, v23, v9, vcc_lo
	flat_store_b64 v[24:25], v[14:15]
.LBB520_37:                             ;   in Loop: Header=BB520_8 Depth=1
	s_wait_alu 0xfffe
	s_or_b32 exec_lo, exec_lo, s16
	s_and_saveexec_b32 s16, s35
	s_cbranch_execz .LBB520_7
; %bb.38:                               ;   in Loop: Header=BB520_8 Depth=1
	v_mul_f32_e32 v15, s10, v27
	v_mul_f32_e32 v14, s11, v27
	s_and_not1_b32 vcc_lo, exec_lo, s22
	s_mov_b32 s17, -1
	s_delay_alu instid0(VALU_DEP_2) | instskip(NEXT) | instid1(VALU_DEP_2)
	v_fmac_f32_e32 v15, s11, v28
	v_fma_f32 v14, v28, s10, -v14
	s_wait_alu 0xfffe
	s_cbranch_vccnz .LBB520_40
; %bb.39:                               ;   in Loop: Header=BB520_8 Depth=1
	v_add_co_u32 v24, vcc_lo, v0, v10
	s_wait_alu 0xfffd
	v_add_co_ci_u32_e64 v25, null, v23, v11, vcc_lo
	s_mov_b32 s17, 0
	flat_load_b64 v[26:27], v[24:25]
	s_wait_loadcnt_dscnt 0x0
	v_mul_f32_e32 v28, s7, v27
	v_mul_f32_e32 v27, s6, v27
	s_delay_alu instid0(VALU_DEP_1) | instskip(NEXT) | instid1(VALU_DEP_3)
	v_fmac_f32_e32 v27, s7, v26
	v_fma_f32 v28, v26, s6, -v28
	s_delay_alu instid0(VALU_DEP_1)
	v_dual_add_f32 v27, v15, v27 :: v_dual_add_f32 v26, v14, v28
	flat_store_b64 v[24:25], v[26:27]
.LBB520_40:                             ;   in Loop: Header=BB520_8 Depth=1
	s_wait_alu 0xfffe
	s_and_not1_b32 vcc_lo, exec_lo, s17
	s_wait_alu 0xfffe
	s_cbranch_vccnz .LBB520_7
; %bb.41:                               ;   in Loop: Header=BB520_8 Depth=1
	v_add_co_u32 v24, vcc_lo, v0, v10
	s_wait_alu 0xfffd
	v_add_co_ci_u32_e64 v25, null, v23, v11, vcc_lo
	flat_store_b64 v[24:25], v[14:15]
	s_branch .LBB520_7
.LBB520_42:
	s_endpgm
	.section	.rodata,"a",@progbits
	.p2align	6, 0x0
	.amdhsa_kernel _ZL29rocblas_internal_gemmt_kernelIlLi16ELi32ELi8ELc67ELc84ELc76ELb1ELb0E19rocblas_complex_numIfEPKS1_PKS3_PKPS1_EviT_T9_T10_S9_lSB_S9_lSA_T11_S9_li
		.amdhsa_group_segment_fixed_size 4096
		.amdhsa_private_segment_fixed_size 0
		.amdhsa_kernarg_size 108
		.amdhsa_user_sgpr_count 2
		.amdhsa_user_sgpr_dispatch_ptr 0
		.amdhsa_user_sgpr_queue_ptr 0
		.amdhsa_user_sgpr_kernarg_segment_ptr 1
		.amdhsa_user_sgpr_dispatch_id 0
		.amdhsa_user_sgpr_private_segment_size 0
		.amdhsa_wavefront_size32 1
		.amdhsa_uses_dynamic_stack 0
		.amdhsa_enable_private_segment 0
		.amdhsa_system_sgpr_workgroup_id_x 1
		.amdhsa_system_sgpr_workgroup_id_y 1
		.amdhsa_system_sgpr_workgroup_id_z 1
		.amdhsa_system_sgpr_workgroup_info 0
		.amdhsa_system_vgpr_workitem_id 1
		.amdhsa_next_free_vgpr 72
		.amdhsa_next_free_sgpr 39
		.amdhsa_reserve_vcc 1
		.amdhsa_float_round_mode_32 0
		.amdhsa_float_round_mode_16_64 0
		.amdhsa_float_denorm_mode_32 3
		.amdhsa_float_denorm_mode_16_64 3
		.amdhsa_fp16_overflow 0
		.amdhsa_workgroup_processor_mode 1
		.amdhsa_memory_ordered 1
		.amdhsa_forward_progress 1
		.amdhsa_inst_pref_size 26
		.amdhsa_round_robin_scheduling 0
		.amdhsa_exception_fp_ieee_invalid_op 0
		.amdhsa_exception_fp_denorm_src 0
		.amdhsa_exception_fp_ieee_div_zero 0
		.amdhsa_exception_fp_ieee_overflow 0
		.amdhsa_exception_fp_ieee_underflow 0
		.amdhsa_exception_fp_ieee_inexact 0
		.amdhsa_exception_int_div_zero 0
	.end_amdhsa_kernel
	.section	.text._ZL29rocblas_internal_gemmt_kernelIlLi16ELi32ELi8ELc67ELc84ELc76ELb1ELb0E19rocblas_complex_numIfEPKS1_PKS3_PKPS1_EviT_T9_T10_S9_lSB_S9_lSA_T11_S9_li,"axG",@progbits,_ZL29rocblas_internal_gemmt_kernelIlLi16ELi32ELi8ELc67ELc84ELc76ELb1ELb0E19rocblas_complex_numIfEPKS1_PKS3_PKPS1_EviT_T9_T10_S9_lSB_S9_lSA_T11_S9_li,comdat
.Lfunc_end520:
	.size	_ZL29rocblas_internal_gemmt_kernelIlLi16ELi32ELi8ELc67ELc84ELc76ELb1ELb0E19rocblas_complex_numIfEPKS1_PKS3_PKPS1_EviT_T9_T10_S9_lSB_S9_lSA_T11_S9_li, .Lfunc_end520-_ZL29rocblas_internal_gemmt_kernelIlLi16ELi32ELi8ELc67ELc84ELc76ELb1ELb0E19rocblas_complex_numIfEPKS1_PKS3_PKPS1_EviT_T9_T10_S9_lSB_S9_lSA_T11_S9_li
                                        ; -- End function
	.set _ZL29rocblas_internal_gemmt_kernelIlLi16ELi32ELi8ELc67ELc84ELc76ELb1ELb0E19rocblas_complex_numIfEPKS1_PKS3_PKPS1_EviT_T9_T10_S9_lSB_S9_lSA_T11_S9_li.num_vgpr, 72
	.set _ZL29rocblas_internal_gemmt_kernelIlLi16ELi32ELi8ELc67ELc84ELc76ELb1ELb0E19rocblas_complex_numIfEPKS1_PKS3_PKPS1_EviT_T9_T10_S9_lSB_S9_lSA_T11_S9_li.num_agpr, 0
	.set _ZL29rocblas_internal_gemmt_kernelIlLi16ELi32ELi8ELc67ELc84ELc76ELb1ELb0E19rocblas_complex_numIfEPKS1_PKS3_PKPS1_EviT_T9_T10_S9_lSB_S9_lSA_T11_S9_li.numbered_sgpr, 39
	.set _ZL29rocblas_internal_gemmt_kernelIlLi16ELi32ELi8ELc67ELc84ELc76ELb1ELb0E19rocblas_complex_numIfEPKS1_PKS3_PKPS1_EviT_T9_T10_S9_lSB_S9_lSA_T11_S9_li.num_named_barrier, 0
	.set _ZL29rocblas_internal_gemmt_kernelIlLi16ELi32ELi8ELc67ELc84ELc76ELb1ELb0E19rocblas_complex_numIfEPKS1_PKS3_PKPS1_EviT_T9_T10_S9_lSB_S9_lSA_T11_S9_li.private_seg_size, 0
	.set _ZL29rocblas_internal_gemmt_kernelIlLi16ELi32ELi8ELc67ELc84ELc76ELb1ELb0E19rocblas_complex_numIfEPKS1_PKS3_PKPS1_EviT_T9_T10_S9_lSB_S9_lSA_T11_S9_li.uses_vcc, 1
	.set _ZL29rocblas_internal_gemmt_kernelIlLi16ELi32ELi8ELc67ELc84ELc76ELb1ELb0E19rocblas_complex_numIfEPKS1_PKS3_PKPS1_EviT_T9_T10_S9_lSB_S9_lSA_T11_S9_li.uses_flat_scratch, 0
	.set _ZL29rocblas_internal_gemmt_kernelIlLi16ELi32ELi8ELc67ELc84ELc76ELb1ELb0E19rocblas_complex_numIfEPKS1_PKS3_PKPS1_EviT_T9_T10_S9_lSB_S9_lSA_T11_S9_li.has_dyn_sized_stack, 0
	.set _ZL29rocblas_internal_gemmt_kernelIlLi16ELi32ELi8ELc67ELc84ELc76ELb1ELb0E19rocblas_complex_numIfEPKS1_PKS3_PKPS1_EviT_T9_T10_S9_lSB_S9_lSA_T11_S9_li.has_recursion, 0
	.set _ZL29rocblas_internal_gemmt_kernelIlLi16ELi32ELi8ELc67ELc84ELc76ELb1ELb0E19rocblas_complex_numIfEPKS1_PKS3_PKPS1_EviT_T9_T10_S9_lSB_S9_lSA_T11_S9_li.has_indirect_call, 0
	.section	.AMDGPU.csdata,"",@progbits
; Kernel info:
; codeLenInByte = 3304
; TotalNumSgprs: 41
; NumVgprs: 72
; ScratchSize: 0
; MemoryBound: 0
; FloatMode: 240
; IeeeMode: 1
; LDSByteSize: 4096 bytes/workgroup (compile time only)
; SGPRBlocks: 0
; VGPRBlocks: 8
; NumSGPRsForWavesPerEU: 41
; NumVGPRsForWavesPerEU: 72
; Occupancy: 16
; WaveLimiterHint : 1
; COMPUTE_PGM_RSRC2:SCRATCH_EN: 0
; COMPUTE_PGM_RSRC2:USER_SGPR: 2
; COMPUTE_PGM_RSRC2:TRAP_HANDLER: 0
; COMPUTE_PGM_RSRC2:TGID_X_EN: 1
; COMPUTE_PGM_RSRC2:TGID_Y_EN: 1
; COMPUTE_PGM_RSRC2:TGID_Z_EN: 1
; COMPUTE_PGM_RSRC2:TIDIG_COMP_CNT: 1
	.section	.text._ZL29rocblas_internal_gemmt_kernelIlLi16ELi32ELi8ELc67ELc67ELc76ELb1ELb1E19rocblas_complex_numIfEPKS1_PKS3_PKPS1_EviT_T9_T10_S9_lSB_S9_lSA_T11_S9_li,"axG",@progbits,_ZL29rocblas_internal_gemmt_kernelIlLi16ELi32ELi8ELc67ELc67ELc76ELb1ELb1E19rocblas_complex_numIfEPKS1_PKS3_PKPS1_EviT_T9_T10_S9_lSB_S9_lSA_T11_S9_li,comdat
	.globl	_ZL29rocblas_internal_gemmt_kernelIlLi16ELi32ELi8ELc67ELc67ELc76ELb1ELb1E19rocblas_complex_numIfEPKS1_PKS3_PKPS1_EviT_T9_T10_S9_lSB_S9_lSA_T11_S9_li ; -- Begin function _ZL29rocblas_internal_gemmt_kernelIlLi16ELi32ELi8ELc67ELc67ELc76ELb1ELb1E19rocblas_complex_numIfEPKS1_PKS3_PKPS1_EviT_T9_T10_S9_lSB_S9_lSA_T11_S9_li
	.p2align	8
	.type	_ZL29rocblas_internal_gemmt_kernelIlLi16ELi32ELi8ELc67ELc67ELc76ELb1ELb1E19rocblas_complex_numIfEPKS1_PKS3_PKPS1_EviT_T9_T10_S9_lSB_S9_lSA_T11_S9_li,@function
_ZL29rocblas_internal_gemmt_kernelIlLi16ELi32ELi8ELc67ELc67ELc76ELb1ELb1E19rocblas_complex_numIfEPKS1_PKS3_PKPS1_EviT_T9_T10_S9_lSB_S9_lSA_T11_S9_li: ; @_ZL29rocblas_internal_gemmt_kernelIlLi16ELi32ELi8ELc67ELc67ELc76ELb1ELb1E19rocblas_complex_numIfEPKS1_PKS3_PKPS1_EviT_T9_T10_S9_lSB_S9_lSA_T11_S9_li
; %bb.0:
	s_load_b256 s[24:31], s[0:1], 0x48
	s_wait_kmcnt 0x0
	s_load_b64 s[6:7], s[24:25], 0x0
	s_load_b512 s[8:23], s[0:1], 0x8
	s_wait_kmcnt 0x0
	s_cmp_eq_f32 s6, 1.0
	s_load_b64 s[10:11], s[10:11], 0x0
	s_cselect_b32 s3, -1, 0
	s_and_b32 s2, s7, 0x7fffffff
	s_delay_alu instid0(SALU_CYCLE_1) | instskip(SKIP_1) | instid1(SALU_CYCLE_1)
	s_cmp_eq_u32 s2, 0
	s_cselect_b32 s2, -1, 0
	s_and_b32 s4, s3, s2
	s_mov_b32 s3, 0
	s_and_not1_b32 vcc_lo, exec_lo, s4
	s_mov_b32 s4, -1
	s_cbranch_vccnz .LBB521_4
; %bb.1:
	s_cmp_lg_u64 s[8:9], 0
	s_cbranch_scc0 .LBB521_3
; %bb.2:
	s_wait_kmcnt 0x0
	s_cmp_neq_f32 s10, 0
	s_cselect_b32 s3, -1, 0
	s_cmp_neq_f32 s11, 0
	s_cselect_b32 s4, -1, 0
	s_delay_alu instid0(SALU_CYCLE_1)
	s_or_b32 s3, s3, s4
.LBB521_3:
	s_delay_alu instid0(SALU_CYCLE_1)
	s_mov_b32 s4, s3
.LBB521_4:
	s_delay_alu instid0(SALU_CYCLE_1)
	s_and_b32 vcc_lo, exec_lo, s4
	s_cbranch_vccz .LBB521_42
; %bb.5:
	s_load_b32 s33, s[0:1], 0x68
	s_lshr_b32 s24, ttmp7, 16
	s_wait_kmcnt 0x0
	s_cmp_ge_u32 s24, s33
	s_cbranch_scc1 .LBB521_42
; %bb.6:
	v_bfe_u32 v10, v0, 10, 10
	s_load_b32 s4, s[0:1], 0x0
	s_lshl_b32 s0, ttmp7, 5
	s_lshl_b32 s1, ttmp9, 5
	s_and_b32 s3, s0, 0x1fffe0
	s_cmp_neq_f32 s10, 0
	v_add_nc_u32_e32 v11, s3, v10
	v_and_b32_e32 v16, 7, v0
	v_lshl_add_u32 v21, v10, 6, 0x800
	s_cselect_b32 s0, -1, 0
	s_cmp_neq_f32 s11, 0
	v_mad_co_u64_u32 v[4:5], null, s28, v11, 0
	v_and_b32_e32 v9, 0x3ff, v0
	s_cselect_b32 s5, -1, 0
	v_add_nc_u32_e32 v15, 16, v11
	s_or_b32 s37, s0, s5
	v_cmp_gt_i64_e64 s36, s[8:9], 0
	v_lshl_add_u32 v1, v10, 4, v9
	s_mov_b32 s25, 0
	s_delay_alu instid0(VALU_DEP_1) | instskip(SKIP_2) | instid1(VALU_DEP_3)
	v_and_b32_e32 v0, 31, v1
	v_lshrrev_b32_e32 v6, 3, v1
	v_lshrrev_b32_e32 v17, 5, v1
	v_or_b32_e32 v2, s1, v0
	s_delay_alu instid0(VALU_DEP_3)
	v_add_nc_u32_e32 v14, s3, v6
	s_ashr_i32 s3, s1, 31
	v_lshlrev_b32_e32 v0, 3, v0
	s_wait_alu 0xfffe
	s_mul_i32 s3, s14, s3
	s_wait_kmcnt 0x0
	v_cmp_gt_i32_e64 s0, s4, v2
	v_cmp_le_i32_e64 s34, s4, v2
	v_mul_lo_u32 v1, s15, v2
	v_mad_co_u64_u32 v[2:3], null, s14, v2, 0
	v_lshl_or_b32 v18, v17, 8, v0
	v_mov_b32_e32 v0, v5
	v_add_nc_u32_e32 v8, s1, v9
	s_cmp_neq_f32 s6, 0
	v_lshlrev_b32_e32 v20, 3, v9
	v_cmp_gt_i32_e32 vcc_lo, s4, v14
	s_wait_alu 0xfffe
	v_add3_u32 v3, v3, s3, v1
	v_mov_b32_e32 v1, 0
	v_lshlrev_b32_e32 v7, 3, v16
	v_add_nc_u32_e32 v10, 16, v8
	s_cselect_b32 s14, -1, 0
	s_xor_b32 s15, s2, -1
	v_cmp_gt_i32_e64 s2, s4, v8
	v_lshl_or_b32 v6, v6, 6, v7
	v_ashrrev_i32_e32 v9, 31, v8
	v_cmp_gt_i32_e64 s4, s4, v10
	v_cmp_le_i32_e64 s5, v15, v10
	v_lshlrev_b64_e32 v[2:3], 3, v[2:3]
	v_add_nc_u32_e32 v19, 0x800, v6
	v_mad_co_u64_u32 v[5:6], null, s29, v11, v[0:1]
	v_mad_co_u64_u32 v[6:7], null, s28, v15, 0
	v_lshlrev_b32_e32 v22, 3, v14
	s_and_b32 s35, s5, s4
	s_and_b32 s36, s37, s36
	s_delay_alu instid0(VALU_DEP_3) | instskip(NEXT) | instid1(VALU_DEP_3)
	v_lshlrev_b64_e32 v[4:5], 3, v[4:5]
	v_mov_b32_e32 v0, v7
	v_cmp_le_i32_e64 s1, v11, v8
	v_cmp_le_i32_e64 s3, v11, v10
	v_ashrrev_i32_e32 v11, 31, v10
	s_delay_alu instid0(VALU_DEP_4)
	v_mad_co_u64_u32 v[12:13], null, s29, v15, v[0:1]
	s_and_b32 s28, s1, s2
	v_cmp_le_i32_e64 s1, v15, v8
	v_lshlrev_b64_e32 v[8:9], 3, v[8:9]
	v_lshlrev_b64_e32 v[10:11], 3, v[10:11]
	s_and_b32 s29, s3, s4
	s_lshl_b64 s[4:5], s[16:17], 3
	v_mov_b32_e32 v7, v12
	s_and_b32 s1, s1, s2
	s_lshl_b64 s[2:3], s[22:23], 3
	s_wait_alu 0xfffe
	s_or_b32 s22, s14, s15
	s_xor_b32 s23, vcc_lo, -1
	v_lshlrev_b64_e32 v[6:7], 3, v[6:7]
	s_lshl_b64 s[14:15], s[30:31], 3
                                        ; implicit-def: $vgpr12_vgpr13
	s_branch .LBB521_8
.LBB521_7:                              ;   in Loop: Header=BB521_8 Depth=1
	s_wait_alu 0xfffe
	s_or_b32 exec_lo, exec_lo, s16
	s_add_co_i32 s24, s24, 0x10000
	s_delay_alu instid0(SALU_CYCLE_1)
	s_cmp_lt_u32 s24, s33
	s_cbranch_scc0 .LBB521_42
.LBB521_8:                              ; =>This Loop Header: Depth=1
                                        ;     Child Loop BB521_11 Depth 2
	s_lshl_b64 s[16:17], s[24:25], 3
	s_and_not1_b32 vcc_lo, exec_lo, s36
	s_wait_alu 0xfffe
	s_add_nc_u64 s[30:31], s[26:27], s[16:17]
	global_load_b64 v[14:15], v1, s[30:31]
	s_cbranch_vccnz .LBB521_21
; %bb.9:                                ;   in Loop: Header=BB521_8 Depth=1
	s_add_nc_u64 s[30:31], s[12:13], s[16:17]
	s_add_nc_u64 s[16:17], s[18:19], s[16:17]
	s_clause 0x1
	global_load_b64 v[23:24], v1, s[30:31]
	global_load_b64 v[25:26], v1, s[16:17]
	v_dual_mov_b32 v27, 0 :: v_dual_mov_b32 v28, 0
	v_dual_mov_b32 v30, 0 :: v_dual_mov_b32 v29, 0
	;; [unrolled: 1-line block ×4, first 2 shown]
	s_mov_b64 s[16:17], 0
	s_wait_loadcnt 0x1
	v_add_co_u32 v0, vcc_lo, v23, s4
	s_wait_alu 0xfffd
	v_add_co_ci_u32_e64 v24, null, s5, v24, vcc_lo
	s_wait_loadcnt 0x0
	v_add_co_u32 v25, vcc_lo, v25, s2
	s_wait_alu 0xfffd
	v_add_co_ci_u32_e64 v26, null, s3, v26, vcc_lo
	v_add_co_u32 v23, vcc_lo, v0, v2
	s_wait_alu 0xfffd
	v_add_co_ci_u32_e64 v24, null, v24, v3, vcc_lo
	;; [unrolled: 3-line block ×3, first 2 shown]
	s_branch .LBB521_11
.LBB521_10:                             ;   in Loop: Header=BB521_11 Depth=2
	s_or_b32 exec_lo, exec_lo, s30
	ds_store_b32 v19, v35 offset:4
	s_wait_dscnt 0x0
	s_barrier_signal -1
	s_barrier_wait -1
	global_inv scope:SCOPE_SE
	ds_load_b128 v[35:38], v21
	ds_load_2addr_b64 v[39:42], v20 offset1:16
	ds_load_b128 v[43:46], v21 offset:1024
	ds_load_b128 v[47:50], v21 offset:16
	;; [unrolled: 1-line block ×4, first 2 shown]
	ds_load_2addr_b64 v[59:62], v20 offset0:32 offset1:48
	ds_load_b128 v[63:66], v21 offset:1040
	s_add_nc_u64 s[16:17], s[16:17], 8
	s_wait_alu 0xfffe
	v_cmp_gt_i64_e64 s30, s[8:9], s[16:17]
	s_and_b32 vcc_lo, exec_lo, s30
	s_wait_dscnt 0x6
	v_dual_mul_f32 v0, v36, v40 :: v_dual_mul_f32 v69, v35, v42
	v_dual_mul_f32 v67, v35, v40 :: v_dual_mul_f32 v68, v36, v42
	s_wait_dscnt 0x5
	v_mul_f32_e32 v71, v44, v42
	s_delay_alu instid0(VALU_DEP_3) | instskip(SKIP_3) | instid1(VALU_DEP_4)
	v_fma_f32 v0, v35, v39, -v0
	v_dual_mul_f32 v42, v43, v42 :: v_dual_fmac_f32 v69, v36, v41
	v_fmac_f32_e32 v67, v36, v39
	v_fma_f32 v35, v35, v41, -v68
	v_add_f32_e32 v0, v33, v0
	v_mul_f32_e32 v70, v44, v40
	s_delay_alu instid0(VALU_DEP_4) | instskip(NEXT) | instid1(VALU_DEP_4)
	v_dual_mul_f32 v40, v43, v40 :: v_dual_add_f32 v33, v34, v67
	v_add_f32_e32 v34, v31, v35
	v_fma_f32 v31, v43, v41, -v71
	s_delay_alu instid0(VALU_DEP_4) | instskip(NEXT) | instid1(VALU_DEP_4)
	v_fma_f32 v36, v43, v39, -v70
	v_fmac_f32_e32 v40, v44, v39
	s_wait_dscnt 0x1
	v_dual_add_f32 v32, v32, v69 :: v_dual_mul_f32 v39, v38, v60
	v_dual_fmac_f32 v42, v44, v41 :: v_dual_mul_f32 v43, v38, v62
	v_add_f32_e32 v35, v29, v36
	v_add_f32_e32 v36, v30, v40
	v_dual_add_f32 v40, v28, v31 :: v_dual_mul_f32 v41, v37, v60
	ds_load_2addr_b64 v[28:31], v20 offset0:64 offset1:80
	v_fma_f32 v39, v37, v59, -v39
	v_add_f32_e32 v27, v27, v42
	v_dual_mul_f32 v42, v37, v62 :: v_dual_fmac_f32 v41, v38, v59
	v_fma_f32 v37, v37, v61, -v43
	s_delay_alu instid0(VALU_DEP_4) | instskip(NEXT) | instid1(VALU_DEP_3)
	v_dual_add_f32 v0, v0, v39 :: v_dual_mul_f32 v39, v46, v60
	v_fmac_f32_e32 v42, v38, v61
	s_delay_alu instid0(VALU_DEP_4)
	v_add_f32_e32 v41, v33, v41
	v_mul_f32_e32 v33, v45, v60
	v_add_f32_e32 v37, v34, v37
	v_fma_f32 v34, v45, v59, -v39
	v_mul_f32_e32 v38, v46, v62
	v_add_f32_e32 v39, v32, v42
	v_dual_mul_f32 v42, v45, v62 :: v_dual_fmac_f32 v33, v46, v59
	s_delay_alu instid0(VALU_DEP_4) | instskip(NEXT) | instid1(VALU_DEP_4)
	v_add_f32_e32 v43, v35, v34
	v_fma_f32 v32, v45, v61, -v38
	s_wait_dscnt 0x0
	v_mul_f32_e32 v34, v48, v29
	v_dual_fmac_f32 v42, v46, v61 :: v_dual_mul_f32 v45, v48, v31
	s_delay_alu instid0(VALU_DEP_3) | instskip(SKIP_1) | instid1(VALU_DEP_4)
	v_add_f32_e32 v40, v40, v32
	v_add_f32_e32 v36, v36, v33
	v_fma_f32 v44, v47, v28, -v34
	s_delay_alu instid0(VALU_DEP_4)
	v_add_f32_e32 v42, v27, v42
	v_mul_f32_e32 v27, v47, v31
	v_mul_f32_e32 v38, v47, v29
	ds_load_2addr_b64 v[32:35], v20 offset0:96 offset1:112
	v_add_f32_e32 v0, v0, v44
	v_fma_f32 v44, v47, v30, -v45
	v_fmac_f32_e32 v27, v48, v30
	v_fmac_f32_e32 v38, v48, v28
	s_delay_alu instid0(VALU_DEP_3) | instskip(NEXT) | instid1(VALU_DEP_2)
	v_dual_add_f32 v37, v37, v44 :: v_dual_mul_f32 v44, v64, v31
	v_dual_add_f32 v38, v41, v38 :: v_dual_mul_f32 v41, v64, v29
	v_mul_f32_e32 v29, v63, v29
	v_mul_f32_e32 v31, v63, v31
	v_add_f32_e32 v45, v39, v27
	v_fma_f32 v27, v63, v30, -v44
	v_fma_f32 v41, v63, v28, -v41
	v_fmac_f32_e32 v29, v64, v28
	v_fmac_f32_e32 v31, v64, v30
	s_delay_alu instid0(VALU_DEP_3) | instskip(SKIP_1) | instid1(VALU_DEP_3)
	v_dual_add_f32 v40, v40, v27 :: v_dual_add_f32 v41, v43, v41
	s_wait_dscnt 0x0
	v_dual_add_f32 v43, v36, v29 :: v_dual_mul_f32 v44, v50, v35
	ds_load_2addr_b64 v[27:30], v20 offset0:128 offset1:144
	v_mul_f32_e32 v36, v50, v33
	v_mul_f32_e32 v48, v66, v35
	v_fma_f32 v44, v49, v34, -v44
	s_delay_alu instid0(VALU_DEP_3) | instskip(NEXT) | instid1(VALU_DEP_1)
	v_fma_f32 v36, v49, v32, -v36
	v_add_f32_e32 v0, v0, v36
	v_mul_f32_e32 v36, v66, v33
	v_dual_mul_f32 v39, v49, v33 :: v_dual_add_f32 v42, v42, v31
	v_mul_f32_e32 v31, v49, v35
	v_mul_f32_e32 v33, v65, v33
	s_delay_alu instid0(VALU_DEP_4) | instskip(NEXT) | instid1(VALU_DEP_2)
	v_fma_f32 v47, v65, v32, -v36
	v_fmac_f32_e32 v33, v66, v32
	v_fmac_f32_e32 v39, v50, v32
	s_wait_dscnt 0x0
	v_dual_mul_f32 v32, v52, v28 :: v_dual_fmac_f32 v31, v50, v34
	s_delay_alu instid0(VALU_DEP_1) | instskip(SKIP_1) | instid1(VALU_DEP_2)
	v_dual_mul_f32 v50, v51, v28 :: v_dual_add_f32 v45, v45, v31
	v_fma_f32 v31, v65, v34, -v48
	v_fmac_f32_e32 v50, v52, v27
	v_add_f32_e32 v48, v43, v33
	v_add_f32_e32 v46, v38, v39
	;; [unrolled: 1-line block ×4, first 2 shown]
	v_fma_f32 v40, v51, v27, -v32
	v_mul_f32_e32 v35, v65, v35
	v_mul_f32_e32 v41, v52, v30
	v_add_f32_e32 v46, v46, v50
	s_delay_alu instid0(VALU_DEP_4) | instskip(NEXT) | instid1(VALU_DEP_4)
	v_add_f32_e32 v0, v0, v40
	v_dual_add_f32 v44, v37, v44 :: v_dual_fmac_f32 v35, v66, v34
	ds_load_b128 v[36:39], v21 offset:1056
	ds_load_2addr_b64 v[31:34], v20 offset0:160 offset1:176
	v_fma_f32 v59, v51, v29, -v41
	v_mul_f32_e32 v51, v51, v30
	v_add_f32_e32 v35, v42, v35
	ds_load_b128 v[40:43], v21 offset:1072
	v_add_f32_e32 v44, v44, v59
	s_wait_dscnt 0x2
	v_dual_fmac_f32 v51, v52, v29 :: v_dual_mul_f32 v52, v37, v30
	v_mul_f32_e32 v60, v37, v28
	v_mul_f32_e32 v28, v36, v28
	s_delay_alu instid0(VALU_DEP_2) | instskip(NEXT) | instid1(VALU_DEP_2)
	v_fma_f32 v50, v36, v27, -v60
	v_fmac_f32_e32 v28, v37, v27
	v_add_f32_e32 v45, v45, v51
	v_mul_f32_e32 v51, v36, v30
	v_fma_f32 v27, v36, v29, -v52
	s_delay_alu instid0(VALU_DEP_4) | instskip(SKIP_1) | instid1(VALU_DEP_3)
	v_dual_add_f32 v47, v47, v50 :: v_dual_add_f32 v36, v48, v28
	s_wait_dscnt 0x1
	v_dual_mul_f32 v48, v54, v32 :: v_dual_fmac_f32 v51, v37, v29
	v_dual_mul_f32 v50, v54, v34 :: v_dual_mul_f32 v37, v53, v32
	s_delay_alu instid0(VALU_DEP_2) | instskip(SKIP_4) | instid1(VALU_DEP_1)
	v_fma_f32 v48, v53, v31, -v48
	v_add_f32_e32 v49, v49, v27
	ds_load_2addr_b64 v[27:30], v20 offset0:192 offset1:208
	v_add_f32_e32 v0, v0, v48
	v_fma_f32 v48, v53, v33, -v50
	v_add_f32_e32 v44, v44, v48
	v_dual_mul_f32 v48, v39, v34 :: v_dual_fmac_f32 v37, v54, v31
	v_add_f32_e32 v51, v35, v51
	s_delay_alu instid0(VALU_DEP_2) | instskip(SKIP_2) | instid1(VALU_DEP_3)
	v_dual_mul_f32 v35, v53, v34 :: v_dual_add_f32 v46, v46, v37
	v_mul_f32_e32 v37, v39, v32
	v_mul_f32_e32 v32, v38, v32
	v_fmac_f32_e32 v35, v54, v33
	s_delay_alu instid0(VALU_DEP_3) | instskip(NEXT) | instid1(VALU_DEP_3)
	v_fma_f32 v37, v38, v31, -v37
	v_dual_fmac_f32 v32, v39, v31 :: v_dual_mul_f32 v31, v38, v34
	v_fma_f32 v34, v38, v33, -v48
	s_wait_dscnt 0x0
	v_dual_add_f32 v45, v45, v35 :: v_dual_mul_f32 v48, v56, v30
	s_delay_alu instid0(VALU_DEP_3) | instskip(NEXT) | instid1(VALU_DEP_3)
	v_dual_add_f32 v32, v36, v32 :: v_dual_fmac_f32 v31, v39, v33
	v_dual_add_f32 v33, v49, v34 :: v_dual_mul_f32 v34, v55, v28
	v_add_f32_e32 v47, v47, v37
	s_delay_alu instid0(VALU_DEP_4) | instskip(NEXT) | instid1(VALU_DEP_3)
	v_fma_f32 v48, v55, v29, -v48
	v_dual_mul_f32 v49, v41, v28 :: v_dual_fmac_f32 v34, v56, v27
	v_mul_f32_e32 v35, v56, v28
	v_mul_f32_e32 v28, v40, v28
	s_delay_alu instid0(VALU_DEP_4)
	v_add_f32_e32 v44, v44, v48
	v_mul_f32_e32 v48, v41, v30
	v_add_f32_e32 v34, v46, v34
	v_fma_f32 v39, v55, v27, -v35
	ds_load_2addr_b64 v[35:38], v20 offset0:224 offset1:240
	v_fmac_f32_e32 v28, v41, v27
	s_wait_loadcnt_dscnt 0x0
	s_barrier_signal -1
	v_dual_add_f32 v0, v0, v39 :: v_dual_mul_f32 v39, v55, v30
	v_dual_add_f32 v31, v51, v31 :: v_dual_mul_f32 v30, v40, v30
	v_fma_f32 v46, v40, v27, -v49
	v_fma_f32 v40, v40, v29, -v48
	s_delay_alu instid0(VALU_DEP_4)
	v_fmac_f32_e32 v39, v56, v29
	v_add_f32_e32 v28, v32, v28
	v_fmac_f32_e32 v30, v41, v29
	s_barrier_wait -1
	v_add_f32_e32 v40, v33, v40
	v_add_f32_e32 v27, v45, v39
	;; [unrolled: 1-line block ×3, first 2 shown]
	global_inv scope:SCOPE_SE
	v_mul_f32_e32 v32, v58, v36
	v_mul_f32_e32 v33, v58, v38
	v_add_f32_e32 v41, v31, v30
	s_delay_alu instid0(VALU_DEP_3) | instskip(SKIP_1) | instid1(VALU_DEP_4)
	v_fma_f32 v32, v57, v35, -v32
	v_mul_f32_e32 v30, v57, v38
	v_fma_f32 v31, v57, v37, -v33
	s_delay_alu instid0(VALU_DEP_3) | instskip(NEXT) | instid1(VALU_DEP_3)
	v_add_f32_e32 v33, v0, v32
	v_dual_mul_f32 v29, v57, v36 :: v_dual_fmac_f32 v30, v58, v37
	s_delay_alu instid0(VALU_DEP_3) | instskip(NEXT) | instid1(VALU_DEP_2)
	v_dual_mul_f32 v0, v43, v36 :: v_dual_add_f32 v31, v44, v31
	v_dual_mul_f32 v44, v43, v38 :: v_dual_fmac_f32 v29, v58, v35
	s_delay_alu instid0(VALU_DEP_3) | instskip(NEXT) | instid1(VALU_DEP_3)
	v_add_f32_e32 v32, v27, v30
	v_fma_f32 v0, v42, v35, -v0
	v_mul_f32_e32 v38, v42, v38
	s_delay_alu instid0(VALU_DEP_2) | instskip(NEXT) | instid1(VALU_DEP_2)
	v_dual_add_f32 v34, v34, v29 :: v_dual_add_f32 v29, v39, v0
	v_fmac_f32_e32 v38, v43, v37
	v_mul_f32_e32 v36, v42, v36
	v_fma_f32 v0, v42, v37, -v44
	s_delay_alu instid0(VALU_DEP_2) | instskip(NEXT) | instid1(VALU_DEP_1)
	v_dual_add_f32 v27, v41, v38 :: v_dual_fmac_f32 v36, v43, v35
	v_add_f32_e32 v30, v28, v36
	s_delay_alu instid0(VALU_DEP_3)
	v_add_f32_e32 v28, v40, v0
	s_wait_alu 0xfffe
	s_cbranch_vccz .LBB521_22
.LBB521_11:                             ;   Parent Loop BB521_8 Depth=1
                                        ; =>  This Inner Loop Header: Depth=2
	s_mov_b32 s30, 0
	s_mov_b32 s37, s34
	s_and_saveexec_b32 s31, s0
	s_cbranch_execnz .LBB521_19
; %bb.12:                               ;   in Loop: Header=BB521_11 Depth=2
	s_or_b32 exec_lo, exec_lo, s31
	s_and_saveexec_b32 s31, s37
	s_delay_alu instid0(SALU_CYCLE_1)
	s_xor_b32 s31, exec_lo, s31
	s_cbranch_execnz .LBB521_20
.LBB521_13:                             ;   in Loop: Header=BB521_11 Depth=2
	s_or_b32 exec_lo, exec_lo, s31
	v_mov_b32_e32 v35, 0
	s_and_saveexec_b32 s31, s30
	s_cbranch_execz .LBB521_15
.LBB521_14:                             ;   in Loop: Header=BB521_11 Depth=2
	v_lshlrev_b64_e32 v[35:36], 3, v[12:13]
	s_delay_alu instid0(VALU_DEP_1) | instskip(SKIP_1) | instid1(VALU_DEP_2)
	v_add_co_u32 v35, vcc_lo, v23, v35
	s_wait_alu 0xfffd
	v_add_co_ci_u32_e64 v36, null, v24, v36, vcc_lo
	flat_load_b64 v[36:37], v[35:36]
	s_wait_loadcnt_dscnt 0x0
	v_xor_b32_e32 v35, 0x80000000, v37
	ds_store_b32 v18, v36
.LBB521_15:                             ;   in Loop: Header=BB521_11 Depth=2
	s_or_b32 exec_lo, exec_lo, s31
	s_wait_alu 0xfffe
	v_add_nc_u32_e32 v0, s16, v16
	ds_store_b32 v18, v35 offset:4
	v_cmp_le_u64_e32 vcc_lo, s[8:9], v[0:1]
	s_or_b32 s30, vcc_lo, s23
	s_delay_alu instid0(SALU_CYCLE_1) | instskip(NEXT) | instid1(SALU_CYCLE_1)
	s_and_saveexec_b32 s31, s30
	s_xor_b32 s30, exec_lo, s31
; %bb.16:                               ;   in Loop: Header=BB521_11 Depth=2
	ds_store_b32 v19, v1
; %bb.17:                               ;   in Loop: Header=BB521_11 Depth=2
	s_or_saveexec_b32 s30, s30
	v_mov_b32_e32 v35, 0
	s_xor_b32 exec_lo, exec_lo, s30
	s_cbranch_execz .LBB521_10
; %bb.18:                               ;   in Loop: Header=BB521_11 Depth=2
	v_mad_co_u64_u32 v[35:36], null, s20, v0, 0
	s_delay_alu instid0(VALU_DEP_1) | instskip(NEXT) | instid1(VALU_DEP_1)
	v_mad_co_u64_u32 v[36:37], null, s21, v0, v[36:37]
	v_lshlrev_b64_e32 v[35:36], 3, v[35:36]
	s_delay_alu instid0(VALU_DEP_1) | instskip(SKIP_1) | instid1(VALU_DEP_2)
	v_add_co_u32 v35, vcc_lo, v25, v35
	s_wait_alu 0xfffd
	v_add_co_ci_u32_e64 v36, null, v26, v36, vcc_lo
	flat_load_b64 v[36:37], v[35:36]
	s_wait_loadcnt_dscnt 0x0
	v_xor_b32_e32 v35, 0x80000000, v37
	ds_store_b32 v19, v36
	s_branch .LBB521_10
.LBB521_19:                             ;   in Loop: Header=BB521_11 Depth=2
	s_wait_alu 0xfffe
	v_add_nc_u32_e32 v0, s16, v17
	v_mov_b32_e32 v13, v1
	s_and_not1_b32 s37, s34, exec_lo
	s_mov_b32 s30, exec_lo
	s_delay_alu instid0(VALU_DEP_2) | instskip(SKIP_2) | instid1(SALU_CYCLE_1)
	v_cmp_le_u64_e32 vcc_lo, s[8:9], v[0:1]
	v_mov_b32_e32 v12, v0
	s_and_b32 s38, vcc_lo, exec_lo
	s_or_b32 s37, s37, s38
	s_or_b32 exec_lo, exec_lo, s31
	s_and_saveexec_b32 s31, s37
	s_delay_alu instid0(SALU_CYCLE_1)
	s_xor_b32 s31, exec_lo, s31
	s_cbranch_execz .LBB521_13
.LBB521_20:                             ;   in Loop: Header=BB521_11 Depth=2
	s_and_not1_b32 s30, s30, exec_lo
	ds_store_b32 v18, v1
	s_or_b32 exec_lo, exec_lo, s31
	v_mov_b32_e32 v35, 0
	s_and_saveexec_b32 s31, s30
	s_cbranch_execnz .LBB521_14
	s_branch .LBB521_15
.LBB521_21:                             ;   in Loop: Header=BB521_8 Depth=1
	v_dual_mov_b32 v33, v1 :: v_dual_mov_b32 v34, v1
	v_dual_mov_b32 v31, v1 :: v_dual_mov_b32 v32, v1
	;; [unrolled: 1-line block ×4, first 2 shown]
.LBB521_22:                             ;   in Loop: Header=BB521_8 Depth=1
	s_wait_loadcnt 0x0
	s_wait_alu 0xfffe
	v_add_co_u32 v0, vcc_lo, v14, s14
	s_wait_alu 0xfffd
	v_add_co_ci_u32_e64 v23, null, s15, v15, vcc_lo
	s_delay_alu instid0(VALU_DEP_2) | instskip(SKIP_1) | instid1(VALU_DEP_2)
	v_add_co_u32 v24, vcc_lo, v0, v4
	s_wait_alu 0xfffd
	v_add_co_ci_u32_e64 v25, null, v23, v5, vcc_lo
	s_and_saveexec_b32 s16, s28
	s_cbranch_execz .LBB521_27
; %bb.23:                               ;   in Loop: Header=BB521_8 Depth=1
	v_mul_f32_e32 v15, s10, v34
	v_mul_f32_e32 v14, s11, v34
	s_and_b32 vcc_lo, exec_lo, s22
	s_mov_b32 s17, -1
	s_delay_alu instid0(VALU_DEP_2) | instskip(NEXT) | instid1(VALU_DEP_2)
	v_fmac_f32_e32 v15, s11, v33
	v_fma_f32 v14, v33, s10, -v14
	s_wait_alu 0xfffe
	s_cbranch_vccz .LBB521_25
; %bb.24:                               ;   in Loop: Header=BB521_8 Depth=1
	v_add_co_u32 v33, vcc_lo, v24, v8
	s_wait_alu 0xfffd
	v_add_co_ci_u32_e64 v34, null, v25, v9, vcc_lo
	s_mov_b32 s17, 0
	flat_load_b64 v[35:36], v[33:34]
	s_wait_loadcnt_dscnt 0x0
	v_mul_f32_e32 v26, s7, v36
	s_delay_alu instid0(VALU_DEP_1) | instskip(SKIP_1) | instid1(VALU_DEP_1)
	v_fma_f32 v26, v35, s6, -v26
	v_mul_f32_e32 v36, s6, v36
	v_dual_fmac_f32 v36, s7, v35 :: v_dual_add_f32 v35, v14, v26
	s_delay_alu instid0(VALU_DEP_1)
	v_add_f32_e32 v36, v15, v36
	flat_store_b64 v[33:34], v[35:36]
.LBB521_25:                             ;   in Loop: Header=BB521_8 Depth=1
	s_wait_alu 0xfffe
	s_and_not1_b32 vcc_lo, exec_lo, s17
	s_wait_alu 0xfffe
	s_cbranch_vccnz .LBB521_27
; %bb.26:                               ;   in Loop: Header=BB521_8 Depth=1
	v_add_co_u32 v33, vcc_lo, v24, v8
	s_wait_alu 0xfffd
	v_add_co_ci_u32_e64 v34, null, v25, v9, vcc_lo
	flat_store_b64 v[33:34], v[14:15]
.LBB521_27:                             ;   in Loop: Header=BB521_8 Depth=1
	s_wait_alu 0xfffe
	s_or_b32 exec_lo, exec_lo, s16
	s_and_saveexec_b32 s16, s29
	s_cbranch_execz .LBB521_32
; %bb.28:                               ;   in Loop: Header=BB521_8 Depth=1
	v_mul_f32_e32 v15, s10, v32
	v_mul_f32_e32 v14, s11, v32
	s_and_not1_b32 vcc_lo, exec_lo, s22
	s_mov_b32 s17, -1
	s_delay_alu instid0(VALU_DEP_2) | instskip(NEXT) | instid1(VALU_DEP_2)
	v_fmac_f32_e32 v15, s11, v31
	v_fma_f32 v14, v31, s10, -v14
	s_wait_alu 0xfffe
	s_cbranch_vccnz .LBB521_30
; %bb.29:                               ;   in Loop: Header=BB521_8 Depth=1
	v_add_co_u32 v31, vcc_lo, v24, v10
	s_wait_alu 0xfffd
	v_add_co_ci_u32_e64 v32, null, v25, v11, vcc_lo
	s_mov_b32 s17, 0
	flat_load_b64 v[33:34], v[31:32]
	s_wait_loadcnt_dscnt 0x0
	v_mul_f32_e32 v26, s7, v34
	v_mul_f32_e32 v34, s6, v34
	s_delay_alu instid0(VALU_DEP_2) | instskip(NEXT) | instid1(VALU_DEP_1)
	v_fma_f32 v26, v33, s6, -v26
	v_dual_fmac_f32 v34, s7, v33 :: v_dual_add_f32 v33, v14, v26
	s_delay_alu instid0(VALU_DEP_1)
	v_add_f32_e32 v34, v15, v34
	flat_store_b64 v[31:32], v[33:34]
.LBB521_30:                             ;   in Loop: Header=BB521_8 Depth=1
	s_wait_alu 0xfffe
	s_and_not1_b32 vcc_lo, exec_lo, s17
	s_wait_alu 0xfffe
	s_cbranch_vccnz .LBB521_32
; %bb.31:                               ;   in Loop: Header=BB521_8 Depth=1
	v_add_co_u32 v24, vcc_lo, v24, v10
	s_wait_alu 0xfffd
	v_add_co_ci_u32_e64 v25, null, v25, v11, vcc_lo
	flat_store_b64 v[24:25], v[14:15]
.LBB521_32:                             ;   in Loop: Header=BB521_8 Depth=1
	s_wait_alu 0xfffe
	s_or_b32 exec_lo, exec_lo, s16
	v_add_co_u32 v0, vcc_lo, v0, v6
	s_wait_alu 0xfffd
	v_add_co_ci_u32_e64 v23, null, v23, v7, vcc_lo
	s_and_saveexec_b32 s16, s1
	s_cbranch_execz .LBB521_37
; %bb.33:                               ;   in Loop: Header=BB521_8 Depth=1
	v_mul_f32_e32 v15, s10, v30
	v_mul_f32_e32 v14, s11, v30
	s_and_not1_b32 vcc_lo, exec_lo, s22
	s_mov_b32 s17, -1
	s_delay_alu instid0(VALU_DEP_2) | instskip(NEXT) | instid1(VALU_DEP_2)
	v_fmac_f32_e32 v15, s11, v29
	v_fma_f32 v14, v29, s10, -v14
	s_wait_alu 0xfffe
	s_cbranch_vccnz .LBB521_35
; %bb.34:                               ;   in Loop: Header=BB521_8 Depth=1
	v_add_co_u32 v24, vcc_lo, v0, v8
	s_wait_alu 0xfffd
	v_add_co_ci_u32_e64 v25, null, v23, v9, vcc_lo
	s_mov_b32 s17, 0
	flat_load_b64 v[29:30], v[24:25]
	s_wait_loadcnt_dscnt 0x0
	v_mul_f32_e32 v26, s7, v30
	v_mul_f32_e32 v30, s6, v30
	s_delay_alu instid0(VALU_DEP_2) | instskip(NEXT) | instid1(VALU_DEP_1)
	v_fma_f32 v26, v29, s6, -v26
	v_dual_fmac_f32 v30, s7, v29 :: v_dual_add_f32 v29, v14, v26
	s_delay_alu instid0(VALU_DEP_1)
	v_add_f32_e32 v30, v15, v30
	flat_store_b64 v[24:25], v[29:30]
.LBB521_35:                             ;   in Loop: Header=BB521_8 Depth=1
	s_wait_alu 0xfffe
	s_and_not1_b32 vcc_lo, exec_lo, s17
	s_wait_alu 0xfffe
	s_cbranch_vccnz .LBB521_37
; %bb.36:                               ;   in Loop: Header=BB521_8 Depth=1
	v_add_co_u32 v24, vcc_lo, v0, v8
	s_wait_alu 0xfffd
	v_add_co_ci_u32_e64 v25, null, v23, v9, vcc_lo
	flat_store_b64 v[24:25], v[14:15]
.LBB521_37:                             ;   in Loop: Header=BB521_8 Depth=1
	s_wait_alu 0xfffe
	s_or_b32 exec_lo, exec_lo, s16
	s_and_saveexec_b32 s16, s35
	s_cbranch_execz .LBB521_7
; %bb.38:                               ;   in Loop: Header=BB521_8 Depth=1
	v_mul_f32_e32 v15, s10, v27
	v_mul_f32_e32 v14, s11, v27
	s_and_not1_b32 vcc_lo, exec_lo, s22
	s_mov_b32 s17, -1
	s_delay_alu instid0(VALU_DEP_2) | instskip(NEXT) | instid1(VALU_DEP_2)
	v_fmac_f32_e32 v15, s11, v28
	v_fma_f32 v14, v28, s10, -v14
	s_wait_alu 0xfffe
	s_cbranch_vccnz .LBB521_40
; %bb.39:                               ;   in Loop: Header=BB521_8 Depth=1
	v_add_co_u32 v24, vcc_lo, v0, v10
	s_wait_alu 0xfffd
	v_add_co_ci_u32_e64 v25, null, v23, v11, vcc_lo
	s_mov_b32 s17, 0
	flat_load_b64 v[26:27], v[24:25]
	s_wait_loadcnt_dscnt 0x0
	v_mul_f32_e32 v28, s7, v27
	v_mul_f32_e32 v27, s6, v27
	s_delay_alu instid0(VALU_DEP_1) | instskip(NEXT) | instid1(VALU_DEP_3)
	v_fmac_f32_e32 v27, s7, v26
	v_fma_f32 v28, v26, s6, -v28
	s_delay_alu instid0(VALU_DEP_1)
	v_dual_add_f32 v27, v15, v27 :: v_dual_add_f32 v26, v14, v28
	flat_store_b64 v[24:25], v[26:27]
.LBB521_40:                             ;   in Loop: Header=BB521_8 Depth=1
	s_wait_alu 0xfffe
	s_and_not1_b32 vcc_lo, exec_lo, s17
	s_wait_alu 0xfffe
	s_cbranch_vccnz .LBB521_7
; %bb.41:                               ;   in Loop: Header=BB521_8 Depth=1
	v_add_co_u32 v24, vcc_lo, v0, v10
	s_wait_alu 0xfffd
	v_add_co_ci_u32_e64 v25, null, v23, v11, vcc_lo
	flat_store_b64 v[24:25], v[14:15]
	s_branch .LBB521_7
.LBB521_42:
	s_endpgm
	.section	.rodata,"a",@progbits
	.p2align	6, 0x0
	.amdhsa_kernel _ZL29rocblas_internal_gemmt_kernelIlLi16ELi32ELi8ELc67ELc67ELc76ELb1ELb1E19rocblas_complex_numIfEPKS1_PKS3_PKPS1_EviT_T9_T10_S9_lSB_S9_lSA_T11_S9_li
		.amdhsa_group_segment_fixed_size 4096
		.amdhsa_private_segment_fixed_size 0
		.amdhsa_kernarg_size 108
		.amdhsa_user_sgpr_count 2
		.amdhsa_user_sgpr_dispatch_ptr 0
		.amdhsa_user_sgpr_queue_ptr 0
		.amdhsa_user_sgpr_kernarg_segment_ptr 1
		.amdhsa_user_sgpr_dispatch_id 0
		.amdhsa_user_sgpr_private_segment_size 0
		.amdhsa_wavefront_size32 1
		.amdhsa_uses_dynamic_stack 0
		.amdhsa_enable_private_segment 0
		.amdhsa_system_sgpr_workgroup_id_x 1
		.amdhsa_system_sgpr_workgroup_id_y 1
		.amdhsa_system_sgpr_workgroup_id_z 1
		.amdhsa_system_sgpr_workgroup_info 0
		.amdhsa_system_vgpr_workitem_id 1
		.amdhsa_next_free_vgpr 72
		.amdhsa_next_free_sgpr 39
		.amdhsa_reserve_vcc 1
		.amdhsa_float_round_mode_32 0
		.amdhsa_float_round_mode_16_64 0
		.amdhsa_float_denorm_mode_32 3
		.amdhsa_float_denorm_mode_16_64 3
		.amdhsa_fp16_overflow 0
		.amdhsa_workgroup_processor_mode 1
		.amdhsa_memory_ordered 1
		.amdhsa_forward_progress 1
		.amdhsa_inst_pref_size 26
		.amdhsa_round_robin_scheduling 0
		.amdhsa_exception_fp_ieee_invalid_op 0
		.amdhsa_exception_fp_denorm_src 0
		.amdhsa_exception_fp_ieee_div_zero 0
		.amdhsa_exception_fp_ieee_overflow 0
		.amdhsa_exception_fp_ieee_underflow 0
		.amdhsa_exception_fp_ieee_inexact 0
		.amdhsa_exception_int_div_zero 0
	.end_amdhsa_kernel
	.section	.text._ZL29rocblas_internal_gemmt_kernelIlLi16ELi32ELi8ELc67ELc67ELc76ELb1ELb1E19rocblas_complex_numIfEPKS1_PKS3_PKPS1_EviT_T9_T10_S9_lSB_S9_lSA_T11_S9_li,"axG",@progbits,_ZL29rocblas_internal_gemmt_kernelIlLi16ELi32ELi8ELc67ELc67ELc76ELb1ELb1E19rocblas_complex_numIfEPKS1_PKS3_PKPS1_EviT_T9_T10_S9_lSB_S9_lSA_T11_S9_li,comdat
.Lfunc_end521:
	.size	_ZL29rocblas_internal_gemmt_kernelIlLi16ELi32ELi8ELc67ELc67ELc76ELb1ELb1E19rocblas_complex_numIfEPKS1_PKS3_PKPS1_EviT_T9_T10_S9_lSB_S9_lSA_T11_S9_li, .Lfunc_end521-_ZL29rocblas_internal_gemmt_kernelIlLi16ELi32ELi8ELc67ELc67ELc76ELb1ELb1E19rocblas_complex_numIfEPKS1_PKS3_PKPS1_EviT_T9_T10_S9_lSB_S9_lSA_T11_S9_li
                                        ; -- End function
	.set _ZL29rocblas_internal_gemmt_kernelIlLi16ELi32ELi8ELc67ELc67ELc76ELb1ELb1E19rocblas_complex_numIfEPKS1_PKS3_PKPS1_EviT_T9_T10_S9_lSB_S9_lSA_T11_S9_li.num_vgpr, 72
	.set _ZL29rocblas_internal_gemmt_kernelIlLi16ELi32ELi8ELc67ELc67ELc76ELb1ELb1E19rocblas_complex_numIfEPKS1_PKS3_PKPS1_EviT_T9_T10_S9_lSB_S9_lSA_T11_S9_li.num_agpr, 0
	.set _ZL29rocblas_internal_gemmt_kernelIlLi16ELi32ELi8ELc67ELc67ELc76ELb1ELb1E19rocblas_complex_numIfEPKS1_PKS3_PKPS1_EviT_T9_T10_S9_lSB_S9_lSA_T11_S9_li.numbered_sgpr, 39
	.set _ZL29rocblas_internal_gemmt_kernelIlLi16ELi32ELi8ELc67ELc67ELc76ELb1ELb1E19rocblas_complex_numIfEPKS1_PKS3_PKPS1_EviT_T9_T10_S9_lSB_S9_lSA_T11_S9_li.num_named_barrier, 0
	.set _ZL29rocblas_internal_gemmt_kernelIlLi16ELi32ELi8ELc67ELc67ELc76ELb1ELb1E19rocblas_complex_numIfEPKS1_PKS3_PKPS1_EviT_T9_T10_S9_lSB_S9_lSA_T11_S9_li.private_seg_size, 0
	.set _ZL29rocblas_internal_gemmt_kernelIlLi16ELi32ELi8ELc67ELc67ELc76ELb1ELb1E19rocblas_complex_numIfEPKS1_PKS3_PKPS1_EviT_T9_T10_S9_lSB_S9_lSA_T11_S9_li.uses_vcc, 1
	.set _ZL29rocblas_internal_gemmt_kernelIlLi16ELi32ELi8ELc67ELc67ELc76ELb1ELb1E19rocblas_complex_numIfEPKS1_PKS3_PKPS1_EviT_T9_T10_S9_lSB_S9_lSA_T11_S9_li.uses_flat_scratch, 0
	.set _ZL29rocblas_internal_gemmt_kernelIlLi16ELi32ELi8ELc67ELc67ELc76ELb1ELb1E19rocblas_complex_numIfEPKS1_PKS3_PKPS1_EviT_T9_T10_S9_lSB_S9_lSA_T11_S9_li.has_dyn_sized_stack, 0
	.set _ZL29rocblas_internal_gemmt_kernelIlLi16ELi32ELi8ELc67ELc67ELc76ELb1ELb1E19rocblas_complex_numIfEPKS1_PKS3_PKPS1_EviT_T9_T10_S9_lSB_S9_lSA_T11_S9_li.has_recursion, 0
	.set _ZL29rocblas_internal_gemmt_kernelIlLi16ELi32ELi8ELc67ELc67ELc76ELb1ELb1E19rocblas_complex_numIfEPKS1_PKS3_PKPS1_EviT_T9_T10_S9_lSB_S9_lSA_T11_S9_li.has_indirect_call, 0
	.section	.AMDGPU.csdata,"",@progbits
; Kernel info:
; codeLenInByte = 3320
; TotalNumSgprs: 41
; NumVgprs: 72
; ScratchSize: 0
; MemoryBound: 0
; FloatMode: 240
; IeeeMode: 1
; LDSByteSize: 4096 bytes/workgroup (compile time only)
; SGPRBlocks: 0
; VGPRBlocks: 8
; NumSGPRsForWavesPerEU: 41
; NumVGPRsForWavesPerEU: 72
; Occupancy: 16
; WaveLimiterHint : 1
; COMPUTE_PGM_RSRC2:SCRATCH_EN: 0
; COMPUTE_PGM_RSRC2:USER_SGPR: 2
; COMPUTE_PGM_RSRC2:TRAP_HANDLER: 0
; COMPUTE_PGM_RSRC2:TGID_X_EN: 1
; COMPUTE_PGM_RSRC2:TGID_Y_EN: 1
; COMPUTE_PGM_RSRC2:TGID_Z_EN: 1
; COMPUTE_PGM_RSRC2:TIDIG_COMP_CNT: 1
	.section	.text._ZL29rocblas_internal_gemmt_kernelIlLi16ELi32ELi8ELc78ELc78ELc85ELb0ELb0E19rocblas_complex_numIfES1_PKPKS1_PKPS1_EviT_T9_T10_S9_lSB_S9_lSA_T11_S9_li,"axG",@progbits,_ZL29rocblas_internal_gemmt_kernelIlLi16ELi32ELi8ELc78ELc78ELc85ELb0ELb0E19rocblas_complex_numIfES1_PKPKS1_PKPS1_EviT_T9_T10_S9_lSB_S9_lSA_T11_S9_li,comdat
	.globl	_ZL29rocblas_internal_gemmt_kernelIlLi16ELi32ELi8ELc78ELc78ELc85ELb0ELb0E19rocblas_complex_numIfES1_PKPKS1_PKPS1_EviT_T9_T10_S9_lSB_S9_lSA_T11_S9_li ; -- Begin function _ZL29rocblas_internal_gemmt_kernelIlLi16ELi32ELi8ELc78ELc78ELc85ELb0ELb0E19rocblas_complex_numIfES1_PKPKS1_PKPS1_EviT_T9_T10_S9_lSB_S9_lSA_T11_S9_li
	.p2align	8
	.type	_ZL29rocblas_internal_gemmt_kernelIlLi16ELi32ELi8ELc78ELc78ELc85ELb0ELb0E19rocblas_complex_numIfES1_PKPKS1_PKPS1_EviT_T9_T10_S9_lSB_S9_lSA_T11_S9_li,@function
_ZL29rocblas_internal_gemmt_kernelIlLi16ELi32ELi8ELc78ELc78ELc85ELb0ELb0E19rocblas_complex_numIfES1_PKPKS1_PKPS1_EviT_T9_T10_S9_lSB_S9_lSA_T11_S9_li: ; @_ZL29rocblas_internal_gemmt_kernelIlLi16ELi32ELi8ELc78ELc78ELc85ELb0ELb0E19rocblas_complex_numIfES1_PKPKS1_PKPS1_EviT_T9_T10_S9_lSB_S9_lSA_T11_S9_li
; %bb.0:
	s_clause 0x1
	s_load_b64 s[24:25], s[0:1], 0x48
	s_load_b128 s[16:19], s[0:1], 0x8
	s_wait_kmcnt 0x0
	s_cmp_eq_f32 s24, 1.0
	s_cselect_b32 s2, -1, 0
	s_and_b32 s3, s25, 0x7fffffff
	s_delay_alu instid0(SALU_CYCLE_1) | instskip(SKIP_1) | instid1(SALU_CYCLE_1)
	s_cmp_eq_u32 s3, 0
	s_cselect_b32 s3, -1, 0
	s_and_b32 s4, s2, s3
	s_mov_b32 s2, 0
	s_and_not1_b32 vcc_lo, exec_lo, s4
	s_mov_b32 s4, -1
	s_cbranch_vccnz .LBB522_4
; %bb.1:
	s_cmp_lg_u64 s[16:17], 0
	s_cbranch_scc0 .LBB522_3
; %bb.2:
	s_cmp_neq_f32 s18, 0
	s_cselect_b32 s2, -1, 0
	s_cmp_neq_f32 s19, 0
	s_cselect_b32 s4, -1, 0
	s_delay_alu instid0(SALU_CYCLE_1)
	s_or_b32 s2, s2, s4
.LBB522_3:
	s_delay_alu instid0(SALU_CYCLE_1)
	s_mov_b32 s4, s2
.LBB522_4:
	s_delay_alu instid0(SALU_CYCLE_1)
	s_and_b32 vcc_lo, exec_lo, s4
	s_cbranch_vccz .LBB522_42
; %bb.5:
	s_load_b32 s30, s[0:1], 0x68
	s_lshr_b32 s26, ttmp7, 16
	s_wait_kmcnt 0x0
	s_cmp_ge_u32 s26, s30
	s_cbranch_scc1 .LBB522_42
; %bb.6:
	v_and_b32_e32 v8, 0x3ff, v0
	v_bfe_u32 v11, v0, 10, 10
	s_clause 0x1
	s_load_b128 s[4:7], s[0:1], 0x38
	s_load_b32 s33, s[0:1], 0x0
	v_and_b32_e32 v18, 7, v0
	s_clause 0x2
	s_load_b256 s[8:15], s[0:1], 0x18
	s_load_b128 s[20:23], s[0:1], 0x50
	s_load_b64 s[28:29], s[0:1], 0x60
	v_lshl_add_u32 v0, v11, 4, v8
	s_lshl_b32 s0, ttmp7, 5
	s_lshl_b32 s1, ttmp9, 5
	s_and_b32 s0, s0, 0x1fffe0
	v_lshlrev_b32_e32 v6, 3, v18
	v_lshrrev_b32_e32 v1, 3, v0
	v_and_b32_e32 v3, 31, v0
	v_add_nc_u32_e32 v13, s0, v11
	v_lshrrev_b32_e32 v19, 5, v0
	s_cmp_neq_f32 s18, 0
	v_add_nc_u32_e32 v9, s0, v1
	v_lshl_add_u32 v23, v11, 6, 0x800
	v_add_nc_u32_e32 v14, 16, v13
	s_cselect_b32 s2, -1, 0
	s_cmp_neq_f32 s19, 0
	v_cmp_gt_i64_e64 s34, s[16:17], 0
	s_wait_kmcnt 0x0
	v_mad_co_u64_u32 v[4:5], null, s4, v9, 0
	s_cselect_b32 s0, -1, 0
	s_mov_b32 s27, 0
	s_wait_alu 0xfffe
	s_or_b32 s35, s2, s0
	s_cmp_neq_f32 s24, 0
	v_mov_b32_e32 v0, v5
	v_lshl_or_b32 v5, v1, 6, v6
	v_mad_co_u64_u32 v[6:7], null, s22, v13, 0
	v_cmp_gt_i32_e32 vcc_lo, s33, v9
	s_delay_alu instid0(VALU_DEP_4) | instskip(NEXT) | instid1(VALU_DEP_4)
	v_mad_co_u64_u32 v[0:1], null, s5, v9, v[0:1]
	v_add_nc_u32_e32 v21, 0x800, v5
	s_cselect_b32 s36, -1, 0
	s_xor_b32 s37, s3, -1
	s_and_b32 s34, s35, s34
	s_or_b32 s35, s36, s37
	s_xor_b32 s36, vcc_lo, -1
	s_delay_alu instid0(VALU_DEP_2)
	v_dual_mov_b32 v5, v0 :: v_dual_lshlrev_b32 v22, 3, v8
	v_add_nc_u32_e32 v10, s1, v8
	v_mov_b32_e32 v0, v7
	v_mad_co_u64_u32 v[8:9], null, s22, v14, 0
	v_or_b32_e32 v2, s1, v3
	v_lshlrev_b32_e32 v3, 3, v3
	s_delay_alu instid0(VALU_DEP_4)
	v_mad_co_u64_u32 v[0:1], null, s23, v13, v[0:1]
	v_cmp_gt_i32_e64 s1, s33, v13
	v_cmp_le_i32_e64 s2, v10, v13
	v_dual_mov_b32 v1, v9 :: v_dual_add_nc_u32 v12, 16, v10
	v_lshl_or_b32 v20, v19, 8, v3
	v_ashrrev_i32_e32 v3, 31, v2
	v_mov_b32_e32 v7, v0
	s_delay_alu instid0(VALU_DEP_4)
	v_mad_co_u64_u32 v[0:1], null, s23, v14, v[1:2]
	s_and_b32 s22, s1, s2
	v_cmp_le_i32_e64 s2, v12, v13
	v_ashrrev_i32_e32 v11, 31, v10
	v_ashrrev_i32_e32 v13, 31, v12
	v_mov_b32_e32 v1, 0
	v_cmp_gt_i32_e64 s3, s33, v14
	v_mov_b32_e32 v9, v0
	v_cmp_le_i32_e64 s4, v10, v14
	v_cmp_le_i32_e64 s5, v12, v14
	v_cmp_gt_i32_e64 s0, s33, v2
	v_cmp_le_i32_e64 s31, s33, v2
	v_lshlrev_b64_e32 v[2:3], 3, v[2:3]
	v_lshlrev_b64_e32 v[4:5], 3, v[4:5]
	;; [unrolled: 1-line block ×6, first 2 shown]
	s_and_b32 s1, s1, s2
	s_and_b32 s23, s3, s4
	;; [unrolled: 1-line block ×3, first 2 shown]
	s_lshl_b64 s[2:3], s[6:7], 3
	s_lshl_b64 s[4:5], s[12:13], 3
	;; [unrolled: 1-line block ×3, first 2 shown]
                                        ; implicit-def: $vgpr14_vgpr15
	s_branch .LBB522_8
.LBB522_7:                              ;   in Loop: Header=BB522_8 Depth=1
	s_wait_alu 0xfffe
	s_or_b32 exec_lo, exec_lo, s12
	s_add_co_i32 s26, s26, 0x10000
	s_delay_alu instid0(SALU_CYCLE_1)
	s_cmp_lt_u32 s26, s30
	s_cbranch_scc0 .LBB522_42
.LBB522_8:                              ; =>This Loop Header: Depth=1
                                        ;     Child Loop BB522_11 Depth 2
	s_lshl_b64 s[12:13], s[26:27], 3
	s_and_not1_b32 vcc_lo, exec_lo, s34
	s_wait_alu 0xfffe
	s_add_nc_u64 s[28:29], s[20:21], s[12:13]
	global_load_b64 v[16:17], v1, s[28:29]
	s_cbranch_vccnz .LBB522_21
; %bb.9:                                ;   in Loop: Header=BB522_8 Depth=1
	s_add_nc_u64 s[28:29], s[8:9], s[12:13]
	s_add_nc_u64 s[12:13], s[14:15], s[12:13]
	s_clause 0x1
	global_load_b64 v[24:25], v1, s[28:29]
	global_load_b64 v[26:27], v1, s[12:13]
	v_dual_mov_b32 v28, 0 :: v_dual_mov_b32 v29, 0
	v_dual_mov_b32 v31, 0 :: v_dual_mov_b32 v30, 0
	;; [unrolled: 1-line block ×4, first 2 shown]
	s_mov_b64 s[12:13], 0
	s_wait_loadcnt 0x1
	v_add_co_u32 v0, vcc_lo, v24, s4
	s_wait_alu 0xfffd
	v_add_co_ci_u32_e64 v25, null, s5, v25, vcc_lo
	s_wait_loadcnt 0x0
	v_add_co_u32 v26, vcc_lo, v26, s2
	s_wait_alu 0xfffd
	v_add_co_ci_u32_e64 v27, null, s3, v27, vcc_lo
	v_add_co_u32 v24, vcc_lo, v0, v2
	s_wait_alu 0xfffd
	v_add_co_ci_u32_e64 v25, null, v25, v3, vcc_lo
	;; [unrolled: 3-line block ×3, first 2 shown]
	s_branch .LBB522_11
.LBB522_10:                             ;   in Loop: Header=BB522_11 Depth=2
	s_or_b32 exec_lo, exec_lo, s28
	s_wait_dscnt 0x0
	s_barrier_signal -1
	s_barrier_wait -1
	global_inv scope:SCOPE_SE
	ds_load_b128 v[36:39], v23
	ds_load_2addr_b64 v[40:43], v22 offset1:16
	ds_load_b128 v[44:47], v23 offset:1024
	ds_load_b128 v[48:51], v23 offset:16
	;; [unrolled: 1-line block ×4, first 2 shown]
	ds_load_2addr_b64 v[60:63], v22 offset0:32 offset1:48
	ds_load_b128 v[64:67], v23 offset:1040
	s_add_nc_u64 s[12:13], s[12:13], 8
	s_wait_alu 0xfffe
	v_cmp_gt_i64_e64 s28, s[16:17], s[12:13]
	s_and_b32 vcc_lo, exec_lo, s28
	s_wait_dscnt 0x6
	v_mul_f32_e32 v0, v37, v41
	v_dual_mul_f32 v68, v36, v41 :: v_dual_mul_f32 v69, v37, v43
	s_wait_dscnt 0x5
	v_dual_mul_f32 v70, v36, v43 :: v_dual_mul_f32 v71, v45, v41
	v_dual_mul_f32 v41, v44, v41 :: v_dual_mul_f32 v72, v45, v43
	v_mul_f32_e32 v43, v44, v43
	v_fma_f32 v0, v36, v40, -v0
	v_fma_f32 v36, v36, v42, -v69
	v_fmac_f32_e32 v70, v37, v42
	v_fmac_f32_e32 v41, v45, v40
	;; [unrolled: 1-line block ×3, first 2 shown]
	v_fma_f32 v37, v44, v40, -v71
	v_fma_f32 v40, v44, v42, -v72
	v_dual_add_f32 v0, v34, v0 :: v_dual_fmac_f32 v43, v45, v42
	s_delay_alu instid0(VALU_DEP_4) | instskip(NEXT) | instid1(VALU_DEP_4)
	v_add_f32_e32 v34, v35, v68
	v_dual_add_f32 v35, v32, v36 :: v_dual_add_f32 v36, v30, v37
	v_add_f32_e32 v37, v31, v41
	s_wait_dscnt 0x1
	v_dual_mul_f32 v41, v39, v61 :: v_dual_add_f32 v40, v29, v40
	ds_load_2addr_b64 v[29:32], v22 offset0:64 offset1:80
	v_dual_add_f32 v33, v33, v70 :: v_dual_mul_f32 v44, v39, v63
	v_fma_f32 v41, v38, v60, -v41
	v_add_f32_e32 v28, v28, v43
	s_delay_alu instid0(VALU_DEP_2) | instskip(NEXT) | instid1(VALU_DEP_1)
	v_dual_mul_f32 v43, v38, v63 :: v_dual_add_f32 v0, v0, v41
	v_dual_mul_f32 v42, v38, v61 :: v_dual_fmac_f32 v43, v39, v62
	v_fma_f32 v38, v38, v62, -v44
	v_mul_f32_e32 v41, v47, v61
	s_delay_alu instid0(VALU_DEP_3) | instskip(SKIP_1) | instid1(VALU_DEP_4)
	v_fmac_f32_e32 v42, v39, v60
	v_mul_f32_e32 v39, v47, v63
	v_add_f32_e32 v38, v35, v38
	s_delay_alu instid0(VALU_DEP_4) | instskip(NEXT) | instid1(VALU_DEP_4)
	v_fma_f32 v35, v46, v60, -v41
	v_dual_add_f32 v41, v33, v43 :: v_dual_add_f32 v42, v34, v42
	v_mul_f32_e32 v43, v46, v63
	v_mul_f32_e32 v34, v46, v61
	v_fma_f32 v33, v46, v62, -v39
	s_wait_dscnt 0x0
	v_mul_f32_e32 v39, v48, v30
	v_fmac_f32_e32 v43, v47, v62
	v_fmac_f32_e32 v34, v47, v60
	v_dual_add_f32 v44, v36, v35 :: v_dual_mul_f32 v35, v49, v30
	s_delay_alu instid0(VALU_DEP_3) | instskip(NEXT) | instid1(VALU_DEP_3)
	v_dual_mul_f32 v46, v49, v32 :: v_dual_add_f32 v43, v28, v43
	v_add_f32_e32 v37, v37, v34
	v_dual_fmac_f32 v39, v49, v29 :: v_dual_mul_f32 v28, v48, v32
	v_add_f32_e32 v40, v40, v33
	v_fma_f32 v45, v48, v29, -v35
	ds_load_2addr_b64 v[33:36], v22 offset0:96 offset1:112
	v_add_f32_e32 v39, v42, v39
	v_fmac_f32_e32 v28, v49, v31
	v_add_f32_e32 v0, v0, v45
	v_fma_f32 v45, v48, v31, -v46
	s_delay_alu instid0(VALU_DEP_1) | instskip(SKIP_2) | instid1(VALU_DEP_2)
	v_dual_add_f32 v41, v41, v28 :: v_dual_add_f32 v38, v38, v45
	v_mul_f32_e32 v45, v65, v32
	v_mul_f32_e32 v32, v64, v32
	v_fma_f32 v28, v64, v31, -v45
	v_mul_f32_e32 v42, v65, v30
	s_delay_alu instid0(VALU_DEP_3)
	v_fmac_f32_e32 v32, v65, v31
	s_wait_dscnt 0x0
	v_dual_mul_f32 v30, v64, v30 :: v_dual_mul_f32 v49, v67, v36
	v_add_f32_e32 v45, v40, v28
	v_fma_f32 v42, v64, v29, -v42
	v_dual_mul_f32 v40, v50, v34 :: v_dual_add_f32 v43, v43, v32
	s_delay_alu instid0(VALU_DEP_4) | instskip(SKIP_1) | instid1(VALU_DEP_3)
	v_fmac_f32_e32 v30, v65, v29
	v_mul_f32_e32 v32, v50, v36
	v_fmac_f32_e32 v40, v51, v33
	v_add_f32_e32 v42, v44, v42
	s_delay_alu instid0(VALU_DEP_4)
	v_add_f32_e32 v44, v37, v30
	ds_load_2addr_b64 v[28:31], v22 offset0:128 offset1:144
	v_mul_f32_e32 v37, v51, v34
	v_mul_f32_e32 v46, v51, v36
	v_fmac_f32_e32 v32, v51, v35
	v_mul_f32_e32 v36, v66, v36
	s_delay_alu instid0(VALU_DEP_4) | instskip(NEXT) | instid1(VALU_DEP_1)
	v_fma_f32 v37, v50, v33, -v37
	v_dual_add_f32 v0, v0, v37 :: v_dual_mul_f32 v37, v67, v34
	v_mul_f32_e32 v34, v66, v34
	s_delay_alu instid0(VALU_DEP_2)
	v_fma_f32 v48, v66, v33, -v37
	s_wait_dscnt 0x0
	v_mul_f32_e32 v51, v52, v29
	v_fma_f32 v46, v50, v35, -v46
	v_add_f32_e32 v50, v41, v32
	v_fma_f32 v32, v66, v35, -v49
	s_delay_alu instid0(VALU_DEP_4) | instskip(NEXT) | instid1(VALU_DEP_4)
	v_fmac_f32_e32 v51, v53, v28
	v_dual_add_f32 v47, v39, v40 :: v_dual_add_f32 v46, v38, v46
	ds_load_b128 v[37:40], v23 offset:1056
	v_fmac_f32_e32 v34, v67, v33
	v_mul_f32_e32 v33, v53, v29
	v_dual_add_f32 v45, v45, v32 :: v_dual_fmac_f32 v36, v67, v35
	v_dual_add_f32 v47, v47, v51 :: v_dual_add_f32 v48, v42, v48
	s_delay_alu instid0(VALU_DEP_4) | instskip(NEXT) | instid1(VALU_DEP_4)
	v_add_f32_e32 v49, v44, v34
	v_fma_f32 v41, v52, v28, -v33
	ds_load_2addr_b64 v[32:35], v22 offset0:160 offset1:176
	v_mul_f32_e32 v42, v53, v31
	v_add_f32_e32 v36, v43, v36
	v_add_f32_e32 v0, v0, v41
	s_delay_alu instid0(VALU_DEP_3)
	v_fma_f32 v60, v52, v30, -v42
	v_mul_f32_e32 v52, v52, v31
	ds_load_b128 v[41:44], v23 offset:1072
	s_wait_dscnt 0x2
	v_mul_f32_e32 v61, v38, v29
	v_mul_f32_e32 v29, v37, v29
	v_dual_fmac_f32 v52, v53, v30 :: v_dual_mul_f32 v53, v38, v31
	s_delay_alu instid0(VALU_DEP_3) | instskip(NEXT) | instid1(VALU_DEP_3)
	v_fma_f32 v51, v37, v28, -v61
	v_fmac_f32_e32 v29, v38, v28
	s_delay_alu instid0(VALU_DEP_3) | instskip(SKIP_2) | instid1(VALU_DEP_4)
	v_add_f32_e32 v50, v50, v52
	v_mul_f32_e32 v52, v37, v31
	v_fma_f32 v28, v37, v30, -v53
	v_add_f32_e32 v37, v49, v29
	s_wait_dscnt 0x1
	s_delay_alu instid0(VALU_DEP_3) | instskip(NEXT) | instid1(VALU_DEP_3)
	v_dual_mul_f32 v49, v55, v33 :: v_dual_fmac_f32 v52, v38, v30
	v_add_f32_e32 v45, v45, v28
	ds_load_2addr_b64 v[28:31], v22 offset0:192 offset1:208
	v_mul_f32_e32 v38, v54, v33
	v_fma_f32 v49, v54, v32, -v49
	v_add_f32_e32 v46, v46, v60
	s_delay_alu instid0(VALU_DEP_3) | instskip(NEXT) | instid1(VALU_DEP_1)
	v_fmac_f32_e32 v38, v55, v32
	v_dual_add_f32 v0, v0, v49 :: v_dual_add_f32 v47, v47, v38
	v_add_f32_e32 v48, v48, v51
	v_dual_mul_f32 v51, v55, v35 :: v_dual_mul_f32 v38, v40, v33
	v_mul_f32_e32 v33, v39, v33
	s_delay_alu instid0(VALU_DEP_2) | instskip(NEXT) | instid1(VALU_DEP_3)
	v_fma_f32 v49, v54, v34, -v51
	v_fma_f32 v38, v39, v32, -v38
	s_delay_alu instid0(VALU_DEP_3) | instskip(NEXT) | instid1(VALU_DEP_3)
	v_dual_fmac_f32 v33, v40, v32 :: v_dual_mul_f32 v32, v39, v35
	v_dual_add_f32 v46, v46, v49 :: v_dual_mul_f32 v49, v40, v35
	s_delay_alu instid0(VALU_DEP_2) | instskip(SKIP_1) | instid1(VALU_DEP_4)
	v_dual_add_f32 v52, v36, v52 :: v_dual_add_f32 v33, v37, v33
	v_mul_f32_e32 v36, v54, v35
	v_fmac_f32_e32 v32, v40, v34
	s_delay_alu instid0(VALU_DEP_4) | instskip(SKIP_1) | instid1(VALU_DEP_3)
	v_fma_f32 v35, v39, v34, -v49
	s_wait_dscnt 0x0
	v_dual_mul_f32 v49, v42, v29 :: v_dual_fmac_f32 v36, v55, v34
	s_delay_alu instid0(VALU_DEP_2) | instskip(SKIP_1) | instid1(VALU_DEP_2)
	v_dual_add_f32 v34, v45, v35 :: v_dual_mul_f32 v35, v56, v29
	v_mul_f32_e32 v45, v57, v31
	v_dual_fmac_f32 v35, v57, v28 :: v_dual_add_f32 v48, v48, v38
	s_delay_alu instid0(VALU_DEP_2) | instskip(NEXT) | instid1(VALU_DEP_2)
	v_fma_f32 v45, v56, v30, -v45
	v_dual_add_f32 v35, v47, v35 :: v_dual_add_f32 v50, v50, v36
	v_mul_f32_e32 v36, v57, v29
	v_mul_f32_e32 v29, v41, v29
	;; [unrolled: 1-line block ×3, first 2 shown]
	v_add_f32_e32 v45, v46, v45
	v_fma_f32 v46, v41, v28, -v49
	v_fma_f32 v40, v56, v28, -v36
	ds_load_2addr_b64 v[36:39], v22 offset0:224 offset1:240
	v_fmac_f32_e32 v29, v42, v28
	v_add_f32_e32 v32, v52, v32
	s_wait_loadcnt_dscnt 0x0
	s_barrier_signal -1
	s_barrier_wait -1
	v_dual_add_f32 v29, v33, v29 :: v_dual_add_f32 v0, v0, v40
	v_mul_f32_e32 v40, v56, v31
	v_mul_f32_e32 v31, v41, v31
	v_fma_f32 v41, v41, v30, -v47
	global_inv scope:SCOPE_SE
	v_fmac_f32_e32 v40, v57, v30
	v_fmac_f32_e32 v31, v42, v30
	s_delay_alu instid0(VALU_DEP_1) | instskip(SKIP_3) | instid1(VALU_DEP_3)
	v_dual_add_f32 v41, v34, v41 :: v_dual_add_f32 v42, v32, v31
	v_mul_f32_e32 v33, v59, v37
	v_mul_f32_e32 v34, v59, v39
	;; [unrolled: 1-line block ×3, first 2 shown]
	v_fma_f32 v33, v58, v36, -v33
	s_delay_alu instid0(VALU_DEP_3) | instskip(NEXT) | instid1(VALU_DEP_2)
	v_fma_f32 v32, v58, v38, -v34
	v_dual_fmac_f32 v31, v59, v38 :: v_dual_add_f32 v34, v0, v33
	v_mul_f32_e32 v0, v44, v37
	s_delay_alu instid0(VALU_DEP_3)
	v_dual_add_f32 v32, v45, v32 :: v_dual_mul_f32 v45, v44, v39
	v_add_f32_e32 v28, v50, v40
	v_mul_f32_e32 v30, v58, v37
	v_dual_add_f32 v40, v48, v46 :: v_dual_mul_f32 v37, v43, v37
	v_fma_f32 v0, v43, v36, -v0
	v_mul_f32_e32 v39, v43, v39
	s_delay_alu instid0(VALU_DEP_4) | instskip(NEXT) | instid1(VALU_DEP_4)
	v_dual_add_f32 v33, v28, v31 :: v_dual_fmac_f32 v30, v59, v36
	v_fmac_f32_e32 v37, v44, v36
	s_delay_alu instid0(VALU_DEP_3) | instskip(NEXT) | instid1(VALU_DEP_3)
	v_fmac_f32_e32 v39, v44, v38
	v_dual_add_f32 v35, v35, v30 :: v_dual_add_f32 v30, v40, v0
	v_fma_f32 v0, v43, v38, -v45
	s_delay_alu instid0(VALU_DEP_3) | instskip(NEXT) | instid1(VALU_DEP_2)
	v_dual_add_f32 v31, v29, v37 :: v_dual_add_f32 v28, v42, v39
	v_add_f32_e32 v29, v41, v0
	s_wait_alu 0xfffe
	s_cbranch_vccz .LBB522_22
.LBB522_11:                             ;   Parent Loop BB522_8 Depth=1
                                        ; =>  This Inner Loop Header: Depth=2
	s_mov_b32 s28, 0
	s_mov_b32 s37, s31
	s_and_saveexec_b32 s29, s0
	s_cbranch_execnz .LBB522_19
; %bb.12:                               ;   in Loop: Header=BB522_11 Depth=2
	s_or_b32 exec_lo, exec_lo, s29
	s_and_saveexec_b32 s29, s37
	s_delay_alu instid0(SALU_CYCLE_1)
	s_xor_b32 s29, exec_lo, s29
	s_cbranch_execnz .LBB522_20
.LBB522_13:                             ;   in Loop: Header=BB522_11 Depth=2
	s_or_b32 exec_lo, exec_lo, s29
	s_and_saveexec_b32 s29, s28
	s_cbranch_execz .LBB522_15
.LBB522_14:                             ;   in Loop: Header=BB522_11 Depth=2
	v_mul_lo_u32 v0, s11, v14
	v_mul_lo_u32 v38, s10, v15
	v_mad_co_u64_u32 v[36:37], null, s10, v14, 0
	s_delay_alu instid0(VALU_DEP_1) | instskip(NEXT) | instid1(VALU_DEP_1)
	v_add3_u32 v37, v37, v38, v0
	v_lshlrev_b64_e32 v[36:37], 3, v[36:37]
	s_delay_alu instid0(VALU_DEP_1) | instskip(SKIP_1) | instid1(VALU_DEP_2)
	v_add_co_u32 v36, vcc_lo, v24, v36
	s_wait_alu 0xfffd
	v_add_co_ci_u32_e64 v37, null, v25, v37, vcc_lo
	flat_load_b64 v[36:37], v[36:37]
	s_wait_loadcnt_dscnt 0x0
	ds_store_b64 v20, v[36:37]
.LBB522_15:                             ;   in Loop: Header=BB522_11 Depth=2
	s_or_b32 exec_lo, exec_lo, s29
	s_wait_alu 0xfffe
	v_add_nc_u32_e32 v0, s12, v18
	s_delay_alu instid0(VALU_DEP_1) | instskip(SKIP_1) | instid1(SALU_CYCLE_1)
	v_cmp_le_u64_e32 vcc_lo, s[16:17], v[0:1]
	s_or_b32 s28, vcc_lo, s36
	s_and_saveexec_b32 s29, s28
	s_delay_alu instid0(SALU_CYCLE_1)
	s_xor_b32 s28, exec_lo, s29
; %bb.16:                               ;   in Loop: Header=BB522_11 Depth=2
	v_mov_b32_e32 v0, v1
	ds_store_b64 v21, v[0:1]
; %bb.17:                               ;   in Loop: Header=BB522_11 Depth=2
	s_and_not1_saveexec_b32 s28, s28
	s_cbranch_execz .LBB522_10
; %bb.18:                               ;   in Loop: Header=BB522_11 Depth=2
	v_lshlrev_b64_e32 v[36:37], 3, v[0:1]
	s_delay_alu instid0(VALU_DEP_1) | instskip(SKIP_1) | instid1(VALU_DEP_2)
	v_add_co_u32 v36, vcc_lo, v26, v36
	s_wait_alu 0xfffd
	v_add_co_ci_u32_e64 v37, null, v27, v37, vcc_lo
	flat_load_b64 v[36:37], v[36:37]
	s_wait_loadcnt_dscnt 0x0
	ds_store_b64 v21, v[36:37]
	s_branch .LBB522_10
.LBB522_19:                             ;   in Loop: Header=BB522_11 Depth=2
	s_wait_alu 0xfffe
	v_add_nc_u32_e32 v0, s12, v19
	v_mov_b32_e32 v15, v1
	s_and_not1_b32 s37, s31, exec_lo
	s_mov_b32 s28, exec_lo
	s_delay_alu instid0(VALU_DEP_2) | instskip(SKIP_2) | instid1(SALU_CYCLE_1)
	v_cmp_le_u64_e32 vcc_lo, s[16:17], v[0:1]
	v_mov_b32_e32 v14, v0
	s_and_b32 s38, vcc_lo, exec_lo
	s_or_b32 s37, s37, s38
	s_or_b32 exec_lo, exec_lo, s29
	s_and_saveexec_b32 s29, s37
	s_delay_alu instid0(SALU_CYCLE_1)
	s_xor_b32 s29, exec_lo, s29
	s_cbranch_execz .LBB522_13
.LBB522_20:                             ;   in Loop: Header=BB522_11 Depth=2
	v_mov_b32_e32 v0, v1
	s_and_not1_b32 s28, s28, exec_lo
	ds_store_b64 v20, v[0:1]
	s_or_b32 exec_lo, exec_lo, s29
	s_and_saveexec_b32 s29, s28
	s_cbranch_execnz .LBB522_14
	s_branch .LBB522_15
.LBB522_21:                             ;   in Loop: Header=BB522_8 Depth=1
	v_dual_mov_b32 v34, v1 :: v_dual_mov_b32 v35, v1
	v_dual_mov_b32 v32, v1 :: v_dual_mov_b32 v33, v1
	;; [unrolled: 1-line block ×4, first 2 shown]
.LBB522_22:                             ;   in Loop: Header=BB522_8 Depth=1
	s_wait_loadcnt 0x0
	v_add_co_u32 v0, vcc_lo, v16, s6
	s_wait_alu 0xfffd
	v_add_co_ci_u32_e64 v24, null, s7, v17, vcc_lo
	s_delay_alu instid0(VALU_DEP_2) | instskip(SKIP_1) | instid1(VALU_DEP_2)
	v_add_co_u32 v25, vcc_lo, v0, v6
	s_wait_alu 0xfffd
	v_add_co_ci_u32_e64 v26, null, v24, v7, vcc_lo
	s_wait_alu 0xfffe
	s_and_saveexec_b32 s12, s22
	s_cbranch_execz .LBB522_27
; %bb.23:                               ;   in Loop: Header=BB522_8 Depth=1
	v_mul_f32_e32 v17, s18, v35
	v_mul_f32_e32 v16, s19, v35
	s_and_b32 vcc_lo, exec_lo, s35
	s_mov_b32 s13, -1
	s_delay_alu instid0(VALU_DEP_2) | instskip(NEXT) | instid1(VALU_DEP_2)
	v_fmac_f32_e32 v17, s19, v34
	v_fma_f32 v16, v34, s18, -v16
	s_wait_alu 0xfffe
	s_cbranch_vccz .LBB522_25
; %bb.24:                               ;   in Loop: Header=BB522_8 Depth=1
	v_add_co_u32 v34, vcc_lo, v25, v10
	s_wait_alu 0xfffd
	v_add_co_ci_u32_e64 v35, null, v26, v11, vcc_lo
	s_mov_b32 s13, 0
	flat_load_b64 v[36:37], v[34:35]
	s_wait_loadcnt_dscnt 0x0
	v_mul_f32_e32 v27, s25, v37
	s_delay_alu instid0(VALU_DEP_1) | instskip(SKIP_1) | instid1(VALU_DEP_1)
	v_fma_f32 v27, v36, s24, -v27
	v_mul_f32_e32 v37, s24, v37
	v_dual_fmac_f32 v37, s25, v36 :: v_dual_add_f32 v36, v16, v27
	s_delay_alu instid0(VALU_DEP_1)
	v_add_f32_e32 v37, v17, v37
	flat_store_b64 v[34:35], v[36:37]
.LBB522_25:                             ;   in Loop: Header=BB522_8 Depth=1
	s_wait_alu 0xfffe
	s_and_not1_b32 vcc_lo, exec_lo, s13
	s_wait_alu 0xfffe
	s_cbranch_vccnz .LBB522_27
; %bb.26:                               ;   in Loop: Header=BB522_8 Depth=1
	v_add_co_u32 v34, vcc_lo, v25, v10
	s_wait_alu 0xfffd
	v_add_co_ci_u32_e64 v35, null, v26, v11, vcc_lo
	flat_store_b64 v[34:35], v[16:17]
.LBB522_27:                             ;   in Loop: Header=BB522_8 Depth=1
	s_wait_alu 0xfffe
	s_or_b32 exec_lo, exec_lo, s12
	s_and_saveexec_b32 s12, s1
	s_cbranch_execz .LBB522_32
; %bb.28:                               ;   in Loop: Header=BB522_8 Depth=1
	v_mul_f32_e32 v17, s18, v33
	v_mul_f32_e32 v16, s19, v33
	s_and_not1_b32 vcc_lo, exec_lo, s35
	s_mov_b32 s13, -1
	s_delay_alu instid0(VALU_DEP_2) | instskip(NEXT) | instid1(VALU_DEP_2)
	v_fmac_f32_e32 v17, s19, v32
	v_fma_f32 v16, v32, s18, -v16
	s_wait_alu 0xfffe
	s_cbranch_vccnz .LBB522_30
; %bb.29:                               ;   in Loop: Header=BB522_8 Depth=1
	v_add_co_u32 v32, vcc_lo, v25, v12
	s_wait_alu 0xfffd
	v_add_co_ci_u32_e64 v33, null, v26, v13, vcc_lo
	s_mov_b32 s13, 0
	flat_load_b64 v[34:35], v[32:33]
	s_wait_loadcnt_dscnt 0x0
	v_mul_f32_e32 v27, s25, v35
	v_mul_f32_e32 v35, s24, v35
	s_delay_alu instid0(VALU_DEP_2) | instskip(NEXT) | instid1(VALU_DEP_1)
	v_fma_f32 v27, v34, s24, -v27
	v_dual_fmac_f32 v35, s25, v34 :: v_dual_add_f32 v34, v16, v27
	s_delay_alu instid0(VALU_DEP_1)
	v_add_f32_e32 v35, v17, v35
	flat_store_b64 v[32:33], v[34:35]
.LBB522_30:                             ;   in Loop: Header=BB522_8 Depth=1
	s_wait_alu 0xfffe
	s_and_not1_b32 vcc_lo, exec_lo, s13
	s_wait_alu 0xfffe
	s_cbranch_vccnz .LBB522_32
; %bb.31:                               ;   in Loop: Header=BB522_8 Depth=1
	v_add_co_u32 v25, vcc_lo, v25, v12
	s_wait_alu 0xfffd
	v_add_co_ci_u32_e64 v26, null, v26, v13, vcc_lo
	flat_store_b64 v[25:26], v[16:17]
.LBB522_32:                             ;   in Loop: Header=BB522_8 Depth=1
	s_wait_alu 0xfffe
	s_or_b32 exec_lo, exec_lo, s12
	v_add_co_u32 v0, vcc_lo, v0, v8
	s_wait_alu 0xfffd
	v_add_co_ci_u32_e64 v24, null, v24, v9, vcc_lo
	s_and_saveexec_b32 s12, s23
	s_cbranch_execz .LBB522_37
; %bb.33:                               ;   in Loop: Header=BB522_8 Depth=1
	v_mul_f32_e32 v17, s18, v31
	v_mul_f32_e32 v16, s19, v31
	s_and_not1_b32 vcc_lo, exec_lo, s35
	s_mov_b32 s13, -1
	s_delay_alu instid0(VALU_DEP_2) | instskip(NEXT) | instid1(VALU_DEP_2)
	v_fmac_f32_e32 v17, s19, v30
	v_fma_f32 v16, v30, s18, -v16
	s_wait_alu 0xfffe
	s_cbranch_vccnz .LBB522_35
; %bb.34:                               ;   in Loop: Header=BB522_8 Depth=1
	v_add_co_u32 v25, vcc_lo, v0, v10
	s_wait_alu 0xfffd
	v_add_co_ci_u32_e64 v26, null, v24, v11, vcc_lo
	s_mov_b32 s13, 0
	flat_load_b64 v[30:31], v[25:26]
	s_wait_loadcnt_dscnt 0x0
	v_mul_f32_e32 v27, s25, v31
	v_mul_f32_e32 v31, s24, v31
	s_delay_alu instid0(VALU_DEP_2) | instskip(NEXT) | instid1(VALU_DEP_1)
	v_fma_f32 v27, v30, s24, -v27
	v_dual_fmac_f32 v31, s25, v30 :: v_dual_add_f32 v30, v16, v27
	s_delay_alu instid0(VALU_DEP_1)
	v_add_f32_e32 v31, v17, v31
	flat_store_b64 v[25:26], v[30:31]
.LBB522_35:                             ;   in Loop: Header=BB522_8 Depth=1
	s_wait_alu 0xfffe
	s_and_not1_b32 vcc_lo, exec_lo, s13
	s_wait_alu 0xfffe
	s_cbranch_vccnz .LBB522_37
; %bb.36:                               ;   in Loop: Header=BB522_8 Depth=1
	v_add_co_u32 v25, vcc_lo, v0, v10
	s_wait_alu 0xfffd
	v_add_co_ci_u32_e64 v26, null, v24, v11, vcc_lo
	flat_store_b64 v[25:26], v[16:17]
.LBB522_37:                             ;   in Loop: Header=BB522_8 Depth=1
	s_wait_alu 0xfffe
	s_or_b32 exec_lo, exec_lo, s12
	s_and_saveexec_b32 s12, s33
	s_cbranch_execz .LBB522_7
; %bb.38:                               ;   in Loop: Header=BB522_8 Depth=1
	v_mul_f32_e32 v17, s18, v28
	v_mul_f32_e32 v16, s19, v28
	s_and_not1_b32 vcc_lo, exec_lo, s35
	s_mov_b32 s13, -1
	s_delay_alu instid0(VALU_DEP_2) | instskip(NEXT) | instid1(VALU_DEP_2)
	v_fmac_f32_e32 v17, s19, v29
	v_fma_f32 v16, v29, s18, -v16
	s_wait_alu 0xfffe
	s_cbranch_vccnz .LBB522_40
; %bb.39:                               ;   in Loop: Header=BB522_8 Depth=1
	v_add_co_u32 v25, vcc_lo, v0, v12
	s_wait_alu 0xfffd
	v_add_co_ci_u32_e64 v26, null, v24, v13, vcc_lo
	s_mov_b32 s13, 0
	flat_load_b64 v[27:28], v[25:26]
	s_wait_loadcnt_dscnt 0x0
	v_mul_f32_e32 v29, s25, v28
	v_mul_f32_e32 v28, s24, v28
	s_delay_alu instid0(VALU_DEP_1) | instskip(NEXT) | instid1(VALU_DEP_3)
	v_fmac_f32_e32 v28, s25, v27
	v_fma_f32 v29, v27, s24, -v29
	s_delay_alu instid0(VALU_DEP_1)
	v_dual_add_f32 v28, v17, v28 :: v_dual_add_f32 v27, v16, v29
	flat_store_b64 v[25:26], v[27:28]
.LBB522_40:                             ;   in Loop: Header=BB522_8 Depth=1
	s_wait_alu 0xfffe
	s_and_not1_b32 vcc_lo, exec_lo, s13
	s_wait_alu 0xfffe
	s_cbranch_vccnz .LBB522_7
; %bb.41:                               ;   in Loop: Header=BB522_8 Depth=1
	v_add_co_u32 v25, vcc_lo, v0, v12
	s_wait_alu 0xfffd
	v_add_co_ci_u32_e64 v26, null, v24, v13, vcc_lo
	flat_store_b64 v[25:26], v[16:17]
	s_branch .LBB522_7
.LBB522_42:
	s_endpgm
	.section	.rodata,"a",@progbits
	.p2align	6, 0x0
	.amdhsa_kernel _ZL29rocblas_internal_gemmt_kernelIlLi16ELi32ELi8ELc78ELc78ELc85ELb0ELb0E19rocblas_complex_numIfES1_PKPKS1_PKPS1_EviT_T9_T10_S9_lSB_S9_lSA_T11_S9_li
		.amdhsa_group_segment_fixed_size 4096
		.amdhsa_private_segment_fixed_size 0
		.amdhsa_kernarg_size 108
		.amdhsa_user_sgpr_count 2
		.amdhsa_user_sgpr_dispatch_ptr 0
		.amdhsa_user_sgpr_queue_ptr 0
		.amdhsa_user_sgpr_kernarg_segment_ptr 1
		.amdhsa_user_sgpr_dispatch_id 0
		.amdhsa_user_sgpr_private_segment_size 0
		.amdhsa_wavefront_size32 1
		.amdhsa_uses_dynamic_stack 0
		.amdhsa_enable_private_segment 0
		.amdhsa_system_sgpr_workgroup_id_x 1
		.amdhsa_system_sgpr_workgroup_id_y 1
		.amdhsa_system_sgpr_workgroup_id_z 1
		.amdhsa_system_sgpr_workgroup_info 0
		.amdhsa_system_vgpr_workitem_id 1
		.amdhsa_next_free_vgpr 73
		.amdhsa_next_free_sgpr 39
		.amdhsa_reserve_vcc 1
		.amdhsa_float_round_mode_32 0
		.amdhsa_float_round_mode_16_64 0
		.amdhsa_float_denorm_mode_32 3
		.amdhsa_float_denorm_mode_16_64 3
		.amdhsa_fp16_overflow 0
		.amdhsa_workgroup_processor_mode 1
		.amdhsa_memory_ordered 1
		.amdhsa_forward_progress 1
		.amdhsa_inst_pref_size 26
		.amdhsa_round_robin_scheduling 0
		.amdhsa_exception_fp_ieee_invalid_op 0
		.amdhsa_exception_fp_denorm_src 0
		.amdhsa_exception_fp_ieee_div_zero 0
		.amdhsa_exception_fp_ieee_overflow 0
		.amdhsa_exception_fp_ieee_underflow 0
		.amdhsa_exception_fp_ieee_inexact 0
		.amdhsa_exception_int_div_zero 0
	.end_amdhsa_kernel
	.section	.text._ZL29rocblas_internal_gemmt_kernelIlLi16ELi32ELi8ELc78ELc78ELc85ELb0ELb0E19rocblas_complex_numIfES1_PKPKS1_PKPS1_EviT_T9_T10_S9_lSB_S9_lSA_T11_S9_li,"axG",@progbits,_ZL29rocblas_internal_gemmt_kernelIlLi16ELi32ELi8ELc78ELc78ELc85ELb0ELb0E19rocblas_complex_numIfES1_PKPKS1_PKPS1_EviT_T9_T10_S9_lSB_S9_lSA_T11_S9_li,comdat
.Lfunc_end522:
	.size	_ZL29rocblas_internal_gemmt_kernelIlLi16ELi32ELi8ELc78ELc78ELc85ELb0ELb0E19rocblas_complex_numIfES1_PKPKS1_PKPS1_EviT_T9_T10_S9_lSB_S9_lSA_T11_S9_li, .Lfunc_end522-_ZL29rocblas_internal_gemmt_kernelIlLi16ELi32ELi8ELc78ELc78ELc85ELb0ELb0E19rocblas_complex_numIfES1_PKPKS1_PKPS1_EviT_T9_T10_S9_lSB_S9_lSA_T11_S9_li
                                        ; -- End function
	.set _ZL29rocblas_internal_gemmt_kernelIlLi16ELi32ELi8ELc78ELc78ELc85ELb0ELb0E19rocblas_complex_numIfES1_PKPKS1_PKPS1_EviT_T9_T10_S9_lSB_S9_lSA_T11_S9_li.num_vgpr, 73
	.set _ZL29rocblas_internal_gemmt_kernelIlLi16ELi32ELi8ELc78ELc78ELc85ELb0ELb0E19rocblas_complex_numIfES1_PKPKS1_PKPS1_EviT_T9_T10_S9_lSB_S9_lSA_T11_S9_li.num_agpr, 0
	.set _ZL29rocblas_internal_gemmt_kernelIlLi16ELi32ELi8ELc78ELc78ELc85ELb0ELb0E19rocblas_complex_numIfES1_PKPKS1_PKPS1_EviT_T9_T10_S9_lSB_S9_lSA_T11_S9_li.numbered_sgpr, 39
	.set _ZL29rocblas_internal_gemmt_kernelIlLi16ELi32ELi8ELc78ELc78ELc85ELb0ELb0E19rocblas_complex_numIfES1_PKPKS1_PKPS1_EviT_T9_T10_S9_lSB_S9_lSA_T11_S9_li.num_named_barrier, 0
	.set _ZL29rocblas_internal_gemmt_kernelIlLi16ELi32ELi8ELc78ELc78ELc85ELb0ELb0E19rocblas_complex_numIfES1_PKPKS1_PKPS1_EviT_T9_T10_S9_lSB_S9_lSA_T11_S9_li.private_seg_size, 0
	.set _ZL29rocblas_internal_gemmt_kernelIlLi16ELi32ELi8ELc78ELc78ELc85ELb0ELb0E19rocblas_complex_numIfES1_PKPKS1_PKPS1_EviT_T9_T10_S9_lSB_S9_lSA_T11_S9_li.uses_vcc, 1
	.set _ZL29rocblas_internal_gemmt_kernelIlLi16ELi32ELi8ELc78ELc78ELc85ELb0ELb0E19rocblas_complex_numIfES1_PKPKS1_PKPS1_EviT_T9_T10_S9_lSB_S9_lSA_T11_S9_li.uses_flat_scratch, 0
	.set _ZL29rocblas_internal_gemmt_kernelIlLi16ELi32ELi8ELc78ELc78ELc85ELb0ELb0E19rocblas_complex_numIfES1_PKPKS1_PKPS1_EviT_T9_T10_S9_lSB_S9_lSA_T11_S9_li.has_dyn_sized_stack, 0
	.set _ZL29rocblas_internal_gemmt_kernelIlLi16ELi32ELi8ELc78ELc78ELc85ELb0ELb0E19rocblas_complex_numIfES1_PKPKS1_PKPS1_EviT_T9_T10_S9_lSB_S9_lSA_T11_S9_li.has_recursion, 0
	.set _ZL29rocblas_internal_gemmt_kernelIlLi16ELi32ELi8ELc78ELc78ELc85ELb0ELb0E19rocblas_complex_numIfES1_PKPKS1_PKPS1_EviT_T9_T10_S9_lSB_S9_lSA_T11_S9_li.has_indirect_call, 0
	.section	.AMDGPU.csdata,"",@progbits
; Kernel info:
; codeLenInByte = 3312
; TotalNumSgprs: 41
; NumVgprs: 73
; ScratchSize: 0
; MemoryBound: 0
; FloatMode: 240
; IeeeMode: 1
; LDSByteSize: 4096 bytes/workgroup (compile time only)
; SGPRBlocks: 0
; VGPRBlocks: 9
; NumSGPRsForWavesPerEU: 41
; NumVGPRsForWavesPerEU: 73
; Occupancy: 16
; WaveLimiterHint : 1
; COMPUTE_PGM_RSRC2:SCRATCH_EN: 0
; COMPUTE_PGM_RSRC2:USER_SGPR: 2
; COMPUTE_PGM_RSRC2:TRAP_HANDLER: 0
; COMPUTE_PGM_RSRC2:TGID_X_EN: 1
; COMPUTE_PGM_RSRC2:TGID_Y_EN: 1
; COMPUTE_PGM_RSRC2:TGID_Z_EN: 1
; COMPUTE_PGM_RSRC2:TIDIG_COMP_CNT: 1
	.section	.text._ZL29rocblas_internal_gemmt_kernelIlLi16ELi32ELi8ELc78ELc84ELc85ELb0ELb0E19rocblas_complex_numIfES1_PKPKS1_PKPS1_EviT_T9_T10_S9_lSB_S9_lSA_T11_S9_li,"axG",@progbits,_ZL29rocblas_internal_gemmt_kernelIlLi16ELi32ELi8ELc78ELc84ELc85ELb0ELb0E19rocblas_complex_numIfES1_PKPKS1_PKPS1_EviT_T9_T10_S9_lSB_S9_lSA_T11_S9_li,comdat
	.globl	_ZL29rocblas_internal_gemmt_kernelIlLi16ELi32ELi8ELc78ELc84ELc85ELb0ELb0E19rocblas_complex_numIfES1_PKPKS1_PKPS1_EviT_T9_T10_S9_lSB_S9_lSA_T11_S9_li ; -- Begin function _ZL29rocblas_internal_gemmt_kernelIlLi16ELi32ELi8ELc78ELc84ELc85ELb0ELb0E19rocblas_complex_numIfES1_PKPKS1_PKPS1_EviT_T9_T10_S9_lSB_S9_lSA_T11_S9_li
	.p2align	8
	.type	_ZL29rocblas_internal_gemmt_kernelIlLi16ELi32ELi8ELc78ELc84ELc85ELb0ELb0E19rocblas_complex_numIfES1_PKPKS1_PKPS1_EviT_T9_T10_S9_lSB_S9_lSA_T11_S9_li,@function
_ZL29rocblas_internal_gemmt_kernelIlLi16ELi32ELi8ELc78ELc84ELc85ELb0ELb0E19rocblas_complex_numIfES1_PKPKS1_PKPS1_EviT_T9_T10_S9_lSB_S9_lSA_T11_S9_li: ; @_ZL29rocblas_internal_gemmt_kernelIlLi16ELi32ELi8ELc78ELc84ELc85ELb0ELb0E19rocblas_complex_numIfES1_PKPKS1_PKPS1_EviT_T9_T10_S9_lSB_S9_lSA_T11_S9_li
; %bb.0:
	s_clause 0x1
	s_load_b64 s[6:7], s[0:1], 0x48
	s_load_b128 s[16:19], s[0:1], 0x8
	s_wait_kmcnt 0x0
	s_cmp_eq_f32 s6, 1.0
	s_cselect_b32 s2, -1, 0
	s_and_b32 s3, s7, 0x7fffffff
	s_delay_alu instid0(SALU_CYCLE_1) | instskip(SKIP_1) | instid1(SALU_CYCLE_1)
	s_cmp_eq_u32 s3, 0
	s_cselect_b32 s3, -1, 0
	s_and_b32 s4, s2, s3
	s_mov_b32 s2, 0
	s_and_not1_b32 vcc_lo, exec_lo, s4
	s_mov_b32 s4, -1
	s_cbranch_vccnz .LBB523_4
; %bb.1:
	s_cmp_lg_u64 s[16:17], 0
	s_cbranch_scc0 .LBB523_3
; %bb.2:
	s_cmp_neq_f32 s18, 0
	s_cselect_b32 s2, -1, 0
	s_cmp_neq_f32 s19, 0
	s_cselect_b32 s4, -1, 0
	s_delay_alu instid0(SALU_CYCLE_1)
	s_or_b32 s2, s2, s4
.LBB523_3:
	s_delay_alu instid0(SALU_CYCLE_1)
	s_mov_b32 s4, s2
.LBB523_4:
	s_delay_alu instid0(SALU_CYCLE_1)
	s_and_b32 vcc_lo, exec_lo, s4
	s_cbranch_vccz .LBB523_42
; %bb.5:
	s_load_b32 s30, s[0:1], 0x68
	s_lshr_b32 s28, ttmp7, 16
	s_wait_kmcnt 0x0
	s_cmp_ge_u32 s28, s30
	s_cbranch_scc1 .LBB523_42
; %bb.6:
	s_clause 0x3
	s_load_b32 s4, s[0:1], 0x0
	s_load_b256 s[8:15], s[0:1], 0x18
	s_load_b128 s[20:23], s[0:1], 0x38
	s_load_b128 s[24:27], s[0:1], 0x50
	v_and_b32_e32 v6, 0x3ff, v0
	v_bfe_u32 v11, v0, 10, 10
	s_lshl_b32 s2, ttmp7, 5
	v_and_b32_e32 v16, 7, v0
	s_and_b32 s2, s2, 0x1fffe0
	s_lshl_b32 s5, ttmp9, 5
	v_lshl_add_u32 v0, v11, 4, v6
	v_add_nc_u32_e32 v15, s2, v11
	v_lshlrev_b32_e32 v3, 3, v16
	s_cmp_neq_f32 s18, 0
	s_load_b64 s[38:39], s[0:1], 0x60
	v_lshrrev_b32_e32 v17, 5, v0
	v_add_nc_u32_e32 v22, 16, v15
	s_cselect_b32 s31, -1, 0
	s_cmp_neq_f32 s19, 0
	v_lshl_add_u32 v21, v11, 6, 0x800
	v_cmp_gt_i64_e64 s35, s[16:17], 0
	s_wait_kmcnt 0x0
	v_cmp_gt_i32_e64 s1, s4, v15
	s_cselect_b32 s0, -1, 0
	v_mad_co_u64_u32 v[4:5], null, s26, v15, 0
	v_and_b32_e32 v1, 31, v0
	v_lshrrev_b32_e32 v0, 3, v0
	s_or_b32 s34, s31, s0
	s_cmp_neq_f32 s6, 0
	s_mov_b32 s29, 0
	s_delay_alu instid0(VALU_DEP_1)
	v_add_nc_u32_e32 v14, s2, v0
	v_lshl_or_b32 v0, v0, 6, v3
	s_cselect_b32 s36, -1, 0
	s_xor_b32 s37, s3, -1
	v_cmp_gt_i32_e64 s3, s4, v22
	s_and_b32 s34, s34, s35
	v_dual_mov_b32 v0, v5 :: v_dual_add_nc_u32 v19, 0x800, v0
	v_or_b32_e32 v2, s5, v1
	v_lshlrev_b32_e32 v1, 3, v1
	s_or_b32 s35, s36, s37
	s_delay_alu instid0(VALU_DEP_2) | instskip(NEXT) | instid1(VALU_DEP_2)
	v_ashrrev_i32_e32 v3, 31, v2
	v_lshl_or_b32 v18, v17, 8, v1
	v_dual_mov_b32 v1, 0 :: v_dual_lshlrev_b32 v20, 3, v6
	v_add_nc_u32_e32 v8, s5, v6
	v_mad_co_u64_u32 v[6:7], null, s26, v22, 0
	s_delay_alu instid0(VALU_DEP_3) | instskip(NEXT) | instid1(VALU_DEP_3)
	v_mad_co_u64_u32 v[9:10], null, s27, v15, v[0:1]
	v_add_nc_u32_e32 v10, 16, v8
	v_cmp_le_i32_e64 s2, v8, v15
	v_cmp_gt_i32_e64 s0, s4, v2
	v_cmp_le_i32_e64 s31, s4, v2
	v_mov_b32_e32 v0, v7
	v_ashrrev_i32_e32 v11, 31, v10
	v_mov_b32_e32 v5, v9
	v_ashrrev_i32_e32 v9, 31, v8
	s_and_b32 s26, s1, s2
	v_mad_co_u64_u32 v[12:13], null, s27, v22, v[0:1]
	v_cmp_le_i32_e64 s2, v10, v15
	v_cmp_le_i32_e64 s5, v10, v22
	v_lshlrev_b64_e32 v[2:3], 3, v[2:3]
	v_lshlrev_b64_e32 v[4:5], 3, v[4:5]
	;; [unrolled: 1-line block ×3, first 2 shown]
	s_and_b32 s1, s1, s2
	v_mov_b32_e32 v7, v12
	v_cmp_gt_i32_e32 vcc_lo, s4, v14
	v_cmp_le_i32_e64 s4, v8, v22
	v_lshlrev_b64_e32 v[8:9], 3, v[8:9]
	v_lshlrev_b32_e32 v22, 3, v14
	v_lshlrev_b64_e32 v[6:7], 3, v[6:7]
	s_and_b32 s33, s3, s5
	s_and_b32 s27, s3, s4
	s_lshl_b64 s[2:3], s[22:23], 3
	s_lshl_b64 s[4:5], s[12:13], 3
	s_xor_b32 s36, vcc_lo, -1
	s_lshl_b64 s[12:13], s[38:39], 3
                                        ; implicit-def: $vgpr12_vgpr13
	s_branch .LBB523_8
.LBB523_7:                              ;   in Loop: Header=BB523_8 Depth=1
	s_wait_alu 0xfffe
	s_or_b32 exec_lo, exec_lo, s22
	s_add_co_i32 s28, s28, 0x10000
	s_delay_alu instid0(SALU_CYCLE_1)
	s_cmp_lt_u32 s28, s30
	s_cbranch_scc0 .LBB523_42
.LBB523_8:                              ; =>This Loop Header: Depth=1
                                        ;     Child Loop BB523_11 Depth 2
	s_lshl_b64 s[22:23], s[28:29], 3
	s_and_not1_b32 vcc_lo, exec_lo, s34
	s_wait_alu 0xfffe
	s_add_nc_u64 s[38:39], s[24:25], s[22:23]
	global_load_b64 v[14:15], v1, s[38:39]
	s_cbranch_vccnz .LBB523_21
; %bb.9:                                ;   in Loop: Header=BB523_8 Depth=1
	s_add_nc_u64 s[38:39], s[8:9], s[22:23]
	s_add_nc_u64 s[22:23], s[14:15], s[22:23]
	s_clause 0x1
	global_load_b64 v[23:24], v1, s[38:39]
	global_load_b64 v[25:26], v1, s[22:23]
	v_dual_mov_b32 v27, 0 :: v_dual_mov_b32 v28, 0
	v_dual_mov_b32 v30, 0 :: v_dual_mov_b32 v29, 0
	;; [unrolled: 1-line block ×4, first 2 shown]
	s_mov_b64 s[22:23], 0
	s_wait_loadcnt 0x1
	v_add_co_u32 v0, vcc_lo, v23, s4
	s_wait_alu 0xfffd
	v_add_co_ci_u32_e64 v24, null, s5, v24, vcc_lo
	s_wait_loadcnt 0x0
	v_add_co_u32 v25, vcc_lo, v25, s2
	s_wait_alu 0xfffd
	v_add_co_ci_u32_e64 v26, null, s3, v26, vcc_lo
	v_add_co_u32 v23, vcc_lo, v0, v2
	s_wait_alu 0xfffd
	v_add_co_ci_u32_e64 v24, null, v24, v3, vcc_lo
	v_add_co_u32 v25, vcc_lo, v25, v22
	s_wait_alu 0xfffd
	v_add_co_ci_u32_e64 v26, null, 0, v26, vcc_lo
	s_branch .LBB523_11
.LBB523_10:                             ;   in Loop: Header=BB523_11 Depth=2
	s_or_b32 exec_lo, exec_lo, s37
	s_wait_dscnt 0x0
	s_barrier_signal -1
	s_barrier_wait -1
	global_inv scope:SCOPE_SE
	ds_load_b128 v[35:38], v21
	ds_load_2addr_b64 v[39:42], v20 offset1:16
	ds_load_b128 v[43:46], v21 offset:1024
	ds_load_b128 v[47:50], v21 offset:16
	;; [unrolled: 1-line block ×4, first 2 shown]
	ds_load_2addr_b64 v[59:62], v20 offset0:32 offset1:48
	ds_load_b128 v[63:66], v21 offset:1040
	s_add_nc_u64 s[22:23], s[22:23], 8
	s_wait_alu 0xfffe
	v_cmp_gt_i64_e64 s37, s[16:17], s[22:23]
	s_and_b32 vcc_lo, exec_lo, s37
	s_wait_dscnt 0x6
	v_dual_mul_f32 v0, v36, v40 :: v_dual_mul_f32 v69, v35, v42
	v_dual_mul_f32 v67, v35, v40 :: v_dual_mul_f32 v68, v36, v42
	s_wait_dscnt 0x5
	v_mul_f32_e32 v71, v44, v42
	s_delay_alu instid0(VALU_DEP_3) | instskip(SKIP_3) | instid1(VALU_DEP_4)
	v_fma_f32 v0, v35, v39, -v0
	v_dual_mul_f32 v42, v43, v42 :: v_dual_fmac_f32 v69, v36, v41
	v_fmac_f32_e32 v67, v36, v39
	v_fma_f32 v35, v35, v41, -v68
	v_add_f32_e32 v0, v33, v0
	v_mul_f32_e32 v70, v44, v40
	s_delay_alu instid0(VALU_DEP_4) | instskip(NEXT) | instid1(VALU_DEP_4)
	v_dual_mul_f32 v40, v43, v40 :: v_dual_add_f32 v33, v34, v67
	v_add_f32_e32 v34, v31, v35
	v_fmac_f32_e32 v42, v44, v41
	s_delay_alu instid0(VALU_DEP_4) | instskip(NEXT) | instid1(VALU_DEP_4)
	v_fma_f32 v36, v43, v39, -v70
	v_fmac_f32_e32 v40, v44, v39
	v_fma_f32 v39, v43, v41, -v71
	s_wait_dscnt 0x1
	v_dual_mul_f32 v41, v37, v60 :: v_dual_add_f32 v32, v32, v69
	v_mul_f32_e32 v43, v38, v62
	v_add_f32_e32 v35, v29, v36
	v_dual_add_f32 v36, v30, v40 :: v_dual_add_f32 v39, v28, v39
	ds_load_2addr_b64 v[28:31], v20 offset0:64 offset1:80
	v_fmac_f32_e32 v41, v38, v59
	v_dual_mul_f32 v40, v38, v60 :: v_dual_add_f32 v27, v27, v42
	v_mul_f32_e32 v42, v37, v62
	s_delay_alu instid0(VALU_DEP_3) | instskip(NEXT) | instid1(VALU_DEP_3)
	v_add_f32_e32 v41, v33, v41
	v_fma_f32 v40, v37, v59, -v40
	v_fma_f32 v37, v37, v61, -v43
	v_mul_f32_e32 v33, v45, v60
	s_delay_alu instid0(VALU_DEP_3) | instskip(SKIP_1) | instid1(VALU_DEP_4)
	v_add_f32_e32 v0, v0, v40
	v_mul_f32_e32 v40, v46, v60
	v_add_f32_e32 v37, v34, v37
	v_fmac_f32_e32 v42, v38, v61
	v_mul_f32_e32 v38, v46, v62
	v_fmac_f32_e32 v33, v46, v59
	v_fma_f32 v34, v45, v59, -v40
	s_delay_alu instid0(VALU_DEP_4) | instskip(SKIP_4) | instid1(VALU_DEP_3)
	v_add_f32_e32 v40, v32, v42
	v_mul_f32_e32 v42, v45, v62
	v_fma_f32 v32, v45, v61, -v38
	s_wait_dscnt 0x0
	v_dual_add_f32 v43, v35, v34 :: v_dual_mul_f32 v34, v48, v29
	v_dual_mul_f32 v45, v48, v31 :: v_dual_fmac_f32 v42, v46, v61
	v_mul_f32_e32 v38, v47, v29
	v_add_f32_e32 v39, v39, v32
	s_delay_alu instid0(VALU_DEP_3) | instskip(SKIP_3) | instid1(VALU_DEP_3)
	v_add_f32_e32 v42, v27, v42
	v_mul_f32_e32 v27, v47, v31
	v_fma_f32 v44, v47, v28, -v34
	v_fmac_f32_e32 v38, v48, v28
	v_fmac_f32_e32 v27, v48, v30
	s_delay_alu instid0(VALU_DEP_3)
	v_add_f32_e32 v0, v0, v44
	v_fma_f32 v44, v47, v30, -v45
	v_add_f32_e32 v36, v36, v33
	ds_load_2addr_b64 v[32:35], v20 offset0:96 offset1:112
	v_dual_add_f32 v38, v41, v38 :: v_dual_mul_f32 v41, v64, v29
	v_mul_f32_e32 v29, v63, v29
	v_dual_add_f32 v37, v37, v44 :: v_dual_mul_f32 v44, v64, v31
	v_mul_f32_e32 v31, v63, v31
	s_delay_alu instid0(VALU_DEP_4) | instskip(NEXT) | instid1(VALU_DEP_4)
	v_fma_f32 v41, v63, v28, -v41
	v_fmac_f32_e32 v29, v64, v28
	v_add_f32_e32 v40, v40, v27
	v_fma_f32 v27, v63, v30, -v44
	v_fmac_f32_e32 v31, v64, v30
	v_add_f32_e32 v41, v43, v41
	s_delay_alu instid0(VALU_DEP_3) | instskip(SKIP_4) | instid1(VALU_DEP_2)
	v_dual_add_f32 v43, v36, v29 :: v_dual_add_f32 v44, v39, v27
	ds_load_2addr_b64 v[27:30], v20 offset0:128 offset1:144
	s_wait_dscnt 0x1
	v_mul_f32_e32 v36, v50, v33
	v_dual_mul_f32 v39, v49, v33 :: v_dual_mul_f32 v48, v66, v35
	v_fma_f32 v36, v49, v32, -v36
	v_mul_f32_e32 v45, v50, v35
	s_delay_alu instid0(VALU_DEP_3) | instskip(NEXT) | instid1(VALU_DEP_3)
	v_fmac_f32_e32 v39, v50, v32
	v_add_f32_e32 v0, v0, v36
	s_delay_alu instid0(VALU_DEP_3) | instskip(SKIP_3) | instid1(VALU_DEP_4)
	v_fma_f32 v45, v49, v34, -v45
	v_add_f32_e32 v42, v42, v31
	v_dual_mul_f32 v31, v49, v35 :: v_dual_mul_f32 v36, v66, v33
	v_dual_add_f32 v46, v38, v39 :: v_dual_mul_f32 v33, v65, v33
	v_add_f32_e32 v45, v37, v45
	s_delay_alu instid0(VALU_DEP_3) | instskip(NEXT) | instid1(VALU_DEP_4)
	v_fmac_f32_e32 v31, v50, v34
	v_fma_f32 v47, v65, v32, -v36
	ds_load_b128 v[36:39], v21 offset:1056
	v_fmac_f32_e32 v33, v66, v32
	s_wait_dscnt 0x1
	v_mul_f32_e32 v32, v52, v28
	v_add_f32_e32 v49, v40, v31
	v_dual_mul_f32 v35, v65, v35 :: v_dual_mul_f32 v50, v51, v28
	s_delay_alu instid0(VALU_DEP_3)
	v_fma_f32 v40, v51, v27, -v32
	v_add_f32_e32 v47, v41, v47
	v_mul_f32_e32 v41, v52, v30
	v_fma_f32 v31, v65, v34, -v48
	v_dual_fmac_f32 v35, v66, v34 :: v_dual_fmac_f32 v50, v52, v27
	v_add_f32_e32 v0, v0, v40
	s_delay_alu instid0(VALU_DEP_4) | instskip(NEXT) | instid1(VALU_DEP_4)
	v_fma_f32 v59, v51, v29, -v41
	v_add_f32_e32 v44, v44, v31
	v_add_f32_e32 v48, v43, v33
	ds_load_2addr_b64 v[31:34], v20 offset0:160 offset1:176
	v_add_f32_e32 v35, v42, v35
	ds_load_b128 v[40:43], v21 offset:1072
	s_wait_dscnt 0x2
	v_dual_mul_f32 v51, v51, v30 :: v_dual_mul_f32 v60, v37, v28
	v_mul_f32_e32 v28, v36, v28
	s_delay_alu instid0(VALU_DEP_2) | instskip(SKIP_1) | instid1(VALU_DEP_3)
	v_dual_add_f32 v46, v46, v50 :: v_dual_fmac_f32 v51, v52, v29
	v_mul_f32_e32 v52, v37, v30
	v_fmac_f32_e32 v28, v37, v27
	v_fma_f32 v50, v36, v27, -v60
	s_delay_alu instid0(VALU_DEP_4) | instskip(SKIP_2) | instid1(VALU_DEP_2)
	v_add_f32_e32 v49, v49, v51
	v_mul_f32_e32 v51, v36, v30
	v_add_f32_e32 v45, v45, v59
	v_fmac_f32_e32 v51, v37, v29
	s_wait_dscnt 0x1
	v_mul_f32_e32 v37, v53, v32
	s_delay_alu instid0(VALU_DEP_1) | instskip(SKIP_4) | instid1(VALU_DEP_4)
	v_fmac_f32_e32 v37, v54, v31
	v_fma_f32 v27, v36, v29, -v52
	v_add_f32_e32 v36, v48, v28
	v_dual_mul_f32 v48, v54, v32 :: v_dual_add_f32 v47, v47, v50
	v_mul_f32_e32 v50, v54, v34
	v_add_f32_e32 v44, v44, v27
	ds_load_2addr_b64 v[27:30], v20 offset0:192 offset1:208
	v_fma_f32 v48, v53, v31, -v48
	v_add_f32_e32 v51, v35, v51
	v_dual_mul_f32 v35, v53, v34 :: v_dual_add_f32 v46, v46, v37
	v_mul_f32_e32 v37, v39, v32
	s_delay_alu instid0(VALU_DEP_4) | instskip(SKIP_4) | instid1(VALU_DEP_4)
	v_add_f32_e32 v0, v0, v48
	v_fma_f32 v48, v53, v33, -v50
	v_mul_f32_e32 v32, v38, v32
	v_fmac_f32_e32 v35, v54, v33
	v_fma_f32 v37, v38, v31, -v37
	v_dual_add_f32 v45, v45, v48 :: v_dual_mul_f32 v48, v39, v34
	s_delay_alu instid0(VALU_DEP_4) | instskip(NEXT) | instid1(VALU_DEP_4)
	v_dual_fmac_f32 v32, v39, v31 :: v_dual_mul_f32 v31, v38, v34
	v_add_f32_e32 v49, v49, v35
	s_delay_alu instid0(VALU_DEP_3) | instskip(NEXT) | instid1(VALU_DEP_3)
	v_fma_f32 v34, v38, v33, -v48
	v_dual_add_f32 v32, v36, v32 :: v_dual_fmac_f32 v31, v39, v33
	s_wait_dscnt 0x0
	s_delay_alu instid0(VALU_DEP_2) | instskip(SKIP_1) | instid1(VALU_DEP_3)
	v_dual_mul_f32 v48, v41, v28 :: v_dual_add_f32 v33, v44, v34
	v_mul_f32_e32 v34, v55, v28
	v_dual_mul_f32 v44, v56, v30 :: v_dual_add_f32 v31, v51, v31
	s_delay_alu instid0(VALU_DEP_2) | instskip(SKIP_1) | instid1(VALU_DEP_3)
	v_fmac_f32_e32 v34, v56, v27
	v_mul_f32_e32 v35, v56, v28
	v_fma_f32 v44, v55, v29, -v44
	v_mul_f32_e32 v28, v40, v28
	s_delay_alu instid0(VALU_DEP_4) | instskip(NEXT) | instid1(VALU_DEP_4)
	v_add_f32_e32 v34, v46, v34
	v_fma_f32 v39, v55, v27, -v35
	v_add_f32_e32 v47, v47, v37
	ds_load_2addr_b64 v[35:38], v20 offset0:224 offset1:240
	v_add_f32_e32 v44, v45, v44
	v_mul_f32_e32 v46, v41, v30
	v_dual_add_f32 v0, v0, v39 :: v_dual_mul_f32 v39, v55, v30
	v_fma_f32 v45, v40, v27, -v48
	v_fmac_f32_e32 v28, v41, v27
	v_mul_f32_e32 v30, v40, v30
	v_fma_f32 v40, v40, v29, -v46
	v_fmac_f32_e32 v39, v56, v29
	s_wait_loadcnt_dscnt 0x0
	s_barrier_signal -1
	v_fmac_f32_e32 v30, v41, v29
	v_add_f32_e32 v40, v33, v40
	v_add_f32_e32 v27, v49, v39
	v_dual_add_f32 v39, v47, v45 :: v_dual_add_f32 v28, v32, v28
	s_barrier_wait -1
	global_inv scope:SCOPE_SE
	v_mul_f32_e32 v29, v57, v36
	v_mul_f32_e32 v33, v58, v38
	s_delay_alu instid0(VALU_DEP_2) | instskip(SKIP_1) | instid1(VALU_DEP_3)
	v_fmac_f32_e32 v29, v58, v35
	v_dual_mul_f32 v32, v58, v36 :: v_dual_add_f32 v41, v31, v30
	v_fma_f32 v31, v57, v37, -v33
	s_delay_alu instid0(VALU_DEP_2) | instskip(NEXT) | instid1(VALU_DEP_2)
	v_fma_f32 v32, v57, v35, -v32
	v_dual_mul_f32 v30, v57, v38 :: v_dual_add_f32 v31, v44, v31
	v_mul_f32_e32 v44, v43, v38
	s_delay_alu instid0(VALU_DEP_3) | instskip(NEXT) | instid1(VALU_DEP_3)
	v_dual_mul_f32 v38, v42, v38 :: v_dual_add_f32 v33, v0, v32
	v_fmac_f32_e32 v30, v58, v37
	s_delay_alu instid0(VALU_DEP_2) | instskip(SKIP_2) | instid1(VALU_DEP_4)
	v_fmac_f32_e32 v38, v43, v37
	v_mul_f32_e32 v0, v43, v36
	v_mul_f32_e32 v36, v42, v36
	v_add_f32_e32 v32, v27, v30
	s_delay_alu instid0(VALU_DEP_4) | instskip(NEXT) | instid1(VALU_DEP_4)
	v_add_f32_e32 v27, v41, v38
	v_fma_f32 v0, v42, v35, -v0
	v_add_f32_e32 v34, v34, v29
	v_fmac_f32_e32 v36, v43, v35
	s_delay_alu instid0(VALU_DEP_3) | instskip(SKIP_1) | instid1(VALU_DEP_3)
	v_add_f32_e32 v29, v39, v0
	v_fma_f32 v0, v42, v37, -v44
	v_add_f32_e32 v30, v28, v36
	s_delay_alu instid0(VALU_DEP_2)
	v_add_f32_e32 v28, v40, v0
	s_wait_alu 0xfffe
	s_cbranch_vccz .LBB523_22
.LBB523_11:                             ;   Parent Loop BB523_8 Depth=1
                                        ; =>  This Inner Loop Header: Depth=2
	s_mov_b32 s37, 0
	s_mov_b32 s39, s31
	s_and_saveexec_b32 s38, s0
	s_cbranch_execnz .LBB523_19
; %bb.12:                               ;   in Loop: Header=BB523_11 Depth=2
	s_or_b32 exec_lo, exec_lo, s38
	s_and_saveexec_b32 s38, s39
	s_delay_alu instid0(SALU_CYCLE_1)
	s_xor_b32 s38, exec_lo, s38
	s_cbranch_execnz .LBB523_20
.LBB523_13:                             ;   in Loop: Header=BB523_11 Depth=2
	s_or_b32 exec_lo, exec_lo, s38
	s_and_saveexec_b32 s38, s37
	s_cbranch_execz .LBB523_15
.LBB523_14:                             ;   in Loop: Header=BB523_11 Depth=2
	v_mul_lo_u32 v0, s11, v12
	v_mul_lo_u32 v37, s10, v13
	v_mad_co_u64_u32 v[35:36], null, s10, v12, 0
	s_delay_alu instid0(VALU_DEP_1) | instskip(NEXT) | instid1(VALU_DEP_1)
	v_add3_u32 v36, v36, v37, v0
	v_lshlrev_b64_e32 v[35:36], 3, v[35:36]
	s_delay_alu instid0(VALU_DEP_1) | instskip(SKIP_1) | instid1(VALU_DEP_2)
	v_add_co_u32 v35, vcc_lo, v23, v35
	s_wait_alu 0xfffd
	v_add_co_ci_u32_e64 v36, null, v24, v36, vcc_lo
	flat_load_b64 v[35:36], v[35:36]
	s_wait_loadcnt_dscnt 0x0
	ds_store_b64 v18, v[35:36]
.LBB523_15:                             ;   in Loop: Header=BB523_11 Depth=2
	s_or_b32 exec_lo, exec_lo, s38
	s_wait_alu 0xfffe
	v_add_nc_u32_e32 v0, s22, v16
	s_delay_alu instid0(VALU_DEP_1) | instskip(SKIP_1) | instid1(SALU_CYCLE_1)
	v_cmp_le_u64_e32 vcc_lo, s[16:17], v[0:1]
	s_or_b32 s37, vcc_lo, s36
	s_and_saveexec_b32 s38, s37
	s_delay_alu instid0(SALU_CYCLE_1)
	s_xor_b32 s37, exec_lo, s38
; %bb.16:                               ;   in Loop: Header=BB523_11 Depth=2
	v_mov_b32_e32 v0, v1
	ds_store_b64 v19, v[0:1]
; %bb.17:                               ;   in Loop: Header=BB523_11 Depth=2
	s_and_not1_saveexec_b32 s37, s37
	s_cbranch_execz .LBB523_10
; %bb.18:                               ;   in Loop: Header=BB523_11 Depth=2
	v_mad_co_u64_u32 v[35:36], null, s20, v0, 0
	s_delay_alu instid0(VALU_DEP_1) | instskip(NEXT) | instid1(VALU_DEP_1)
	v_mad_co_u64_u32 v[36:37], null, s21, v0, v[36:37]
	v_lshlrev_b64_e32 v[35:36], 3, v[35:36]
	s_delay_alu instid0(VALU_DEP_1) | instskip(SKIP_1) | instid1(VALU_DEP_2)
	v_add_co_u32 v35, vcc_lo, v25, v35
	s_wait_alu 0xfffd
	v_add_co_ci_u32_e64 v36, null, v26, v36, vcc_lo
	flat_load_b64 v[35:36], v[35:36]
	s_wait_loadcnt_dscnt 0x0
	ds_store_b64 v19, v[35:36]
	s_branch .LBB523_10
.LBB523_19:                             ;   in Loop: Header=BB523_11 Depth=2
	s_wait_alu 0xfffe
	v_add_nc_u32_e32 v0, s22, v17
	v_mov_b32_e32 v13, v1
	s_and_not1_b32 s39, s31, exec_lo
	s_mov_b32 s37, exec_lo
	s_delay_alu instid0(VALU_DEP_2) | instskip(SKIP_2) | instid1(SALU_CYCLE_1)
	v_cmp_le_u64_e32 vcc_lo, s[16:17], v[0:1]
	v_mov_b32_e32 v12, v0
	s_and_b32 s40, vcc_lo, exec_lo
	s_or_b32 s39, s39, s40
	s_or_b32 exec_lo, exec_lo, s38
	s_and_saveexec_b32 s38, s39
	s_delay_alu instid0(SALU_CYCLE_1)
	s_xor_b32 s38, exec_lo, s38
	s_cbranch_execz .LBB523_13
.LBB523_20:                             ;   in Loop: Header=BB523_11 Depth=2
	v_mov_b32_e32 v0, v1
	s_and_not1_b32 s37, s37, exec_lo
	ds_store_b64 v18, v[0:1]
	s_or_b32 exec_lo, exec_lo, s38
	s_and_saveexec_b32 s38, s37
	s_cbranch_execnz .LBB523_14
	s_branch .LBB523_15
.LBB523_21:                             ;   in Loop: Header=BB523_8 Depth=1
	v_dual_mov_b32 v33, v1 :: v_dual_mov_b32 v34, v1
	v_dual_mov_b32 v31, v1 :: v_dual_mov_b32 v32, v1
	;; [unrolled: 1-line block ×4, first 2 shown]
.LBB523_22:                             ;   in Loop: Header=BB523_8 Depth=1
	s_wait_loadcnt 0x0
	v_add_co_u32 v0, vcc_lo, v14, s12
	s_wait_alu 0xfffd
	v_add_co_ci_u32_e64 v23, null, s13, v15, vcc_lo
	s_delay_alu instid0(VALU_DEP_2) | instskip(SKIP_1) | instid1(VALU_DEP_2)
	v_add_co_u32 v24, vcc_lo, v0, v4
	s_wait_alu 0xfffd
	v_add_co_ci_u32_e64 v25, null, v23, v5, vcc_lo
	s_wait_alu 0xfffe
	s_and_saveexec_b32 s22, s26
	s_cbranch_execz .LBB523_27
; %bb.23:                               ;   in Loop: Header=BB523_8 Depth=1
	v_mul_f32_e32 v15, s18, v34
	v_mul_f32_e32 v14, s19, v34
	s_and_b32 vcc_lo, exec_lo, s35
	s_mov_b32 s23, -1
	s_delay_alu instid0(VALU_DEP_2) | instskip(NEXT) | instid1(VALU_DEP_2)
	v_fmac_f32_e32 v15, s19, v33
	v_fma_f32 v14, v33, s18, -v14
	s_wait_alu 0xfffe
	s_cbranch_vccz .LBB523_25
; %bb.24:                               ;   in Loop: Header=BB523_8 Depth=1
	v_add_co_u32 v33, vcc_lo, v24, v8
	s_wait_alu 0xfffd
	v_add_co_ci_u32_e64 v34, null, v25, v9, vcc_lo
	s_mov_b32 s23, 0
	flat_load_b64 v[35:36], v[33:34]
	s_wait_loadcnt_dscnt 0x0
	v_mul_f32_e32 v26, s7, v36
	s_delay_alu instid0(VALU_DEP_1) | instskip(SKIP_1) | instid1(VALU_DEP_1)
	v_fma_f32 v26, v35, s6, -v26
	v_mul_f32_e32 v36, s6, v36
	v_dual_fmac_f32 v36, s7, v35 :: v_dual_add_f32 v35, v14, v26
	s_delay_alu instid0(VALU_DEP_1)
	v_add_f32_e32 v36, v15, v36
	flat_store_b64 v[33:34], v[35:36]
.LBB523_25:                             ;   in Loop: Header=BB523_8 Depth=1
	s_wait_alu 0xfffe
	s_and_not1_b32 vcc_lo, exec_lo, s23
	s_wait_alu 0xfffe
	s_cbranch_vccnz .LBB523_27
; %bb.26:                               ;   in Loop: Header=BB523_8 Depth=1
	v_add_co_u32 v33, vcc_lo, v24, v8
	s_wait_alu 0xfffd
	v_add_co_ci_u32_e64 v34, null, v25, v9, vcc_lo
	flat_store_b64 v[33:34], v[14:15]
.LBB523_27:                             ;   in Loop: Header=BB523_8 Depth=1
	s_wait_alu 0xfffe
	s_or_b32 exec_lo, exec_lo, s22
	s_and_saveexec_b32 s22, s1
	s_cbranch_execz .LBB523_32
; %bb.28:                               ;   in Loop: Header=BB523_8 Depth=1
	v_mul_f32_e32 v15, s18, v32
	v_mul_f32_e32 v14, s19, v32
	s_and_not1_b32 vcc_lo, exec_lo, s35
	s_mov_b32 s23, -1
	s_delay_alu instid0(VALU_DEP_2) | instskip(NEXT) | instid1(VALU_DEP_2)
	v_fmac_f32_e32 v15, s19, v31
	v_fma_f32 v14, v31, s18, -v14
	s_wait_alu 0xfffe
	s_cbranch_vccnz .LBB523_30
; %bb.29:                               ;   in Loop: Header=BB523_8 Depth=1
	v_add_co_u32 v31, vcc_lo, v24, v10
	s_wait_alu 0xfffd
	v_add_co_ci_u32_e64 v32, null, v25, v11, vcc_lo
	s_mov_b32 s23, 0
	flat_load_b64 v[33:34], v[31:32]
	s_wait_loadcnt_dscnt 0x0
	v_mul_f32_e32 v26, s7, v34
	v_mul_f32_e32 v34, s6, v34
	s_delay_alu instid0(VALU_DEP_2) | instskip(NEXT) | instid1(VALU_DEP_1)
	v_fma_f32 v26, v33, s6, -v26
	v_dual_fmac_f32 v34, s7, v33 :: v_dual_add_f32 v33, v14, v26
	s_delay_alu instid0(VALU_DEP_1)
	v_add_f32_e32 v34, v15, v34
	flat_store_b64 v[31:32], v[33:34]
.LBB523_30:                             ;   in Loop: Header=BB523_8 Depth=1
	s_wait_alu 0xfffe
	s_and_not1_b32 vcc_lo, exec_lo, s23
	s_wait_alu 0xfffe
	s_cbranch_vccnz .LBB523_32
; %bb.31:                               ;   in Loop: Header=BB523_8 Depth=1
	v_add_co_u32 v24, vcc_lo, v24, v10
	s_wait_alu 0xfffd
	v_add_co_ci_u32_e64 v25, null, v25, v11, vcc_lo
	flat_store_b64 v[24:25], v[14:15]
.LBB523_32:                             ;   in Loop: Header=BB523_8 Depth=1
	s_wait_alu 0xfffe
	s_or_b32 exec_lo, exec_lo, s22
	v_add_co_u32 v0, vcc_lo, v0, v6
	s_wait_alu 0xfffd
	v_add_co_ci_u32_e64 v23, null, v23, v7, vcc_lo
	s_and_saveexec_b32 s22, s27
	s_cbranch_execz .LBB523_37
; %bb.33:                               ;   in Loop: Header=BB523_8 Depth=1
	v_mul_f32_e32 v15, s18, v30
	v_mul_f32_e32 v14, s19, v30
	s_and_not1_b32 vcc_lo, exec_lo, s35
	s_mov_b32 s23, -1
	s_delay_alu instid0(VALU_DEP_2) | instskip(NEXT) | instid1(VALU_DEP_2)
	v_fmac_f32_e32 v15, s19, v29
	v_fma_f32 v14, v29, s18, -v14
	s_wait_alu 0xfffe
	s_cbranch_vccnz .LBB523_35
; %bb.34:                               ;   in Loop: Header=BB523_8 Depth=1
	v_add_co_u32 v24, vcc_lo, v0, v8
	s_wait_alu 0xfffd
	v_add_co_ci_u32_e64 v25, null, v23, v9, vcc_lo
	s_mov_b32 s23, 0
	flat_load_b64 v[29:30], v[24:25]
	s_wait_loadcnt_dscnt 0x0
	v_mul_f32_e32 v26, s7, v30
	v_mul_f32_e32 v30, s6, v30
	s_delay_alu instid0(VALU_DEP_2) | instskip(NEXT) | instid1(VALU_DEP_1)
	v_fma_f32 v26, v29, s6, -v26
	v_dual_fmac_f32 v30, s7, v29 :: v_dual_add_f32 v29, v14, v26
	s_delay_alu instid0(VALU_DEP_1)
	v_add_f32_e32 v30, v15, v30
	flat_store_b64 v[24:25], v[29:30]
.LBB523_35:                             ;   in Loop: Header=BB523_8 Depth=1
	s_wait_alu 0xfffe
	s_and_not1_b32 vcc_lo, exec_lo, s23
	s_wait_alu 0xfffe
	s_cbranch_vccnz .LBB523_37
; %bb.36:                               ;   in Loop: Header=BB523_8 Depth=1
	v_add_co_u32 v24, vcc_lo, v0, v8
	s_wait_alu 0xfffd
	v_add_co_ci_u32_e64 v25, null, v23, v9, vcc_lo
	flat_store_b64 v[24:25], v[14:15]
.LBB523_37:                             ;   in Loop: Header=BB523_8 Depth=1
	s_wait_alu 0xfffe
	s_or_b32 exec_lo, exec_lo, s22
	s_and_saveexec_b32 s22, s33
	s_cbranch_execz .LBB523_7
; %bb.38:                               ;   in Loop: Header=BB523_8 Depth=1
	v_mul_f32_e32 v15, s18, v27
	v_mul_f32_e32 v14, s19, v27
	s_and_not1_b32 vcc_lo, exec_lo, s35
	s_mov_b32 s23, -1
	s_delay_alu instid0(VALU_DEP_2) | instskip(NEXT) | instid1(VALU_DEP_2)
	v_fmac_f32_e32 v15, s19, v28
	v_fma_f32 v14, v28, s18, -v14
	s_wait_alu 0xfffe
	s_cbranch_vccnz .LBB523_40
; %bb.39:                               ;   in Loop: Header=BB523_8 Depth=1
	v_add_co_u32 v24, vcc_lo, v0, v10
	s_wait_alu 0xfffd
	v_add_co_ci_u32_e64 v25, null, v23, v11, vcc_lo
	s_mov_b32 s23, 0
	flat_load_b64 v[26:27], v[24:25]
	s_wait_loadcnt_dscnt 0x0
	v_mul_f32_e32 v28, s7, v27
	v_mul_f32_e32 v27, s6, v27
	s_delay_alu instid0(VALU_DEP_1) | instskip(NEXT) | instid1(VALU_DEP_3)
	v_fmac_f32_e32 v27, s7, v26
	v_fma_f32 v28, v26, s6, -v28
	s_delay_alu instid0(VALU_DEP_1)
	v_dual_add_f32 v27, v15, v27 :: v_dual_add_f32 v26, v14, v28
	flat_store_b64 v[24:25], v[26:27]
.LBB523_40:                             ;   in Loop: Header=BB523_8 Depth=1
	s_wait_alu 0xfffe
	s_and_not1_b32 vcc_lo, exec_lo, s23
	s_wait_alu 0xfffe
	s_cbranch_vccnz .LBB523_7
; %bb.41:                               ;   in Loop: Header=BB523_8 Depth=1
	v_add_co_u32 v24, vcc_lo, v0, v10
	s_wait_alu 0xfffd
	v_add_co_ci_u32_e64 v25, null, v23, v11, vcc_lo
	flat_store_b64 v[24:25], v[14:15]
	s_branch .LBB523_7
.LBB523_42:
	s_endpgm
	.section	.rodata,"a",@progbits
	.p2align	6, 0x0
	.amdhsa_kernel _ZL29rocblas_internal_gemmt_kernelIlLi16ELi32ELi8ELc78ELc84ELc85ELb0ELb0E19rocblas_complex_numIfES1_PKPKS1_PKPS1_EviT_T9_T10_S9_lSB_S9_lSA_T11_S9_li
		.amdhsa_group_segment_fixed_size 4096
		.amdhsa_private_segment_fixed_size 0
		.amdhsa_kernarg_size 108
		.amdhsa_user_sgpr_count 2
		.amdhsa_user_sgpr_dispatch_ptr 0
		.amdhsa_user_sgpr_queue_ptr 0
		.amdhsa_user_sgpr_kernarg_segment_ptr 1
		.amdhsa_user_sgpr_dispatch_id 0
		.amdhsa_user_sgpr_private_segment_size 0
		.amdhsa_wavefront_size32 1
		.amdhsa_uses_dynamic_stack 0
		.amdhsa_enable_private_segment 0
		.amdhsa_system_sgpr_workgroup_id_x 1
		.amdhsa_system_sgpr_workgroup_id_y 1
		.amdhsa_system_sgpr_workgroup_id_z 1
		.amdhsa_system_sgpr_workgroup_info 0
		.amdhsa_system_vgpr_workitem_id 1
		.amdhsa_next_free_vgpr 72
		.amdhsa_next_free_sgpr 41
		.amdhsa_reserve_vcc 1
		.amdhsa_float_round_mode_32 0
		.amdhsa_float_round_mode_16_64 0
		.amdhsa_float_denorm_mode_32 3
		.amdhsa_float_denorm_mode_16_64 3
		.amdhsa_fp16_overflow 0
		.amdhsa_workgroup_processor_mode 1
		.amdhsa_memory_ordered 1
		.amdhsa_forward_progress 1
		.amdhsa_inst_pref_size 26
		.amdhsa_round_robin_scheduling 0
		.amdhsa_exception_fp_ieee_invalid_op 0
		.amdhsa_exception_fp_denorm_src 0
		.amdhsa_exception_fp_ieee_div_zero 0
		.amdhsa_exception_fp_ieee_overflow 0
		.amdhsa_exception_fp_ieee_underflow 0
		.amdhsa_exception_fp_ieee_inexact 0
		.amdhsa_exception_int_div_zero 0
	.end_amdhsa_kernel
	.section	.text._ZL29rocblas_internal_gemmt_kernelIlLi16ELi32ELi8ELc78ELc84ELc85ELb0ELb0E19rocblas_complex_numIfES1_PKPKS1_PKPS1_EviT_T9_T10_S9_lSB_S9_lSA_T11_S9_li,"axG",@progbits,_ZL29rocblas_internal_gemmt_kernelIlLi16ELi32ELi8ELc78ELc84ELc85ELb0ELb0E19rocblas_complex_numIfES1_PKPKS1_PKPS1_EviT_T9_T10_S9_lSB_S9_lSA_T11_S9_li,comdat
.Lfunc_end523:
	.size	_ZL29rocblas_internal_gemmt_kernelIlLi16ELi32ELi8ELc78ELc84ELc85ELb0ELb0E19rocblas_complex_numIfES1_PKPKS1_PKPS1_EviT_T9_T10_S9_lSB_S9_lSA_T11_S9_li, .Lfunc_end523-_ZL29rocblas_internal_gemmt_kernelIlLi16ELi32ELi8ELc78ELc84ELc85ELb0ELb0E19rocblas_complex_numIfES1_PKPKS1_PKPS1_EviT_T9_T10_S9_lSB_S9_lSA_T11_S9_li
                                        ; -- End function
	.set _ZL29rocblas_internal_gemmt_kernelIlLi16ELi32ELi8ELc78ELc84ELc85ELb0ELb0E19rocblas_complex_numIfES1_PKPKS1_PKPS1_EviT_T9_T10_S9_lSB_S9_lSA_T11_S9_li.num_vgpr, 72
	.set _ZL29rocblas_internal_gemmt_kernelIlLi16ELi32ELi8ELc78ELc84ELc85ELb0ELb0E19rocblas_complex_numIfES1_PKPKS1_PKPS1_EviT_T9_T10_S9_lSB_S9_lSA_T11_S9_li.num_agpr, 0
	.set _ZL29rocblas_internal_gemmt_kernelIlLi16ELi32ELi8ELc78ELc84ELc85ELb0ELb0E19rocblas_complex_numIfES1_PKPKS1_PKPS1_EviT_T9_T10_S9_lSB_S9_lSA_T11_S9_li.numbered_sgpr, 41
	.set _ZL29rocblas_internal_gemmt_kernelIlLi16ELi32ELi8ELc78ELc84ELc85ELb0ELb0E19rocblas_complex_numIfES1_PKPKS1_PKPS1_EviT_T9_T10_S9_lSB_S9_lSA_T11_S9_li.num_named_barrier, 0
	.set _ZL29rocblas_internal_gemmt_kernelIlLi16ELi32ELi8ELc78ELc84ELc85ELb0ELb0E19rocblas_complex_numIfES1_PKPKS1_PKPS1_EviT_T9_T10_S9_lSB_S9_lSA_T11_S9_li.private_seg_size, 0
	.set _ZL29rocblas_internal_gemmt_kernelIlLi16ELi32ELi8ELc78ELc84ELc85ELb0ELb0E19rocblas_complex_numIfES1_PKPKS1_PKPS1_EviT_T9_T10_S9_lSB_S9_lSA_T11_S9_li.uses_vcc, 1
	.set _ZL29rocblas_internal_gemmt_kernelIlLi16ELi32ELi8ELc78ELc84ELc85ELb0ELb0E19rocblas_complex_numIfES1_PKPKS1_PKPS1_EviT_T9_T10_S9_lSB_S9_lSA_T11_S9_li.uses_flat_scratch, 0
	.set _ZL29rocblas_internal_gemmt_kernelIlLi16ELi32ELi8ELc78ELc84ELc85ELb0ELb0E19rocblas_complex_numIfES1_PKPKS1_PKPS1_EviT_T9_T10_S9_lSB_S9_lSA_T11_S9_li.has_dyn_sized_stack, 0
	.set _ZL29rocblas_internal_gemmt_kernelIlLi16ELi32ELi8ELc78ELc84ELc85ELb0ELb0E19rocblas_complex_numIfES1_PKPKS1_PKPS1_EviT_T9_T10_S9_lSB_S9_lSA_T11_S9_li.has_recursion, 0
	.set _ZL29rocblas_internal_gemmt_kernelIlLi16ELi32ELi8ELc78ELc84ELc85ELb0ELb0E19rocblas_complex_numIfES1_PKPKS1_PKPS1_EviT_T9_T10_S9_lSB_S9_lSA_T11_S9_li.has_indirect_call, 0
	.section	.AMDGPU.csdata,"",@progbits
; Kernel info:
; codeLenInByte = 3300
; TotalNumSgprs: 43
; NumVgprs: 72
; ScratchSize: 0
; MemoryBound: 0
; FloatMode: 240
; IeeeMode: 1
; LDSByteSize: 4096 bytes/workgroup (compile time only)
; SGPRBlocks: 0
; VGPRBlocks: 8
; NumSGPRsForWavesPerEU: 43
; NumVGPRsForWavesPerEU: 72
; Occupancy: 16
; WaveLimiterHint : 1
; COMPUTE_PGM_RSRC2:SCRATCH_EN: 0
; COMPUTE_PGM_RSRC2:USER_SGPR: 2
; COMPUTE_PGM_RSRC2:TRAP_HANDLER: 0
; COMPUTE_PGM_RSRC2:TGID_X_EN: 1
; COMPUTE_PGM_RSRC2:TGID_Y_EN: 1
; COMPUTE_PGM_RSRC2:TGID_Z_EN: 1
; COMPUTE_PGM_RSRC2:TIDIG_COMP_CNT: 1
	.section	.text._ZL29rocblas_internal_gemmt_kernelIlLi16ELi32ELi8ELc78ELc67ELc85ELb0ELb1E19rocblas_complex_numIfES1_PKPKS1_PKPS1_EviT_T9_T10_S9_lSB_S9_lSA_T11_S9_li,"axG",@progbits,_ZL29rocblas_internal_gemmt_kernelIlLi16ELi32ELi8ELc78ELc67ELc85ELb0ELb1E19rocblas_complex_numIfES1_PKPKS1_PKPS1_EviT_T9_T10_S9_lSB_S9_lSA_T11_S9_li,comdat
	.globl	_ZL29rocblas_internal_gemmt_kernelIlLi16ELi32ELi8ELc78ELc67ELc85ELb0ELb1E19rocblas_complex_numIfES1_PKPKS1_PKPS1_EviT_T9_T10_S9_lSB_S9_lSA_T11_S9_li ; -- Begin function _ZL29rocblas_internal_gemmt_kernelIlLi16ELi32ELi8ELc78ELc67ELc85ELb0ELb1E19rocblas_complex_numIfES1_PKPKS1_PKPS1_EviT_T9_T10_S9_lSB_S9_lSA_T11_S9_li
	.p2align	8
	.type	_ZL29rocblas_internal_gemmt_kernelIlLi16ELi32ELi8ELc78ELc67ELc85ELb0ELb1E19rocblas_complex_numIfES1_PKPKS1_PKPS1_EviT_T9_T10_S9_lSB_S9_lSA_T11_S9_li,@function
_ZL29rocblas_internal_gemmt_kernelIlLi16ELi32ELi8ELc78ELc67ELc85ELb0ELb1E19rocblas_complex_numIfES1_PKPKS1_PKPS1_EviT_T9_T10_S9_lSB_S9_lSA_T11_S9_li: ; @_ZL29rocblas_internal_gemmt_kernelIlLi16ELi32ELi8ELc78ELc67ELc85ELb0ELb1E19rocblas_complex_numIfES1_PKPKS1_PKPS1_EviT_T9_T10_S9_lSB_S9_lSA_T11_S9_li
; %bb.0:
	s_clause 0x1
	s_load_b64 s[6:7], s[0:1], 0x48
	s_load_b128 s[16:19], s[0:1], 0x8
	s_wait_kmcnt 0x0
	s_cmp_eq_f32 s6, 1.0
	s_cselect_b32 s2, -1, 0
	s_and_b32 s3, s7, 0x7fffffff
	s_delay_alu instid0(SALU_CYCLE_1) | instskip(SKIP_1) | instid1(SALU_CYCLE_1)
	s_cmp_eq_u32 s3, 0
	s_cselect_b32 s3, -1, 0
	s_and_b32 s4, s2, s3
	s_mov_b32 s2, 0
	s_and_not1_b32 vcc_lo, exec_lo, s4
	s_mov_b32 s4, -1
	s_cbranch_vccnz .LBB524_4
; %bb.1:
	s_cmp_lg_u64 s[16:17], 0
	s_cbranch_scc0 .LBB524_3
; %bb.2:
	s_cmp_neq_f32 s18, 0
	s_cselect_b32 s2, -1, 0
	s_cmp_neq_f32 s19, 0
	s_cselect_b32 s4, -1, 0
	s_delay_alu instid0(SALU_CYCLE_1)
	s_or_b32 s2, s2, s4
.LBB524_3:
	s_delay_alu instid0(SALU_CYCLE_1)
	s_mov_b32 s4, s2
.LBB524_4:
	s_delay_alu instid0(SALU_CYCLE_1)
	s_and_b32 vcc_lo, exec_lo, s4
	s_cbranch_vccz .LBB524_42
; %bb.5:
	s_load_b32 s30, s[0:1], 0x68
	s_lshr_b32 s28, ttmp7, 16
	s_wait_kmcnt 0x0
	s_cmp_ge_u32 s28, s30
	s_cbranch_scc1 .LBB524_42
; %bb.6:
	s_clause 0x3
	s_load_b32 s4, s[0:1], 0x0
	s_load_b256 s[8:15], s[0:1], 0x18
	s_load_b128 s[20:23], s[0:1], 0x38
	s_load_b128 s[24:27], s[0:1], 0x50
	v_and_b32_e32 v6, 0x3ff, v0
	v_bfe_u32 v11, v0, 10, 10
	s_lshl_b32 s2, ttmp7, 5
	v_and_b32_e32 v16, 7, v0
	s_and_b32 s2, s2, 0x1fffe0
	s_lshl_b32 s5, ttmp9, 5
	v_lshl_add_u32 v0, v11, 4, v6
	v_add_nc_u32_e32 v15, s2, v11
	v_lshlrev_b32_e32 v3, 3, v16
	s_cmp_neq_f32 s18, 0
	s_load_b64 s[38:39], s[0:1], 0x60
	v_lshrrev_b32_e32 v17, 5, v0
	v_add_nc_u32_e32 v22, 16, v15
	s_cselect_b32 s31, -1, 0
	s_cmp_neq_f32 s19, 0
	v_lshl_add_u32 v21, v11, 6, 0x800
	v_cmp_gt_i64_e64 s35, s[16:17], 0
	s_wait_kmcnt 0x0
	v_cmp_gt_i32_e64 s1, s4, v15
	s_cselect_b32 s0, -1, 0
	v_mad_co_u64_u32 v[4:5], null, s26, v15, 0
	v_and_b32_e32 v1, 31, v0
	v_lshrrev_b32_e32 v0, 3, v0
	s_or_b32 s34, s31, s0
	s_cmp_neq_f32 s6, 0
	s_mov_b32 s29, 0
	s_delay_alu instid0(VALU_DEP_1)
	v_add_nc_u32_e32 v14, s2, v0
	v_lshl_or_b32 v0, v0, 6, v3
	s_cselect_b32 s36, -1, 0
	s_xor_b32 s37, s3, -1
	v_cmp_gt_i32_e64 s3, s4, v22
	s_and_b32 s34, s34, s35
	v_dual_mov_b32 v0, v5 :: v_dual_add_nc_u32 v19, 0x800, v0
	v_or_b32_e32 v2, s5, v1
	v_lshlrev_b32_e32 v1, 3, v1
	s_or_b32 s35, s36, s37
	s_delay_alu instid0(VALU_DEP_2) | instskip(NEXT) | instid1(VALU_DEP_2)
	v_ashrrev_i32_e32 v3, 31, v2
	v_lshl_or_b32 v18, v17, 8, v1
	v_dual_mov_b32 v1, 0 :: v_dual_lshlrev_b32 v20, 3, v6
	v_add_nc_u32_e32 v8, s5, v6
	v_mad_co_u64_u32 v[6:7], null, s26, v22, 0
	s_delay_alu instid0(VALU_DEP_3) | instskip(NEXT) | instid1(VALU_DEP_3)
	v_mad_co_u64_u32 v[9:10], null, s27, v15, v[0:1]
	v_add_nc_u32_e32 v10, 16, v8
	v_cmp_le_i32_e64 s2, v8, v15
	v_cmp_gt_i32_e64 s0, s4, v2
	v_cmp_le_i32_e64 s31, s4, v2
	v_mov_b32_e32 v0, v7
	v_ashrrev_i32_e32 v11, 31, v10
	v_mov_b32_e32 v5, v9
	v_ashrrev_i32_e32 v9, 31, v8
	s_and_b32 s26, s1, s2
	v_mad_co_u64_u32 v[12:13], null, s27, v22, v[0:1]
	v_cmp_le_i32_e64 s2, v10, v15
	v_cmp_le_i32_e64 s5, v10, v22
	v_lshlrev_b64_e32 v[2:3], 3, v[2:3]
	v_lshlrev_b64_e32 v[4:5], 3, v[4:5]
	v_lshlrev_b64_e32 v[10:11], 3, v[10:11]
	s_and_b32 s1, s1, s2
	v_mov_b32_e32 v7, v12
	v_cmp_gt_i32_e32 vcc_lo, s4, v14
	v_cmp_le_i32_e64 s4, v8, v22
	v_lshlrev_b64_e32 v[8:9], 3, v[8:9]
	v_lshlrev_b32_e32 v22, 3, v14
	v_lshlrev_b64_e32 v[6:7], 3, v[6:7]
	s_and_b32 s33, s3, s5
	s_and_b32 s27, s3, s4
	s_lshl_b64 s[2:3], s[22:23], 3
	s_lshl_b64 s[4:5], s[12:13], 3
	s_xor_b32 s36, vcc_lo, -1
	s_lshl_b64 s[12:13], s[38:39], 3
                                        ; implicit-def: $vgpr12_vgpr13
	s_branch .LBB524_8
.LBB524_7:                              ;   in Loop: Header=BB524_8 Depth=1
	s_wait_alu 0xfffe
	s_or_b32 exec_lo, exec_lo, s22
	s_add_co_i32 s28, s28, 0x10000
	s_delay_alu instid0(SALU_CYCLE_1)
	s_cmp_lt_u32 s28, s30
	s_cbranch_scc0 .LBB524_42
.LBB524_8:                              ; =>This Loop Header: Depth=1
                                        ;     Child Loop BB524_11 Depth 2
	s_lshl_b64 s[22:23], s[28:29], 3
	s_and_not1_b32 vcc_lo, exec_lo, s34
	s_wait_alu 0xfffe
	s_add_nc_u64 s[38:39], s[24:25], s[22:23]
	global_load_b64 v[14:15], v1, s[38:39]
	s_cbranch_vccnz .LBB524_21
; %bb.9:                                ;   in Loop: Header=BB524_8 Depth=1
	s_add_nc_u64 s[38:39], s[8:9], s[22:23]
	s_add_nc_u64 s[22:23], s[14:15], s[22:23]
	s_clause 0x1
	global_load_b64 v[23:24], v1, s[38:39]
	global_load_b64 v[25:26], v1, s[22:23]
	v_dual_mov_b32 v27, 0 :: v_dual_mov_b32 v28, 0
	v_dual_mov_b32 v30, 0 :: v_dual_mov_b32 v29, 0
	;; [unrolled: 1-line block ×4, first 2 shown]
	s_mov_b64 s[22:23], 0
	s_wait_loadcnt 0x1
	v_add_co_u32 v0, vcc_lo, v23, s4
	s_wait_alu 0xfffd
	v_add_co_ci_u32_e64 v24, null, s5, v24, vcc_lo
	s_wait_loadcnt 0x0
	v_add_co_u32 v25, vcc_lo, v25, s2
	s_wait_alu 0xfffd
	v_add_co_ci_u32_e64 v26, null, s3, v26, vcc_lo
	v_add_co_u32 v23, vcc_lo, v0, v2
	s_wait_alu 0xfffd
	v_add_co_ci_u32_e64 v24, null, v24, v3, vcc_lo
	;; [unrolled: 3-line block ×3, first 2 shown]
	s_branch .LBB524_11
.LBB524_10:                             ;   in Loop: Header=BB524_11 Depth=2
	s_or_b32 exec_lo, exec_lo, s37
	ds_store_b32 v19, v35 offset:4
	s_wait_dscnt 0x0
	s_barrier_signal -1
	s_barrier_wait -1
	global_inv scope:SCOPE_SE
	ds_load_b128 v[35:38], v21
	ds_load_2addr_b64 v[39:42], v20 offset1:16
	ds_load_b128 v[43:46], v21 offset:1024
	ds_load_b128 v[47:50], v21 offset:16
	;; [unrolled: 1-line block ×4, first 2 shown]
	ds_load_2addr_b64 v[59:62], v20 offset0:32 offset1:48
	ds_load_b128 v[63:66], v21 offset:1040
	s_add_nc_u64 s[22:23], s[22:23], 8
	s_wait_alu 0xfffe
	v_cmp_gt_i64_e64 s37, s[16:17], s[22:23]
	s_and_b32 vcc_lo, exec_lo, s37
	s_wait_dscnt 0x6
	v_dual_mul_f32 v0, v36, v40 :: v_dual_mul_f32 v69, v35, v42
	v_dual_mul_f32 v67, v35, v40 :: v_dual_mul_f32 v68, v36, v42
	s_wait_dscnt 0x5
	v_mul_f32_e32 v71, v44, v42
	s_delay_alu instid0(VALU_DEP_3) | instskip(SKIP_3) | instid1(VALU_DEP_4)
	v_fma_f32 v0, v35, v39, -v0
	v_dual_mul_f32 v42, v43, v42 :: v_dual_fmac_f32 v69, v36, v41
	v_fmac_f32_e32 v67, v36, v39
	v_fma_f32 v35, v35, v41, -v68
	v_add_f32_e32 v0, v33, v0
	v_mul_f32_e32 v70, v44, v40
	s_delay_alu instid0(VALU_DEP_4) | instskip(NEXT) | instid1(VALU_DEP_4)
	v_dual_mul_f32 v40, v43, v40 :: v_dual_add_f32 v33, v34, v67
	v_add_f32_e32 v34, v31, v35
	v_fma_f32 v31, v43, v41, -v71
	s_delay_alu instid0(VALU_DEP_4) | instskip(NEXT) | instid1(VALU_DEP_4)
	v_fma_f32 v36, v43, v39, -v70
	v_fmac_f32_e32 v40, v44, v39
	s_wait_dscnt 0x1
	v_dual_add_f32 v32, v32, v69 :: v_dual_mul_f32 v39, v38, v60
	v_dual_fmac_f32 v42, v44, v41 :: v_dual_mul_f32 v43, v38, v62
	v_add_f32_e32 v35, v29, v36
	v_add_f32_e32 v36, v30, v40
	v_dual_add_f32 v40, v28, v31 :: v_dual_mul_f32 v41, v37, v60
	ds_load_2addr_b64 v[28:31], v20 offset0:64 offset1:80
	v_fma_f32 v39, v37, v59, -v39
	v_add_f32_e32 v27, v27, v42
	v_dual_mul_f32 v42, v37, v62 :: v_dual_fmac_f32 v41, v38, v59
	v_fma_f32 v37, v37, v61, -v43
	s_delay_alu instid0(VALU_DEP_4) | instskip(NEXT) | instid1(VALU_DEP_3)
	v_dual_add_f32 v0, v0, v39 :: v_dual_mul_f32 v39, v46, v60
	v_fmac_f32_e32 v42, v38, v61
	s_delay_alu instid0(VALU_DEP_4)
	v_add_f32_e32 v41, v33, v41
	v_mul_f32_e32 v33, v45, v60
	v_add_f32_e32 v37, v34, v37
	v_fma_f32 v34, v45, v59, -v39
	v_mul_f32_e32 v38, v46, v62
	v_add_f32_e32 v39, v32, v42
	v_dual_mul_f32 v42, v45, v62 :: v_dual_fmac_f32 v33, v46, v59
	s_delay_alu instid0(VALU_DEP_4) | instskip(NEXT) | instid1(VALU_DEP_4)
	v_add_f32_e32 v43, v35, v34
	v_fma_f32 v32, v45, v61, -v38
	s_wait_dscnt 0x0
	v_mul_f32_e32 v34, v48, v29
	v_dual_fmac_f32 v42, v46, v61 :: v_dual_mul_f32 v45, v48, v31
	s_delay_alu instid0(VALU_DEP_3) | instskip(SKIP_1) | instid1(VALU_DEP_4)
	v_add_f32_e32 v40, v40, v32
	v_add_f32_e32 v36, v36, v33
	v_fma_f32 v44, v47, v28, -v34
	s_delay_alu instid0(VALU_DEP_4)
	v_add_f32_e32 v42, v27, v42
	v_mul_f32_e32 v27, v47, v31
	v_mul_f32_e32 v38, v47, v29
	ds_load_2addr_b64 v[32:35], v20 offset0:96 offset1:112
	v_add_f32_e32 v0, v0, v44
	v_fma_f32 v44, v47, v30, -v45
	v_fmac_f32_e32 v27, v48, v30
	v_fmac_f32_e32 v38, v48, v28
	s_delay_alu instid0(VALU_DEP_3) | instskip(NEXT) | instid1(VALU_DEP_2)
	v_dual_add_f32 v37, v37, v44 :: v_dual_mul_f32 v44, v64, v31
	v_dual_add_f32 v38, v41, v38 :: v_dual_mul_f32 v41, v64, v29
	v_mul_f32_e32 v29, v63, v29
	v_mul_f32_e32 v31, v63, v31
	v_add_f32_e32 v45, v39, v27
	v_fma_f32 v27, v63, v30, -v44
	v_fma_f32 v41, v63, v28, -v41
	v_fmac_f32_e32 v29, v64, v28
	v_fmac_f32_e32 v31, v64, v30
	s_delay_alu instid0(VALU_DEP_3) | instskip(SKIP_1) | instid1(VALU_DEP_3)
	v_dual_add_f32 v40, v40, v27 :: v_dual_add_f32 v41, v43, v41
	s_wait_dscnt 0x0
	v_dual_add_f32 v43, v36, v29 :: v_dual_mul_f32 v44, v50, v35
	ds_load_2addr_b64 v[27:30], v20 offset0:128 offset1:144
	v_mul_f32_e32 v36, v50, v33
	v_mul_f32_e32 v48, v66, v35
	v_fma_f32 v44, v49, v34, -v44
	s_delay_alu instid0(VALU_DEP_3) | instskip(NEXT) | instid1(VALU_DEP_1)
	v_fma_f32 v36, v49, v32, -v36
	v_add_f32_e32 v0, v0, v36
	v_mul_f32_e32 v36, v66, v33
	v_dual_mul_f32 v39, v49, v33 :: v_dual_add_f32 v42, v42, v31
	v_mul_f32_e32 v31, v49, v35
	v_mul_f32_e32 v33, v65, v33
	s_delay_alu instid0(VALU_DEP_4) | instskip(NEXT) | instid1(VALU_DEP_2)
	v_fma_f32 v47, v65, v32, -v36
	v_fmac_f32_e32 v33, v66, v32
	v_fmac_f32_e32 v39, v50, v32
	s_wait_dscnt 0x0
	v_dual_mul_f32 v32, v52, v28 :: v_dual_fmac_f32 v31, v50, v34
	s_delay_alu instid0(VALU_DEP_1) | instskip(SKIP_1) | instid1(VALU_DEP_2)
	v_dual_mul_f32 v50, v51, v28 :: v_dual_add_f32 v45, v45, v31
	v_fma_f32 v31, v65, v34, -v48
	v_fmac_f32_e32 v50, v52, v27
	v_add_f32_e32 v48, v43, v33
	v_add_f32_e32 v46, v38, v39
	;; [unrolled: 1-line block ×4, first 2 shown]
	v_fma_f32 v40, v51, v27, -v32
	v_mul_f32_e32 v35, v65, v35
	v_mul_f32_e32 v41, v52, v30
	v_add_f32_e32 v46, v46, v50
	s_delay_alu instid0(VALU_DEP_4) | instskip(NEXT) | instid1(VALU_DEP_4)
	v_add_f32_e32 v0, v0, v40
	v_dual_add_f32 v44, v37, v44 :: v_dual_fmac_f32 v35, v66, v34
	ds_load_b128 v[36:39], v21 offset:1056
	ds_load_2addr_b64 v[31:34], v20 offset0:160 offset1:176
	v_fma_f32 v59, v51, v29, -v41
	v_mul_f32_e32 v51, v51, v30
	v_add_f32_e32 v35, v42, v35
	ds_load_b128 v[40:43], v21 offset:1072
	v_add_f32_e32 v44, v44, v59
	s_wait_dscnt 0x2
	v_dual_fmac_f32 v51, v52, v29 :: v_dual_mul_f32 v52, v37, v30
	v_mul_f32_e32 v60, v37, v28
	v_mul_f32_e32 v28, v36, v28
	s_delay_alu instid0(VALU_DEP_2) | instskip(NEXT) | instid1(VALU_DEP_2)
	v_fma_f32 v50, v36, v27, -v60
	v_fmac_f32_e32 v28, v37, v27
	v_add_f32_e32 v45, v45, v51
	v_mul_f32_e32 v51, v36, v30
	v_fma_f32 v27, v36, v29, -v52
	s_delay_alu instid0(VALU_DEP_4) | instskip(SKIP_1) | instid1(VALU_DEP_3)
	v_dual_add_f32 v47, v47, v50 :: v_dual_add_f32 v36, v48, v28
	s_wait_dscnt 0x1
	v_dual_mul_f32 v48, v54, v32 :: v_dual_fmac_f32 v51, v37, v29
	v_dual_mul_f32 v50, v54, v34 :: v_dual_mul_f32 v37, v53, v32
	s_delay_alu instid0(VALU_DEP_2) | instskip(SKIP_4) | instid1(VALU_DEP_1)
	v_fma_f32 v48, v53, v31, -v48
	v_add_f32_e32 v49, v49, v27
	ds_load_2addr_b64 v[27:30], v20 offset0:192 offset1:208
	v_add_f32_e32 v0, v0, v48
	v_fma_f32 v48, v53, v33, -v50
	v_add_f32_e32 v44, v44, v48
	v_dual_mul_f32 v48, v39, v34 :: v_dual_fmac_f32 v37, v54, v31
	v_add_f32_e32 v51, v35, v51
	s_delay_alu instid0(VALU_DEP_2) | instskip(SKIP_2) | instid1(VALU_DEP_3)
	v_dual_mul_f32 v35, v53, v34 :: v_dual_add_f32 v46, v46, v37
	v_mul_f32_e32 v37, v39, v32
	v_mul_f32_e32 v32, v38, v32
	v_fmac_f32_e32 v35, v54, v33
	s_delay_alu instid0(VALU_DEP_3) | instskip(NEXT) | instid1(VALU_DEP_3)
	v_fma_f32 v37, v38, v31, -v37
	v_dual_fmac_f32 v32, v39, v31 :: v_dual_mul_f32 v31, v38, v34
	v_fma_f32 v34, v38, v33, -v48
	s_wait_dscnt 0x0
	v_dual_add_f32 v45, v45, v35 :: v_dual_mul_f32 v48, v56, v30
	s_delay_alu instid0(VALU_DEP_3) | instskip(NEXT) | instid1(VALU_DEP_3)
	v_dual_add_f32 v32, v36, v32 :: v_dual_fmac_f32 v31, v39, v33
	v_dual_add_f32 v33, v49, v34 :: v_dual_mul_f32 v34, v55, v28
	v_add_f32_e32 v47, v47, v37
	s_delay_alu instid0(VALU_DEP_4) | instskip(NEXT) | instid1(VALU_DEP_3)
	v_fma_f32 v48, v55, v29, -v48
	v_dual_mul_f32 v49, v41, v28 :: v_dual_fmac_f32 v34, v56, v27
	v_mul_f32_e32 v35, v56, v28
	v_mul_f32_e32 v28, v40, v28
	s_delay_alu instid0(VALU_DEP_4)
	v_add_f32_e32 v44, v44, v48
	v_mul_f32_e32 v48, v41, v30
	v_add_f32_e32 v34, v46, v34
	v_fma_f32 v39, v55, v27, -v35
	ds_load_2addr_b64 v[35:38], v20 offset0:224 offset1:240
	v_fmac_f32_e32 v28, v41, v27
	s_wait_loadcnt_dscnt 0x0
	s_barrier_signal -1
	v_dual_add_f32 v0, v0, v39 :: v_dual_mul_f32 v39, v55, v30
	v_dual_add_f32 v31, v51, v31 :: v_dual_mul_f32 v30, v40, v30
	v_fma_f32 v46, v40, v27, -v49
	v_fma_f32 v40, v40, v29, -v48
	s_delay_alu instid0(VALU_DEP_4)
	v_fmac_f32_e32 v39, v56, v29
	v_add_f32_e32 v28, v32, v28
	v_fmac_f32_e32 v30, v41, v29
	s_barrier_wait -1
	v_add_f32_e32 v40, v33, v40
	v_add_f32_e32 v27, v45, v39
	;; [unrolled: 1-line block ×3, first 2 shown]
	global_inv scope:SCOPE_SE
	v_mul_f32_e32 v32, v58, v36
	v_mul_f32_e32 v33, v58, v38
	v_add_f32_e32 v41, v31, v30
	s_delay_alu instid0(VALU_DEP_3) | instskip(SKIP_1) | instid1(VALU_DEP_4)
	v_fma_f32 v32, v57, v35, -v32
	v_mul_f32_e32 v30, v57, v38
	v_fma_f32 v31, v57, v37, -v33
	s_delay_alu instid0(VALU_DEP_3) | instskip(NEXT) | instid1(VALU_DEP_3)
	v_add_f32_e32 v33, v0, v32
	v_dual_mul_f32 v29, v57, v36 :: v_dual_fmac_f32 v30, v58, v37
	s_delay_alu instid0(VALU_DEP_3) | instskip(NEXT) | instid1(VALU_DEP_2)
	v_dual_mul_f32 v0, v43, v36 :: v_dual_add_f32 v31, v44, v31
	v_dual_mul_f32 v44, v43, v38 :: v_dual_fmac_f32 v29, v58, v35
	s_delay_alu instid0(VALU_DEP_3) | instskip(NEXT) | instid1(VALU_DEP_3)
	v_add_f32_e32 v32, v27, v30
	v_fma_f32 v0, v42, v35, -v0
	v_mul_f32_e32 v38, v42, v38
	s_delay_alu instid0(VALU_DEP_2) | instskip(NEXT) | instid1(VALU_DEP_2)
	v_dual_add_f32 v34, v34, v29 :: v_dual_add_f32 v29, v39, v0
	v_fmac_f32_e32 v38, v43, v37
	v_mul_f32_e32 v36, v42, v36
	v_fma_f32 v0, v42, v37, -v44
	s_delay_alu instid0(VALU_DEP_2) | instskip(NEXT) | instid1(VALU_DEP_1)
	v_dual_add_f32 v27, v41, v38 :: v_dual_fmac_f32 v36, v43, v35
	v_add_f32_e32 v30, v28, v36
	s_delay_alu instid0(VALU_DEP_3)
	v_add_f32_e32 v28, v40, v0
	s_wait_alu 0xfffe
	s_cbranch_vccz .LBB524_22
.LBB524_11:                             ;   Parent Loop BB524_8 Depth=1
                                        ; =>  This Inner Loop Header: Depth=2
	s_mov_b32 s37, 0
	s_mov_b32 s39, s31
	s_and_saveexec_b32 s38, s0
	s_cbranch_execnz .LBB524_19
; %bb.12:                               ;   in Loop: Header=BB524_11 Depth=2
	s_or_b32 exec_lo, exec_lo, s38
	s_and_saveexec_b32 s38, s39
	s_delay_alu instid0(SALU_CYCLE_1)
	s_xor_b32 s38, exec_lo, s38
	s_cbranch_execnz .LBB524_20
.LBB524_13:                             ;   in Loop: Header=BB524_11 Depth=2
	s_or_b32 exec_lo, exec_lo, s38
	s_and_saveexec_b32 s38, s37
	s_cbranch_execz .LBB524_15
.LBB524_14:                             ;   in Loop: Header=BB524_11 Depth=2
	v_mul_lo_u32 v0, s11, v12
	v_mul_lo_u32 v37, s10, v13
	v_mad_co_u64_u32 v[35:36], null, s10, v12, 0
	s_delay_alu instid0(VALU_DEP_1) | instskip(NEXT) | instid1(VALU_DEP_1)
	v_add3_u32 v36, v36, v37, v0
	v_lshlrev_b64_e32 v[35:36], 3, v[35:36]
	s_delay_alu instid0(VALU_DEP_1) | instskip(SKIP_1) | instid1(VALU_DEP_2)
	v_add_co_u32 v35, vcc_lo, v23, v35
	s_wait_alu 0xfffd
	v_add_co_ci_u32_e64 v36, null, v24, v36, vcc_lo
	flat_load_b64 v[35:36], v[35:36]
	s_wait_loadcnt_dscnt 0x0
	ds_store_b64 v18, v[35:36]
.LBB524_15:                             ;   in Loop: Header=BB524_11 Depth=2
	s_or_b32 exec_lo, exec_lo, s38
	s_wait_alu 0xfffe
	v_add_nc_u32_e32 v0, s22, v16
	s_delay_alu instid0(VALU_DEP_1) | instskip(SKIP_1) | instid1(SALU_CYCLE_1)
	v_cmp_le_u64_e32 vcc_lo, s[16:17], v[0:1]
	s_or_b32 s37, vcc_lo, s36
	s_and_saveexec_b32 s38, s37
	s_delay_alu instid0(SALU_CYCLE_1)
	s_xor_b32 s37, exec_lo, s38
; %bb.16:                               ;   in Loop: Header=BB524_11 Depth=2
	ds_store_b32 v19, v1
; %bb.17:                               ;   in Loop: Header=BB524_11 Depth=2
	s_or_saveexec_b32 s37, s37
	v_mov_b32_e32 v35, 0
	s_xor_b32 exec_lo, exec_lo, s37
	s_cbranch_execz .LBB524_10
; %bb.18:                               ;   in Loop: Header=BB524_11 Depth=2
	v_mad_co_u64_u32 v[35:36], null, s20, v0, 0
	s_delay_alu instid0(VALU_DEP_1) | instskip(NEXT) | instid1(VALU_DEP_1)
	v_mad_co_u64_u32 v[36:37], null, s21, v0, v[36:37]
	v_lshlrev_b64_e32 v[35:36], 3, v[35:36]
	s_delay_alu instid0(VALU_DEP_1) | instskip(SKIP_1) | instid1(VALU_DEP_2)
	v_add_co_u32 v35, vcc_lo, v25, v35
	s_wait_alu 0xfffd
	v_add_co_ci_u32_e64 v36, null, v26, v36, vcc_lo
	flat_load_b64 v[36:37], v[35:36]
	s_wait_loadcnt_dscnt 0x0
	v_xor_b32_e32 v35, 0x80000000, v37
	ds_store_b32 v19, v36
	s_branch .LBB524_10
.LBB524_19:                             ;   in Loop: Header=BB524_11 Depth=2
	s_wait_alu 0xfffe
	v_add_nc_u32_e32 v0, s22, v17
	v_mov_b32_e32 v13, v1
	s_and_not1_b32 s39, s31, exec_lo
	s_mov_b32 s37, exec_lo
	s_delay_alu instid0(VALU_DEP_2) | instskip(SKIP_2) | instid1(SALU_CYCLE_1)
	v_cmp_le_u64_e32 vcc_lo, s[16:17], v[0:1]
	v_mov_b32_e32 v12, v0
	s_and_b32 s40, vcc_lo, exec_lo
	s_or_b32 s39, s39, s40
	s_or_b32 exec_lo, exec_lo, s38
	s_and_saveexec_b32 s38, s39
	s_delay_alu instid0(SALU_CYCLE_1)
	s_xor_b32 s38, exec_lo, s38
	s_cbranch_execz .LBB524_13
.LBB524_20:                             ;   in Loop: Header=BB524_11 Depth=2
	v_mov_b32_e32 v0, v1
	s_and_not1_b32 s37, s37, exec_lo
	ds_store_b64 v18, v[0:1]
	s_or_b32 exec_lo, exec_lo, s38
	s_and_saveexec_b32 s38, s37
	s_cbranch_execnz .LBB524_14
	s_branch .LBB524_15
.LBB524_21:                             ;   in Loop: Header=BB524_8 Depth=1
	v_dual_mov_b32 v33, v1 :: v_dual_mov_b32 v34, v1
	v_dual_mov_b32 v31, v1 :: v_dual_mov_b32 v32, v1
	;; [unrolled: 1-line block ×4, first 2 shown]
.LBB524_22:                             ;   in Loop: Header=BB524_8 Depth=1
	s_wait_loadcnt 0x0
	v_add_co_u32 v0, vcc_lo, v14, s12
	s_wait_alu 0xfffd
	v_add_co_ci_u32_e64 v23, null, s13, v15, vcc_lo
	s_delay_alu instid0(VALU_DEP_2) | instskip(SKIP_1) | instid1(VALU_DEP_2)
	v_add_co_u32 v24, vcc_lo, v0, v4
	s_wait_alu 0xfffd
	v_add_co_ci_u32_e64 v25, null, v23, v5, vcc_lo
	s_wait_alu 0xfffe
	s_and_saveexec_b32 s22, s26
	s_cbranch_execz .LBB524_27
; %bb.23:                               ;   in Loop: Header=BB524_8 Depth=1
	v_mul_f32_e32 v15, s18, v34
	v_mul_f32_e32 v14, s19, v34
	s_and_b32 vcc_lo, exec_lo, s35
	s_mov_b32 s23, -1
	s_delay_alu instid0(VALU_DEP_2) | instskip(NEXT) | instid1(VALU_DEP_2)
	v_fmac_f32_e32 v15, s19, v33
	v_fma_f32 v14, v33, s18, -v14
	s_wait_alu 0xfffe
	s_cbranch_vccz .LBB524_25
; %bb.24:                               ;   in Loop: Header=BB524_8 Depth=1
	v_add_co_u32 v33, vcc_lo, v24, v8
	s_wait_alu 0xfffd
	v_add_co_ci_u32_e64 v34, null, v25, v9, vcc_lo
	s_mov_b32 s23, 0
	flat_load_b64 v[35:36], v[33:34]
	s_wait_loadcnt_dscnt 0x0
	v_mul_f32_e32 v26, s7, v36
	s_delay_alu instid0(VALU_DEP_1) | instskip(SKIP_1) | instid1(VALU_DEP_1)
	v_fma_f32 v26, v35, s6, -v26
	v_mul_f32_e32 v36, s6, v36
	v_dual_fmac_f32 v36, s7, v35 :: v_dual_add_f32 v35, v14, v26
	s_delay_alu instid0(VALU_DEP_1)
	v_add_f32_e32 v36, v15, v36
	flat_store_b64 v[33:34], v[35:36]
.LBB524_25:                             ;   in Loop: Header=BB524_8 Depth=1
	s_wait_alu 0xfffe
	s_and_not1_b32 vcc_lo, exec_lo, s23
	s_wait_alu 0xfffe
	s_cbranch_vccnz .LBB524_27
; %bb.26:                               ;   in Loop: Header=BB524_8 Depth=1
	v_add_co_u32 v33, vcc_lo, v24, v8
	s_wait_alu 0xfffd
	v_add_co_ci_u32_e64 v34, null, v25, v9, vcc_lo
	flat_store_b64 v[33:34], v[14:15]
.LBB524_27:                             ;   in Loop: Header=BB524_8 Depth=1
	s_wait_alu 0xfffe
	s_or_b32 exec_lo, exec_lo, s22
	s_and_saveexec_b32 s22, s1
	s_cbranch_execz .LBB524_32
; %bb.28:                               ;   in Loop: Header=BB524_8 Depth=1
	v_mul_f32_e32 v15, s18, v32
	v_mul_f32_e32 v14, s19, v32
	s_and_not1_b32 vcc_lo, exec_lo, s35
	s_mov_b32 s23, -1
	s_delay_alu instid0(VALU_DEP_2) | instskip(NEXT) | instid1(VALU_DEP_2)
	v_fmac_f32_e32 v15, s19, v31
	v_fma_f32 v14, v31, s18, -v14
	s_wait_alu 0xfffe
	s_cbranch_vccnz .LBB524_30
; %bb.29:                               ;   in Loop: Header=BB524_8 Depth=1
	v_add_co_u32 v31, vcc_lo, v24, v10
	s_wait_alu 0xfffd
	v_add_co_ci_u32_e64 v32, null, v25, v11, vcc_lo
	s_mov_b32 s23, 0
	flat_load_b64 v[33:34], v[31:32]
	s_wait_loadcnt_dscnt 0x0
	v_mul_f32_e32 v26, s7, v34
	v_mul_f32_e32 v34, s6, v34
	s_delay_alu instid0(VALU_DEP_2) | instskip(NEXT) | instid1(VALU_DEP_1)
	v_fma_f32 v26, v33, s6, -v26
	v_dual_fmac_f32 v34, s7, v33 :: v_dual_add_f32 v33, v14, v26
	s_delay_alu instid0(VALU_DEP_1)
	v_add_f32_e32 v34, v15, v34
	flat_store_b64 v[31:32], v[33:34]
.LBB524_30:                             ;   in Loop: Header=BB524_8 Depth=1
	s_wait_alu 0xfffe
	s_and_not1_b32 vcc_lo, exec_lo, s23
	s_wait_alu 0xfffe
	s_cbranch_vccnz .LBB524_32
; %bb.31:                               ;   in Loop: Header=BB524_8 Depth=1
	v_add_co_u32 v24, vcc_lo, v24, v10
	s_wait_alu 0xfffd
	v_add_co_ci_u32_e64 v25, null, v25, v11, vcc_lo
	flat_store_b64 v[24:25], v[14:15]
.LBB524_32:                             ;   in Loop: Header=BB524_8 Depth=1
	s_wait_alu 0xfffe
	s_or_b32 exec_lo, exec_lo, s22
	v_add_co_u32 v0, vcc_lo, v0, v6
	s_wait_alu 0xfffd
	v_add_co_ci_u32_e64 v23, null, v23, v7, vcc_lo
	s_and_saveexec_b32 s22, s27
	s_cbranch_execz .LBB524_37
; %bb.33:                               ;   in Loop: Header=BB524_8 Depth=1
	v_mul_f32_e32 v15, s18, v30
	v_mul_f32_e32 v14, s19, v30
	s_and_not1_b32 vcc_lo, exec_lo, s35
	s_mov_b32 s23, -1
	s_delay_alu instid0(VALU_DEP_2) | instskip(NEXT) | instid1(VALU_DEP_2)
	v_fmac_f32_e32 v15, s19, v29
	v_fma_f32 v14, v29, s18, -v14
	s_wait_alu 0xfffe
	s_cbranch_vccnz .LBB524_35
; %bb.34:                               ;   in Loop: Header=BB524_8 Depth=1
	v_add_co_u32 v24, vcc_lo, v0, v8
	s_wait_alu 0xfffd
	v_add_co_ci_u32_e64 v25, null, v23, v9, vcc_lo
	s_mov_b32 s23, 0
	flat_load_b64 v[29:30], v[24:25]
	s_wait_loadcnt_dscnt 0x0
	v_mul_f32_e32 v26, s7, v30
	v_mul_f32_e32 v30, s6, v30
	s_delay_alu instid0(VALU_DEP_2) | instskip(NEXT) | instid1(VALU_DEP_1)
	v_fma_f32 v26, v29, s6, -v26
	v_dual_fmac_f32 v30, s7, v29 :: v_dual_add_f32 v29, v14, v26
	s_delay_alu instid0(VALU_DEP_1)
	v_add_f32_e32 v30, v15, v30
	flat_store_b64 v[24:25], v[29:30]
.LBB524_35:                             ;   in Loop: Header=BB524_8 Depth=1
	s_wait_alu 0xfffe
	s_and_not1_b32 vcc_lo, exec_lo, s23
	s_wait_alu 0xfffe
	s_cbranch_vccnz .LBB524_37
; %bb.36:                               ;   in Loop: Header=BB524_8 Depth=1
	v_add_co_u32 v24, vcc_lo, v0, v8
	s_wait_alu 0xfffd
	v_add_co_ci_u32_e64 v25, null, v23, v9, vcc_lo
	flat_store_b64 v[24:25], v[14:15]
.LBB524_37:                             ;   in Loop: Header=BB524_8 Depth=1
	s_wait_alu 0xfffe
	s_or_b32 exec_lo, exec_lo, s22
	s_and_saveexec_b32 s22, s33
	s_cbranch_execz .LBB524_7
; %bb.38:                               ;   in Loop: Header=BB524_8 Depth=1
	v_mul_f32_e32 v15, s18, v27
	v_mul_f32_e32 v14, s19, v27
	s_and_not1_b32 vcc_lo, exec_lo, s35
	s_mov_b32 s23, -1
	s_delay_alu instid0(VALU_DEP_2) | instskip(NEXT) | instid1(VALU_DEP_2)
	v_fmac_f32_e32 v15, s19, v28
	v_fma_f32 v14, v28, s18, -v14
	s_wait_alu 0xfffe
	s_cbranch_vccnz .LBB524_40
; %bb.39:                               ;   in Loop: Header=BB524_8 Depth=1
	v_add_co_u32 v24, vcc_lo, v0, v10
	s_wait_alu 0xfffd
	v_add_co_ci_u32_e64 v25, null, v23, v11, vcc_lo
	s_mov_b32 s23, 0
	flat_load_b64 v[26:27], v[24:25]
	s_wait_loadcnt_dscnt 0x0
	v_mul_f32_e32 v28, s7, v27
	v_mul_f32_e32 v27, s6, v27
	s_delay_alu instid0(VALU_DEP_1) | instskip(NEXT) | instid1(VALU_DEP_3)
	v_fmac_f32_e32 v27, s7, v26
	v_fma_f32 v28, v26, s6, -v28
	s_delay_alu instid0(VALU_DEP_1)
	v_dual_add_f32 v27, v15, v27 :: v_dual_add_f32 v26, v14, v28
	flat_store_b64 v[24:25], v[26:27]
.LBB524_40:                             ;   in Loop: Header=BB524_8 Depth=1
	s_wait_alu 0xfffe
	s_and_not1_b32 vcc_lo, exec_lo, s23
	s_wait_alu 0xfffe
	s_cbranch_vccnz .LBB524_7
; %bb.41:                               ;   in Loop: Header=BB524_8 Depth=1
	v_add_co_u32 v24, vcc_lo, v0, v10
	s_wait_alu 0xfffd
	v_add_co_ci_u32_e64 v25, null, v23, v11, vcc_lo
	flat_store_b64 v[24:25], v[14:15]
	s_branch .LBB524_7
.LBB524_42:
	s_endpgm
	.section	.rodata,"a",@progbits
	.p2align	6, 0x0
	.amdhsa_kernel _ZL29rocblas_internal_gemmt_kernelIlLi16ELi32ELi8ELc78ELc67ELc85ELb0ELb1E19rocblas_complex_numIfES1_PKPKS1_PKPS1_EviT_T9_T10_S9_lSB_S9_lSA_T11_S9_li
		.amdhsa_group_segment_fixed_size 4096
		.amdhsa_private_segment_fixed_size 0
		.amdhsa_kernarg_size 108
		.amdhsa_user_sgpr_count 2
		.amdhsa_user_sgpr_dispatch_ptr 0
		.amdhsa_user_sgpr_queue_ptr 0
		.amdhsa_user_sgpr_kernarg_segment_ptr 1
		.amdhsa_user_sgpr_dispatch_id 0
		.amdhsa_user_sgpr_private_segment_size 0
		.amdhsa_wavefront_size32 1
		.amdhsa_uses_dynamic_stack 0
		.amdhsa_enable_private_segment 0
		.amdhsa_system_sgpr_workgroup_id_x 1
		.amdhsa_system_sgpr_workgroup_id_y 1
		.amdhsa_system_sgpr_workgroup_id_z 1
		.amdhsa_system_sgpr_workgroup_info 0
		.amdhsa_system_vgpr_workitem_id 1
		.amdhsa_next_free_vgpr 72
		.amdhsa_next_free_sgpr 41
		.amdhsa_reserve_vcc 1
		.amdhsa_float_round_mode_32 0
		.amdhsa_float_round_mode_16_64 0
		.amdhsa_float_denorm_mode_32 3
		.amdhsa_float_denorm_mode_16_64 3
		.amdhsa_fp16_overflow 0
		.amdhsa_workgroup_processor_mode 1
		.amdhsa_memory_ordered 1
		.amdhsa_forward_progress 1
		.amdhsa_inst_pref_size 26
		.amdhsa_round_robin_scheduling 0
		.amdhsa_exception_fp_ieee_invalid_op 0
		.amdhsa_exception_fp_denorm_src 0
		.amdhsa_exception_fp_ieee_div_zero 0
		.amdhsa_exception_fp_ieee_overflow 0
		.amdhsa_exception_fp_ieee_underflow 0
		.amdhsa_exception_fp_ieee_inexact 0
		.amdhsa_exception_int_div_zero 0
	.end_amdhsa_kernel
	.section	.text._ZL29rocblas_internal_gemmt_kernelIlLi16ELi32ELi8ELc78ELc67ELc85ELb0ELb1E19rocblas_complex_numIfES1_PKPKS1_PKPS1_EviT_T9_T10_S9_lSB_S9_lSA_T11_S9_li,"axG",@progbits,_ZL29rocblas_internal_gemmt_kernelIlLi16ELi32ELi8ELc78ELc67ELc85ELb0ELb1E19rocblas_complex_numIfES1_PKPKS1_PKPS1_EviT_T9_T10_S9_lSB_S9_lSA_T11_S9_li,comdat
.Lfunc_end524:
	.size	_ZL29rocblas_internal_gemmt_kernelIlLi16ELi32ELi8ELc78ELc67ELc85ELb0ELb1E19rocblas_complex_numIfES1_PKPKS1_PKPS1_EviT_T9_T10_S9_lSB_S9_lSA_T11_S9_li, .Lfunc_end524-_ZL29rocblas_internal_gemmt_kernelIlLi16ELi32ELi8ELc78ELc67ELc85ELb0ELb1E19rocblas_complex_numIfES1_PKPKS1_PKPS1_EviT_T9_T10_S9_lSB_S9_lSA_T11_S9_li
                                        ; -- End function
	.set _ZL29rocblas_internal_gemmt_kernelIlLi16ELi32ELi8ELc78ELc67ELc85ELb0ELb1E19rocblas_complex_numIfES1_PKPKS1_PKPS1_EviT_T9_T10_S9_lSB_S9_lSA_T11_S9_li.num_vgpr, 72
	.set _ZL29rocblas_internal_gemmt_kernelIlLi16ELi32ELi8ELc78ELc67ELc85ELb0ELb1E19rocblas_complex_numIfES1_PKPKS1_PKPS1_EviT_T9_T10_S9_lSB_S9_lSA_T11_S9_li.num_agpr, 0
	.set _ZL29rocblas_internal_gemmt_kernelIlLi16ELi32ELi8ELc78ELc67ELc85ELb0ELb1E19rocblas_complex_numIfES1_PKPKS1_PKPS1_EviT_T9_T10_S9_lSB_S9_lSA_T11_S9_li.numbered_sgpr, 41
	.set _ZL29rocblas_internal_gemmt_kernelIlLi16ELi32ELi8ELc78ELc67ELc85ELb0ELb1E19rocblas_complex_numIfES1_PKPKS1_PKPS1_EviT_T9_T10_S9_lSB_S9_lSA_T11_S9_li.num_named_barrier, 0
	.set _ZL29rocblas_internal_gemmt_kernelIlLi16ELi32ELi8ELc78ELc67ELc85ELb0ELb1E19rocblas_complex_numIfES1_PKPKS1_PKPS1_EviT_T9_T10_S9_lSB_S9_lSA_T11_S9_li.private_seg_size, 0
	.set _ZL29rocblas_internal_gemmt_kernelIlLi16ELi32ELi8ELc78ELc67ELc85ELb0ELb1E19rocblas_complex_numIfES1_PKPKS1_PKPS1_EviT_T9_T10_S9_lSB_S9_lSA_T11_S9_li.uses_vcc, 1
	.set _ZL29rocblas_internal_gemmt_kernelIlLi16ELi32ELi8ELc78ELc67ELc85ELb0ELb1E19rocblas_complex_numIfES1_PKPKS1_PKPS1_EviT_T9_T10_S9_lSB_S9_lSA_T11_S9_li.uses_flat_scratch, 0
	.set _ZL29rocblas_internal_gemmt_kernelIlLi16ELi32ELi8ELc78ELc67ELc85ELb0ELb1E19rocblas_complex_numIfES1_PKPKS1_PKPS1_EviT_T9_T10_S9_lSB_S9_lSA_T11_S9_li.has_dyn_sized_stack, 0
	.set _ZL29rocblas_internal_gemmt_kernelIlLi16ELi32ELi8ELc78ELc67ELc85ELb0ELb1E19rocblas_complex_numIfES1_PKPKS1_PKPS1_EviT_T9_T10_S9_lSB_S9_lSA_T11_S9_li.has_recursion, 0
	.set _ZL29rocblas_internal_gemmt_kernelIlLi16ELi32ELi8ELc78ELc67ELc85ELb0ELb1E19rocblas_complex_numIfES1_PKPKS1_PKPS1_EviT_T9_T10_S9_lSB_S9_lSA_T11_S9_li.has_indirect_call, 0
	.section	.AMDGPU.csdata,"",@progbits
; Kernel info:
; codeLenInByte = 3316
; TotalNumSgprs: 43
; NumVgprs: 72
; ScratchSize: 0
; MemoryBound: 0
; FloatMode: 240
; IeeeMode: 1
; LDSByteSize: 4096 bytes/workgroup (compile time only)
; SGPRBlocks: 0
; VGPRBlocks: 8
; NumSGPRsForWavesPerEU: 43
; NumVGPRsForWavesPerEU: 72
; Occupancy: 16
; WaveLimiterHint : 1
; COMPUTE_PGM_RSRC2:SCRATCH_EN: 0
; COMPUTE_PGM_RSRC2:USER_SGPR: 2
; COMPUTE_PGM_RSRC2:TRAP_HANDLER: 0
; COMPUTE_PGM_RSRC2:TGID_X_EN: 1
; COMPUTE_PGM_RSRC2:TGID_Y_EN: 1
; COMPUTE_PGM_RSRC2:TGID_Z_EN: 1
; COMPUTE_PGM_RSRC2:TIDIG_COMP_CNT: 1
	.section	.text._ZL29rocblas_internal_gemmt_kernelIlLi16ELi32ELi8ELc84ELc78ELc85ELb0ELb0E19rocblas_complex_numIfES1_PKPKS1_PKPS1_EviT_T9_T10_S9_lSB_S9_lSA_T11_S9_li,"axG",@progbits,_ZL29rocblas_internal_gemmt_kernelIlLi16ELi32ELi8ELc84ELc78ELc85ELb0ELb0E19rocblas_complex_numIfES1_PKPKS1_PKPS1_EviT_T9_T10_S9_lSB_S9_lSA_T11_S9_li,comdat
	.globl	_ZL29rocblas_internal_gemmt_kernelIlLi16ELi32ELi8ELc84ELc78ELc85ELb0ELb0E19rocblas_complex_numIfES1_PKPKS1_PKPS1_EviT_T9_T10_S9_lSB_S9_lSA_T11_S9_li ; -- Begin function _ZL29rocblas_internal_gemmt_kernelIlLi16ELi32ELi8ELc84ELc78ELc85ELb0ELb0E19rocblas_complex_numIfES1_PKPKS1_PKPS1_EviT_T9_T10_S9_lSB_S9_lSA_T11_S9_li
	.p2align	8
	.type	_ZL29rocblas_internal_gemmt_kernelIlLi16ELi32ELi8ELc84ELc78ELc85ELb0ELb0E19rocblas_complex_numIfES1_PKPKS1_PKPS1_EviT_T9_T10_S9_lSB_S9_lSA_T11_S9_li,@function
_ZL29rocblas_internal_gemmt_kernelIlLi16ELi32ELi8ELc84ELc78ELc85ELb0ELb0E19rocblas_complex_numIfES1_PKPKS1_PKPS1_EviT_T9_T10_S9_lSB_S9_lSA_T11_S9_li: ; @_ZL29rocblas_internal_gemmt_kernelIlLi16ELi32ELi8ELc84ELc78ELc85ELb0ELb0E19rocblas_complex_numIfES1_PKPKS1_PKPS1_EviT_T9_T10_S9_lSB_S9_lSA_T11_S9_li
; %bb.0:
	s_clause 0x1
	s_load_b64 s[24:25], s[0:1], 0x48
	s_load_b128 s[16:19], s[0:1], 0x8
	s_wait_kmcnt 0x0
	s_cmp_eq_f32 s24, 1.0
	s_cselect_b32 s2, -1, 0
	s_and_b32 s3, s25, 0x7fffffff
	s_delay_alu instid0(SALU_CYCLE_1) | instskip(SKIP_1) | instid1(SALU_CYCLE_1)
	s_cmp_eq_u32 s3, 0
	s_cselect_b32 s3, -1, 0
	s_and_b32 s4, s2, s3
	s_mov_b32 s2, 0
	s_and_not1_b32 vcc_lo, exec_lo, s4
	s_mov_b32 s4, -1
	s_cbranch_vccnz .LBB525_4
; %bb.1:
	s_cmp_lg_u64 s[16:17], 0
	s_cbranch_scc0 .LBB525_3
; %bb.2:
	s_cmp_neq_f32 s18, 0
	s_cselect_b32 s2, -1, 0
	s_cmp_neq_f32 s19, 0
	s_cselect_b32 s4, -1, 0
	s_delay_alu instid0(SALU_CYCLE_1)
	s_or_b32 s2, s2, s4
.LBB525_3:
	s_delay_alu instid0(SALU_CYCLE_1)
	s_mov_b32 s4, s2
.LBB525_4:
	s_delay_alu instid0(SALU_CYCLE_1)
	s_and_b32 vcc_lo, exec_lo, s4
	s_cbranch_vccz .LBB525_42
; %bb.5:
	s_load_b32 s30, s[0:1], 0x68
	s_lshr_b32 s26, ttmp7, 16
	s_wait_kmcnt 0x0
	s_cmp_ge_u32 s26, s30
	s_cbranch_scc1 .LBB525_42
; %bb.6:
	v_and_b32_e32 v8, 0x3ff, v0
	v_bfe_u32 v11, v0, 10, 10
	s_clause 0x1
	s_load_b32 s33, s[0:1], 0x0
	s_load_b128 s[4:7], s[0:1], 0x38
	v_and_b32_e32 v18, 7, v0
	s_lshl_b32 s27, ttmp7, 5
	s_clause 0x1
	s_load_b256 s[8:15], s[0:1], 0x18
	s_load_b128 s[20:23], s[0:1], 0x50
	v_lshl_add_u32 v0, v11, 4, v8
	s_and_b32 s34, s27, 0x1fffe0
	s_lshl_b32 s2, ttmp9, 5
	s_cmp_neq_f32 s18, 0
	v_add_nc_u32_e32 v13, s34, v11
	v_lshrrev_b32_e32 v6, 3, v0
	v_lshrrev_b32_e32 v19, 5, v0
	s_load_b64 s[28:29], s[0:1], 0x60
	s_cselect_b32 s0, -1, 0
	s_cmp_neq_f32 s19, 0
	v_add_nc_u32_e32 v9, s34, v6
	v_add_nc_u32_e32 v14, 16, v13
	v_lshl_add_u32 v23, v11, 6, 0x800
	s_cselect_b32 s1, -1, 0
	v_cmp_gt_i64_e64 s36, s[16:17], 0
	s_or_b32 s35, s0, s1
	s_wait_kmcnt 0x0
	v_mad_co_u64_u32 v[4:5], null, s4, v9, 0
	v_and_b32_e32 v1, 31, v0
	s_ashr_i32 s1, s2, 31
	s_cmp_neq_f32 s24, 0
	s_mul_i32 s1, s10, s1
	s_mov_b32 s27, 0
	v_lshlrev_b32_e32 v0, 3, v1
	s_delay_alu instid0(VALU_DEP_1) | instskip(SKIP_2) | instid1(VALU_DEP_2)
	v_lshl_or_b32 v20, v19, 8, v0
	v_dual_mov_b32 v0, v5 :: v_dual_lshlrev_b32 v5, 3, v18
	v_or_b32_e32 v2, s2, v1
	v_mad_co_u64_u32 v[0:1], null, s5, v9, v[0:1]
	s_delay_alu instid0(VALU_DEP_3) | instskip(SKIP_1) | instid1(VALU_DEP_4)
	v_lshl_or_b32 v1, v6, 6, v5
	v_mad_co_u64_u32 v[6:7], null, s22, v13, 0
	v_cmp_gt_i32_e64 s0, s33, v2
	v_cmp_le_i32_e64 s31, s33, v2
	v_mul_lo_u32 v10, s11, v2
	v_mad_co_u64_u32 v[2:3], null, s10, v2, 0
	v_dual_mov_b32 v5, v0 :: v_dual_mov_b32 v0, v7
	v_cmp_gt_i32_e32 vcc_lo, s33, v9
	v_add_nc_u32_e32 v21, 0x800, v1
	s_cselect_b32 s10, -1, 0
	s_xor_b32 s11, s3, -1
	s_delay_alu instid0(VALU_DEP_4)
	v_add3_u32 v3, v3, s1, v10
	v_add_nc_u32_e32 v10, s2, v8
	v_mad_co_u64_u32 v[0:1], null, s23, v13, v[0:1]
	v_lshlrev_b32_e32 v22, 3, v8
	v_mad_co_u64_u32 v[8:9], null, s22, v14, 0
	v_cmp_gt_i32_e64 s1, s33, v13
	v_cmp_le_i32_e64 s2, v10, v13
	v_dual_mov_b32 v7, v0 :: v_dual_add_nc_u32 v12, 16, v10
	v_ashrrev_i32_e32 v11, 31, v10
	v_lshlrev_b64_e32 v[4:5], 3, v[4:5]
	v_mov_b32_e32 v1, v9
	s_and_b32 s22, s1, s2
	v_cmp_le_i32_e64 s2, v12, v13
	v_ashrrev_i32_e32 v13, 31, v12
	v_lshlrev_b64_e32 v[6:7], 3, v[6:7]
	v_mad_co_u64_u32 v[0:1], null, s23, v14, v[1:2]
	v_lshlrev_b64_e32 v[2:3], 3, v[2:3]
	v_mov_b32_e32 v1, 0
	s_and_b32 s1, s1, s2
	s_wait_alu 0xfffe
	s_and_b32 s34, s35, s36
	s_or_b32 s35, s10, s11
	s_delay_alu instid0(VALU_DEP_3)
	v_mov_b32_e32 v9, v0
	v_cmp_gt_i32_e64 s3, s33, v14
	v_cmp_le_i32_e64 s4, v10, v14
	v_cmp_le_i32_e64 s5, v12, v14
	v_lshlrev_b64_e32 v[10:11], 3, v[10:11]
	v_lshlrev_b64_e32 v[8:9], 3, v[8:9]
	;; [unrolled: 1-line block ×3, first 2 shown]
	s_and_b32 s23, s3, s4
	s_and_b32 s33, s3, s5
	s_lshl_b64 s[2:3], s[6:7], 3
	s_lshl_b64 s[4:5], s[12:13], 3
	s_xor_b32 s12, vcc_lo, -1
	s_lshl_b64 s[6:7], s[28:29], 3
                                        ; implicit-def: $vgpr14_vgpr15
	s_branch .LBB525_8
.LBB525_7:                              ;   in Loop: Header=BB525_8 Depth=1
	s_wait_alu 0xfffe
	s_or_b32 exec_lo, exec_lo, s10
	s_add_co_i32 s26, s26, 0x10000
	s_delay_alu instid0(SALU_CYCLE_1)
	s_cmp_lt_u32 s26, s30
	s_cbranch_scc0 .LBB525_42
.LBB525_8:                              ; =>This Loop Header: Depth=1
                                        ;     Child Loop BB525_11 Depth 2
	s_lshl_b64 s[10:11], s[26:27], 3
	s_wait_alu 0xfffe
	s_and_not1_b32 vcc_lo, exec_lo, s34
	s_add_nc_u64 s[28:29], s[20:21], s[10:11]
	global_load_b64 v[16:17], v1, s[28:29]
	s_wait_alu 0xfffe
	s_cbranch_vccnz .LBB525_21
; %bb.9:                                ;   in Loop: Header=BB525_8 Depth=1
	s_add_nc_u64 s[28:29], s[8:9], s[10:11]
	s_add_nc_u64 s[10:11], s[14:15], s[10:11]
	s_clause 0x1
	global_load_b64 v[24:25], v1, s[28:29]
	global_load_b64 v[26:27], v1, s[10:11]
	v_dual_mov_b32 v28, 0 :: v_dual_mov_b32 v29, 0
	v_dual_mov_b32 v31, 0 :: v_dual_mov_b32 v30, 0
	;; [unrolled: 1-line block ×4, first 2 shown]
	s_mov_b64 s[10:11], 0
	s_wait_loadcnt 0x1
	v_add_co_u32 v0, vcc_lo, v24, s4
	s_wait_alu 0xfffd
	v_add_co_ci_u32_e64 v25, null, s5, v25, vcc_lo
	s_wait_loadcnt 0x0
	v_add_co_u32 v26, vcc_lo, v26, s2
	s_wait_alu 0xfffd
	v_add_co_ci_u32_e64 v27, null, s3, v27, vcc_lo
	v_add_co_u32 v24, vcc_lo, v0, v2
	s_wait_alu 0xfffd
	v_add_co_ci_u32_e64 v25, null, v25, v3, vcc_lo
	;; [unrolled: 3-line block ×3, first 2 shown]
	s_branch .LBB525_11
.LBB525_10:                             ;   in Loop: Header=BB525_11 Depth=2
	s_or_b32 exec_lo, exec_lo, s13
	s_wait_dscnt 0x0
	s_barrier_signal -1
	s_barrier_wait -1
	global_inv scope:SCOPE_SE
	ds_load_b128 v[36:39], v23
	ds_load_2addr_b64 v[40:43], v22 offset1:16
	ds_load_b128 v[44:47], v23 offset:1024
	ds_load_b128 v[48:51], v23 offset:16
	;; [unrolled: 1-line block ×4, first 2 shown]
	ds_load_2addr_b64 v[60:63], v22 offset0:32 offset1:48
	ds_load_b128 v[64:67], v23 offset:1040
	s_add_nc_u64 s[10:11], s[10:11], 8
	s_wait_alu 0xfffe
	v_cmp_gt_i64_e64 s13, s[16:17], s[10:11]
	s_and_b32 vcc_lo, exec_lo, s13
	s_wait_dscnt 0x6
	v_mul_f32_e32 v0, v37, v41
	v_dual_mul_f32 v68, v36, v41 :: v_dual_mul_f32 v69, v37, v43
	s_wait_dscnt 0x5
	v_dual_mul_f32 v70, v36, v43 :: v_dual_mul_f32 v71, v45, v41
	v_dual_mul_f32 v41, v44, v41 :: v_dual_mul_f32 v72, v45, v43
	v_mul_f32_e32 v43, v44, v43
	v_fma_f32 v0, v36, v40, -v0
	v_fma_f32 v36, v36, v42, -v69
	v_fmac_f32_e32 v70, v37, v42
	v_fmac_f32_e32 v41, v45, v40
	;; [unrolled: 1-line block ×3, first 2 shown]
	v_fma_f32 v37, v44, v40, -v71
	v_fma_f32 v40, v44, v42, -v72
	v_dual_add_f32 v0, v34, v0 :: v_dual_fmac_f32 v43, v45, v42
	s_delay_alu instid0(VALU_DEP_4) | instskip(NEXT) | instid1(VALU_DEP_4)
	v_add_f32_e32 v34, v35, v68
	v_dual_add_f32 v35, v32, v36 :: v_dual_add_f32 v36, v30, v37
	v_add_f32_e32 v37, v31, v41
	s_wait_dscnt 0x1
	v_dual_mul_f32 v41, v39, v61 :: v_dual_add_f32 v40, v29, v40
	ds_load_2addr_b64 v[29:32], v22 offset0:64 offset1:80
	v_dual_add_f32 v33, v33, v70 :: v_dual_mul_f32 v44, v39, v63
	v_fma_f32 v41, v38, v60, -v41
	v_add_f32_e32 v28, v28, v43
	s_delay_alu instid0(VALU_DEP_2) | instskip(NEXT) | instid1(VALU_DEP_1)
	v_dual_mul_f32 v43, v38, v63 :: v_dual_add_f32 v0, v0, v41
	v_dual_mul_f32 v42, v38, v61 :: v_dual_fmac_f32 v43, v39, v62
	v_fma_f32 v38, v38, v62, -v44
	v_mul_f32_e32 v41, v47, v61
	s_delay_alu instid0(VALU_DEP_3) | instskip(SKIP_1) | instid1(VALU_DEP_4)
	v_fmac_f32_e32 v42, v39, v60
	v_mul_f32_e32 v39, v47, v63
	v_add_f32_e32 v38, v35, v38
	s_delay_alu instid0(VALU_DEP_4) | instskip(NEXT) | instid1(VALU_DEP_4)
	v_fma_f32 v35, v46, v60, -v41
	v_dual_add_f32 v41, v33, v43 :: v_dual_add_f32 v42, v34, v42
	v_mul_f32_e32 v43, v46, v63
	v_mul_f32_e32 v34, v46, v61
	v_fma_f32 v33, v46, v62, -v39
	s_wait_dscnt 0x0
	v_mul_f32_e32 v39, v48, v30
	v_fmac_f32_e32 v43, v47, v62
	v_fmac_f32_e32 v34, v47, v60
	v_dual_add_f32 v44, v36, v35 :: v_dual_mul_f32 v35, v49, v30
	s_delay_alu instid0(VALU_DEP_3) | instskip(NEXT) | instid1(VALU_DEP_3)
	v_dual_mul_f32 v46, v49, v32 :: v_dual_add_f32 v43, v28, v43
	v_add_f32_e32 v37, v37, v34
	v_dual_fmac_f32 v39, v49, v29 :: v_dual_mul_f32 v28, v48, v32
	v_add_f32_e32 v40, v40, v33
	v_fma_f32 v45, v48, v29, -v35
	ds_load_2addr_b64 v[33:36], v22 offset0:96 offset1:112
	v_add_f32_e32 v39, v42, v39
	v_fmac_f32_e32 v28, v49, v31
	v_add_f32_e32 v0, v0, v45
	v_fma_f32 v45, v48, v31, -v46
	s_delay_alu instid0(VALU_DEP_1) | instskip(SKIP_2) | instid1(VALU_DEP_2)
	v_dual_add_f32 v41, v41, v28 :: v_dual_add_f32 v38, v38, v45
	v_mul_f32_e32 v45, v65, v32
	v_mul_f32_e32 v32, v64, v32
	v_fma_f32 v28, v64, v31, -v45
	v_mul_f32_e32 v42, v65, v30
	s_delay_alu instid0(VALU_DEP_3)
	v_fmac_f32_e32 v32, v65, v31
	s_wait_dscnt 0x0
	v_dual_mul_f32 v30, v64, v30 :: v_dual_mul_f32 v49, v67, v36
	v_add_f32_e32 v45, v40, v28
	v_fma_f32 v42, v64, v29, -v42
	v_dual_mul_f32 v40, v50, v34 :: v_dual_add_f32 v43, v43, v32
	s_delay_alu instid0(VALU_DEP_4) | instskip(SKIP_1) | instid1(VALU_DEP_3)
	v_fmac_f32_e32 v30, v65, v29
	v_mul_f32_e32 v32, v50, v36
	v_fmac_f32_e32 v40, v51, v33
	v_add_f32_e32 v42, v44, v42
	s_delay_alu instid0(VALU_DEP_4)
	v_add_f32_e32 v44, v37, v30
	ds_load_2addr_b64 v[28:31], v22 offset0:128 offset1:144
	v_mul_f32_e32 v37, v51, v34
	v_mul_f32_e32 v46, v51, v36
	v_fmac_f32_e32 v32, v51, v35
	v_mul_f32_e32 v36, v66, v36
	s_delay_alu instid0(VALU_DEP_4) | instskip(NEXT) | instid1(VALU_DEP_1)
	v_fma_f32 v37, v50, v33, -v37
	v_dual_add_f32 v0, v0, v37 :: v_dual_mul_f32 v37, v67, v34
	v_mul_f32_e32 v34, v66, v34
	s_delay_alu instid0(VALU_DEP_2)
	v_fma_f32 v48, v66, v33, -v37
	s_wait_dscnt 0x0
	v_mul_f32_e32 v51, v52, v29
	v_fma_f32 v46, v50, v35, -v46
	v_add_f32_e32 v50, v41, v32
	v_fma_f32 v32, v66, v35, -v49
	s_delay_alu instid0(VALU_DEP_4) | instskip(NEXT) | instid1(VALU_DEP_4)
	v_fmac_f32_e32 v51, v53, v28
	v_dual_add_f32 v47, v39, v40 :: v_dual_add_f32 v46, v38, v46
	ds_load_b128 v[37:40], v23 offset:1056
	v_fmac_f32_e32 v34, v67, v33
	v_mul_f32_e32 v33, v53, v29
	v_dual_add_f32 v45, v45, v32 :: v_dual_fmac_f32 v36, v67, v35
	v_dual_add_f32 v47, v47, v51 :: v_dual_add_f32 v48, v42, v48
	s_delay_alu instid0(VALU_DEP_4) | instskip(NEXT) | instid1(VALU_DEP_4)
	v_add_f32_e32 v49, v44, v34
	v_fma_f32 v41, v52, v28, -v33
	ds_load_2addr_b64 v[32:35], v22 offset0:160 offset1:176
	v_mul_f32_e32 v42, v53, v31
	v_add_f32_e32 v36, v43, v36
	v_add_f32_e32 v0, v0, v41
	s_delay_alu instid0(VALU_DEP_3)
	v_fma_f32 v60, v52, v30, -v42
	v_mul_f32_e32 v52, v52, v31
	ds_load_b128 v[41:44], v23 offset:1072
	s_wait_dscnt 0x2
	v_mul_f32_e32 v61, v38, v29
	v_mul_f32_e32 v29, v37, v29
	v_dual_fmac_f32 v52, v53, v30 :: v_dual_mul_f32 v53, v38, v31
	s_delay_alu instid0(VALU_DEP_3) | instskip(NEXT) | instid1(VALU_DEP_3)
	v_fma_f32 v51, v37, v28, -v61
	v_fmac_f32_e32 v29, v38, v28
	s_delay_alu instid0(VALU_DEP_3) | instskip(SKIP_2) | instid1(VALU_DEP_4)
	v_add_f32_e32 v50, v50, v52
	v_mul_f32_e32 v52, v37, v31
	v_fma_f32 v28, v37, v30, -v53
	v_add_f32_e32 v37, v49, v29
	s_wait_dscnt 0x1
	s_delay_alu instid0(VALU_DEP_3) | instskip(NEXT) | instid1(VALU_DEP_3)
	v_dual_mul_f32 v49, v55, v33 :: v_dual_fmac_f32 v52, v38, v30
	v_add_f32_e32 v45, v45, v28
	ds_load_2addr_b64 v[28:31], v22 offset0:192 offset1:208
	v_mul_f32_e32 v38, v54, v33
	v_fma_f32 v49, v54, v32, -v49
	v_add_f32_e32 v46, v46, v60
	s_delay_alu instid0(VALU_DEP_3) | instskip(NEXT) | instid1(VALU_DEP_1)
	v_fmac_f32_e32 v38, v55, v32
	v_dual_add_f32 v0, v0, v49 :: v_dual_add_f32 v47, v47, v38
	v_add_f32_e32 v48, v48, v51
	v_dual_mul_f32 v51, v55, v35 :: v_dual_mul_f32 v38, v40, v33
	v_mul_f32_e32 v33, v39, v33
	s_delay_alu instid0(VALU_DEP_2) | instskip(NEXT) | instid1(VALU_DEP_3)
	v_fma_f32 v49, v54, v34, -v51
	v_fma_f32 v38, v39, v32, -v38
	s_delay_alu instid0(VALU_DEP_3) | instskip(NEXT) | instid1(VALU_DEP_3)
	v_dual_fmac_f32 v33, v40, v32 :: v_dual_mul_f32 v32, v39, v35
	v_dual_add_f32 v46, v46, v49 :: v_dual_mul_f32 v49, v40, v35
	s_delay_alu instid0(VALU_DEP_2) | instskip(SKIP_1) | instid1(VALU_DEP_4)
	v_dual_add_f32 v52, v36, v52 :: v_dual_add_f32 v33, v37, v33
	v_mul_f32_e32 v36, v54, v35
	v_fmac_f32_e32 v32, v40, v34
	s_delay_alu instid0(VALU_DEP_4) | instskip(SKIP_1) | instid1(VALU_DEP_3)
	v_fma_f32 v35, v39, v34, -v49
	s_wait_dscnt 0x0
	v_dual_mul_f32 v49, v42, v29 :: v_dual_fmac_f32 v36, v55, v34
	s_delay_alu instid0(VALU_DEP_2) | instskip(SKIP_1) | instid1(VALU_DEP_2)
	v_dual_add_f32 v34, v45, v35 :: v_dual_mul_f32 v35, v56, v29
	v_mul_f32_e32 v45, v57, v31
	v_dual_fmac_f32 v35, v57, v28 :: v_dual_add_f32 v48, v48, v38
	s_delay_alu instid0(VALU_DEP_2) | instskip(NEXT) | instid1(VALU_DEP_2)
	v_fma_f32 v45, v56, v30, -v45
	v_dual_add_f32 v35, v47, v35 :: v_dual_add_f32 v50, v50, v36
	v_mul_f32_e32 v36, v57, v29
	v_mul_f32_e32 v29, v41, v29
	;; [unrolled: 1-line block ×3, first 2 shown]
	v_add_f32_e32 v45, v46, v45
	v_fma_f32 v46, v41, v28, -v49
	v_fma_f32 v40, v56, v28, -v36
	ds_load_2addr_b64 v[36:39], v22 offset0:224 offset1:240
	v_fmac_f32_e32 v29, v42, v28
	v_add_f32_e32 v32, v52, v32
	s_wait_loadcnt_dscnt 0x0
	s_barrier_signal -1
	s_barrier_wait -1
	v_dual_add_f32 v29, v33, v29 :: v_dual_add_f32 v0, v0, v40
	v_mul_f32_e32 v40, v56, v31
	v_mul_f32_e32 v31, v41, v31
	v_fma_f32 v41, v41, v30, -v47
	global_inv scope:SCOPE_SE
	v_fmac_f32_e32 v40, v57, v30
	v_fmac_f32_e32 v31, v42, v30
	s_delay_alu instid0(VALU_DEP_1) | instskip(SKIP_3) | instid1(VALU_DEP_3)
	v_dual_add_f32 v41, v34, v41 :: v_dual_add_f32 v42, v32, v31
	v_mul_f32_e32 v33, v59, v37
	v_mul_f32_e32 v34, v59, v39
	;; [unrolled: 1-line block ×3, first 2 shown]
	v_fma_f32 v33, v58, v36, -v33
	s_delay_alu instid0(VALU_DEP_3) | instskip(NEXT) | instid1(VALU_DEP_2)
	v_fma_f32 v32, v58, v38, -v34
	v_dual_fmac_f32 v31, v59, v38 :: v_dual_add_f32 v34, v0, v33
	v_mul_f32_e32 v0, v44, v37
	s_delay_alu instid0(VALU_DEP_3)
	v_dual_add_f32 v32, v45, v32 :: v_dual_mul_f32 v45, v44, v39
	v_add_f32_e32 v28, v50, v40
	v_mul_f32_e32 v30, v58, v37
	v_dual_add_f32 v40, v48, v46 :: v_dual_mul_f32 v37, v43, v37
	v_fma_f32 v0, v43, v36, -v0
	v_mul_f32_e32 v39, v43, v39
	s_delay_alu instid0(VALU_DEP_4) | instskip(NEXT) | instid1(VALU_DEP_4)
	v_dual_add_f32 v33, v28, v31 :: v_dual_fmac_f32 v30, v59, v36
	v_fmac_f32_e32 v37, v44, v36
	s_delay_alu instid0(VALU_DEP_3) | instskip(NEXT) | instid1(VALU_DEP_3)
	v_fmac_f32_e32 v39, v44, v38
	v_dual_add_f32 v35, v35, v30 :: v_dual_add_f32 v30, v40, v0
	v_fma_f32 v0, v43, v38, -v45
	s_delay_alu instid0(VALU_DEP_3) | instskip(NEXT) | instid1(VALU_DEP_2)
	v_dual_add_f32 v31, v29, v37 :: v_dual_add_f32 v28, v42, v39
	v_add_f32_e32 v29, v41, v0
	s_wait_alu 0xfffe
	s_cbranch_vccz .LBB525_22
.LBB525_11:                             ;   Parent Loop BB525_8 Depth=1
                                        ; =>  This Inner Loop Header: Depth=2
	s_mov_b32 s13, 0
	s_mov_b32 s29, s31
	s_and_saveexec_b32 s28, s0
	s_cbranch_execnz .LBB525_19
; %bb.12:                               ;   in Loop: Header=BB525_11 Depth=2
	s_or_b32 exec_lo, exec_lo, s28
	s_and_saveexec_b32 s28, s29
	s_delay_alu instid0(SALU_CYCLE_1)
	s_xor_b32 s28, exec_lo, s28
	s_cbranch_execnz .LBB525_20
.LBB525_13:                             ;   in Loop: Header=BB525_11 Depth=2
	s_or_b32 exec_lo, exec_lo, s28
	s_and_saveexec_b32 s28, s13
	s_cbranch_execz .LBB525_15
.LBB525_14:                             ;   in Loop: Header=BB525_11 Depth=2
	v_lshlrev_b64_e32 v[36:37], 3, v[14:15]
	s_delay_alu instid0(VALU_DEP_1) | instskip(SKIP_1) | instid1(VALU_DEP_2)
	v_add_co_u32 v36, vcc_lo, v24, v36
	s_wait_alu 0xfffd
	v_add_co_ci_u32_e64 v37, null, v25, v37, vcc_lo
	flat_load_b64 v[36:37], v[36:37]
	s_wait_loadcnt_dscnt 0x0
	ds_store_b64 v20, v[36:37]
.LBB525_15:                             ;   in Loop: Header=BB525_11 Depth=2
	s_or_b32 exec_lo, exec_lo, s28
	s_wait_alu 0xfffe
	v_add_nc_u32_e32 v0, s10, v18
	s_delay_alu instid0(VALU_DEP_1) | instskip(SKIP_1) | instid1(SALU_CYCLE_1)
	v_cmp_le_u64_e32 vcc_lo, s[16:17], v[0:1]
	s_or_b32 s13, vcc_lo, s12
	s_and_saveexec_b32 s28, s13
	s_delay_alu instid0(SALU_CYCLE_1)
	s_xor_b32 s13, exec_lo, s28
; %bb.16:                               ;   in Loop: Header=BB525_11 Depth=2
	v_mov_b32_e32 v0, v1
	ds_store_b64 v21, v[0:1]
; %bb.17:                               ;   in Loop: Header=BB525_11 Depth=2
	s_and_not1_saveexec_b32 s13, s13
	s_cbranch_execz .LBB525_10
; %bb.18:                               ;   in Loop: Header=BB525_11 Depth=2
	v_lshlrev_b64_e32 v[36:37], 3, v[0:1]
	s_delay_alu instid0(VALU_DEP_1) | instskip(SKIP_1) | instid1(VALU_DEP_2)
	v_add_co_u32 v36, vcc_lo, v26, v36
	s_wait_alu 0xfffd
	v_add_co_ci_u32_e64 v37, null, v27, v37, vcc_lo
	flat_load_b64 v[36:37], v[36:37]
	s_wait_loadcnt_dscnt 0x0
	ds_store_b64 v21, v[36:37]
	s_branch .LBB525_10
.LBB525_19:                             ;   in Loop: Header=BB525_11 Depth=2
	s_wait_alu 0xfffe
	v_add_nc_u32_e32 v0, s10, v19
	v_mov_b32_e32 v15, v1
	s_and_not1_b32 s29, s31, exec_lo
	s_mov_b32 s13, exec_lo
	s_delay_alu instid0(VALU_DEP_2) | instskip(SKIP_2) | instid1(SALU_CYCLE_1)
	v_cmp_le_u64_e32 vcc_lo, s[16:17], v[0:1]
	v_mov_b32_e32 v14, v0
	s_and_b32 s36, vcc_lo, exec_lo
	s_or_b32 s29, s29, s36
	s_or_b32 exec_lo, exec_lo, s28
	s_and_saveexec_b32 s28, s29
	s_delay_alu instid0(SALU_CYCLE_1)
	s_xor_b32 s28, exec_lo, s28
	s_cbranch_execz .LBB525_13
.LBB525_20:                             ;   in Loop: Header=BB525_11 Depth=2
	v_mov_b32_e32 v0, v1
	s_and_not1_b32 s13, s13, exec_lo
	ds_store_b64 v20, v[0:1]
	s_or_b32 exec_lo, exec_lo, s28
	s_and_saveexec_b32 s28, s13
	s_cbranch_execnz .LBB525_14
	s_branch .LBB525_15
.LBB525_21:                             ;   in Loop: Header=BB525_8 Depth=1
	v_dual_mov_b32 v34, v1 :: v_dual_mov_b32 v35, v1
	v_dual_mov_b32 v32, v1 :: v_dual_mov_b32 v33, v1
	;; [unrolled: 1-line block ×4, first 2 shown]
.LBB525_22:                             ;   in Loop: Header=BB525_8 Depth=1
	s_wait_loadcnt 0x0
	v_add_co_u32 v0, vcc_lo, v16, s6
	s_wait_alu 0xfffd
	v_add_co_ci_u32_e64 v24, null, s7, v17, vcc_lo
	s_delay_alu instid0(VALU_DEP_2) | instskip(SKIP_1) | instid1(VALU_DEP_2)
	v_add_co_u32 v25, vcc_lo, v0, v6
	s_wait_alu 0xfffd
	v_add_co_ci_u32_e64 v26, null, v24, v7, vcc_lo
	s_and_saveexec_b32 s10, s22
	s_cbranch_execz .LBB525_27
; %bb.23:                               ;   in Loop: Header=BB525_8 Depth=1
	v_mul_f32_e32 v17, s18, v35
	v_mul_f32_e32 v16, s19, v35
	s_and_b32 vcc_lo, exec_lo, s35
	s_mov_b32 s11, -1
	s_delay_alu instid0(VALU_DEP_2) | instskip(NEXT) | instid1(VALU_DEP_2)
	v_fmac_f32_e32 v17, s19, v34
	v_fma_f32 v16, v34, s18, -v16
	s_wait_alu 0xfffe
	s_cbranch_vccz .LBB525_25
; %bb.24:                               ;   in Loop: Header=BB525_8 Depth=1
	v_add_co_u32 v34, vcc_lo, v25, v10
	s_wait_alu 0xfffd
	v_add_co_ci_u32_e64 v35, null, v26, v11, vcc_lo
	s_mov_b32 s11, 0
	flat_load_b64 v[36:37], v[34:35]
	s_wait_loadcnt_dscnt 0x0
	v_mul_f32_e32 v27, s25, v37
	s_delay_alu instid0(VALU_DEP_1) | instskip(SKIP_1) | instid1(VALU_DEP_1)
	v_fma_f32 v27, v36, s24, -v27
	v_mul_f32_e32 v37, s24, v37
	v_dual_fmac_f32 v37, s25, v36 :: v_dual_add_f32 v36, v16, v27
	s_delay_alu instid0(VALU_DEP_1)
	v_add_f32_e32 v37, v17, v37
	flat_store_b64 v[34:35], v[36:37]
.LBB525_25:                             ;   in Loop: Header=BB525_8 Depth=1
	s_wait_alu 0xfffe
	s_and_not1_b32 vcc_lo, exec_lo, s11
	s_wait_alu 0xfffe
	s_cbranch_vccnz .LBB525_27
; %bb.26:                               ;   in Loop: Header=BB525_8 Depth=1
	v_add_co_u32 v34, vcc_lo, v25, v10
	s_wait_alu 0xfffd
	v_add_co_ci_u32_e64 v35, null, v26, v11, vcc_lo
	flat_store_b64 v[34:35], v[16:17]
.LBB525_27:                             ;   in Loop: Header=BB525_8 Depth=1
	s_wait_alu 0xfffe
	s_or_b32 exec_lo, exec_lo, s10
	s_and_saveexec_b32 s10, s1
	s_cbranch_execz .LBB525_32
; %bb.28:                               ;   in Loop: Header=BB525_8 Depth=1
	v_mul_f32_e32 v17, s18, v33
	v_mul_f32_e32 v16, s19, v33
	s_and_not1_b32 vcc_lo, exec_lo, s35
	s_mov_b32 s11, -1
	s_delay_alu instid0(VALU_DEP_2) | instskip(NEXT) | instid1(VALU_DEP_2)
	v_fmac_f32_e32 v17, s19, v32
	v_fma_f32 v16, v32, s18, -v16
	s_wait_alu 0xfffe
	s_cbranch_vccnz .LBB525_30
; %bb.29:                               ;   in Loop: Header=BB525_8 Depth=1
	v_add_co_u32 v32, vcc_lo, v25, v12
	s_wait_alu 0xfffd
	v_add_co_ci_u32_e64 v33, null, v26, v13, vcc_lo
	s_mov_b32 s11, 0
	flat_load_b64 v[34:35], v[32:33]
	s_wait_loadcnt_dscnt 0x0
	v_mul_f32_e32 v27, s25, v35
	v_mul_f32_e32 v35, s24, v35
	s_delay_alu instid0(VALU_DEP_2) | instskip(NEXT) | instid1(VALU_DEP_1)
	v_fma_f32 v27, v34, s24, -v27
	v_dual_fmac_f32 v35, s25, v34 :: v_dual_add_f32 v34, v16, v27
	s_delay_alu instid0(VALU_DEP_1)
	v_add_f32_e32 v35, v17, v35
	flat_store_b64 v[32:33], v[34:35]
.LBB525_30:                             ;   in Loop: Header=BB525_8 Depth=1
	s_wait_alu 0xfffe
	s_and_not1_b32 vcc_lo, exec_lo, s11
	s_wait_alu 0xfffe
	s_cbranch_vccnz .LBB525_32
; %bb.31:                               ;   in Loop: Header=BB525_8 Depth=1
	v_add_co_u32 v25, vcc_lo, v25, v12
	s_wait_alu 0xfffd
	v_add_co_ci_u32_e64 v26, null, v26, v13, vcc_lo
	flat_store_b64 v[25:26], v[16:17]
.LBB525_32:                             ;   in Loop: Header=BB525_8 Depth=1
	s_wait_alu 0xfffe
	s_or_b32 exec_lo, exec_lo, s10
	v_add_co_u32 v0, vcc_lo, v0, v8
	s_wait_alu 0xfffd
	v_add_co_ci_u32_e64 v24, null, v24, v9, vcc_lo
	s_and_saveexec_b32 s10, s23
	s_cbranch_execz .LBB525_37
; %bb.33:                               ;   in Loop: Header=BB525_8 Depth=1
	v_mul_f32_e32 v17, s18, v31
	v_mul_f32_e32 v16, s19, v31
	s_and_not1_b32 vcc_lo, exec_lo, s35
	s_mov_b32 s11, -1
	s_delay_alu instid0(VALU_DEP_2) | instskip(NEXT) | instid1(VALU_DEP_2)
	v_fmac_f32_e32 v17, s19, v30
	v_fma_f32 v16, v30, s18, -v16
	s_wait_alu 0xfffe
	s_cbranch_vccnz .LBB525_35
; %bb.34:                               ;   in Loop: Header=BB525_8 Depth=1
	v_add_co_u32 v25, vcc_lo, v0, v10
	s_wait_alu 0xfffd
	v_add_co_ci_u32_e64 v26, null, v24, v11, vcc_lo
	s_mov_b32 s11, 0
	flat_load_b64 v[30:31], v[25:26]
	s_wait_loadcnt_dscnt 0x0
	v_mul_f32_e32 v27, s25, v31
	v_mul_f32_e32 v31, s24, v31
	s_delay_alu instid0(VALU_DEP_2) | instskip(NEXT) | instid1(VALU_DEP_1)
	v_fma_f32 v27, v30, s24, -v27
	v_dual_fmac_f32 v31, s25, v30 :: v_dual_add_f32 v30, v16, v27
	s_delay_alu instid0(VALU_DEP_1)
	v_add_f32_e32 v31, v17, v31
	flat_store_b64 v[25:26], v[30:31]
.LBB525_35:                             ;   in Loop: Header=BB525_8 Depth=1
	s_wait_alu 0xfffe
	s_and_not1_b32 vcc_lo, exec_lo, s11
	s_wait_alu 0xfffe
	s_cbranch_vccnz .LBB525_37
; %bb.36:                               ;   in Loop: Header=BB525_8 Depth=1
	v_add_co_u32 v25, vcc_lo, v0, v10
	s_wait_alu 0xfffd
	v_add_co_ci_u32_e64 v26, null, v24, v11, vcc_lo
	flat_store_b64 v[25:26], v[16:17]
.LBB525_37:                             ;   in Loop: Header=BB525_8 Depth=1
	s_wait_alu 0xfffe
	s_or_b32 exec_lo, exec_lo, s10
	s_and_saveexec_b32 s10, s33
	s_cbranch_execz .LBB525_7
; %bb.38:                               ;   in Loop: Header=BB525_8 Depth=1
	v_mul_f32_e32 v17, s18, v28
	v_mul_f32_e32 v16, s19, v28
	s_and_not1_b32 vcc_lo, exec_lo, s35
	s_mov_b32 s11, -1
	s_delay_alu instid0(VALU_DEP_2) | instskip(NEXT) | instid1(VALU_DEP_2)
	v_fmac_f32_e32 v17, s19, v29
	v_fma_f32 v16, v29, s18, -v16
	s_wait_alu 0xfffe
	s_cbranch_vccnz .LBB525_40
; %bb.39:                               ;   in Loop: Header=BB525_8 Depth=1
	v_add_co_u32 v25, vcc_lo, v0, v12
	s_wait_alu 0xfffd
	v_add_co_ci_u32_e64 v26, null, v24, v13, vcc_lo
	s_mov_b32 s11, 0
	flat_load_b64 v[27:28], v[25:26]
	s_wait_loadcnt_dscnt 0x0
	v_mul_f32_e32 v29, s25, v28
	v_mul_f32_e32 v28, s24, v28
	s_delay_alu instid0(VALU_DEP_1) | instskip(NEXT) | instid1(VALU_DEP_3)
	v_fmac_f32_e32 v28, s25, v27
	v_fma_f32 v29, v27, s24, -v29
	s_delay_alu instid0(VALU_DEP_1)
	v_dual_add_f32 v28, v17, v28 :: v_dual_add_f32 v27, v16, v29
	flat_store_b64 v[25:26], v[27:28]
.LBB525_40:                             ;   in Loop: Header=BB525_8 Depth=1
	s_wait_alu 0xfffe
	s_and_not1_b32 vcc_lo, exec_lo, s11
	s_wait_alu 0xfffe
	s_cbranch_vccnz .LBB525_7
; %bb.41:                               ;   in Loop: Header=BB525_8 Depth=1
	v_add_co_u32 v25, vcc_lo, v0, v12
	s_wait_alu 0xfffd
	v_add_co_ci_u32_e64 v26, null, v24, v13, vcc_lo
	flat_store_b64 v[25:26], v[16:17]
	s_branch .LBB525_7
.LBB525_42:
	s_endpgm
	.section	.rodata,"a",@progbits
	.p2align	6, 0x0
	.amdhsa_kernel _ZL29rocblas_internal_gemmt_kernelIlLi16ELi32ELi8ELc84ELc78ELc85ELb0ELb0E19rocblas_complex_numIfES1_PKPKS1_PKPS1_EviT_T9_T10_S9_lSB_S9_lSA_T11_S9_li
		.amdhsa_group_segment_fixed_size 4096
		.amdhsa_private_segment_fixed_size 0
		.amdhsa_kernarg_size 108
		.amdhsa_user_sgpr_count 2
		.amdhsa_user_sgpr_dispatch_ptr 0
		.amdhsa_user_sgpr_queue_ptr 0
		.amdhsa_user_sgpr_kernarg_segment_ptr 1
		.amdhsa_user_sgpr_dispatch_id 0
		.amdhsa_user_sgpr_private_segment_size 0
		.amdhsa_wavefront_size32 1
		.amdhsa_uses_dynamic_stack 0
		.amdhsa_enable_private_segment 0
		.amdhsa_system_sgpr_workgroup_id_x 1
		.amdhsa_system_sgpr_workgroup_id_y 1
		.amdhsa_system_sgpr_workgroup_id_z 1
		.amdhsa_system_sgpr_workgroup_info 0
		.amdhsa_system_vgpr_workitem_id 1
		.amdhsa_next_free_vgpr 73
		.amdhsa_next_free_sgpr 37
		.amdhsa_reserve_vcc 1
		.amdhsa_float_round_mode_32 0
		.amdhsa_float_round_mode_16_64 0
		.amdhsa_float_denorm_mode_32 3
		.amdhsa_float_denorm_mode_16_64 3
		.amdhsa_fp16_overflow 0
		.amdhsa_workgroup_processor_mode 1
		.amdhsa_memory_ordered 1
		.amdhsa_forward_progress 1
		.amdhsa_inst_pref_size 26
		.amdhsa_round_robin_scheduling 0
		.amdhsa_exception_fp_ieee_invalid_op 0
		.amdhsa_exception_fp_denorm_src 0
		.amdhsa_exception_fp_ieee_div_zero 0
		.amdhsa_exception_fp_ieee_overflow 0
		.amdhsa_exception_fp_ieee_underflow 0
		.amdhsa_exception_fp_ieee_inexact 0
		.amdhsa_exception_int_div_zero 0
	.end_amdhsa_kernel
	.section	.text._ZL29rocblas_internal_gemmt_kernelIlLi16ELi32ELi8ELc84ELc78ELc85ELb0ELb0E19rocblas_complex_numIfES1_PKPKS1_PKPS1_EviT_T9_T10_S9_lSB_S9_lSA_T11_S9_li,"axG",@progbits,_ZL29rocblas_internal_gemmt_kernelIlLi16ELi32ELi8ELc84ELc78ELc85ELb0ELb0E19rocblas_complex_numIfES1_PKPKS1_PKPS1_EviT_T9_T10_S9_lSB_S9_lSA_T11_S9_li,comdat
.Lfunc_end525:
	.size	_ZL29rocblas_internal_gemmt_kernelIlLi16ELi32ELi8ELc84ELc78ELc85ELb0ELb0E19rocblas_complex_numIfES1_PKPKS1_PKPS1_EviT_T9_T10_S9_lSB_S9_lSA_T11_S9_li, .Lfunc_end525-_ZL29rocblas_internal_gemmt_kernelIlLi16ELi32ELi8ELc84ELc78ELc85ELb0ELb0E19rocblas_complex_numIfES1_PKPKS1_PKPS1_EviT_T9_T10_S9_lSB_S9_lSA_T11_S9_li
                                        ; -- End function
	.set _ZL29rocblas_internal_gemmt_kernelIlLi16ELi32ELi8ELc84ELc78ELc85ELb0ELb0E19rocblas_complex_numIfES1_PKPKS1_PKPS1_EviT_T9_T10_S9_lSB_S9_lSA_T11_S9_li.num_vgpr, 73
	.set _ZL29rocblas_internal_gemmt_kernelIlLi16ELi32ELi8ELc84ELc78ELc85ELb0ELb0E19rocblas_complex_numIfES1_PKPKS1_PKPS1_EviT_T9_T10_S9_lSB_S9_lSA_T11_S9_li.num_agpr, 0
	.set _ZL29rocblas_internal_gemmt_kernelIlLi16ELi32ELi8ELc84ELc78ELc85ELb0ELb0E19rocblas_complex_numIfES1_PKPKS1_PKPS1_EviT_T9_T10_S9_lSB_S9_lSA_T11_S9_li.numbered_sgpr, 37
	.set _ZL29rocblas_internal_gemmt_kernelIlLi16ELi32ELi8ELc84ELc78ELc85ELb0ELb0E19rocblas_complex_numIfES1_PKPKS1_PKPS1_EviT_T9_T10_S9_lSB_S9_lSA_T11_S9_li.num_named_barrier, 0
	.set _ZL29rocblas_internal_gemmt_kernelIlLi16ELi32ELi8ELc84ELc78ELc85ELb0ELb0E19rocblas_complex_numIfES1_PKPKS1_PKPS1_EviT_T9_T10_S9_lSB_S9_lSA_T11_S9_li.private_seg_size, 0
	.set _ZL29rocblas_internal_gemmt_kernelIlLi16ELi32ELi8ELc84ELc78ELc85ELb0ELb0E19rocblas_complex_numIfES1_PKPKS1_PKPS1_EviT_T9_T10_S9_lSB_S9_lSA_T11_S9_li.uses_vcc, 1
	.set _ZL29rocblas_internal_gemmt_kernelIlLi16ELi32ELi8ELc84ELc78ELc85ELb0ELb0E19rocblas_complex_numIfES1_PKPKS1_PKPS1_EviT_T9_T10_S9_lSB_S9_lSA_T11_S9_li.uses_flat_scratch, 0
	.set _ZL29rocblas_internal_gemmt_kernelIlLi16ELi32ELi8ELc84ELc78ELc85ELb0ELb0E19rocblas_complex_numIfES1_PKPKS1_PKPS1_EviT_T9_T10_S9_lSB_S9_lSA_T11_S9_li.has_dyn_sized_stack, 0
	.set _ZL29rocblas_internal_gemmt_kernelIlLi16ELi32ELi8ELc84ELc78ELc85ELb0ELb0E19rocblas_complex_numIfES1_PKPKS1_PKPS1_EviT_T9_T10_S9_lSB_S9_lSA_T11_S9_li.has_recursion, 0
	.set _ZL29rocblas_internal_gemmt_kernelIlLi16ELi32ELi8ELc84ELc78ELc85ELb0ELb0E19rocblas_complex_numIfES1_PKPKS1_PKPS1_EviT_T9_T10_S9_lSB_S9_lSA_T11_S9_li.has_indirect_call, 0
	.section	.AMDGPU.csdata,"",@progbits
; Kernel info:
; codeLenInByte = 3304
; TotalNumSgprs: 39
; NumVgprs: 73
; ScratchSize: 0
; MemoryBound: 0
; FloatMode: 240
; IeeeMode: 1
; LDSByteSize: 4096 bytes/workgroup (compile time only)
; SGPRBlocks: 0
; VGPRBlocks: 9
; NumSGPRsForWavesPerEU: 39
; NumVGPRsForWavesPerEU: 73
; Occupancy: 16
; WaveLimiterHint : 1
; COMPUTE_PGM_RSRC2:SCRATCH_EN: 0
; COMPUTE_PGM_RSRC2:USER_SGPR: 2
; COMPUTE_PGM_RSRC2:TRAP_HANDLER: 0
; COMPUTE_PGM_RSRC2:TGID_X_EN: 1
; COMPUTE_PGM_RSRC2:TGID_Y_EN: 1
; COMPUTE_PGM_RSRC2:TGID_Z_EN: 1
; COMPUTE_PGM_RSRC2:TIDIG_COMP_CNT: 1
	.section	.text._ZL29rocblas_internal_gemmt_kernelIlLi16ELi32ELi8ELc84ELc84ELc85ELb0ELb0E19rocblas_complex_numIfES1_PKPKS1_PKPS1_EviT_T9_T10_S9_lSB_S9_lSA_T11_S9_li,"axG",@progbits,_ZL29rocblas_internal_gemmt_kernelIlLi16ELi32ELi8ELc84ELc84ELc85ELb0ELb0E19rocblas_complex_numIfES1_PKPKS1_PKPS1_EviT_T9_T10_S9_lSB_S9_lSA_T11_S9_li,comdat
	.globl	_ZL29rocblas_internal_gemmt_kernelIlLi16ELi32ELi8ELc84ELc84ELc85ELb0ELb0E19rocblas_complex_numIfES1_PKPKS1_PKPS1_EviT_T9_T10_S9_lSB_S9_lSA_T11_S9_li ; -- Begin function _ZL29rocblas_internal_gemmt_kernelIlLi16ELi32ELi8ELc84ELc84ELc85ELb0ELb0E19rocblas_complex_numIfES1_PKPKS1_PKPS1_EviT_T9_T10_S9_lSB_S9_lSA_T11_S9_li
	.p2align	8
	.type	_ZL29rocblas_internal_gemmt_kernelIlLi16ELi32ELi8ELc84ELc84ELc85ELb0ELb0E19rocblas_complex_numIfES1_PKPKS1_PKPS1_EviT_T9_T10_S9_lSB_S9_lSA_T11_S9_li,@function
_ZL29rocblas_internal_gemmt_kernelIlLi16ELi32ELi8ELc84ELc84ELc85ELb0ELb0E19rocblas_complex_numIfES1_PKPKS1_PKPS1_EviT_T9_T10_S9_lSB_S9_lSA_T11_S9_li: ; @_ZL29rocblas_internal_gemmt_kernelIlLi16ELi32ELi8ELc84ELc84ELc85ELb0ELb0E19rocblas_complex_numIfES1_PKPKS1_PKPS1_EviT_T9_T10_S9_lSB_S9_lSA_T11_S9_li
; %bb.0:
	s_clause 0x1
	s_load_b64 s[6:7], s[0:1], 0x48
	s_load_b128 s[16:19], s[0:1], 0x8
	s_wait_kmcnt 0x0
	s_cmp_eq_f32 s6, 1.0
	s_cselect_b32 s2, -1, 0
	s_and_b32 s3, s7, 0x7fffffff
	s_delay_alu instid0(SALU_CYCLE_1) | instskip(SKIP_1) | instid1(SALU_CYCLE_1)
	s_cmp_eq_u32 s3, 0
	s_cselect_b32 s3, -1, 0
	s_and_b32 s4, s2, s3
	s_mov_b32 s2, 0
	s_and_not1_b32 vcc_lo, exec_lo, s4
	s_mov_b32 s4, -1
	s_cbranch_vccnz .LBB526_4
; %bb.1:
	s_cmp_lg_u64 s[16:17], 0
	s_cbranch_scc0 .LBB526_3
; %bb.2:
	s_cmp_neq_f32 s18, 0
	s_cselect_b32 s2, -1, 0
	s_cmp_neq_f32 s19, 0
	s_cselect_b32 s4, -1, 0
	s_delay_alu instid0(SALU_CYCLE_1)
	s_or_b32 s2, s2, s4
.LBB526_3:
	s_delay_alu instid0(SALU_CYCLE_1)
	s_mov_b32 s4, s2
.LBB526_4:
	s_delay_alu instid0(SALU_CYCLE_1)
	s_and_b32 vcc_lo, exec_lo, s4
	s_cbranch_vccz .LBB526_42
; %bb.5:
	s_load_b32 s33, s[0:1], 0x68
	s_lshr_b32 s28, ttmp7, 16
	s_wait_kmcnt 0x0
	s_cmp_ge_u32 s28, s33
	s_cbranch_scc1 .LBB526_42
; %bb.6:
	s_clause 0x3
	s_load_b32 s4, s[0:1], 0x0
	s_load_b256 s[8:15], s[0:1], 0x18
	s_load_b128 s[20:23], s[0:1], 0x38
	s_load_b128 s[24:27], s[0:1], 0x50
	v_and_b32_e32 v6, 0x3ff, v0
	v_bfe_u32 v11, v0, 10, 10
	v_and_b32_e32 v16, 7, v0
	s_lshl_b32 s2, ttmp7, 5
	s_lshl_b32 s5, ttmp9, 5
	s_and_b32 s2, s2, 0x1fffe0
	v_lshl_add_u32 v0, v11, 4, v6
	v_lshlrev_b32_e32 v4, 3, v16
	v_add_nc_u32_e32 v15, s2, v11
	s_cmp_neq_f32 s18, 0
	s_load_b64 s[30:31], s[0:1], 0x60
	v_lshrrev_b32_e32 v17, 5, v0
	v_and_b32_e32 v1, 31, v0
	v_lshrrev_b32_e32 v0, 3, v0
	s_cselect_b32 s34, -1, 0
	s_cmp_neq_f32 s19, 0
	v_add_nc_u32_e32 v22, 16, v15
	v_lshl_add_u32 v21, v11, 6, 0x800
	v_add_nc_u32_e32 v14, s2, v0
	v_lshl_or_b32 v0, v0, 6, v4
	s_wait_kmcnt 0x0
	v_mad_co_u64_u32 v[4:5], null, s26, v15, 0
	s_cselect_b32 s0, -1, 0
	s_ashr_i32 s1, s5, 31
	v_add_nc_u32_e32 v19, 0x800, v0
	s_or_b32 s36, s34, s0
	s_mul_i32 s1, s10, s1
	s_cmp_neq_f32 s6, 0
	v_mov_b32_e32 v0, v5
	v_or_b32_e32 v2, s5, v1
	v_lshlrev_b32_e32 v1, 3, v1
	v_cmp_gt_i64_e64 s37, s[16:17], 0
	s_mov_b32 s29, 0
	v_cmp_gt_i32_e64 s0, s4, v2
	v_cmp_le_i32_e64 s34, s4, v2
	v_mul_lo_u32 v7, s11, v2
	v_mad_co_u64_u32 v[2:3], null, s10, v2, 0
	v_lshl_or_b32 v18, v17, 8, v1
	v_dual_mov_b32 v1, 0 :: v_dual_lshlrev_b32 v20, 3, v6
	v_add_nc_u32_e32 v8, s5, v6
	s_cselect_b32 s10, -1, 0
	s_xor_b32 s11, s3, -1
	s_delay_alu instid0(VALU_DEP_4)
	v_add3_u32 v3, v3, s1, v7
	v_mad_co_u64_u32 v[6:7], null, s26, v22, 0
	v_mad_co_u64_u32 v[9:10], null, s27, v15, v[0:1]
	v_add_nc_u32_e32 v10, 16, v8
	v_cmp_gt_i32_e64 s1, s4, v15
	v_cmp_le_i32_e64 s2, v8, v15
	v_cmp_gt_i32_e64 s3, s4, v22
	v_mov_b32_e32 v0, v7
	v_ashrrev_i32_e32 v11, 31, v10
	v_mov_b32_e32 v5, v9
	v_ashrrev_i32_e32 v9, 31, v8
	s_and_b32 s26, s1, s2
	v_mad_co_u64_u32 v[12:13], null, s27, v22, v[0:1]
	v_cmp_le_i32_e64 s2, v10, v15
	v_cmp_le_i32_e64 s5, v10, v22
	v_lshlrev_b64_e32 v[2:3], 3, v[2:3]
	v_lshlrev_b64_e32 v[4:5], 3, v[4:5]
	;; [unrolled: 1-line block ×3, first 2 shown]
	s_and_b32 s1, s1, s2
	v_mov_b32_e32 v7, v12
	v_cmp_gt_i32_e32 vcc_lo, s4, v14
	v_cmp_le_i32_e64 s4, v8, v22
	v_lshlrev_b64_e32 v[8:9], 3, v[8:9]
	v_lshlrev_b32_e32 v22, 3, v14
	v_lshlrev_b64_e32 v[6:7], 3, v[6:7]
	s_and_b32 s35, s3, s5
	s_and_b32 s27, s3, s4
	;; [unrolled: 1-line block ×3, first 2 shown]
	s_lshl_b64 s[2:3], s[22:23], 3
	s_wait_alu 0xfffe
	s_or_b32 s22, s10, s11
	s_lshl_b64 s[4:5], s[12:13], 3
	s_xor_b32 s23, vcc_lo, -1
	s_lshl_b64 s[10:11], s[30:31], 3
                                        ; implicit-def: $vgpr12_vgpr13
	s_branch .LBB526_8
.LBB526_7:                              ;   in Loop: Header=BB526_8 Depth=1
	s_wait_alu 0xfffe
	s_or_b32 exec_lo, exec_lo, s12
	s_add_co_i32 s28, s28, 0x10000
	s_delay_alu instid0(SALU_CYCLE_1)
	s_cmp_lt_u32 s28, s33
	s_cbranch_scc0 .LBB526_42
.LBB526_8:                              ; =>This Loop Header: Depth=1
                                        ;     Child Loop BB526_11 Depth 2
	s_lshl_b64 s[12:13], s[28:29], 3
	s_and_not1_b32 vcc_lo, exec_lo, s36
	s_wait_alu 0xfffe
	s_add_nc_u64 s[30:31], s[24:25], s[12:13]
	global_load_b64 v[14:15], v1, s[30:31]
	s_cbranch_vccnz .LBB526_21
; %bb.9:                                ;   in Loop: Header=BB526_8 Depth=1
	s_add_nc_u64 s[30:31], s[8:9], s[12:13]
	s_add_nc_u64 s[12:13], s[14:15], s[12:13]
	s_clause 0x1
	global_load_b64 v[23:24], v1, s[30:31]
	global_load_b64 v[25:26], v1, s[12:13]
	v_dual_mov_b32 v27, 0 :: v_dual_mov_b32 v28, 0
	v_dual_mov_b32 v30, 0 :: v_dual_mov_b32 v29, 0
	;; [unrolled: 1-line block ×4, first 2 shown]
	s_mov_b64 s[12:13], 0
	s_wait_loadcnt 0x1
	v_add_co_u32 v0, vcc_lo, v23, s4
	s_wait_alu 0xfffd
	v_add_co_ci_u32_e64 v24, null, s5, v24, vcc_lo
	s_wait_loadcnt 0x0
	v_add_co_u32 v25, vcc_lo, v25, s2
	s_wait_alu 0xfffd
	v_add_co_ci_u32_e64 v26, null, s3, v26, vcc_lo
	v_add_co_u32 v23, vcc_lo, v0, v2
	s_wait_alu 0xfffd
	v_add_co_ci_u32_e64 v24, null, v24, v3, vcc_lo
	;; [unrolled: 3-line block ×3, first 2 shown]
	s_branch .LBB526_11
.LBB526_10:                             ;   in Loop: Header=BB526_11 Depth=2
	s_or_b32 exec_lo, exec_lo, s30
	s_wait_dscnt 0x0
	s_barrier_signal -1
	s_barrier_wait -1
	global_inv scope:SCOPE_SE
	ds_load_b128 v[35:38], v21
	ds_load_2addr_b64 v[39:42], v20 offset1:16
	ds_load_b128 v[43:46], v21 offset:1024
	ds_load_b128 v[47:50], v21 offset:16
	;; [unrolled: 1-line block ×4, first 2 shown]
	ds_load_2addr_b64 v[59:62], v20 offset0:32 offset1:48
	ds_load_b128 v[63:66], v21 offset:1040
	s_add_nc_u64 s[12:13], s[12:13], 8
	s_wait_alu 0xfffe
	v_cmp_gt_i64_e64 s30, s[16:17], s[12:13]
	s_and_b32 vcc_lo, exec_lo, s30
	s_wait_dscnt 0x6
	v_dual_mul_f32 v0, v36, v40 :: v_dual_mul_f32 v69, v35, v42
	v_dual_mul_f32 v67, v35, v40 :: v_dual_mul_f32 v68, v36, v42
	s_wait_dscnt 0x5
	v_mul_f32_e32 v71, v44, v42
	s_delay_alu instid0(VALU_DEP_3) | instskip(SKIP_3) | instid1(VALU_DEP_4)
	v_fma_f32 v0, v35, v39, -v0
	v_dual_mul_f32 v42, v43, v42 :: v_dual_fmac_f32 v69, v36, v41
	v_fmac_f32_e32 v67, v36, v39
	v_fma_f32 v35, v35, v41, -v68
	v_add_f32_e32 v0, v33, v0
	v_mul_f32_e32 v70, v44, v40
	s_delay_alu instid0(VALU_DEP_4) | instskip(NEXT) | instid1(VALU_DEP_4)
	v_dual_mul_f32 v40, v43, v40 :: v_dual_add_f32 v33, v34, v67
	v_add_f32_e32 v34, v31, v35
	v_fmac_f32_e32 v42, v44, v41
	s_delay_alu instid0(VALU_DEP_4) | instskip(NEXT) | instid1(VALU_DEP_4)
	v_fma_f32 v36, v43, v39, -v70
	v_fmac_f32_e32 v40, v44, v39
	v_fma_f32 v39, v43, v41, -v71
	s_wait_dscnt 0x1
	v_dual_mul_f32 v41, v37, v60 :: v_dual_add_f32 v32, v32, v69
	v_mul_f32_e32 v43, v38, v62
	v_add_f32_e32 v35, v29, v36
	v_dual_add_f32 v36, v30, v40 :: v_dual_add_f32 v39, v28, v39
	ds_load_2addr_b64 v[28:31], v20 offset0:64 offset1:80
	v_fmac_f32_e32 v41, v38, v59
	v_dual_mul_f32 v40, v38, v60 :: v_dual_add_f32 v27, v27, v42
	v_mul_f32_e32 v42, v37, v62
	s_delay_alu instid0(VALU_DEP_3) | instskip(NEXT) | instid1(VALU_DEP_3)
	v_add_f32_e32 v41, v33, v41
	v_fma_f32 v40, v37, v59, -v40
	v_fma_f32 v37, v37, v61, -v43
	v_mul_f32_e32 v33, v45, v60
	s_delay_alu instid0(VALU_DEP_3) | instskip(SKIP_1) | instid1(VALU_DEP_4)
	v_add_f32_e32 v0, v0, v40
	v_mul_f32_e32 v40, v46, v60
	v_add_f32_e32 v37, v34, v37
	v_fmac_f32_e32 v42, v38, v61
	v_mul_f32_e32 v38, v46, v62
	v_fmac_f32_e32 v33, v46, v59
	v_fma_f32 v34, v45, v59, -v40
	s_delay_alu instid0(VALU_DEP_4) | instskip(SKIP_4) | instid1(VALU_DEP_3)
	v_add_f32_e32 v40, v32, v42
	v_mul_f32_e32 v42, v45, v62
	v_fma_f32 v32, v45, v61, -v38
	s_wait_dscnt 0x0
	v_dual_add_f32 v43, v35, v34 :: v_dual_mul_f32 v34, v48, v29
	v_dual_mul_f32 v45, v48, v31 :: v_dual_fmac_f32 v42, v46, v61
	v_mul_f32_e32 v38, v47, v29
	v_add_f32_e32 v39, v39, v32
	s_delay_alu instid0(VALU_DEP_3) | instskip(SKIP_3) | instid1(VALU_DEP_3)
	v_add_f32_e32 v42, v27, v42
	v_mul_f32_e32 v27, v47, v31
	v_fma_f32 v44, v47, v28, -v34
	v_fmac_f32_e32 v38, v48, v28
	v_fmac_f32_e32 v27, v48, v30
	s_delay_alu instid0(VALU_DEP_3)
	v_add_f32_e32 v0, v0, v44
	v_fma_f32 v44, v47, v30, -v45
	v_add_f32_e32 v36, v36, v33
	ds_load_2addr_b64 v[32:35], v20 offset0:96 offset1:112
	v_dual_add_f32 v38, v41, v38 :: v_dual_mul_f32 v41, v64, v29
	v_mul_f32_e32 v29, v63, v29
	v_dual_add_f32 v37, v37, v44 :: v_dual_mul_f32 v44, v64, v31
	v_mul_f32_e32 v31, v63, v31
	s_delay_alu instid0(VALU_DEP_4) | instskip(NEXT) | instid1(VALU_DEP_4)
	v_fma_f32 v41, v63, v28, -v41
	v_fmac_f32_e32 v29, v64, v28
	v_add_f32_e32 v40, v40, v27
	v_fma_f32 v27, v63, v30, -v44
	v_fmac_f32_e32 v31, v64, v30
	v_add_f32_e32 v41, v43, v41
	s_delay_alu instid0(VALU_DEP_3) | instskip(SKIP_4) | instid1(VALU_DEP_2)
	v_dual_add_f32 v43, v36, v29 :: v_dual_add_f32 v44, v39, v27
	ds_load_2addr_b64 v[27:30], v20 offset0:128 offset1:144
	s_wait_dscnt 0x1
	v_mul_f32_e32 v36, v50, v33
	v_dual_mul_f32 v39, v49, v33 :: v_dual_mul_f32 v48, v66, v35
	v_fma_f32 v36, v49, v32, -v36
	v_mul_f32_e32 v45, v50, v35
	s_delay_alu instid0(VALU_DEP_3) | instskip(NEXT) | instid1(VALU_DEP_3)
	v_fmac_f32_e32 v39, v50, v32
	v_add_f32_e32 v0, v0, v36
	s_delay_alu instid0(VALU_DEP_3) | instskip(SKIP_3) | instid1(VALU_DEP_4)
	v_fma_f32 v45, v49, v34, -v45
	v_add_f32_e32 v42, v42, v31
	v_dual_mul_f32 v31, v49, v35 :: v_dual_mul_f32 v36, v66, v33
	v_dual_add_f32 v46, v38, v39 :: v_dual_mul_f32 v33, v65, v33
	v_add_f32_e32 v45, v37, v45
	s_delay_alu instid0(VALU_DEP_3) | instskip(NEXT) | instid1(VALU_DEP_4)
	v_fmac_f32_e32 v31, v50, v34
	v_fma_f32 v47, v65, v32, -v36
	ds_load_b128 v[36:39], v21 offset:1056
	v_fmac_f32_e32 v33, v66, v32
	s_wait_dscnt 0x1
	v_mul_f32_e32 v32, v52, v28
	v_add_f32_e32 v49, v40, v31
	v_dual_mul_f32 v35, v65, v35 :: v_dual_mul_f32 v50, v51, v28
	s_delay_alu instid0(VALU_DEP_3)
	v_fma_f32 v40, v51, v27, -v32
	v_add_f32_e32 v47, v41, v47
	v_mul_f32_e32 v41, v52, v30
	v_fma_f32 v31, v65, v34, -v48
	v_dual_fmac_f32 v35, v66, v34 :: v_dual_fmac_f32 v50, v52, v27
	v_add_f32_e32 v0, v0, v40
	s_delay_alu instid0(VALU_DEP_4) | instskip(NEXT) | instid1(VALU_DEP_4)
	v_fma_f32 v59, v51, v29, -v41
	v_add_f32_e32 v44, v44, v31
	v_add_f32_e32 v48, v43, v33
	ds_load_2addr_b64 v[31:34], v20 offset0:160 offset1:176
	v_add_f32_e32 v35, v42, v35
	ds_load_b128 v[40:43], v21 offset:1072
	s_wait_dscnt 0x2
	v_dual_mul_f32 v51, v51, v30 :: v_dual_mul_f32 v60, v37, v28
	v_mul_f32_e32 v28, v36, v28
	s_delay_alu instid0(VALU_DEP_2) | instskip(SKIP_1) | instid1(VALU_DEP_3)
	v_dual_add_f32 v46, v46, v50 :: v_dual_fmac_f32 v51, v52, v29
	v_mul_f32_e32 v52, v37, v30
	v_fmac_f32_e32 v28, v37, v27
	v_fma_f32 v50, v36, v27, -v60
	s_delay_alu instid0(VALU_DEP_4) | instskip(SKIP_2) | instid1(VALU_DEP_2)
	v_add_f32_e32 v49, v49, v51
	v_mul_f32_e32 v51, v36, v30
	v_add_f32_e32 v45, v45, v59
	v_fmac_f32_e32 v51, v37, v29
	s_wait_dscnt 0x1
	v_mul_f32_e32 v37, v53, v32
	s_delay_alu instid0(VALU_DEP_1) | instskip(SKIP_4) | instid1(VALU_DEP_4)
	v_fmac_f32_e32 v37, v54, v31
	v_fma_f32 v27, v36, v29, -v52
	v_add_f32_e32 v36, v48, v28
	v_dual_mul_f32 v48, v54, v32 :: v_dual_add_f32 v47, v47, v50
	v_mul_f32_e32 v50, v54, v34
	v_add_f32_e32 v44, v44, v27
	ds_load_2addr_b64 v[27:30], v20 offset0:192 offset1:208
	v_fma_f32 v48, v53, v31, -v48
	v_add_f32_e32 v51, v35, v51
	v_dual_mul_f32 v35, v53, v34 :: v_dual_add_f32 v46, v46, v37
	v_mul_f32_e32 v37, v39, v32
	s_delay_alu instid0(VALU_DEP_4) | instskip(SKIP_4) | instid1(VALU_DEP_4)
	v_add_f32_e32 v0, v0, v48
	v_fma_f32 v48, v53, v33, -v50
	v_mul_f32_e32 v32, v38, v32
	v_fmac_f32_e32 v35, v54, v33
	v_fma_f32 v37, v38, v31, -v37
	v_dual_add_f32 v45, v45, v48 :: v_dual_mul_f32 v48, v39, v34
	s_delay_alu instid0(VALU_DEP_4) | instskip(NEXT) | instid1(VALU_DEP_4)
	v_dual_fmac_f32 v32, v39, v31 :: v_dual_mul_f32 v31, v38, v34
	v_add_f32_e32 v49, v49, v35
	s_delay_alu instid0(VALU_DEP_3) | instskip(NEXT) | instid1(VALU_DEP_3)
	v_fma_f32 v34, v38, v33, -v48
	v_dual_add_f32 v32, v36, v32 :: v_dual_fmac_f32 v31, v39, v33
	s_wait_dscnt 0x0
	s_delay_alu instid0(VALU_DEP_2) | instskip(SKIP_1) | instid1(VALU_DEP_3)
	v_dual_mul_f32 v48, v41, v28 :: v_dual_add_f32 v33, v44, v34
	v_mul_f32_e32 v34, v55, v28
	v_dual_mul_f32 v44, v56, v30 :: v_dual_add_f32 v31, v51, v31
	s_delay_alu instid0(VALU_DEP_2) | instskip(SKIP_1) | instid1(VALU_DEP_3)
	v_fmac_f32_e32 v34, v56, v27
	v_mul_f32_e32 v35, v56, v28
	v_fma_f32 v44, v55, v29, -v44
	v_mul_f32_e32 v28, v40, v28
	s_delay_alu instid0(VALU_DEP_4) | instskip(NEXT) | instid1(VALU_DEP_4)
	v_add_f32_e32 v34, v46, v34
	v_fma_f32 v39, v55, v27, -v35
	v_add_f32_e32 v47, v47, v37
	ds_load_2addr_b64 v[35:38], v20 offset0:224 offset1:240
	v_add_f32_e32 v44, v45, v44
	v_mul_f32_e32 v46, v41, v30
	v_dual_add_f32 v0, v0, v39 :: v_dual_mul_f32 v39, v55, v30
	v_fma_f32 v45, v40, v27, -v48
	v_fmac_f32_e32 v28, v41, v27
	v_mul_f32_e32 v30, v40, v30
	v_fma_f32 v40, v40, v29, -v46
	v_fmac_f32_e32 v39, v56, v29
	s_wait_loadcnt_dscnt 0x0
	s_barrier_signal -1
	v_fmac_f32_e32 v30, v41, v29
	v_add_f32_e32 v40, v33, v40
	v_add_f32_e32 v27, v49, v39
	v_dual_add_f32 v39, v47, v45 :: v_dual_add_f32 v28, v32, v28
	s_barrier_wait -1
	global_inv scope:SCOPE_SE
	v_mul_f32_e32 v29, v57, v36
	v_mul_f32_e32 v33, v58, v38
	s_delay_alu instid0(VALU_DEP_2) | instskip(SKIP_1) | instid1(VALU_DEP_3)
	v_fmac_f32_e32 v29, v58, v35
	v_dual_mul_f32 v32, v58, v36 :: v_dual_add_f32 v41, v31, v30
	v_fma_f32 v31, v57, v37, -v33
	s_delay_alu instid0(VALU_DEP_2) | instskip(NEXT) | instid1(VALU_DEP_2)
	v_fma_f32 v32, v57, v35, -v32
	v_dual_mul_f32 v30, v57, v38 :: v_dual_add_f32 v31, v44, v31
	v_mul_f32_e32 v44, v43, v38
	s_delay_alu instid0(VALU_DEP_3) | instskip(NEXT) | instid1(VALU_DEP_3)
	v_dual_mul_f32 v38, v42, v38 :: v_dual_add_f32 v33, v0, v32
	v_fmac_f32_e32 v30, v58, v37
	s_delay_alu instid0(VALU_DEP_2) | instskip(SKIP_2) | instid1(VALU_DEP_4)
	v_fmac_f32_e32 v38, v43, v37
	v_mul_f32_e32 v0, v43, v36
	v_mul_f32_e32 v36, v42, v36
	v_add_f32_e32 v32, v27, v30
	s_delay_alu instid0(VALU_DEP_4) | instskip(NEXT) | instid1(VALU_DEP_4)
	v_add_f32_e32 v27, v41, v38
	v_fma_f32 v0, v42, v35, -v0
	v_add_f32_e32 v34, v34, v29
	v_fmac_f32_e32 v36, v43, v35
	s_delay_alu instid0(VALU_DEP_3) | instskip(SKIP_1) | instid1(VALU_DEP_3)
	v_add_f32_e32 v29, v39, v0
	v_fma_f32 v0, v42, v37, -v44
	v_add_f32_e32 v30, v28, v36
	s_delay_alu instid0(VALU_DEP_2)
	v_add_f32_e32 v28, v40, v0
	s_wait_alu 0xfffe
	s_cbranch_vccz .LBB526_22
.LBB526_11:                             ;   Parent Loop BB526_8 Depth=1
                                        ; =>  This Inner Loop Header: Depth=2
	s_mov_b32 s30, 0
	s_mov_b32 s37, s34
	s_and_saveexec_b32 s31, s0
	s_cbranch_execnz .LBB526_19
; %bb.12:                               ;   in Loop: Header=BB526_11 Depth=2
	s_or_b32 exec_lo, exec_lo, s31
	s_and_saveexec_b32 s31, s37
	s_delay_alu instid0(SALU_CYCLE_1)
	s_xor_b32 s31, exec_lo, s31
	s_cbranch_execnz .LBB526_20
.LBB526_13:                             ;   in Loop: Header=BB526_11 Depth=2
	s_or_b32 exec_lo, exec_lo, s31
	s_and_saveexec_b32 s31, s30
	s_cbranch_execz .LBB526_15
.LBB526_14:                             ;   in Loop: Header=BB526_11 Depth=2
	v_lshlrev_b64_e32 v[35:36], 3, v[12:13]
	s_delay_alu instid0(VALU_DEP_1) | instskip(SKIP_1) | instid1(VALU_DEP_2)
	v_add_co_u32 v35, vcc_lo, v23, v35
	s_wait_alu 0xfffd
	v_add_co_ci_u32_e64 v36, null, v24, v36, vcc_lo
	flat_load_b64 v[35:36], v[35:36]
	s_wait_loadcnt_dscnt 0x0
	ds_store_b64 v18, v[35:36]
.LBB526_15:                             ;   in Loop: Header=BB526_11 Depth=2
	s_or_b32 exec_lo, exec_lo, s31
	s_wait_alu 0xfffe
	v_add_nc_u32_e32 v0, s12, v16
	s_delay_alu instid0(VALU_DEP_1) | instskip(SKIP_1) | instid1(SALU_CYCLE_1)
	v_cmp_le_u64_e32 vcc_lo, s[16:17], v[0:1]
	s_or_b32 s30, vcc_lo, s23
	s_and_saveexec_b32 s31, s30
	s_delay_alu instid0(SALU_CYCLE_1)
	s_xor_b32 s30, exec_lo, s31
; %bb.16:                               ;   in Loop: Header=BB526_11 Depth=2
	v_mov_b32_e32 v0, v1
	ds_store_b64 v19, v[0:1]
; %bb.17:                               ;   in Loop: Header=BB526_11 Depth=2
	s_and_not1_saveexec_b32 s30, s30
	s_cbranch_execz .LBB526_10
; %bb.18:                               ;   in Loop: Header=BB526_11 Depth=2
	v_mad_co_u64_u32 v[35:36], null, s20, v0, 0
	s_delay_alu instid0(VALU_DEP_1) | instskip(NEXT) | instid1(VALU_DEP_1)
	v_mad_co_u64_u32 v[36:37], null, s21, v0, v[36:37]
	v_lshlrev_b64_e32 v[35:36], 3, v[35:36]
	s_delay_alu instid0(VALU_DEP_1) | instskip(SKIP_1) | instid1(VALU_DEP_2)
	v_add_co_u32 v35, vcc_lo, v25, v35
	s_wait_alu 0xfffd
	v_add_co_ci_u32_e64 v36, null, v26, v36, vcc_lo
	flat_load_b64 v[35:36], v[35:36]
	s_wait_loadcnt_dscnt 0x0
	ds_store_b64 v19, v[35:36]
	s_branch .LBB526_10
.LBB526_19:                             ;   in Loop: Header=BB526_11 Depth=2
	s_wait_alu 0xfffe
	v_add_nc_u32_e32 v0, s12, v17
	v_mov_b32_e32 v13, v1
	s_and_not1_b32 s37, s34, exec_lo
	s_mov_b32 s30, exec_lo
	s_delay_alu instid0(VALU_DEP_2) | instskip(SKIP_2) | instid1(SALU_CYCLE_1)
	v_cmp_le_u64_e32 vcc_lo, s[16:17], v[0:1]
	v_mov_b32_e32 v12, v0
	s_and_b32 s38, vcc_lo, exec_lo
	s_or_b32 s37, s37, s38
	s_or_b32 exec_lo, exec_lo, s31
	s_and_saveexec_b32 s31, s37
	s_delay_alu instid0(SALU_CYCLE_1)
	s_xor_b32 s31, exec_lo, s31
	s_cbranch_execz .LBB526_13
.LBB526_20:                             ;   in Loop: Header=BB526_11 Depth=2
	v_mov_b32_e32 v0, v1
	s_and_not1_b32 s30, s30, exec_lo
	ds_store_b64 v18, v[0:1]
	s_or_b32 exec_lo, exec_lo, s31
	s_and_saveexec_b32 s31, s30
	s_cbranch_execnz .LBB526_14
	s_branch .LBB526_15
.LBB526_21:                             ;   in Loop: Header=BB526_8 Depth=1
	v_dual_mov_b32 v33, v1 :: v_dual_mov_b32 v34, v1
	v_dual_mov_b32 v31, v1 :: v_dual_mov_b32 v32, v1
	;; [unrolled: 1-line block ×4, first 2 shown]
.LBB526_22:                             ;   in Loop: Header=BB526_8 Depth=1
	s_wait_loadcnt 0x0
	s_wait_alu 0xfffe
	v_add_co_u32 v0, vcc_lo, v14, s10
	s_wait_alu 0xfffd
	v_add_co_ci_u32_e64 v23, null, s11, v15, vcc_lo
	s_delay_alu instid0(VALU_DEP_2) | instskip(SKIP_1) | instid1(VALU_DEP_2)
	v_add_co_u32 v24, vcc_lo, v0, v4
	s_wait_alu 0xfffd
	v_add_co_ci_u32_e64 v25, null, v23, v5, vcc_lo
	s_and_saveexec_b32 s12, s26
	s_cbranch_execz .LBB526_27
; %bb.23:                               ;   in Loop: Header=BB526_8 Depth=1
	v_mul_f32_e32 v15, s18, v34
	v_mul_f32_e32 v14, s19, v34
	s_and_b32 vcc_lo, exec_lo, s22
	s_mov_b32 s13, -1
	s_delay_alu instid0(VALU_DEP_2) | instskip(NEXT) | instid1(VALU_DEP_2)
	v_fmac_f32_e32 v15, s19, v33
	v_fma_f32 v14, v33, s18, -v14
	s_wait_alu 0xfffe
	s_cbranch_vccz .LBB526_25
; %bb.24:                               ;   in Loop: Header=BB526_8 Depth=1
	v_add_co_u32 v33, vcc_lo, v24, v8
	s_wait_alu 0xfffd
	v_add_co_ci_u32_e64 v34, null, v25, v9, vcc_lo
	s_mov_b32 s13, 0
	flat_load_b64 v[35:36], v[33:34]
	s_wait_loadcnt_dscnt 0x0
	v_mul_f32_e32 v26, s7, v36
	s_delay_alu instid0(VALU_DEP_1) | instskip(SKIP_1) | instid1(VALU_DEP_1)
	v_fma_f32 v26, v35, s6, -v26
	v_mul_f32_e32 v36, s6, v36
	v_dual_fmac_f32 v36, s7, v35 :: v_dual_add_f32 v35, v14, v26
	s_delay_alu instid0(VALU_DEP_1)
	v_add_f32_e32 v36, v15, v36
	flat_store_b64 v[33:34], v[35:36]
.LBB526_25:                             ;   in Loop: Header=BB526_8 Depth=1
	s_wait_alu 0xfffe
	s_and_not1_b32 vcc_lo, exec_lo, s13
	s_wait_alu 0xfffe
	s_cbranch_vccnz .LBB526_27
; %bb.26:                               ;   in Loop: Header=BB526_8 Depth=1
	v_add_co_u32 v33, vcc_lo, v24, v8
	s_wait_alu 0xfffd
	v_add_co_ci_u32_e64 v34, null, v25, v9, vcc_lo
	flat_store_b64 v[33:34], v[14:15]
.LBB526_27:                             ;   in Loop: Header=BB526_8 Depth=1
	s_wait_alu 0xfffe
	s_or_b32 exec_lo, exec_lo, s12
	s_and_saveexec_b32 s12, s1
	s_cbranch_execz .LBB526_32
; %bb.28:                               ;   in Loop: Header=BB526_8 Depth=1
	v_mul_f32_e32 v15, s18, v32
	v_mul_f32_e32 v14, s19, v32
	s_and_not1_b32 vcc_lo, exec_lo, s22
	s_mov_b32 s13, -1
	s_delay_alu instid0(VALU_DEP_2) | instskip(NEXT) | instid1(VALU_DEP_2)
	v_fmac_f32_e32 v15, s19, v31
	v_fma_f32 v14, v31, s18, -v14
	s_wait_alu 0xfffe
	s_cbranch_vccnz .LBB526_30
; %bb.29:                               ;   in Loop: Header=BB526_8 Depth=1
	v_add_co_u32 v31, vcc_lo, v24, v10
	s_wait_alu 0xfffd
	v_add_co_ci_u32_e64 v32, null, v25, v11, vcc_lo
	s_mov_b32 s13, 0
	flat_load_b64 v[33:34], v[31:32]
	s_wait_loadcnt_dscnt 0x0
	v_mul_f32_e32 v26, s7, v34
	v_mul_f32_e32 v34, s6, v34
	s_delay_alu instid0(VALU_DEP_2) | instskip(NEXT) | instid1(VALU_DEP_1)
	v_fma_f32 v26, v33, s6, -v26
	v_dual_fmac_f32 v34, s7, v33 :: v_dual_add_f32 v33, v14, v26
	s_delay_alu instid0(VALU_DEP_1)
	v_add_f32_e32 v34, v15, v34
	flat_store_b64 v[31:32], v[33:34]
.LBB526_30:                             ;   in Loop: Header=BB526_8 Depth=1
	s_wait_alu 0xfffe
	s_and_not1_b32 vcc_lo, exec_lo, s13
	s_wait_alu 0xfffe
	s_cbranch_vccnz .LBB526_32
; %bb.31:                               ;   in Loop: Header=BB526_8 Depth=1
	v_add_co_u32 v24, vcc_lo, v24, v10
	s_wait_alu 0xfffd
	v_add_co_ci_u32_e64 v25, null, v25, v11, vcc_lo
	flat_store_b64 v[24:25], v[14:15]
.LBB526_32:                             ;   in Loop: Header=BB526_8 Depth=1
	s_wait_alu 0xfffe
	s_or_b32 exec_lo, exec_lo, s12
	v_add_co_u32 v0, vcc_lo, v0, v6
	s_wait_alu 0xfffd
	v_add_co_ci_u32_e64 v23, null, v23, v7, vcc_lo
	s_and_saveexec_b32 s12, s27
	s_cbranch_execz .LBB526_37
; %bb.33:                               ;   in Loop: Header=BB526_8 Depth=1
	v_mul_f32_e32 v15, s18, v30
	v_mul_f32_e32 v14, s19, v30
	s_and_not1_b32 vcc_lo, exec_lo, s22
	s_mov_b32 s13, -1
	s_delay_alu instid0(VALU_DEP_2) | instskip(NEXT) | instid1(VALU_DEP_2)
	v_fmac_f32_e32 v15, s19, v29
	v_fma_f32 v14, v29, s18, -v14
	s_wait_alu 0xfffe
	s_cbranch_vccnz .LBB526_35
; %bb.34:                               ;   in Loop: Header=BB526_8 Depth=1
	v_add_co_u32 v24, vcc_lo, v0, v8
	s_wait_alu 0xfffd
	v_add_co_ci_u32_e64 v25, null, v23, v9, vcc_lo
	s_mov_b32 s13, 0
	flat_load_b64 v[29:30], v[24:25]
	s_wait_loadcnt_dscnt 0x0
	v_mul_f32_e32 v26, s7, v30
	v_mul_f32_e32 v30, s6, v30
	s_delay_alu instid0(VALU_DEP_2) | instskip(NEXT) | instid1(VALU_DEP_1)
	v_fma_f32 v26, v29, s6, -v26
	v_dual_fmac_f32 v30, s7, v29 :: v_dual_add_f32 v29, v14, v26
	s_delay_alu instid0(VALU_DEP_1)
	v_add_f32_e32 v30, v15, v30
	flat_store_b64 v[24:25], v[29:30]
.LBB526_35:                             ;   in Loop: Header=BB526_8 Depth=1
	s_wait_alu 0xfffe
	s_and_not1_b32 vcc_lo, exec_lo, s13
	s_wait_alu 0xfffe
	s_cbranch_vccnz .LBB526_37
; %bb.36:                               ;   in Loop: Header=BB526_8 Depth=1
	v_add_co_u32 v24, vcc_lo, v0, v8
	s_wait_alu 0xfffd
	v_add_co_ci_u32_e64 v25, null, v23, v9, vcc_lo
	flat_store_b64 v[24:25], v[14:15]
.LBB526_37:                             ;   in Loop: Header=BB526_8 Depth=1
	s_wait_alu 0xfffe
	s_or_b32 exec_lo, exec_lo, s12
	s_and_saveexec_b32 s12, s35
	s_cbranch_execz .LBB526_7
; %bb.38:                               ;   in Loop: Header=BB526_8 Depth=1
	v_mul_f32_e32 v15, s18, v27
	v_mul_f32_e32 v14, s19, v27
	s_and_not1_b32 vcc_lo, exec_lo, s22
	s_mov_b32 s13, -1
	s_delay_alu instid0(VALU_DEP_2) | instskip(NEXT) | instid1(VALU_DEP_2)
	v_fmac_f32_e32 v15, s19, v28
	v_fma_f32 v14, v28, s18, -v14
	s_wait_alu 0xfffe
	s_cbranch_vccnz .LBB526_40
; %bb.39:                               ;   in Loop: Header=BB526_8 Depth=1
	v_add_co_u32 v24, vcc_lo, v0, v10
	s_wait_alu 0xfffd
	v_add_co_ci_u32_e64 v25, null, v23, v11, vcc_lo
	s_mov_b32 s13, 0
	flat_load_b64 v[26:27], v[24:25]
	s_wait_loadcnt_dscnt 0x0
	v_mul_f32_e32 v28, s7, v27
	v_mul_f32_e32 v27, s6, v27
	s_delay_alu instid0(VALU_DEP_1) | instskip(NEXT) | instid1(VALU_DEP_3)
	v_fmac_f32_e32 v27, s7, v26
	v_fma_f32 v28, v26, s6, -v28
	s_delay_alu instid0(VALU_DEP_1)
	v_dual_add_f32 v27, v15, v27 :: v_dual_add_f32 v26, v14, v28
	flat_store_b64 v[24:25], v[26:27]
.LBB526_40:                             ;   in Loop: Header=BB526_8 Depth=1
	s_wait_alu 0xfffe
	s_and_not1_b32 vcc_lo, exec_lo, s13
	s_wait_alu 0xfffe
	s_cbranch_vccnz .LBB526_7
; %bb.41:                               ;   in Loop: Header=BB526_8 Depth=1
	v_add_co_u32 v24, vcc_lo, v0, v10
	s_wait_alu 0xfffd
	v_add_co_ci_u32_e64 v25, null, v23, v11, vcc_lo
	flat_store_b64 v[24:25], v[14:15]
	s_branch .LBB526_7
.LBB526_42:
	s_endpgm
	.section	.rodata,"a",@progbits
	.p2align	6, 0x0
	.amdhsa_kernel _ZL29rocblas_internal_gemmt_kernelIlLi16ELi32ELi8ELc84ELc84ELc85ELb0ELb0E19rocblas_complex_numIfES1_PKPKS1_PKPS1_EviT_T9_T10_S9_lSB_S9_lSA_T11_S9_li
		.amdhsa_group_segment_fixed_size 4096
		.amdhsa_private_segment_fixed_size 0
		.amdhsa_kernarg_size 108
		.amdhsa_user_sgpr_count 2
		.amdhsa_user_sgpr_dispatch_ptr 0
		.amdhsa_user_sgpr_queue_ptr 0
		.amdhsa_user_sgpr_kernarg_segment_ptr 1
		.amdhsa_user_sgpr_dispatch_id 0
		.amdhsa_user_sgpr_private_segment_size 0
		.amdhsa_wavefront_size32 1
		.amdhsa_uses_dynamic_stack 0
		.amdhsa_enable_private_segment 0
		.amdhsa_system_sgpr_workgroup_id_x 1
		.amdhsa_system_sgpr_workgroup_id_y 1
		.amdhsa_system_sgpr_workgroup_id_z 1
		.amdhsa_system_sgpr_workgroup_info 0
		.amdhsa_system_vgpr_workitem_id 1
		.amdhsa_next_free_vgpr 72
		.amdhsa_next_free_sgpr 39
		.amdhsa_reserve_vcc 1
		.amdhsa_float_round_mode_32 0
		.amdhsa_float_round_mode_16_64 0
		.amdhsa_float_denorm_mode_32 3
		.amdhsa_float_denorm_mode_16_64 3
		.amdhsa_fp16_overflow 0
		.amdhsa_workgroup_processor_mode 1
		.amdhsa_memory_ordered 1
		.amdhsa_forward_progress 1
		.amdhsa_inst_pref_size 26
		.amdhsa_round_robin_scheduling 0
		.amdhsa_exception_fp_ieee_invalid_op 0
		.amdhsa_exception_fp_denorm_src 0
		.amdhsa_exception_fp_ieee_div_zero 0
		.amdhsa_exception_fp_ieee_overflow 0
		.amdhsa_exception_fp_ieee_underflow 0
		.amdhsa_exception_fp_ieee_inexact 0
		.amdhsa_exception_int_div_zero 0
	.end_amdhsa_kernel
	.section	.text._ZL29rocblas_internal_gemmt_kernelIlLi16ELi32ELi8ELc84ELc84ELc85ELb0ELb0E19rocblas_complex_numIfES1_PKPKS1_PKPS1_EviT_T9_T10_S9_lSB_S9_lSA_T11_S9_li,"axG",@progbits,_ZL29rocblas_internal_gemmt_kernelIlLi16ELi32ELi8ELc84ELc84ELc85ELb0ELb0E19rocblas_complex_numIfES1_PKPKS1_PKPS1_EviT_T9_T10_S9_lSB_S9_lSA_T11_S9_li,comdat
.Lfunc_end526:
	.size	_ZL29rocblas_internal_gemmt_kernelIlLi16ELi32ELi8ELc84ELc84ELc85ELb0ELb0E19rocblas_complex_numIfES1_PKPKS1_PKPS1_EviT_T9_T10_S9_lSB_S9_lSA_T11_S9_li, .Lfunc_end526-_ZL29rocblas_internal_gemmt_kernelIlLi16ELi32ELi8ELc84ELc84ELc85ELb0ELb0E19rocblas_complex_numIfES1_PKPKS1_PKPS1_EviT_T9_T10_S9_lSB_S9_lSA_T11_S9_li
                                        ; -- End function
	.set _ZL29rocblas_internal_gemmt_kernelIlLi16ELi32ELi8ELc84ELc84ELc85ELb0ELb0E19rocblas_complex_numIfES1_PKPKS1_PKPS1_EviT_T9_T10_S9_lSB_S9_lSA_T11_S9_li.num_vgpr, 72
	.set _ZL29rocblas_internal_gemmt_kernelIlLi16ELi32ELi8ELc84ELc84ELc85ELb0ELb0E19rocblas_complex_numIfES1_PKPKS1_PKPS1_EviT_T9_T10_S9_lSB_S9_lSA_T11_S9_li.num_agpr, 0
	.set _ZL29rocblas_internal_gemmt_kernelIlLi16ELi32ELi8ELc84ELc84ELc85ELb0ELb0E19rocblas_complex_numIfES1_PKPKS1_PKPS1_EviT_T9_T10_S9_lSB_S9_lSA_T11_S9_li.numbered_sgpr, 39
	.set _ZL29rocblas_internal_gemmt_kernelIlLi16ELi32ELi8ELc84ELc84ELc85ELb0ELb0E19rocblas_complex_numIfES1_PKPKS1_PKPS1_EviT_T9_T10_S9_lSB_S9_lSA_T11_S9_li.num_named_barrier, 0
	.set _ZL29rocblas_internal_gemmt_kernelIlLi16ELi32ELi8ELc84ELc84ELc85ELb0ELb0E19rocblas_complex_numIfES1_PKPKS1_PKPS1_EviT_T9_T10_S9_lSB_S9_lSA_T11_S9_li.private_seg_size, 0
	.set _ZL29rocblas_internal_gemmt_kernelIlLi16ELi32ELi8ELc84ELc84ELc85ELb0ELb0E19rocblas_complex_numIfES1_PKPKS1_PKPS1_EviT_T9_T10_S9_lSB_S9_lSA_T11_S9_li.uses_vcc, 1
	.set _ZL29rocblas_internal_gemmt_kernelIlLi16ELi32ELi8ELc84ELc84ELc85ELb0ELb0E19rocblas_complex_numIfES1_PKPKS1_PKPS1_EviT_T9_T10_S9_lSB_S9_lSA_T11_S9_li.uses_flat_scratch, 0
	.set _ZL29rocblas_internal_gemmt_kernelIlLi16ELi32ELi8ELc84ELc84ELc85ELb0ELb0E19rocblas_complex_numIfES1_PKPKS1_PKPS1_EviT_T9_T10_S9_lSB_S9_lSA_T11_S9_li.has_dyn_sized_stack, 0
	.set _ZL29rocblas_internal_gemmt_kernelIlLi16ELi32ELi8ELc84ELc84ELc85ELb0ELb0E19rocblas_complex_numIfES1_PKPKS1_PKPS1_EviT_T9_T10_S9_lSB_S9_lSA_T11_S9_li.has_recursion, 0
	.set _ZL29rocblas_internal_gemmt_kernelIlLi16ELi32ELi8ELc84ELc84ELc85ELb0ELb0E19rocblas_complex_numIfES1_PKPKS1_PKPS1_EviT_T9_T10_S9_lSB_S9_lSA_T11_S9_li.has_indirect_call, 0
	.section	.AMDGPU.csdata,"",@progbits
; Kernel info:
; codeLenInByte = 3288
; TotalNumSgprs: 41
; NumVgprs: 72
; ScratchSize: 0
; MemoryBound: 0
; FloatMode: 240
; IeeeMode: 1
; LDSByteSize: 4096 bytes/workgroup (compile time only)
; SGPRBlocks: 0
; VGPRBlocks: 8
; NumSGPRsForWavesPerEU: 41
; NumVGPRsForWavesPerEU: 72
; Occupancy: 16
; WaveLimiterHint : 1
; COMPUTE_PGM_RSRC2:SCRATCH_EN: 0
; COMPUTE_PGM_RSRC2:USER_SGPR: 2
; COMPUTE_PGM_RSRC2:TRAP_HANDLER: 0
; COMPUTE_PGM_RSRC2:TGID_X_EN: 1
; COMPUTE_PGM_RSRC2:TGID_Y_EN: 1
; COMPUTE_PGM_RSRC2:TGID_Z_EN: 1
; COMPUTE_PGM_RSRC2:TIDIG_COMP_CNT: 1
	.section	.text._ZL29rocblas_internal_gemmt_kernelIlLi16ELi32ELi8ELc84ELc67ELc85ELb0ELb1E19rocblas_complex_numIfES1_PKPKS1_PKPS1_EviT_T9_T10_S9_lSB_S9_lSA_T11_S9_li,"axG",@progbits,_ZL29rocblas_internal_gemmt_kernelIlLi16ELi32ELi8ELc84ELc67ELc85ELb0ELb1E19rocblas_complex_numIfES1_PKPKS1_PKPS1_EviT_T9_T10_S9_lSB_S9_lSA_T11_S9_li,comdat
	.globl	_ZL29rocblas_internal_gemmt_kernelIlLi16ELi32ELi8ELc84ELc67ELc85ELb0ELb1E19rocblas_complex_numIfES1_PKPKS1_PKPS1_EviT_T9_T10_S9_lSB_S9_lSA_T11_S9_li ; -- Begin function _ZL29rocblas_internal_gemmt_kernelIlLi16ELi32ELi8ELc84ELc67ELc85ELb0ELb1E19rocblas_complex_numIfES1_PKPKS1_PKPS1_EviT_T9_T10_S9_lSB_S9_lSA_T11_S9_li
	.p2align	8
	.type	_ZL29rocblas_internal_gemmt_kernelIlLi16ELi32ELi8ELc84ELc67ELc85ELb0ELb1E19rocblas_complex_numIfES1_PKPKS1_PKPS1_EviT_T9_T10_S9_lSB_S9_lSA_T11_S9_li,@function
_ZL29rocblas_internal_gemmt_kernelIlLi16ELi32ELi8ELc84ELc67ELc85ELb0ELb1E19rocblas_complex_numIfES1_PKPKS1_PKPS1_EviT_T9_T10_S9_lSB_S9_lSA_T11_S9_li: ; @_ZL29rocblas_internal_gemmt_kernelIlLi16ELi32ELi8ELc84ELc67ELc85ELb0ELb1E19rocblas_complex_numIfES1_PKPKS1_PKPS1_EviT_T9_T10_S9_lSB_S9_lSA_T11_S9_li
; %bb.0:
	s_clause 0x1
	s_load_b64 s[6:7], s[0:1], 0x48
	s_load_b128 s[16:19], s[0:1], 0x8
	s_wait_kmcnt 0x0
	s_cmp_eq_f32 s6, 1.0
	s_cselect_b32 s2, -1, 0
	s_and_b32 s3, s7, 0x7fffffff
	s_delay_alu instid0(SALU_CYCLE_1) | instskip(SKIP_1) | instid1(SALU_CYCLE_1)
	s_cmp_eq_u32 s3, 0
	s_cselect_b32 s3, -1, 0
	s_and_b32 s4, s2, s3
	s_mov_b32 s2, 0
	s_and_not1_b32 vcc_lo, exec_lo, s4
	s_mov_b32 s4, -1
	s_cbranch_vccnz .LBB527_4
; %bb.1:
	s_cmp_lg_u64 s[16:17], 0
	s_cbranch_scc0 .LBB527_3
; %bb.2:
	s_cmp_neq_f32 s18, 0
	s_cselect_b32 s2, -1, 0
	s_cmp_neq_f32 s19, 0
	s_cselect_b32 s4, -1, 0
	s_delay_alu instid0(SALU_CYCLE_1)
	s_or_b32 s2, s2, s4
.LBB527_3:
	s_delay_alu instid0(SALU_CYCLE_1)
	s_mov_b32 s4, s2
.LBB527_4:
	s_delay_alu instid0(SALU_CYCLE_1)
	s_and_b32 vcc_lo, exec_lo, s4
	s_cbranch_vccz .LBB527_42
; %bb.5:
	s_load_b32 s33, s[0:1], 0x68
	s_lshr_b32 s28, ttmp7, 16
	s_wait_kmcnt 0x0
	s_cmp_ge_u32 s28, s33
	s_cbranch_scc1 .LBB527_42
; %bb.6:
	s_clause 0x3
	s_load_b32 s4, s[0:1], 0x0
	s_load_b256 s[8:15], s[0:1], 0x18
	s_load_b128 s[20:23], s[0:1], 0x38
	s_load_b128 s[24:27], s[0:1], 0x50
	v_and_b32_e32 v6, 0x3ff, v0
	v_bfe_u32 v11, v0, 10, 10
	v_and_b32_e32 v16, 7, v0
	s_lshl_b32 s2, ttmp7, 5
	s_lshl_b32 s5, ttmp9, 5
	s_and_b32 s2, s2, 0x1fffe0
	v_lshl_add_u32 v0, v11, 4, v6
	v_lshlrev_b32_e32 v4, 3, v16
	v_add_nc_u32_e32 v15, s2, v11
	s_cmp_neq_f32 s18, 0
	s_load_b64 s[30:31], s[0:1], 0x60
	v_lshrrev_b32_e32 v17, 5, v0
	v_and_b32_e32 v1, 31, v0
	v_lshrrev_b32_e32 v0, 3, v0
	s_cselect_b32 s34, -1, 0
	s_cmp_neq_f32 s19, 0
	v_add_nc_u32_e32 v22, 16, v15
	v_lshl_add_u32 v21, v11, 6, 0x800
	v_add_nc_u32_e32 v14, s2, v0
	v_lshl_or_b32 v0, v0, 6, v4
	s_wait_kmcnt 0x0
	v_mad_co_u64_u32 v[4:5], null, s26, v15, 0
	s_cselect_b32 s0, -1, 0
	s_ashr_i32 s1, s5, 31
	v_add_nc_u32_e32 v19, 0x800, v0
	s_or_b32 s36, s34, s0
	s_mul_i32 s1, s10, s1
	s_cmp_neq_f32 s6, 0
	v_mov_b32_e32 v0, v5
	v_or_b32_e32 v2, s5, v1
	v_lshlrev_b32_e32 v1, 3, v1
	v_cmp_gt_i64_e64 s37, s[16:17], 0
	s_mov_b32 s29, 0
	v_cmp_gt_i32_e64 s0, s4, v2
	v_cmp_le_i32_e64 s34, s4, v2
	v_mul_lo_u32 v7, s11, v2
	v_mad_co_u64_u32 v[2:3], null, s10, v2, 0
	v_lshl_or_b32 v18, v17, 8, v1
	v_dual_mov_b32 v1, 0 :: v_dual_lshlrev_b32 v20, 3, v6
	v_add_nc_u32_e32 v8, s5, v6
	s_cselect_b32 s10, -1, 0
	s_xor_b32 s11, s3, -1
	s_delay_alu instid0(VALU_DEP_4)
	v_add3_u32 v3, v3, s1, v7
	v_mad_co_u64_u32 v[6:7], null, s26, v22, 0
	v_mad_co_u64_u32 v[9:10], null, s27, v15, v[0:1]
	v_add_nc_u32_e32 v10, 16, v8
	v_cmp_gt_i32_e64 s1, s4, v15
	v_cmp_le_i32_e64 s2, v8, v15
	v_cmp_gt_i32_e64 s3, s4, v22
	v_mov_b32_e32 v0, v7
	v_ashrrev_i32_e32 v11, 31, v10
	v_mov_b32_e32 v5, v9
	v_ashrrev_i32_e32 v9, 31, v8
	s_and_b32 s26, s1, s2
	v_mad_co_u64_u32 v[12:13], null, s27, v22, v[0:1]
	v_cmp_le_i32_e64 s2, v10, v15
	v_cmp_le_i32_e64 s5, v10, v22
	v_lshlrev_b64_e32 v[2:3], 3, v[2:3]
	v_lshlrev_b64_e32 v[4:5], 3, v[4:5]
	;; [unrolled: 1-line block ×3, first 2 shown]
	s_and_b32 s1, s1, s2
	v_mov_b32_e32 v7, v12
	v_cmp_gt_i32_e32 vcc_lo, s4, v14
	v_cmp_le_i32_e64 s4, v8, v22
	v_lshlrev_b64_e32 v[8:9], 3, v[8:9]
	v_lshlrev_b32_e32 v22, 3, v14
	v_lshlrev_b64_e32 v[6:7], 3, v[6:7]
	s_and_b32 s35, s3, s5
	s_and_b32 s27, s3, s4
	;; [unrolled: 1-line block ×3, first 2 shown]
	s_lshl_b64 s[2:3], s[22:23], 3
	s_wait_alu 0xfffe
	s_or_b32 s22, s10, s11
	s_lshl_b64 s[4:5], s[12:13], 3
	s_xor_b32 s23, vcc_lo, -1
	s_lshl_b64 s[10:11], s[30:31], 3
                                        ; implicit-def: $vgpr12_vgpr13
	s_branch .LBB527_8
.LBB527_7:                              ;   in Loop: Header=BB527_8 Depth=1
	s_wait_alu 0xfffe
	s_or_b32 exec_lo, exec_lo, s12
	s_add_co_i32 s28, s28, 0x10000
	s_delay_alu instid0(SALU_CYCLE_1)
	s_cmp_lt_u32 s28, s33
	s_cbranch_scc0 .LBB527_42
.LBB527_8:                              ; =>This Loop Header: Depth=1
                                        ;     Child Loop BB527_11 Depth 2
	s_lshl_b64 s[12:13], s[28:29], 3
	s_and_not1_b32 vcc_lo, exec_lo, s36
	s_wait_alu 0xfffe
	s_add_nc_u64 s[30:31], s[24:25], s[12:13]
	global_load_b64 v[14:15], v1, s[30:31]
	s_cbranch_vccnz .LBB527_21
; %bb.9:                                ;   in Loop: Header=BB527_8 Depth=1
	s_add_nc_u64 s[30:31], s[8:9], s[12:13]
	s_add_nc_u64 s[12:13], s[14:15], s[12:13]
	s_clause 0x1
	global_load_b64 v[23:24], v1, s[30:31]
	global_load_b64 v[25:26], v1, s[12:13]
	v_dual_mov_b32 v27, 0 :: v_dual_mov_b32 v28, 0
	v_dual_mov_b32 v30, 0 :: v_dual_mov_b32 v29, 0
	;; [unrolled: 1-line block ×4, first 2 shown]
	s_mov_b64 s[12:13], 0
	s_wait_loadcnt 0x1
	v_add_co_u32 v0, vcc_lo, v23, s4
	s_wait_alu 0xfffd
	v_add_co_ci_u32_e64 v24, null, s5, v24, vcc_lo
	s_wait_loadcnt 0x0
	v_add_co_u32 v25, vcc_lo, v25, s2
	s_wait_alu 0xfffd
	v_add_co_ci_u32_e64 v26, null, s3, v26, vcc_lo
	v_add_co_u32 v23, vcc_lo, v0, v2
	s_wait_alu 0xfffd
	v_add_co_ci_u32_e64 v24, null, v24, v3, vcc_lo
	;; [unrolled: 3-line block ×3, first 2 shown]
	s_branch .LBB527_11
.LBB527_10:                             ;   in Loop: Header=BB527_11 Depth=2
	s_or_b32 exec_lo, exec_lo, s30
	ds_store_b32 v19, v35 offset:4
	s_wait_dscnt 0x0
	s_barrier_signal -1
	s_barrier_wait -1
	global_inv scope:SCOPE_SE
	ds_load_b128 v[35:38], v21
	ds_load_2addr_b64 v[39:42], v20 offset1:16
	ds_load_b128 v[43:46], v21 offset:1024
	ds_load_b128 v[47:50], v21 offset:16
	;; [unrolled: 1-line block ×4, first 2 shown]
	ds_load_2addr_b64 v[59:62], v20 offset0:32 offset1:48
	ds_load_b128 v[63:66], v21 offset:1040
	s_add_nc_u64 s[12:13], s[12:13], 8
	s_wait_alu 0xfffe
	v_cmp_gt_i64_e64 s30, s[16:17], s[12:13]
	s_and_b32 vcc_lo, exec_lo, s30
	s_wait_dscnt 0x6
	v_dual_mul_f32 v0, v36, v40 :: v_dual_mul_f32 v69, v35, v42
	v_dual_mul_f32 v67, v35, v40 :: v_dual_mul_f32 v68, v36, v42
	s_wait_dscnt 0x5
	v_mul_f32_e32 v71, v44, v42
	s_delay_alu instid0(VALU_DEP_3) | instskip(SKIP_3) | instid1(VALU_DEP_4)
	v_fma_f32 v0, v35, v39, -v0
	v_dual_mul_f32 v42, v43, v42 :: v_dual_fmac_f32 v69, v36, v41
	v_fmac_f32_e32 v67, v36, v39
	v_fma_f32 v35, v35, v41, -v68
	v_add_f32_e32 v0, v33, v0
	v_mul_f32_e32 v70, v44, v40
	s_delay_alu instid0(VALU_DEP_4) | instskip(NEXT) | instid1(VALU_DEP_4)
	v_dual_mul_f32 v40, v43, v40 :: v_dual_add_f32 v33, v34, v67
	v_add_f32_e32 v34, v31, v35
	v_fma_f32 v31, v43, v41, -v71
	s_delay_alu instid0(VALU_DEP_4) | instskip(NEXT) | instid1(VALU_DEP_4)
	v_fma_f32 v36, v43, v39, -v70
	v_fmac_f32_e32 v40, v44, v39
	s_wait_dscnt 0x1
	v_dual_add_f32 v32, v32, v69 :: v_dual_mul_f32 v39, v38, v60
	v_dual_fmac_f32 v42, v44, v41 :: v_dual_mul_f32 v43, v38, v62
	v_add_f32_e32 v35, v29, v36
	v_add_f32_e32 v36, v30, v40
	v_dual_add_f32 v40, v28, v31 :: v_dual_mul_f32 v41, v37, v60
	ds_load_2addr_b64 v[28:31], v20 offset0:64 offset1:80
	v_fma_f32 v39, v37, v59, -v39
	v_add_f32_e32 v27, v27, v42
	v_dual_mul_f32 v42, v37, v62 :: v_dual_fmac_f32 v41, v38, v59
	v_fma_f32 v37, v37, v61, -v43
	s_delay_alu instid0(VALU_DEP_4) | instskip(NEXT) | instid1(VALU_DEP_3)
	v_dual_add_f32 v0, v0, v39 :: v_dual_mul_f32 v39, v46, v60
	v_fmac_f32_e32 v42, v38, v61
	s_delay_alu instid0(VALU_DEP_4)
	v_add_f32_e32 v41, v33, v41
	v_mul_f32_e32 v33, v45, v60
	v_add_f32_e32 v37, v34, v37
	v_fma_f32 v34, v45, v59, -v39
	v_mul_f32_e32 v38, v46, v62
	v_add_f32_e32 v39, v32, v42
	v_dual_mul_f32 v42, v45, v62 :: v_dual_fmac_f32 v33, v46, v59
	s_delay_alu instid0(VALU_DEP_4) | instskip(NEXT) | instid1(VALU_DEP_4)
	v_add_f32_e32 v43, v35, v34
	v_fma_f32 v32, v45, v61, -v38
	s_wait_dscnt 0x0
	v_mul_f32_e32 v34, v48, v29
	v_dual_fmac_f32 v42, v46, v61 :: v_dual_mul_f32 v45, v48, v31
	s_delay_alu instid0(VALU_DEP_3) | instskip(SKIP_1) | instid1(VALU_DEP_4)
	v_add_f32_e32 v40, v40, v32
	v_add_f32_e32 v36, v36, v33
	v_fma_f32 v44, v47, v28, -v34
	s_delay_alu instid0(VALU_DEP_4)
	v_add_f32_e32 v42, v27, v42
	v_mul_f32_e32 v27, v47, v31
	v_mul_f32_e32 v38, v47, v29
	ds_load_2addr_b64 v[32:35], v20 offset0:96 offset1:112
	v_add_f32_e32 v0, v0, v44
	v_fma_f32 v44, v47, v30, -v45
	v_fmac_f32_e32 v27, v48, v30
	v_fmac_f32_e32 v38, v48, v28
	s_delay_alu instid0(VALU_DEP_3) | instskip(NEXT) | instid1(VALU_DEP_2)
	v_dual_add_f32 v37, v37, v44 :: v_dual_mul_f32 v44, v64, v31
	v_dual_add_f32 v38, v41, v38 :: v_dual_mul_f32 v41, v64, v29
	v_mul_f32_e32 v29, v63, v29
	v_mul_f32_e32 v31, v63, v31
	v_add_f32_e32 v45, v39, v27
	v_fma_f32 v27, v63, v30, -v44
	v_fma_f32 v41, v63, v28, -v41
	v_fmac_f32_e32 v29, v64, v28
	v_fmac_f32_e32 v31, v64, v30
	s_delay_alu instid0(VALU_DEP_3) | instskip(SKIP_1) | instid1(VALU_DEP_3)
	v_dual_add_f32 v40, v40, v27 :: v_dual_add_f32 v41, v43, v41
	s_wait_dscnt 0x0
	v_dual_add_f32 v43, v36, v29 :: v_dual_mul_f32 v44, v50, v35
	ds_load_2addr_b64 v[27:30], v20 offset0:128 offset1:144
	v_mul_f32_e32 v36, v50, v33
	v_mul_f32_e32 v48, v66, v35
	v_fma_f32 v44, v49, v34, -v44
	s_delay_alu instid0(VALU_DEP_3) | instskip(NEXT) | instid1(VALU_DEP_1)
	v_fma_f32 v36, v49, v32, -v36
	v_add_f32_e32 v0, v0, v36
	v_mul_f32_e32 v36, v66, v33
	v_dual_mul_f32 v39, v49, v33 :: v_dual_add_f32 v42, v42, v31
	v_mul_f32_e32 v31, v49, v35
	v_mul_f32_e32 v33, v65, v33
	s_delay_alu instid0(VALU_DEP_4) | instskip(NEXT) | instid1(VALU_DEP_2)
	v_fma_f32 v47, v65, v32, -v36
	v_fmac_f32_e32 v33, v66, v32
	v_fmac_f32_e32 v39, v50, v32
	s_wait_dscnt 0x0
	v_dual_mul_f32 v32, v52, v28 :: v_dual_fmac_f32 v31, v50, v34
	s_delay_alu instid0(VALU_DEP_1) | instskip(SKIP_1) | instid1(VALU_DEP_2)
	v_dual_mul_f32 v50, v51, v28 :: v_dual_add_f32 v45, v45, v31
	v_fma_f32 v31, v65, v34, -v48
	v_fmac_f32_e32 v50, v52, v27
	v_add_f32_e32 v48, v43, v33
	v_add_f32_e32 v46, v38, v39
	v_add_f32_e32 v47, v41, v47
	v_add_f32_e32 v49, v40, v31
	v_fma_f32 v40, v51, v27, -v32
	v_mul_f32_e32 v35, v65, v35
	v_mul_f32_e32 v41, v52, v30
	v_add_f32_e32 v46, v46, v50
	s_delay_alu instid0(VALU_DEP_4) | instskip(NEXT) | instid1(VALU_DEP_4)
	v_add_f32_e32 v0, v0, v40
	v_dual_add_f32 v44, v37, v44 :: v_dual_fmac_f32 v35, v66, v34
	ds_load_b128 v[36:39], v21 offset:1056
	ds_load_2addr_b64 v[31:34], v20 offset0:160 offset1:176
	v_fma_f32 v59, v51, v29, -v41
	v_mul_f32_e32 v51, v51, v30
	v_add_f32_e32 v35, v42, v35
	ds_load_b128 v[40:43], v21 offset:1072
	v_add_f32_e32 v44, v44, v59
	s_wait_dscnt 0x2
	v_dual_fmac_f32 v51, v52, v29 :: v_dual_mul_f32 v52, v37, v30
	v_mul_f32_e32 v60, v37, v28
	v_mul_f32_e32 v28, v36, v28
	s_delay_alu instid0(VALU_DEP_2) | instskip(NEXT) | instid1(VALU_DEP_2)
	v_fma_f32 v50, v36, v27, -v60
	v_fmac_f32_e32 v28, v37, v27
	v_add_f32_e32 v45, v45, v51
	v_mul_f32_e32 v51, v36, v30
	v_fma_f32 v27, v36, v29, -v52
	s_delay_alu instid0(VALU_DEP_4) | instskip(SKIP_1) | instid1(VALU_DEP_3)
	v_dual_add_f32 v47, v47, v50 :: v_dual_add_f32 v36, v48, v28
	s_wait_dscnt 0x1
	v_dual_mul_f32 v48, v54, v32 :: v_dual_fmac_f32 v51, v37, v29
	v_dual_mul_f32 v50, v54, v34 :: v_dual_mul_f32 v37, v53, v32
	s_delay_alu instid0(VALU_DEP_2) | instskip(SKIP_4) | instid1(VALU_DEP_1)
	v_fma_f32 v48, v53, v31, -v48
	v_add_f32_e32 v49, v49, v27
	ds_load_2addr_b64 v[27:30], v20 offset0:192 offset1:208
	v_add_f32_e32 v0, v0, v48
	v_fma_f32 v48, v53, v33, -v50
	v_add_f32_e32 v44, v44, v48
	v_dual_mul_f32 v48, v39, v34 :: v_dual_fmac_f32 v37, v54, v31
	v_add_f32_e32 v51, v35, v51
	s_delay_alu instid0(VALU_DEP_2) | instskip(SKIP_2) | instid1(VALU_DEP_3)
	v_dual_mul_f32 v35, v53, v34 :: v_dual_add_f32 v46, v46, v37
	v_mul_f32_e32 v37, v39, v32
	v_mul_f32_e32 v32, v38, v32
	v_fmac_f32_e32 v35, v54, v33
	s_delay_alu instid0(VALU_DEP_3) | instskip(NEXT) | instid1(VALU_DEP_3)
	v_fma_f32 v37, v38, v31, -v37
	v_dual_fmac_f32 v32, v39, v31 :: v_dual_mul_f32 v31, v38, v34
	v_fma_f32 v34, v38, v33, -v48
	s_wait_dscnt 0x0
	v_dual_add_f32 v45, v45, v35 :: v_dual_mul_f32 v48, v56, v30
	s_delay_alu instid0(VALU_DEP_3) | instskip(NEXT) | instid1(VALU_DEP_3)
	v_dual_add_f32 v32, v36, v32 :: v_dual_fmac_f32 v31, v39, v33
	v_dual_add_f32 v33, v49, v34 :: v_dual_mul_f32 v34, v55, v28
	v_add_f32_e32 v47, v47, v37
	s_delay_alu instid0(VALU_DEP_4) | instskip(NEXT) | instid1(VALU_DEP_3)
	v_fma_f32 v48, v55, v29, -v48
	v_dual_mul_f32 v49, v41, v28 :: v_dual_fmac_f32 v34, v56, v27
	v_mul_f32_e32 v35, v56, v28
	v_mul_f32_e32 v28, v40, v28
	s_delay_alu instid0(VALU_DEP_4)
	v_add_f32_e32 v44, v44, v48
	v_mul_f32_e32 v48, v41, v30
	v_add_f32_e32 v34, v46, v34
	v_fma_f32 v39, v55, v27, -v35
	ds_load_2addr_b64 v[35:38], v20 offset0:224 offset1:240
	v_fmac_f32_e32 v28, v41, v27
	s_wait_loadcnt_dscnt 0x0
	s_barrier_signal -1
	v_dual_add_f32 v0, v0, v39 :: v_dual_mul_f32 v39, v55, v30
	v_dual_add_f32 v31, v51, v31 :: v_dual_mul_f32 v30, v40, v30
	v_fma_f32 v46, v40, v27, -v49
	v_fma_f32 v40, v40, v29, -v48
	s_delay_alu instid0(VALU_DEP_4)
	v_fmac_f32_e32 v39, v56, v29
	v_add_f32_e32 v28, v32, v28
	v_fmac_f32_e32 v30, v41, v29
	s_barrier_wait -1
	v_add_f32_e32 v40, v33, v40
	v_add_f32_e32 v27, v45, v39
	;; [unrolled: 1-line block ×3, first 2 shown]
	global_inv scope:SCOPE_SE
	v_mul_f32_e32 v32, v58, v36
	v_mul_f32_e32 v33, v58, v38
	v_add_f32_e32 v41, v31, v30
	s_delay_alu instid0(VALU_DEP_3) | instskip(SKIP_1) | instid1(VALU_DEP_4)
	v_fma_f32 v32, v57, v35, -v32
	v_mul_f32_e32 v30, v57, v38
	v_fma_f32 v31, v57, v37, -v33
	s_delay_alu instid0(VALU_DEP_3) | instskip(NEXT) | instid1(VALU_DEP_3)
	v_add_f32_e32 v33, v0, v32
	v_dual_mul_f32 v29, v57, v36 :: v_dual_fmac_f32 v30, v58, v37
	s_delay_alu instid0(VALU_DEP_3) | instskip(NEXT) | instid1(VALU_DEP_2)
	v_dual_mul_f32 v0, v43, v36 :: v_dual_add_f32 v31, v44, v31
	v_dual_mul_f32 v44, v43, v38 :: v_dual_fmac_f32 v29, v58, v35
	s_delay_alu instid0(VALU_DEP_3) | instskip(NEXT) | instid1(VALU_DEP_3)
	v_add_f32_e32 v32, v27, v30
	v_fma_f32 v0, v42, v35, -v0
	v_mul_f32_e32 v38, v42, v38
	s_delay_alu instid0(VALU_DEP_2) | instskip(NEXT) | instid1(VALU_DEP_2)
	v_dual_add_f32 v34, v34, v29 :: v_dual_add_f32 v29, v39, v0
	v_fmac_f32_e32 v38, v43, v37
	v_mul_f32_e32 v36, v42, v36
	v_fma_f32 v0, v42, v37, -v44
	s_delay_alu instid0(VALU_DEP_2) | instskip(NEXT) | instid1(VALU_DEP_1)
	v_dual_add_f32 v27, v41, v38 :: v_dual_fmac_f32 v36, v43, v35
	v_add_f32_e32 v30, v28, v36
	s_delay_alu instid0(VALU_DEP_3)
	v_add_f32_e32 v28, v40, v0
	s_wait_alu 0xfffe
	s_cbranch_vccz .LBB527_22
.LBB527_11:                             ;   Parent Loop BB527_8 Depth=1
                                        ; =>  This Inner Loop Header: Depth=2
	s_mov_b32 s30, 0
	s_mov_b32 s37, s34
	s_and_saveexec_b32 s31, s0
	s_cbranch_execnz .LBB527_19
; %bb.12:                               ;   in Loop: Header=BB527_11 Depth=2
	s_or_b32 exec_lo, exec_lo, s31
	s_and_saveexec_b32 s31, s37
	s_delay_alu instid0(SALU_CYCLE_1)
	s_xor_b32 s31, exec_lo, s31
	s_cbranch_execnz .LBB527_20
.LBB527_13:                             ;   in Loop: Header=BB527_11 Depth=2
	s_or_b32 exec_lo, exec_lo, s31
	s_and_saveexec_b32 s31, s30
	s_cbranch_execz .LBB527_15
.LBB527_14:                             ;   in Loop: Header=BB527_11 Depth=2
	v_lshlrev_b64_e32 v[35:36], 3, v[12:13]
	s_delay_alu instid0(VALU_DEP_1) | instskip(SKIP_1) | instid1(VALU_DEP_2)
	v_add_co_u32 v35, vcc_lo, v23, v35
	s_wait_alu 0xfffd
	v_add_co_ci_u32_e64 v36, null, v24, v36, vcc_lo
	flat_load_b64 v[35:36], v[35:36]
	s_wait_loadcnt_dscnt 0x0
	ds_store_b64 v18, v[35:36]
.LBB527_15:                             ;   in Loop: Header=BB527_11 Depth=2
	s_or_b32 exec_lo, exec_lo, s31
	s_wait_alu 0xfffe
	v_add_nc_u32_e32 v0, s12, v16
	s_delay_alu instid0(VALU_DEP_1) | instskip(SKIP_1) | instid1(SALU_CYCLE_1)
	v_cmp_le_u64_e32 vcc_lo, s[16:17], v[0:1]
	s_or_b32 s30, vcc_lo, s23
	s_and_saveexec_b32 s31, s30
	s_delay_alu instid0(SALU_CYCLE_1)
	s_xor_b32 s30, exec_lo, s31
; %bb.16:                               ;   in Loop: Header=BB527_11 Depth=2
	ds_store_b32 v19, v1
; %bb.17:                               ;   in Loop: Header=BB527_11 Depth=2
	s_or_saveexec_b32 s30, s30
	v_mov_b32_e32 v35, 0
	s_xor_b32 exec_lo, exec_lo, s30
	s_cbranch_execz .LBB527_10
; %bb.18:                               ;   in Loop: Header=BB527_11 Depth=2
	v_mad_co_u64_u32 v[35:36], null, s20, v0, 0
	s_delay_alu instid0(VALU_DEP_1) | instskip(NEXT) | instid1(VALU_DEP_1)
	v_mad_co_u64_u32 v[36:37], null, s21, v0, v[36:37]
	v_lshlrev_b64_e32 v[35:36], 3, v[35:36]
	s_delay_alu instid0(VALU_DEP_1) | instskip(SKIP_1) | instid1(VALU_DEP_2)
	v_add_co_u32 v35, vcc_lo, v25, v35
	s_wait_alu 0xfffd
	v_add_co_ci_u32_e64 v36, null, v26, v36, vcc_lo
	flat_load_b64 v[36:37], v[35:36]
	s_wait_loadcnt_dscnt 0x0
	v_xor_b32_e32 v35, 0x80000000, v37
	ds_store_b32 v19, v36
	s_branch .LBB527_10
.LBB527_19:                             ;   in Loop: Header=BB527_11 Depth=2
	s_wait_alu 0xfffe
	v_add_nc_u32_e32 v0, s12, v17
	v_mov_b32_e32 v13, v1
	s_and_not1_b32 s37, s34, exec_lo
	s_mov_b32 s30, exec_lo
	s_delay_alu instid0(VALU_DEP_2) | instskip(SKIP_2) | instid1(SALU_CYCLE_1)
	v_cmp_le_u64_e32 vcc_lo, s[16:17], v[0:1]
	v_mov_b32_e32 v12, v0
	s_and_b32 s38, vcc_lo, exec_lo
	s_or_b32 s37, s37, s38
	s_or_b32 exec_lo, exec_lo, s31
	s_and_saveexec_b32 s31, s37
	s_delay_alu instid0(SALU_CYCLE_1)
	s_xor_b32 s31, exec_lo, s31
	s_cbranch_execz .LBB527_13
.LBB527_20:                             ;   in Loop: Header=BB527_11 Depth=2
	v_mov_b32_e32 v0, v1
	s_and_not1_b32 s30, s30, exec_lo
	ds_store_b64 v18, v[0:1]
	s_or_b32 exec_lo, exec_lo, s31
	s_and_saveexec_b32 s31, s30
	s_cbranch_execnz .LBB527_14
	s_branch .LBB527_15
.LBB527_21:                             ;   in Loop: Header=BB527_8 Depth=1
	v_dual_mov_b32 v33, v1 :: v_dual_mov_b32 v34, v1
	v_dual_mov_b32 v31, v1 :: v_dual_mov_b32 v32, v1
	;; [unrolled: 1-line block ×4, first 2 shown]
.LBB527_22:                             ;   in Loop: Header=BB527_8 Depth=1
	s_wait_loadcnt 0x0
	s_wait_alu 0xfffe
	v_add_co_u32 v0, vcc_lo, v14, s10
	s_wait_alu 0xfffd
	v_add_co_ci_u32_e64 v23, null, s11, v15, vcc_lo
	s_delay_alu instid0(VALU_DEP_2) | instskip(SKIP_1) | instid1(VALU_DEP_2)
	v_add_co_u32 v24, vcc_lo, v0, v4
	s_wait_alu 0xfffd
	v_add_co_ci_u32_e64 v25, null, v23, v5, vcc_lo
	s_and_saveexec_b32 s12, s26
	s_cbranch_execz .LBB527_27
; %bb.23:                               ;   in Loop: Header=BB527_8 Depth=1
	v_mul_f32_e32 v15, s18, v34
	v_mul_f32_e32 v14, s19, v34
	s_and_b32 vcc_lo, exec_lo, s22
	s_mov_b32 s13, -1
	s_delay_alu instid0(VALU_DEP_2) | instskip(NEXT) | instid1(VALU_DEP_2)
	v_fmac_f32_e32 v15, s19, v33
	v_fma_f32 v14, v33, s18, -v14
	s_wait_alu 0xfffe
	s_cbranch_vccz .LBB527_25
; %bb.24:                               ;   in Loop: Header=BB527_8 Depth=1
	v_add_co_u32 v33, vcc_lo, v24, v8
	s_wait_alu 0xfffd
	v_add_co_ci_u32_e64 v34, null, v25, v9, vcc_lo
	s_mov_b32 s13, 0
	flat_load_b64 v[35:36], v[33:34]
	s_wait_loadcnt_dscnt 0x0
	v_mul_f32_e32 v26, s7, v36
	s_delay_alu instid0(VALU_DEP_1) | instskip(SKIP_1) | instid1(VALU_DEP_1)
	v_fma_f32 v26, v35, s6, -v26
	v_mul_f32_e32 v36, s6, v36
	v_dual_fmac_f32 v36, s7, v35 :: v_dual_add_f32 v35, v14, v26
	s_delay_alu instid0(VALU_DEP_1)
	v_add_f32_e32 v36, v15, v36
	flat_store_b64 v[33:34], v[35:36]
.LBB527_25:                             ;   in Loop: Header=BB527_8 Depth=1
	s_wait_alu 0xfffe
	s_and_not1_b32 vcc_lo, exec_lo, s13
	s_wait_alu 0xfffe
	s_cbranch_vccnz .LBB527_27
; %bb.26:                               ;   in Loop: Header=BB527_8 Depth=1
	v_add_co_u32 v33, vcc_lo, v24, v8
	s_wait_alu 0xfffd
	v_add_co_ci_u32_e64 v34, null, v25, v9, vcc_lo
	flat_store_b64 v[33:34], v[14:15]
.LBB527_27:                             ;   in Loop: Header=BB527_8 Depth=1
	s_wait_alu 0xfffe
	s_or_b32 exec_lo, exec_lo, s12
	s_and_saveexec_b32 s12, s1
	s_cbranch_execz .LBB527_32
; %bb.28:                               ;   in Loop: Header=BB527_8 Depth=1
	v_mul_f32_e32 v15, s18, v32
	v_mul_f32_e32 v14, s19, v32
	s_and_not1_b32 vcc_lo, exec_lo, s22
	s_mov_b32 s13, -1
	s_delay_alu instid0(VALU_DEP_2) | instskip(NEXT) | instid1(VALU_DEP_2)
	v_fmac_f32_e32 v15, s19, v31
	v_fma_f32 v14, v31, s18, -v14
	s_wait_alu 0xfffe
	s_cbranch_vccnz .LBB527_30
; %bb.29:                               ;   in Loop: Header=BB527_8 Depth=1
	v_add_co_u32 v31, vcc_lo, v24, v10
	s_wait_alu 0xfffd
	v_add_co_ci_u32_e64 v32, null, v25, v11, vcc_lo
	s_mov_b32 s13, 0
	flat_load_b64 v[33:34], v[31:32]
	s_wait_loadcnt_dscnt 0x0
	v_mul_f32_e32 v26, s7, v34
	v_mul_f32_e32 v34, s6, v34
	s_delay_alu instid0(VALU_DEP_2) | instskip(NEXT) | instid1(VALU_DEP_1)
	v_fma_f32 v26, v33, s6, -v26
	v_dual_fmac_f32 v34, s7, v33 :: v_dual_add_f32 v33, v14, v26
	s_delay_alu instid0(VALU_DEP_1)
	v_add_f32_e32 v34, v15, v34
	flat_store_b64 v[31:32], v[33:34]
.LBB527_30:                             ;   in Loop: Header=BB527_8 Depth=1
	s_wait_alu 0xfffe
	s_and_not1_b32 vcc_lo, exec_lo, s13
	s_wait_alu 0xfffe
	s_cbranch_vccnz .LBB527_32
; %bb.31:                               ;   in Loop: Header=BB527_8 Depth=1
	v_add_co_u32 v24, vcc_lo, v24, v10
	s_wait_alu 0xfffd
	v_add_co_ci_u32_e64 v25, null, v25, v11, vcc_lo
	flat_store_b64 v[24:25], v[14:15]
.LBB527_32:                             ;   in Loop: Header=BB527_8 Depth=1
	s_wait_alu 0xfffe
	s_or_b32 exec_lo, exec_lo, s12
	v_add_co_u32 v0, vcc_lo, v0, v6
	s_wait_alu 0xfffd
	v_add_co_ci_u32_e64 v23, null, v23, v7, vcc_lo
	s_and_saveexec_b32 s12, s27
	s_cbranch_execz .LBB527_37
; %bb.33:                               ;   in Loop: Header=BB527_8 Depth=1
	v_mul_f32_e32 v15, s18, v30
	v_mul_f32_e32 v14, s19, v30
	s_and_not1_b32 vcc_lo, exec_lo, s22
	s_mov_b32 s13, -1
	s_delay_alu instid0(VALU_DEP_2) | instskip(NEXT) | instid1(VALU_DEP_2)
	v_fmac_f32_e32 v15, s19, v29
	v_fma_f32 v14, v29, s18, -v14
	s_wait_alu 0xfffe
	s_cbranch_vccnz .LBB527_35
; %bb.34:                               ;   in Loop: Header=BB527_8 Depth=1
	v_add_co_u32 v24, vcc_lo, v0, v8
	s_wait_alu 0xfffd
	v_add_co_ci_u32_e64 v25, null, v23, v9, vcc_lo
	s_mov_b32 s13, 0
	flat_load_b64 v[29:30], v[24:25]
	s_wait_loadcnt_dscnt 0x0
	v_mul_f32_e32 v26, s7, v30
	v_mul_f32_e32 v30, s6, v30
	s_delay_alu instid0(VALU_DEP_2) | instskip(NEXT) | instid1(VALU_DEP_1)
	v_fma_f32 v26, v29, s6, -v26
	v_dual_fmac_f32 v30, s7, v29 :: v_dual_add_f32 v29, v14, v26
	s_delay_alu instid0(VALU_DEP_1)
	v_add_f32_e32 v30, v15, v30
	flat_store_b64 v[24:25], v[29:30]
.LBB527_35:                             ;   in Loop: Header=BB527_8 Depth=1
	s_wait_alu 0xfffe
	s_and_not1_b32 vcc_lo, exec_lo, s13
	s_wait_alu 0xfffe
	s_cbranch_vccnz .LBB527_37
; %bb.36:                               ;   in Loop: Header=BB527_8 Depth=1
	v_add_co_u32 v24, vcc_lo, v0, v8
	s_wait_alu 0xfffd
	v_add_co_ci_u32_e64 v25, null, v23, v9, vcc_lo
	flat_store_b64 v[24:25], v[14:15]
.LBB527_37:                             ;   in Loop: Header=BB527_8 Depth=1
	s_wait_alu 0xfffe
	s_or_b32 exec_lo, exec_lo, s12
	s_and_saveexec_b32 s12, s35
	s_cbranch_execz .LBB527_7
; %bb.38:                               ;   in Loop: Header=BB527_8 Depth=1
	v_mul_f32_e32 v15, s18, v27
	v_mul_f32_e32 v14, s19, v27
	s_and_not1_b32 vcc_lo, exec_lo, s22
	s_mov_b32 s13, -1
	s_delay_alu instid0(VALU_DEP_2) | instskip(NEXT) | instid1(VALU_DEP_2)
	v_fmac_f32_e32 v15, s19, v28
	v_fma_f32 v14, v28, s18, -v14
	s_wait_alu 0xfffe
	s_cbranch_vccnz .LBB527_40
; %bb.39:                               ;   in Loop: Header=BB527_8 Depth=1
	v_add_co_u32 v24, vcc_lo, v0, v10
	s_wait_alu 0xfffd
	v_add_co_ci_u32_e64 v25, null, v23, v11, vcc_lo
	s_mov_b32 s13, 0
	flat_load_b64 v[26:27], v[24:25]
	s_wait_loadcnt_dscnt 0x0
	v_mul_f32_e32 v28, s7, v27
	v_mul_f32_e32 v27, s6, v27
	s_delay_alu instid0(VALU_DEP_1) | instskip(NEXT) | instid1(VALU_DEP_3)
	v_fmac_f32_e32 v27, s7, v26
	v_fma_f32 v28, v26, s6, -v28
	s_delay_alu instid0(VALU_DEP_1)
	v_dual_add_f32 v27, v15, v27 :: v_dual_add_f32 v26, v14, v28
	flat_store_b64 v[24:25], v[26:27]
.LBB527_40:                             ;   in Loop: Header=BB527_8 Depth=1
	s_wait_alu 0xfffe
	s_and_not1_b32 vcc_lo, exec_lo, s13
	s_wait_alu 0xfffe
	s_cbranch_vccnz .LBB527_7
; %bb.41:                               ;   in Loop: Header=BB527_8 Depth=1
	v_add_co_u32 v24, vcc_lo, v0, v10
	s_wait_alu 0xfffd
	v_add_co_ci_u32_e64 v25, null, v23, v11, vcc_lo
	flat_store_b64 v[24:25], v[14:15]
	s_branch .LBB527_7
.LBB527_42:
	s_endpgm
	.section	.rodata,"a",@progbits
	.p2align	6, 0x0
	.amdhsa_kernel _ZL29rocblas_internal_gemmt_kernelIlLi16ELi32ELi8ELc84ELc67ELc85ELb0ELb1E19rocblas_complex_numIfES1_PKPKS1_PKPS1_EviT_T9_T10_S9_lSB_S9_lSA_T11_S9_li
		.amdhsa_group_segment_fixed_size 4096
		.amdhsa_private_segment_fixed_size 0
		.amdhsa_kernarg_size 108
		.amdhsa_user_sgpr_count 2
		.amdhsa_user_sgpr_dispatch_ptr 0
		.amdhsa_user_sgpr_queue_ptr 0
		.amdhsa_user_sgpr_kernarg_segment_ptr 1
		.amdhsa_user_sgpr_dispatch_id 0
		.amdhsa_user_sgpr_private_segment_size 0
		.amdhsa_wavefront_size32 1
		.amdhsa_uses_dynamic_stack 0
		.amdhsa_enable_private_segment 0
		.amdhsa_system_sgpr_workgroup_id_x 1
		.amdhsa_system_sgpr_workgroup_id_y 1
		.amdhsa_system_sgpr_workgroup_id_z 1
		.amdhsa_system_sgpr_workgroup_info 0
		.amdhsa_system_vgpr_workitem_id 1
		.amdhsa_next_free_vgpr 72
		.amdhsa_next_free_sgpr 39
		.amdhsa_reserve_vcc 1
		.amdhsa_float_round_mode_32 0
		.amdhsa_float_round_mode_16_64 0
		.amdhsa_float_denorm_mode_32 3
		.amdhsa_float_denorm_mode_16_64 3
		.amdhsa_fp16_overflow 0
		.amdhsa_workgroup_processor_mode 1
		.amdhsa_memory_ordered 1
		.amdhsa_forward_progress 1
		.amdhsa_inst_pref_size 26
		.amdhsa_round_robin_scheduling 0
		.amdhsa_exception_fp_ieee_invalid_op 0
		.amdhsa_exception_fp_denorm_src 0
		.amdhsa_exception_fp_ieee_div_zero 0
		.amdhsa_exception_fp_ieee_overflow 0
		.amdhsa_exception_fp_ieee_underflow 0
		.amdhsa_exception_fp_ieee_inexact 0
		.amdhsa_exception_int_div_zero 0
	.end_amdhsa_kernel
	.section	.text._ZL29rocblas_internal_gemmt_kernelIlLi16ELi32ELi8ELc84ELc67ELc85ELb0ELb1E19rocblas_complex_numIfES1_PKPKS1_PKPS1_EviT_T9_T10_S9_lSB_S9_lSA_T11_S9_li,"axG",@progbits,_ZL29rocblas_internal_gemmt_kernelIlLi16ELi32ELi8ELc84ELc67ELc85ELb0ELb1E19rocblas_complex_numIfES1_PKPKS1_PKPS1_EviT_T9_T10_S9_lSB_S9_lSA_T11_S9_li,comdat
.Lfunc_end527:
	.size	_ZL29rocblas_internal_gemmt_kernelIlLi16ELi32ELi8ELc84ELc67ELc85ELb0ELb1E19rocblas_complex_numIfES1_PKPKS1_PKPS1_EviT_T9_T10_S9_lSB_S9_lSA_T11_S9_li, .Lfunc_end527-_ZL29rocblas_internal_gemmt_kernelIlLi16ELi32ELi8ELc84ELc67ELc85ELb0ELb1E19rocblas_complex_numIfES1_PKPKS1_PKPS1_EviT_T9_T10_S9_lSB_S9_lSA_T11_S9_li
                                        ; -- End function
	.set _ZL29rocblas_internal_gemmt_kernelIlLi16ELi32ELi8ELc84ELc67ELc85ELb0ELb1E19rocblas_complex_numIfES1_PKPKS1_PKPS1_EviT_T9_T10_S9_lSB_S9_lSA_T11_S9_li.num_vgpr, 72
	.set _ZL29rocblas_internal_gemmt_kernelIlLi16ELi32ELi8ELc84ELc67ELc85ELb0ELb1E19rocblas_complex_numIfES1_PKPKS1_PKPS1_EviT_T9_T10_S9_lSB_S9_lSA_T11_S9_li.num_agpr, 0
	.set _ZL29rocblas_internal_gemmt_kernelIlLi16ELi32ELi8ELc84ELc67ELc85ELb0ELb1E19rocblas_complex_numIfES1_PKPKS1_PKPS1_EviT_T9_T10_S9_lSB_S9_lSA_T11_S9_li.numbered_sgpr, 39
	.set _ZL29rocblas_internal_gemmt_kernelIlLi16ELi32ELi8ELc84ELc67ELc85ELb0ELb1E19rocblas_complex_numIfES1_PKPKS1_PKPS1_EviT_T9_T10_S9_lSB_S9_lSA_T11_S9_li.num_named_barrier, 0
	.set _ZL29rocblas_internal_gemmt_kernelIlLi16ELi32ELi8ELc84ELc67ELc85ELb0ELb1E19rocblas_complex_numIfES1_PKPKS1_PKPS1_EviT_T9_T10_S9_lSB_S9_lSA_T11_S9_li.private_seg_size, 0
	.set _ZL29rocblas_internal_gemmt_kernelIlLi16ELi32ELi8ELc84ELc67ELc85ELb0ELb1E19rocblas_complex_numIfES1_PKPKS1_PKPS1_EviT_T9_T10_S9_lSB_S9_lSA_T11_S9_li.uses_vcc, 1
	.set _ZL29rocblas_internal_gemmt_kernelIlLi16ELi32ELi8ELc84ELc67ELc85ELb0ELb1E19rocblas_complex_numIfES1_PKPKS1_PKPS1_EviT_T9_T10_S9_lSB_S9_lSA_T11_S9_li.uses_flat_scratch, 0
	.set _ZL29rocblas_internal_gemmt_kernelIlLi16ELi32ELi8ELc84ELc67ELc85ELb0ELb1E19rocblas_complex_numIfES1_PKPKS1_PKPS1_EviT_T9_T10_S9_lSB_S9_lSA_T11_S9_li.has_dyn_sized_stack, 0
	.set _ZL29rocblas_internal_gemmt_kernelIlLi16ELi32ELi8ELc84ELc67ELc85ELb0ELb1E19rocblas_complex_numIfES1_PKPKS1_PKPS1_EviT_T9_T10_S9_lSB_S9_lSA_T11_S9_li.has_recursion, 0
	.set _ZL29rocblas_internal_gemmt_kernelIlLi16ELi32ELi8ELc84ELc67ELc85ELb0ELb1E19rocblas_complex_numIfES1_PKPKS1_PKPS1_EviT_T9_T10_S9_lSB_S9_lSA_T11_S9_li.has_indirect_call, 0
	.section	.AMDGPU.csdata,"",@progbits
; Kernel info:
; codeLenInByte = 3304
; TotalNumSgprs: 41
; NumVgprs: 72
; ScratchSize: 0
; MemoryBound: 0
; FloatMode: 240
; IeeeMode: 1
; LDSByteSize: 4096 bytes/workgroup (compile time only)
; SGPRBlocks: 0
; VGPRBlocks: 8
; NumSGPRsForWavesPerEU: 41
; NumVGPRsForWavesPerEU: 72
; Occupancy: 16
; WaveLimiterHint : 1
; COMPUTE_PGM_RSRC2:SCRATCH_EN: 0
; COMPUTE_PGM_RSRC2:USER_SGPR: 2
; COMPUTE_PGM_RSRC2:TRAP_HANDLER: 0
; COMPUTE_PGM_RSRC2:TGID_X_EN: 1
; COMPUTE_PGM_RSRC2:TGID_Y_EN: 1
; COMPUTE_PGM_RSRC2:TGID_Z_EN: 1
; COMPUTE_PGM_RSRC2:TIDIG_COMP_CNT: 1
	.section	.text._ZL29rocblas_internal_gemmt_kernelIlLi16ELi32ELi8ELc67ELc78ELc85ELb1ELb0E19rocblas_complex_numIfES1_PKPKS1_PKPS1_EviT_T9_T10_S9_lSB_S9_lSA_T11_S9_li,"axG",@progbits,_ZL29rocblas_internal_gemmt_kernelIlLi16ELi32ELi8ELc67ELc78ELc85ELb1ELb0E19rocblas_complex_numIfES1_PKPKS1_PKPS1_EviT_T9_T10_S9_lSB_S9_lSA_T11_S9_li,comdat
	.globl	_ZL29rocblas_internal_gemmt_kernelIlLi16ELi32ELi8ELc67ELc78ELc85ELb1ELb0E19rocblas_complex_numIfES1_PKPKS1_PKPS1_EviT_T9_T10_S9_lSB_S9_lSA_T11_S9_li ; -- Begin function _ZL29rocblas_internal_gemmt_kernelIlLi16ELi32ELi8ELc67ELc78ELc85ELb1ELb0E19rocblas_complex_numIfES1_PKPKS1_PKPS1_EviT_T9_T10_S9_lSB_S9_lSA_T11_S9_li
	.p2align	8
	.type	_ZL29rocblas_internal_gemmt_kernelIlLi16ELi32ELi8ELc67ELc78ELc85ELb1ELb0E19rocblas_complex_numIfES1_PKPKS1_PKPS1_EviT_T9_T10_S9_lSB_S9_lSA_T11_S9_li,@function
_ZL29rocblas_internal_gemmt_kernelIlLi16ELi32ELi8ELc67ELc78ELc85ELb1ELb0E19rocblas_complex_numIfES1_PKPKS1_PKPS1_EviT_T9_T10_S9_lSB_S9_lSA_T11_S9_li: ; @_ZL29rocblas_internal_gemmt_kernelIlLi16ELi32ELi8ELc67ELc78ELc85ELb1ELb0E19rocblas_complex_numIfES1_PKPKS1_PKPS1_EviT_T9_T10_S9_lSB_S9_lSA_T11_S9_li
; %bb.0:
	s_clause 0x1
	s_load_b64 s[24:25], s[0:1], 0x48
	s_load_b128 s[16:19], s[0:1], 0x8
	s_wait_kmcnt 0x0
	s_cmp_eq_f32 s24, 1.0
	s_cselect_b32 s2, -1, 0
	s_and_b32 s3, s25, 0x7fffffff
	s_delay_alu instid0(SALU_CYCLE_1) | instskip(SKIP_1) | instid1(SALU_CYCLE_1)
	s_cmp_eq_u32 s3, 0
	s_cselect_b32 s3, -1, 0
	s_and_b32 s4, s2, s3
	s_mov_b32 s2, 0
	s_and_not1_b32 vcc_lo, exec_lo, s4
	s_mov_b32 s4, -1
	s_cbranch_vccnz .LBB528_4
; %bb.1:
	s_cmp_lg_u64 s[16:17], 0
	s_cbranch_scc0 .LBB528_3
; %bb.2:
	s_cmp_neq_f32 s18, 0
	s_cselect_b32 s2, -1, 0
	s_cmp_neq_f32 s19, 0
	s_cselect_b32 s4, -1, 0
	s_delay_alu instid0(SALU_CYCLE_1)
	s_or_b32 s2, s2, s4
.LBB528_3:
	s_delay_alu instid0(SALU_CYCLE_1)
	s_mov_b32 s4, s2
.LBB528_4:
	s_delay_alu instid0(SALU_CYCLE_1)
	s_and_b32 vcc_lo, exec_lo, s4
	s_cbranch_vccz .LBB528_42
; %bb.5:
	s_load_b32 s30, s[0:1], 0x68
	s_lshr_b32 s26, ttmp7, 16
	s_wait_kmcnt 0x0
	s_cmp_ge_u32 s26, s30
	s_cbranch_scc1 .LBB528_42
; %bb.6:
	v_and_b32_e32 v8, 0x3ff, v0
	v_bfe_u32 v11, v0, 10, 10
	s_clause 0x1
	s_load_b32 s33, s[0:1], 0x0
	s_load_b128 s[4:7], s[0:1], 0x38
	v_and_b32_e32 v18, 7, v0
	s_lshl_b32 s27, ttmp7, 5
	s_clause 0x1
	s_load_b256 s[8:15], s[0:1], 0x18
	s_load_b128 s[20:23], s[0:1], 0x50
	v_lshl_add_u32 v0, v11, 4, v8
	s_and_b32 s34, s27, 0x1fffe0
	s_lshl_b32 s2, ttmp9, 5
	s_cmp_neq_f32 s18, 0
	v_add_nc_u32_e32 v13, s34, v11
	v_lshrrev_b32_e32 v6, 3, v0
	v_lshrrev_b32_e32 v19, 5, v0
	s_load_b64 s[28:29], s[0:1], 0x60
	s_cselect_b32 s0, -1, 0
	s_cmp_neq_f32 s19, 0
	v_add_nc_u32_e32 v9, s34, v6
	v_add_nc_u32_e32 v14, 16, v13
	v_lshl_add_u32 v23, v11, 6, 0x800
	s_cselect_b32 s1, -1, 0
	v_cmp_gt_i64_e64 s36, s[16:17], 0
	s_or_b32 s35, s0, s1
	s_wait_kmcnt 0x0
	v_mad_co_u64_u32 v[4:5], null, s4, v9, 0
	v_and_b32_e32 v1, 31, v0
	s_ashr_i32 s1, s2, 31
	s_cmp_neq_f32 s24, 0
	s_mul_i32 s1, s10, s1
	s_mov_b32 s27, 0
	v_lshlrev_b32_e32 v0, 3, v1
	s_delay_alu instid0(VALU_DEP_1) | instskip(SKIP_2) | instid1(VALU_DEP_2)
	v_lshl_or_b32 v20, v19, 8, v0
	v_dual_mov_b32 v0, v5 :: v_dual_lshlrev_b32 v5, 3, v18
	v_or_b32_e32 v2, s2, v1
	v_mad_co_u64_u32 v[0:1], null, s5, v9, v[0:1]
	s_delay_alu instid0(VALU_DEP_3) | instskip(SKIP_1) | instid1(VALU_DEP_4)
	v_lshl_or_b32 v1, v6, 6, v5
	v_mad_co_u64_u32 v[6:7], null, s22, v13, 0
	v_cmp_gt_i32_e64 s0, s33, v2
	v_cmp_le_i32_e64 s31, s33, v2
	v_mul_lo_u32 v10, s11, v2
	v_mad_co_u64_u32 v[2:3], null, s10, v2, 0
	v_dual_mov_b32 v5, v0 :: v_dual_mov_b32 v0, v7
	v_cmp_gt_i32_e32 vcc_lo, s33, v9
	v_add_nc_u32_e32 v21, 0x800, v1
	s_cselect_b32 s10, -1, 0
	s_xor_b32 s11, s3, -1
	s_delay_alu instid0(VALU_DEP_4)
	v_add3_u32 v3, v3, s1, v10
	v_add_nc_u32_e32 v10, s2, v8
	v_mad_co_u64_u32 v[0:1], null, s23, v13, v[0:1]
	v_lshlrev_b32_e32 v22, 3, v8
	v_mad_co_u64_u32 v[8:9], null, s22, v14, 0
	v_cmp_gt_i32_e64 s1, s33, v13
	v_cmp_le_i32_e64 s2, v10, v13
	v_dual_mov_b32 v7, v0 :: v_dual_add_nc_u32 v12, 16, v10
	v_ashrrev_i32_e32 v11, 31, v10
	v_lshlrev_b64_e32 v[4:5], 3, v[4:5]
	v_mov_b32_e32 v1, v9
	s_and_b32 s22, s1, s2
	v_cmp_le_i32_e64 s2, v12, v13
	v_ashrrev_i32_e32 v13, 31, v12
	v_lshlrev_b64_e32 v[6:7], 3, v[6:7]
	v_mad_co_u64_u32 v[0:1], null, s23, v14, v[1:2]
	v_lshlrev_b64_e32 v[2:3], 3, v[2:3]
	v_mov_b32_e32 v1, 0
	s_and_b32 s1, s1, s2
	s_wait_alu 0xfffe
	s_and_b32 s34, s35, s36
	s_or_b32 s35, s10, s11
	s_delay_alu instid0(VALU_DEP_3)
	v_mov_b32_e32 v9, v0
	v_cmp_gt_i32_e64 s3, s33, v14
	v_cmp_le_i32_e64 s4, v10, v14
	v_cmp_le_i32_e64 s5, v12, v14
	v_lshlrev_b64_e32 v[10:11], 3, v[10:11]
	v_lshlrev_b64_e32 v[8:9], 3, v[8:9]
	;; [unrolled: 1-line block ×3, first 2 shown]
	s_and_b32 s23, s3, s4
	s_and_b32 s33, s3, s5
	s_lshl_b64 s[2:3], s[6:7], 3
	s_lshl_b64 s[4:5], s[12:13], 3
	s_xor_b32 s12, vcc_lo, -1
	s_lshl_b64 s[6:7], s[28:29], 3
                                        ; implicit-def: $vgpr14_vgpr15
	s_branch .LBB528_8
.LBB528_7:                              ;   in Loop: Header=BB528_8 Depth=1
	s_wait_alu 0xfffe
	s_or_b32 exec_lo, exec_lo, s10
	s_add_co_i32 s26, s26, 0x10000
	s_delay_alu instid0(SALU_CYCLE_1)
	s_cmp_lt_u32 s26, s30
	s_cbranch_scc0 .LBB528_42
.LBB528_8:                              ; =>This Loop Header: Depth=1
                                        ;     Child Loop BB528_11 Depth 2
	s_lshl_b64 s[10:11], s[26:27], 3
	s_wait_alu 0xfffe
	s_and_not1_b32 vcc_lo, exec_lo, s34
	s_add_nc_u64 s[28:29], s[20:21], s[10:11]
	global_load_b64 v[16:17], v1, s[28:29]
	s_wait_alu 0xfffe
	s_cbranch_vccnz .LBB528_21
; %bb.9:                                ;   in Loop: Header=BB528_8 Depth=1
	s_add_nc_u64 s[28:29], s[8:9], s[10:11]
	s_add_nc_u64 s[10:11], s[14:15], s[10:11]
	s_clause 0x1
	global_load_b64 v[24:25], v1, s[28:29]
	global_load_b64 v[26:27], v1, s[10:11]
	v_dual_mov_b32 v28, 0 :: v_dual_mov_b32 v29, 0
	v_dual_mov_b32 v31, 0 :: v_dual_mov_b32 v30, 0
	;; [unrolled: 1-line block ×4, first 2 shown]
	s_mov_b64 s[10:11], 0
	s_wait_loadcnt 0x1
	v_add_co_u32 v0, vcc_lo, v24, s4
	s_wait_alu 0xfffd
	v_add_co_ci_u32_e64 v25, null, s5, v25, vcc_lo
	s_wait_loadcnt 0x0
	v_add_co_u32 v26, vcc_lo, v26, s2
	s_wait_alu 0xfffd
	v_add_co_ci_u32_e64 v27, null, s3, v27, vcc_lo
	v_add_co_u32 v24, vcc_lo, v0, v2
	s_wait_alu 0xfffd
	v_add_co_ci_u32_e64 v25, null, v25, v3, vcc_lo
	;; [unrolled: 3-line block ×3, first 2 shown]
	s_branch .LBB528_11
.LBB528_10:                             ;   in Loop: Header=BB528_11 Depth=2
	s_or_b32 exec_lo, exec_lo, s13
	s_wait_dscnt 0x0
	s_barrier_signal -1
	s_barrier_wait -1
	global_inv scope:SCOPE_SE
	ds_load_b128 v[36:39], v23
	ds_load_2addr_b64 v[40:43], v22 offset1:16
	ds_load_b128 v[44:47], v23 offset:1024
	ds_load_b128 v[48:51], v23 offset:16
	;; [unrolled: 1-line block ×4, first 2 shown]
	ds_load_2addr_b64 v[60:63], v22 offset0:32 offset1:48
	ds_load_b128 v[64:67], v23 offset:1040
	s_add_nc_u64 s[10:11], s[10:11], 8
	s_wait_alu 0xfffe
	v_cmp_gt_i64_e64 s13, s[16:17], s[10:11]
	s_and_b32 vcc_lo, exec_lo, s13
	s_wait_dscnt 0x6
	v_mul_f32_e32 v0, v37, v41
	v_dual_mul_f32 v68, v36, v41 :: v_dual_mul_f32 v69, v37, v43
	s_wait_dscnt 0x5
	v_dual_mul_f32 v70, v36, v43 :: v_dual_mul_f32 v71, v45, v41
	v_dual_mul_f32 v41, v44, v41 :: v_dual_mul_f32 v72, v45, v43
	v_mul_f32_e32 v43, v44, v43
	v_fma_f32 v0, v36, v40, -v0
	v_fma_f32 v36, v36, v42, -v69
	v_fmac_f32_e32 v70, v37, v42
	v_fmac_f32_e32 v41, v45, v40
	v_fmac_f32_e32 v68, v37, v40
	v_fma_f32 v37, v44, v40, -v71
	v_fma_f32 v40, v44, v42, -v72
	v_dual_add_f32 v0, v34, v0 :: v_dual_fmac_f32 v43, v45, v42
	s_delay_alu instid0(VALU_DEP_4) | instskip(NEXT) | instid1(VALU_DEP_4)
	v_add_f32_e32 v34, v35, v68
	v_dual_add_f32 v35, v32, v36 :: v_dual_add_f32 v36, v30, v37
	v_add_f32_e32 v37, v31, v41
	s_wait_dscnt 0x1
	v_dual_mul_f32 v41, v39, v61 :: v_dual_add_f32 v40, v29, v40
	ds_load_2addr_b64 v[29:32], v22 offset0:64 offset1:80
	v_dual_add_f32 v33, v33, v70 :: v_dual_mul_f32 v44, v39, v63
	v_fma_f32 v41, v38, v60, -v41
	v_add_f32_e32 v28, v28, v43
	s_delay_alu instid0(VALU_DEP_2) | instskip(NEXT) | instid1(VALU_DEP_1)
	v_dual_mul_f32 v43, v38, v63 :: v_dual_add_f32 v0, v0, v41
	v_dual_mul_f32 v42, v38, v61 :: v_dual_fmac_f32 v43, v39, v62
	v_fma_f32 v38, v38, v62, -v44
	v_mul_f32_e32 v41, v47, v61
	s_delay_alu instid0(VALU_DEP_3) | instskip(SKIP_1) | instid1(VALU_DEP_4)
	v_fmac_f32_e32 v42, v39, v60
	v_mul_f32_e32 v39, v47, v63
	v_add_f32_e32 v38, v35, v38
	s_delay_alu instid0(VALU_DEP_4) | instskip(NEXT) | instid1(VALU_DEP_4)
	v_fma_f32 v35, v46, v60, -v41
	v_dual_add_f32 v41, v33, v43 :: v_dual_add_f32 v42, v34, v42
	v_mul_f32_e32 v43, v46, v63
	v_mul_f32_e32 v34, v46, v61
	v_fma_f32 v33, v46, v62, -v39
	s_wait_dscnt 0x0
	v_mul_f32_e32 v39, v48, v30
	v_fmac_f32_e32 v43, v47, v62
	v_fmac_f32_e32 v34, v47, v60
	v_dual_add_f32 v44, v36, v35 :: v_dual_mul_f32 v35, v49, v30
	s_delay_alu instid0(VALU_DEP_3) | instskip(NEXT) | instid1(VALU_DEP_3)
	v_dual_mul_f32 v46, v49, v32 :: v_dual_add_f32 v43, v28, v43
	v_add_f32_e32 v37, v37, v34
	v_dual_fmac_f32 v39, v49, v29 :: v_dual_mul_f32 v28, v48, v32
	v_add_f32_e32 v40, v40, v33
	v_fma_f32 v45, v48, v29, -v35
	ds_load_2addr_b64 v[33:36], v22 offset0:96 offset1:112
	v_add_f32_e32 v39, v42, v39
	v_fmac_f32_e32 v28, v49, v31
	v_add_f32_e32 v0, v0, v45
	v_fma_f32 v45, v48, v31, -v46
	s_delay_alu instid0(VALU_DEP_1) | instskip(SKIP_2) | instid1(VALU_DEP_2)
	v_dual_add_f32 v41, v41, v28 :: v_dual_add_f32 v38, v38, v45
	v_mul_f32_e32 v45, v65, v32
	v_mul_f32_e32 v32, v64, v32
	v_fma_f32 v28, v64, v31, -v45
	v_mul_f32_e32 v42, v65, v30
	s_delay_alu instid0(VALU_DEP_3)
	v_fmac_f32_e32 v32, v65, v31
	s_wait_dscnt 0x0
	v_dual_mul_f32 v30, v64, v30 :: v_dual_mul_f32 v49, v67, v36
	v_add_f32_e32 v45, v40, v28
	v_fma_f32 v42, v64, v29, -v42
	v_dual_mul_f32 v40, v50, v34 :: v_dual_add_f32 v43, v43, v32
	s_delay_alu instid0(VALU_DEP_4) | instskip(SKIP_1) | instid1(VALU_DEP_3)
	v_fmac_f32_e32 v30, v65, v29
	v_mul_f32_e32 v32, v50, v36
	v_fmac_f32_e32 v40, v51, v33
	v_add_f32_e32 v42, v44, v42
	s_delay_alu instid0(VALU_DEP_4)
	v_add_f32_e32 v44, v37, v30
	ds_load_2addr_b64 v[28:31], v22 offset0:128 offset1:144
	v_mul_f32_e32 v37, v51, v34
	v_mul_f32_e32 v46, v51, v36
	v_fmac_f32_e32 v32, v51, v35
	v_mul_f32_e32 v36, v66, v36
	s_delay_alu instid0(VALU_DEP_4) | instskip(NEXT) | instid1(VALU_DEP_1)
	v_fma_f32 v37, v50, v33, -v37
	v_dual_add_f32 v0, v0, v37 :: v_dual_mul_f32 v37, v67, v34
	v_mul_f32_e32 v34, v66, v34
	s_delay_alu instid0(VALU_DEP_2)
	v_fma_f32 v48, v66, v33, -v37
	s_wait_dscnt 0x0
	v_mul_f32_e32 v51, v52, v29
	v_fma_f32 v46, v50, v35, -v46
	v_add_f32_e32 v50, v41, v32
	v_fma_f32 v32, v66, v35, -v49
	s_delay_alu instid0(VALU_DEP_4) | instskip(NEXT) | instid1(VALU_DEP_4)
	v_fmac_f32_e32 v51, v53, v28
	v_dual_add_f32 v47, v39, v40 :: v_dual_add_f32 v46, v38, v46
	ds_load_b128 v[37:40], v23 offset:1056
	v_fmac_f32_e32 v34, v67, v33
	v_mul_f32_e32 v33, v53, v29
	v_dual_add_f32 v45, v45, v32 :: v_dual_fmac_f32 v36, v67, v35
	v_dual_add_f32 v47, v47, v51 :: v_dual_add_f32 v48, v42, v48
	s_delay_alu instid0(VALU_DEP_4) | instskip(NEXT) | instid1(VALU_DEP_4)
	v_add_f32_e32 v49, v44, v34
	v_fma_f32 v41, v52, v28, -v33
	ds_load_2addr_b64 v[32:35], v22 offset0:160 offset1:176
	v_mul_f32_e32 v42, v53, v31
	v_add_f32_e32 v36, v43, v36
	v_add_f32_e32 v0, v0, v41
	s_delay_alu instid0(VALU_DEP_3)
	v_fma_f32 v60, v52, v30, -v42
	v_mul_f32_e32 v52, v52, v31
	ds_load_b128 v[41:44], v23 offset:1072
	s_wait_dscnt 0x2
	v_mul_f32_e32 v61, v38, v29
	v_mul_f32_e32 v29, v37, v29
	v_dual_fmac_f32 v52, v53, v30 :: v_dual_mul_f32 v53, v38, v31
	s_delay_alu instid0(VALU_DEP_3) | instskip(NEXT) | instid1(VALU_DEP_3)
	v_fma_f32 v51, v37, v28, -v61
	v_fmac_f32_e32 v29, v38, v28
	s_delay_alu instid0(VALU_DEP_3) | instskip(SKIP_2) | instid1(VALU_DEP_4)
	v_add_f32_e32 v50, v50, v52
	v_mul_f32_e32 v52, v37, v31
	v_fma_f32 v28, v37, v30, -v53
	v_add_f32_e32 v37, v49, v29
	s_wait_dscnt 0x1
	s_delay_alu instid0(VALU_DEP_3) | instskip(NEXT) | instid1(VALU_DEP_3)
	v_dual_mul_f32 v49, v55, v33 :: v_dual_fmac_f32 v52, v38, v30
	v_add_f32_e32 v45, v45, v28
	ds_load_2addr_b64 v[28:31], v22 offset0:192 offset1:208
	v_mul_f32_e32 v38, v54, v33
	v_fma_f32 v49, v54, v32, -v49
	v_add_f32_e32 v46, v46, v60
	s_delay_alu instid0(VALU_DEP_3) | instskip(NEXT) | instid1(VALU_DEP_1)
	v_fmac_f32_e32 v38, v55, v32
	v_dual_add_f32 v0, v0, v49 :: v_dual_add_f32 v47, v47, v38
	v_add_f32_e32 v48, v48, v51
	v_dual_mul_f32 v51, v55, v35 :: v_dual_mul_f32 v38, v40, v33
	v_mul_f32_e32 v33, v39, v33
	s_delay_alu instid0(VALU_DEP_2) | instskip(NEXT) | instid1(VALU_DEP_3)
	v_fma_f32 v49, v54, v34, -v51
	v_fma_f32 v38, v39, v32, -v38
	s_delay_alu instid0(VALU_DEP_3) | instskip(NEXT) | instid1(VALU_DEP_3)
	v_dual_fmac_f32 v33, v40, v32 :: v_dual_mul_f32 v32, v39, v35
	v_dual_add_f32 v46, v46, v49 :: v_dual_mul_f32 v49, v40, v35
	s_delay_alu instid0(VALU_DEP_2) | instskip(SKIP_1) | instid1(VALU_DEP_4)
	v_dual_add_f32 v52, v36, v52 :: v_dual_add_f32 v33, v37, v33
	v_mul_f32_e32 v36, v54, v35
	v_fmac_f32_e32 v32, v40, v34
	s_delay_alu instid0(VALU_DEP_4) | instskip(SKIP_1) | instid1(VALU_DEP_3)
	v_fma_f32 v35, v39, v34, -v49
	s_wait_dscnt 0x0
	v_dual_mul_f32 v49, v42, v29 :: v_dual_fmac_f32 v36, v55, v34
	s_delay_alu instid0(VALU_DEP_2) | instskip(SKIP_1) | instid1(VALU_DEP_2)
	v_dual_add_f32 v34, v45, v35 :: v_dual_mul_f32 v35, v56, v29
	v_mul_f32_e32 v45, v57, v31
	v_dual_fmac_f32 v35, v57, v28 :: v_dual_add_f32 v48, v48, v38
	s_delay_alu instid0(VALU_DEP_2) | instskip(NEXT) | instid1(VALU_DEP_2)
	v_fma_f32 v45, v56, v30, -v45
	v_dual_add_f32 v35, v47, v35 :: v_dual_add_f32 v50, v50, v36
	v_mul_f32_e32 v36, v57, v29
	v_mul_f32_e32 v29, v41, v29
	;; [unrolled: 1-line block ×3, first 2 shown]
	v_add_f32_e32 v45, v46, v45
	v_fma_f32 v46, v41, v28, -v49
	v_fma_f32 v40, v56, v28, -v36
	ds_load_2addr_b64 v[36:39], v22 offset0:224 offset1:240
	v_fmac_f32_e32 v29, v42, v28
	v_add_f32_e32 v32, v52, v32
	s_wait_loadcnt_dscnt 0x0
	s_barrier_signal -1
	s_barrier_wait -1
	v_dual_add_f32 v29, v33, v29 :: v_dual_add_f32 v0, v0, v40
	v_mul_f32_e32 v40, v56, v31
	v_mul_f32_e32 v31, v41, v31
	v_fma_f32 v41, v41, v30, -v47
	global_inv scope:SCOPE_SE
	v_fmac_f32_e32 v40, v57, v30
	v_fmac_f32_e32 v31, v42, v30
	s_delay_alu instid0(VALU_DEP_1) | instskip(SKIP_3) | instid1(VALU_DEP_3)
	v_dual_add_f32 v41, v34, v41 :: v_dual_add_f32 v42, v32, v31
	v_mul_f32_e32 v33, v59, v37
	v_mul_f32_e32 v34, v59, v39
	;; [unrolled: 1-line block ×3, first 2 shown]
	v_fma_f32 v33, v58, v36, -v33
	s_delay_alu instid0(VALU_DEP_3) | instskip(NEXT) | instid1(VALU_DEP_2)
	v_fma_f32 v32, v58, v38, -v34
	v_dual_fmac_f32 v31, v59, v38 :: v_dual_add_f32 v34, v0, v33
	v_mul_f32_e32 v0, v44, v37
	s_delay_alu instid0(VALU_DEP_3)
	v_dual_add_f32 v32, v45, v32 :: v_dual_mul_f32 v45, v44, v39
	v_add_f32_e32 v28, v50, v40
	v_mul_f32_e32 v30, v58, v37
	v_dual_add_f32 v40, v48, v46 :: v_dual_mul_f32 v37, v43, v37
	v_fma_f32 v0, v43, v36, -v0
	v_mul_f32_e32 v39, v43, v39
	s_delay_alu instid0(VALU_DEP_4) | instskip(NEXT) | instid1(VALU_DEP_4)
	v_dual_add_f32 v33, v28, v31 :: v_dual_fmac_f32 v30, v59, v36
	v_fmac_f32_e32 v37, v44, v36
	s_delay_alu instid0(VALU_DEP_3) | instskip(NEXT) | instid1(VALU_DEP_3)
	v_fmac_f32_e32 v39, v44, v38
	v_dual_add_f32 v35, v35, v30 :: v_dual_add_f32 v30, v40, v0
	v_fma_f32 v0, v43, v38, -v45
	s_delay_alu instid0(VALU_DEP_3) | instskip(NEXT) | instid1(VALU_DEP_2)
	v_dual_add_f32 v31, v29, v37 :: v_dual_add_f32 v28, v42, v39
	v_add_f32_e32 v29, v41, v0
	s_wait_alu 0xfffe
	s_cbranch_vccz .LBB528_22
.LBB528_11:                             ;   Parent Loop BB528_8 Depth=1
                                        ; =>  This Inner Loop Header: Depth=2
	s_mov_b32 s13, 0
	s_mov_b32 s29, s31
	s_and_saveexec_b32 s28, s0
	s_cbranch_execnz .LBB528_19
; %bb.12:                               ;   in Loop: Header=BB528_11 Depth=2
	s_or_b32 exec_lo, exec_lo, s28
	s_and_saveexec_b32 s28, s29
	s_delay_alu instid0(SALU_CYCLE_1)
	s_xor_b32 s28, exec_lo, s28
	s_cbranch_execnz .LBB528_20
.LBB528_13:                             ;   in Loop: Header=BB528_11 Depth=2
	s_or_b32 exec_lo, exec_lo, s28
	v_mov_b32_e32 v36, 0
	s_and_saveexec_b32 s28, s13
	s_cbranch_execz .LBB528_15
.LBB528_14:                             ;   in Loop: Header=BB528_11 Depth=2
	v_lshlrev_b64_e32 v[36:37], 3, v[14:15]
	s_delay_alu instid0(VALU_DEP_1) | instskip(SKIP_1) | instid1(VALU_DEP_2)
	v_add_co_u32 v36, vcc_lo, v24, v36
	s_wait_alu 0xfffd
	v_add_co_ci_u32_e64 v37, null, v25, v37, vcc_lo
	flat_load_b64 v[37:38], v[36:37]
	s_wait_loadcnt_dscnt 0x0
	v_xor_b32_e32 v36, 0x80000000, v38
	ds_store_b32 v20, v37
.LBB528_15:                             ;   in Loop: Header=BB528_11 Depth=2
	s_or_b32 exec_lo, exec_lo, s28
	s_wait_alu 0xfffe
	v_add_nc_u32_e32 v0, s10, v18
	ds_store_b32 v20, v36 offset:4
	v_cmp_le_u64_e32 vcc_lo, s[16:17], v[0:1]
	s_or_b32 s13, vcc_lo, s12
	s_delay_alu instid0(SALU_CYCLE_1) | instskip(NEXT) | instid1(SALU_CYCLE_1)
	s_and_saveexec_b32 s28, s13
	s_xor_b32 s13, exec_lo, s28
; %bb.16:                               ;   in Loop: Header=BB528_11 Depth=2
	v_mov_b32_e32 v0, v1
	ds_store_b64 v21, v[0:1]
; %bb.17:                               ;   in Loop: Header=BB528_11 Depth=2
	s_and_not1_saveexec_b32 s13, s13
	s_cbranch_execz .LBB528_10
; %bb.18:                               ;   in Loop: Header=BB528_11 Depth=2
	v_lshlrev_b64_e32 v[36:37], 3, v[0:1]
	s_delay_alu instid0(VALU_DEP_1) | instskip(SKIP_1) | instid1(VALU_DEP_2)
	v_add_co_u32 v36, vcc_lo, v26, v36
	s_wait_alu 0xfffd
	v_add_co_ci_u32_e64 v37, null, v27, v37, vcc_lo
	flat_load_b64 v[36:37], v[36:37]
	s_wait_loadcnt_dscnt 0x0
	ds_store_b64 v21, v[36:37]
	s_branch .LBB528_10
.LBB528_19:                             ;   in Loop: Header=BB528_11 Depth=2
	s_wait_alu 0xfffe
	v_add_nc_u32_e32 v0, s10, v19
	v_mov_b32_e32 v15, v1
	s_and_not1_b32 s29, s31, exec_lo
	s_mov_b32 s13, exec_lo
	s_delay_alu instid0(VALU_DEP_2) | instskip(SKIP_2) | instid1(SALU_CYCLE_1)
	v_cmp_le_u64_e32 vcc_lo, s[16:17], v[0:1]
	v_mov_b32_e32 v14, v0
	s_and_b32 s36, vcc_lo, exec_lo
	s_or_b32 s29, s29, s36
	s_or_b32 exec_lo, exec_lo, s28
	s_and_saveexec_b32 s28, s29
	s_delay_alu instid0(SALU_CYCLE_1)
	s_xor_b32 s28, exec_lo, s28
	s_cbranch_execz .LBB528_13
.LBB528_20:                             ;   in Loop: Header=BB528_11 Depth=2
	s_and_not1_b32 s13, s13, exec_lo
	ds_store_b32 v20, v1
	s_or_b32 exec_lo, exec_lo, s28
	v_mov_b32_e32 v36, 0
	s_and_saveexec_b32 s28, s13
	s_cbranch_execnz .LBB528_14
	s_branch .LBB528_15
.LBB528_21:                             ;   in Loop: Header=BB528_8 Depth=1
	v_dual_mov_b32 v34, v1 :: v_dual_mov_b32 v35, v1
	v_dual_mov_b32 v32, v1 :: v_dual_mov_b32 v33, v1
	v_dual_mov_b32 v30, v1 :: v_dual_mov_b32 v31, v1
	v_dual_mov_b32 v29, v1 :: v_dual_mov_b32 v28, v1
.LBB528_22:                             ;   in Loop: Header=BB528_8 Depth=1
	s_wait_loadcnt 0x0
	v_add_co_u32 v0, vcc_lo, v16, s6
	s_wait_alu 0xfffd
	v_add_co_ci_u32_e64 v24, null, s7, v17, vcc_lo
	s_delay_alu instid0(VALU_DEP_2) | instskip(SKIP_1) | instid1(VALU_DEP_2)
	v_add_co_u32 v25, vcc_lo, v0, v6
	s_wait_alu 0xfffd
	v_add_co_ci_u32_e64 v26, null, v24, v7, vcc_lo
	s_and_saveexec_b32 s10, s22
	s_cbranch_execz .LBB528_27
; %bb.23:                               ;   in Loop: Header=BB528_8 Depth=1
	v_mul_f32_e32 v17, s18, v35
	v_mul_f32_e32 v16, s19, v35
	s_and_b32 vcc_lo, exec_lo, s35
	s_mov_b32 s11, -1
	s_delay_alu instid0(VALU_DEP_2) | instskip(NEXT) | instid1(VALU_DEP_2)
	v_fmac_f32_e32 v17, s19, v34
	v_fma_f32 v16, v34, s18, -v16
	s_wait_alu 0xfffe
	s_cbranch_vccz .LBB528_25
; %bb.24:                               ;   in Loop: Header=BB528_8 Depth=1
	v_add_co_u32 v34, vcc_lo, v25, v10
	s_wait_alu 0xfffd
	v_add_co_ci_u32_e64 v35, null, v26, v11, vcc_lo
	s_mov_b32 s11, 0
	flat_load_b64 v[36:37], v[34:35]
	s_wait_loadcnt_dscnt 0x0
	v_mul_f32_e32 v27, s25, v37
	s_delay_alu instid0(VALU_DEP_1) | instskip(SKIP_1) | instid1(VALU_DEP_1)
	v_fma_f32 v27, v36, s24, -v27
	v_mul_f32_e32 v37, s24, v37
	v_dual_fmac_f32 v37, s25, v36 :: v_dual_add_f32 v36, v16, v27
	s_delay_alu instid0(VALU_DEP_1)
	v_add_f32_e32 v37, v17, v37
	flat_store_b64 v[34:35], v[36:37]
.LBB528_25:                             ;   in Loop: Header=BB528_8 Depth=1
	s_wait_alu 0xfffe
	s_and_not1_b32 vcc_lo, exec_lo, s11
	s_wait_alu 0xfffe
	s_cbranch_vccnz .LBB528_27
; %bb.26:                               ;   in Loop: Header=BB528_8 Depth=1
	v_add_co_u32 v34, vcc_lo, v25, v10
	s_wait_alu 0xfffd
	v_add_co_ci_u32_e64 v35, null, v26, v11, vcc_lo
	flat_store_b64 v[34:35], v[16:17]
.LBB528_27:                             ;   in Loop: Header=BB528_8 Depth=1
	s_wait_alu 0xfffe
	s_or_b32 exec_lo, exec_lo, s10
	s_and_saveexec_b32 s10, s1
	s_cbranch_execz .LBB528_32
; %bb.28:                               ;   in Loop: Header=BB528_8 Depth=1
	v_mul_f32_e32 v17, s18, v33
	v_mul_f32_e32 v16, s19, v33
	s_and_not1_b32 vcc_lo, exec_lo, s35
	s_mov_b32 s11, -1
	s_delay_alu instid0(VALU_DEP_2) | instskip(NEXT) | instid1(VALU_DEP_2)
	v_fmac_f32_e32 v17, s19, v32
	v_fma_f32 v16, v32, s18, -v16
	s_wait_alu 0xfffe
	s_cbranch_vccnz .LBB528_30
; %bb.29:                               ;   in Loop: Header=BB528_8 Depth=1
	v_add_co_u32 v32, vcc_lo, v25, v12
	s_wait_alu 0xfffd
	v_add_co_ci_u32_e64 v33, null, v26, v13, vcc_lo
	s_mov_b32 s11, 0
	flat_load_b64 v[34:35], v[32:33]
	s_wait_loadcnt_dscnt 0x0
	v_mul_f32_e32 v27, s25, v35
	v_mul_f32_e32 v35, s24, v35
	s_delay_alu instid0(VALU_DEP_2) | instskip(NEXT) | instid1(VALU_DEP_1)
	v_fma_f32 v27, v34, s24, -v27
	v_dual_fmac_f32 v35, s25, v34 :: v_dual_add_f32 v34, v16, v27
	s_delay_alu instid0(VALU_DEP_1)
	v_add_f32_e32 v35, v17, v35
	flat_store_b64 v[32:33], v[34:35]
.LBB528_30:                             ;   in Loop: Header=BB528_8 Depth=1
	s_wait_alu 0xfffe
	s_and_not1_b32 vcc_lo, exec_lo, s11
	s_wait_alu 0xfffe
	s_cbranch_vccnz .LBB528_32
; %bb.31:                               ;   in Loop: Header=BB528_8 Depth=1
	v_add_co_u32 v25, vcc_lo, v25, v12
	s_wait_alu 0xfffd
	v_add_co_ci_u32_e64 v26, null, v26, v13, vcc_lo
	flat_store_b64 v[25:26], v[16:17]
.LBB528_32:                             ;   in Loop: Header=BB528_8 Depth=1
	s_wait_alu 0xfffe
	s_or_b32 exec_lo, exec_lo, s10
	v_add_co_u32 v0, vcc_lo, v0, v8
	s_wait_alu 0xfffd
	v_add_co_ci_u32_e64 v24, null, v24, v9, vcc_lo
	s_and_saveexec_b32 s10, s23
	s_cbranch_execz .LBB528_37
; %bb.33:                               ;   in Loop: Header=BB528_8 Depth=1
	v_mul_f32_e32 v17, s18, v31
	v_mul_f32_e32 v16, s19, v31
	s_and_not1_b32 vcc_lo, exec_lo, s35
	s_mov_b32 s11, -1
	s_delay_alu instid0(VALU_DEP_2) | instskip(NEXT) | instid1(VALU_DEP_2)
	v_fmac_f32_e32 v17, s19, v30
	v_fma_f32 v16, v30, s18, -v16
	s_wait_alu 0xfffe
	s_cbranch_vccnz .LBB528_35
; %bb.34:                               ;   in Loop: Header=BB528_8 Depth=1
	v_add_co_u32 v25, vcc_lo, v0, v10
	s_wait_alu 0xfffd
	v_add_co_ci_u32_e64 v26, null, v24, v11, vcc_lo
	s_mov_b32 s11, 0
	flat_load_b64 v[30:31], v[25:26]
	s_wait_loadcnt_dscnt 0x0
	v_mul_f32_e32 v27, s25, v31
	v_mul_f32_e32 v31, s24, v31
	s_delay_alu instid0(VALU_DEP_2) | instskip(NEXT) | instid1(VALU_DEP_1)
	v_fma_f32 v27, v30, s24, -v27
	v_dual_fmac_f32 v31, s25, v30 :: v_dual_add_f32 v30, v16, v27
	s_delay_alu instid0(VALU_DEP_1)
	v_add_f32_e32 v31, v17, v31
	flat_store_b64 v[25:26], v[30:31]
.LBB528_35:                             ;   in Loop: Header=BB528_8 Depth=1
	s_wait_alu 0xfffe
	s_and_not1_b32 vcc_lo, exec_lo, s11
	s_wait_alu 0xfffe
	s_cbranch_vccnz .LBB528_37
; %bb.36:                               ;   in Loop: Header=BB528_8 Depth=1
	v_add_co_u32 v25, vcc_lo, v0, v10
	s_wait_alu 0xfffd
	v_add_co_ci_u32_e64 v26, null, v24, v11, vcc_lo
	flat_store_b64 v[25:26], v[16:17]
.LBB528_37:                             ;   in Loop: Header=BB528_8 Depth=1
	s_wait_alu 0xfffe
	s_or_b32 exec_lo, exec_lo, s10
	s_and_saveexec_b32 s10, s33
	s_cbranch_execz .LBB528_7
; %bb.38:                               ;   in Loop: Header=BB528_8 Depth=1
	v_mul_f32_e32 v17, s18, v28
	v_mul_f32_e32 v16, s19, v28
	s_and_not1_b32 vcc_lo, exec_lo, s35
	s_mov_b32 s11, -1
	s_delay_alu instid0(VALU_DEP_2) | instskip(NEXT) | instid1(VALU_DEP_2)
	v_fmac_f32_e32 v17, s19, v29
	v_fma_f32 v16, v29, s18, -v16
	s_wait_alu 0xfffe
	s_cbranch_vccnz .LBB528_40
; %bb.39:                               ;   in Loop: Header=BB528_8 Depth=1
	v_add_co_u32 v25, vcc_lo, v0, v12
	s_wait_alu 0xfffd
	v_add_co_ci_u32_e64 v26, null, v24, v13, vcc_lo
	s_mov_b32 s11, 0
	flat_load_b64 v[27:28], v[25:26]
	s_wait_loadcnt_dscnt 0x0
	v_mul_f32_e32 v29, s25, v28
	v_mul_f32_e32 v28, s24, v28
	s_delay_alu instid0(VALU_DEP_1) | instskip(NEXT) | instid1(VALU_DEP_3)
	v_fmac_f32_e32 v28, s25, v27
	v_fma_f32 v29, v27, s24, -v29
	s_delay_alu instid0(VALU_DEP_1)
	v_dual_add_f32 v28, v17, v28 :: v_dual_add_f32 v27, v16, v29
	flat_store_b64 v[25:26], v[27:28]
.LBB528_40:                             ;   in Loop: Header=BB528_8 Depth=1
	s_wait_alu 0xfffe
	s_and_not1_b32 vcc_lo, exec_lo, s11
	s_wait_alu 0xfffe
	s_cbranch_vccnz .LBB528_7
; %bb.41:                               ;   in Loop: Header=BB528_8 Depth=1
	v_add_co_u32 v25, vcc_lo, v0, v12
	s_wait_alu 0xfffd
	v_add_co_ci_u32_e64 v26, null, v24, v13, vcc_lo
	flat_store_b64 v[25:26], v[16:17]
	s_branch .LBB528_7
.LBB528_42:
	s_endpgm
	.section	.rodata,"a",@progbits
	.p2align	6, 0x0
	.amdhsa_kernel _ZL29rocblas_internal_gemmt_kernelIlLi16ELi32ELi8ELc67ELc78ELc85ELb1ELb0E19rocblas_complex_numIfES1_PKPKS1_PKPS1_EviT_T9_T10_S9_lSB_S9_lSA_T11_S9_li
		.amdhsa_group_segment_fixed_size 4096
		.amdhsa_private_segment_fixed_size 0
		.amdhsa_kernarg_size 108
		.amdhsa_user_sgpr_count 2
		.amdhsa_user_sgpr_dispatch_ptr 0
		.amdhsa_user_sgpr_queue_ptr 0
		.amdhsa_user_sgpr_kernarg_segment_ptr 1
		.amdhsa_user_sgpr_dispatch_id 0
		.amdhsa_user_sgpr_private_segment_size 0
		.amdhsa_wavefront_size32 1
		.amdhsa_uses_dynamic_stack 0
		.amdhsa_enable_private_segment 0
		.amdhsa_system_sgpr_workgroup_id_x 1
		.amdhsa_system_sgpr_workgroup_id_y 1
		.amdhsa_system_sgpr_workgroup_id_z 1
		.amdhsa_system_sgpr_workgroup_info 0
		.amdhsa_system_vgpr_workitem_id 1
		.amdhsa_next_free_vgpr 73
		.amdhsa_next_free_sgpr 37
		.amdhsa_reserve_vcc 1
		.amdhsa_float_round_mode_32 0
		.amdhsa_float_round_mode_16_64 0
		.amdhsa_float_denorm_mode_32 3
		.amdhsa_float_denorm_mode_16_64 3
		.amdhsa_fp16_overflow 0
		.amdhsa_workgroup_processor_mode 1
		.amdhsa_memory_ordered 1
		.amdhsa_forward_progress 1
		.amdhsa_inst_pref_size 26
		.amdhsa_round_robin_scheduling 0
		.amdhsa_exception_fp_ieee_invalid_op 0
		.amdhsa_exception_fp_denorm_src 0
		.amdhsa_exception_fp_ieee_div_zero 0
		.amdhsa_exception_fp_ieee_overflow 0
		.amdhsa_exception_fp_ieee_underflow 0
		.amdhsa_exception_fp_ieee_inexact 0
		.amdhsa_exception_int_div_zero 0
	.end_amdhsa_kernel
	.section	.text._ZL29rocblas_internal_gemmt_kernelIlLi16ELi32ELi8ELc67ELc78ELc85ELb1ELb0E19rocblas_complex_numIfES1_PKPKS1_PKPS1_EviT_T9_T10_S9_lSB_S9_lSA_T11_S9_li,"axG",@progbits,_ZL29rocblas_internal_gemmt_kernelIlLi16ELi32ELi8ELc67ELc78ELc85ELb1ELb0E19rocblas_complex_numIfES1_PKPKS1_PKPS1_EviT_T9_T10_S9_lSB_S9_lSA_T11_S9_li,comdat
.Lfunc_end528:
	.size	_ZL29rocblas_internal_gemmt_kernelIlLi16ELi32ELi8ELc67ELc78ELc85ELb1ELb0E19rocblas_complex_numIfES1_PKPKS1_PKPS1_EviT_T9_T10_S9_lSB_S9_lSA_T11_S9_li, .Lfunc_end528-_ZL29rocblas_internal_gemmt_kernelIlLi16ELi32ELi8ELc67ELc78ELc85ELb1ELb0E19rocblas_complex_numIfES1_PKPKS1_PKPS1_EviT_T9_T10_S9_lSB_S9_lSA_T11_S9_li
                                        ; -- End function
	.set _ZL29rocblas_internal_gemmt_kernelIlLi16ELi32ELi8ELc67ELc78ELc85ELb1ELb0E19rocblas_complex_numIfES1_PKPKS1_PKPS1_EviT_T9_T10_S9_lSB_S9_lSA_T11_S9_li.num_vgpr, 73
	.set _ZL29rocblas_internal_gemmt_kernelIlLi16ELi32ELi8ELc67ELc78ELc85ELb1ELb0E19rocblas_complex_numIfES1_PKPKS1_PKPS1_EviT_T9_T10_S9_lSB_S9_lSA_T11_S9_li.num_agpr, 0
	.set _ZL29rocblas_internal_gemmt_kernelIlLi16ELi32ELi8ELc67ELc78ELc85ELb1ELb0E19rocblas_complex_numIfES1_PKPKS1_PKPS1_EviT_T9_T10_S9_lSB_S9_lSA_T11_S9_li.numbered_sgpr, 37
	.set _ZL29rocblas_internal_gemmt_kernelIlLi16ELi32ELi8ELc67ELc78ELc85ELb1ELb0E19rocblas_complex_numIfES1_PKPKS1_PKPS1_EviT_T9_T10_S9_lSB_S9_lSA_T11_S9_li.num_named_barrier, 0
	.set _ZL29rocblas_internal_gemmt_kernelIlLi16ELi32ELi8ELc67ELc78ELc85ELb1ELb0E19rocblas_complex_numIfES1_PKPKS1_PKPS1_EviT_T9_T10_S9_lSB_S9_lSA_T11_S9_li.private_seg_size, 0
	.set _ZL29rocblas_internal_gemmt_kernelIlLi16ELi32ELi8ELc67ELc78ELc85ELb1ELb0E19rocblas_complex_numIfES1_PKPKS1_PKPS1_EviT_T9_T10_S9_lSB_S9_lSA_T11_S9_li.uses_vcc, 1
	.set _ZL29rocblas_internal_gemmt_kernelIlLi16ELi32ELi8ELc67ELc78ELc85ELb1ELb0E19rocblas_complex_numIfES1_PKPKS1_PKPS1_EviT_T9_T10_S9_lSB_S9_lSA_T11_S9_li.uses_flat_scratch, 0
	.set _ZL29rocblas_internal_gemmt_kernelIlLi16ELi32ELi8ELc67ELc78ELc85ELb1ELb0E19rocblas_complex_numIfES1_PKPKS1_PKPS1_EviT_T9_T10_S9_lSB_S9_lSA_T11_S9_li.has_dyn_sized_stack, 0
	.set _ZL29rocblas_internal_gemmt_kernelIlLi16ELi32ELi8ELc67ELc78ELc85ELb1ELb0E19rocblas_complex_numIfES1_PKPKS1_PKPS1_EviT_T9_T10_S9_lSB_S9_lSA_T11_S9_li.has_recursion, 0
	.set _ZL29rocblas_internal_gemmt_kernelIlLi16ELi32ELi8ELc67ELc78ELc85ELb1ELb0E19rocblas_complex_numIfES1_PKPKS1_PKPS1_EviT_T9_T10_S9_lSB_S9_lSA_T11_S9_li.has_indirect_call, 0
	.section	.AMDGPU.csdata,"",@progbits
; Kernel info:
; codeLenInByte = 3320
; TotalNumSgprs: 39
; NumVgprs: 73
; ScratchSize: 0
; MemoryBound: 0
; FloatMode: 240
; IeeeMode: 1
; LDSByteSize: 4096 bytes/workgroup (compile time only)
; SGPRBlocks: 0
; VGPRBlocks: 9
; NumSGPRsForWavesPerEU: 39
; NumVGPRsForWavesPerEU: 73
; Occupancy: 16
; WaveLimiterHint : 1
; COMPUTE_PGM_RSRC2:SCRATCH_EN: 0
; COMPUTE_PGM_RSRC2:USER_SGPR: 2
; COMPUTE_PGM_RSRC2:TRAP_HANDLER: 0
; COMPUTE_PGM_RSRC2:TGID_X_EN: 1
; COMPUTE_PGM_RSRC2:TGID_Y_EN: 1
; COMPUTE_PGM_RSRC2:TGID_Z_EN: 1
; COMPUTE_PGM_RSRC2:TIDIG_COMP_CNT: 1
	.section	.text._ZL29rocblas_internal_gemmt_kernelIlLi16ELi32ELi8ELc67ELc84ELc85ELb1ELb0E19rocblas_complex_numIfES1_PKPKS1_PKPS1_EviT_T9_T10_S9_lSB_S9_lSA_T11_S9_li,"axG",@progbits,_ZL29rocblas_internal_gemmt_kernelIlLi16ELi32ELi8ELc67ELc84ELc85ELb1ELb0E19rocblas_complex_numIfES1_PKPKS1_PKPS1_EviT_T9_T10_S9_lSB_S9_lSA_T11_S9_li,comdat
	.globl	_ZL29rocblas_internal_gemmt_kernelIlLi16ELi32ELi8ELc67ELc84ELc85ELb1ELb0E19rocblas_complex_numIfES1_PKPKS1_PKPS1_EviT_T9_T10_S9_lSB_S9_lSA_T11_S9_li ; -- Begin function _ZL29rocblas_internal_gemmt_kernelIlLi16ELi32ELi8ELc67ELc84ELc85ELb1ELb0E19rocblas_complex_numIfES1_PKPKS1_PKPS1_EviT_T9_T10_S9_lSB_S9_lSA_T11_S9_li
	.p2align	8
	.type	_ZL29rocblas_internal_gemmt_kernelIlLi16ELi32ELi8ELc67ELc84ELc85ELb1ELb0E19rocblas_complex_numIfES1_PKPKS1_PKPS1_EviT_T9_T10_S9_lSB_S9_lSA_T11_S9_li,@function
_ZL29rocblas_internal_gemmt_kernelIlLi16ELi32ELi8ELc67ELc84ELc85ELb1ELb0E19rocblas_complex_numIfES1_PKPKS1_PKPS1_EviT_T9_T10_S9_lSB_S9_lSA_T11_S9_li: ; @_ZL29rocblas_internal_gemmt_kernelIlLi16ELi32ELi8ELc67ELc84ELc85ELb1ELb0E19rocblas_complex_numIfES1_PKPKS1_PKPS1_EviT_T9_T10_S9_lSB_S9_lSA_T11_S9_li
; %bb.0:
	s_clause 0x1
	s_load_b64 s[6:7], s[0:1], 0x48
	s_load_b128 s[16:19], s[0:1], 0x8
	s_wait_kmcnt 0x0
	s_cmp_eq_f32 s6, 1.0
	s_cselect_b32 s2, -1, 0
	s_and_b32 s3, s7, 0x7fffffff
	s_delay_alu instid0(SALU_CYCLE_1) | instskip(SKIP_1) | instid1(SALU_CYCLE_1)
	s_cmp_eq_u32 s3, 0
	s_cselect_b32 s3, -1, 0
	s_and_b32 s4, s2, s3
	s_mov_b32 s2, 0
	s_and_not1_b32 vcc_lo, exec_lo, s4
	s_mov_b32 s4, -1
	s_cbranch_vccnz .LBB529_4
; %bb.1:
	s_cmp_lg_u64 s[16:17], 0
	s_cbranch_scc0 .LBB529_3
; %bb.2:
	s_cmp_neq_f32 s18, 0
	s_cselect_b32 s2, -1, 0
	s_cmp_neq_f32 s19, 0
	s_cselect_b32 s4, -1, 0
	s_delay_alu instid0(SALU_CYCLE_1)
	s_or_b32 s2, s2, s4
.LBB529_3:
	s_delay_alu instid0(SALU_CYCLE_1)
	s_mov_b32 s4, s2
.LBB529_4:
	s_delay_alu instid0(SALU_CYCLE_1)
	s_and_b32 vcc_lo, exec_lo, s4
	s_cbranch_vccz .LBB529_42
; %bb.5:
	s_load_b32 s33, s[0:1], 0x68
	s_lshr_b32 s28, ttmp7, 16
	s_wait_kmcnt 0x0
	s_cmp_ge_u32 s28, s33
	s_cbranch_scc1 .LBB529_42
; %bb.6:
	s_clause 0x3
	s_load_b32 s4, s[0:1], 0x0
	s_load_b256 s[8:15], s[0:1], 0x18
	s_load_b128 s[20:23], s[0:1], 0x38
	s_load_b128 s[24:27], s[0:1], 0x50
	v_and_b32_e32 v6, 0x3ff, v0
	v_bfe_u32 v11, v0, 10, 10
	v_and_b32_e32 v16, 7, v0
	s_lshl_b32 s2, ttmp7, 5
	s_lshl_b32 s5, ttmp9, 5
	s_and_b32 s2, s2, 0x1fffe0
	v_lshl_add_u32 v0, v11, 4, v6
	v_lshlrev_b32_e32 v4, 3, v16
	v_add_nc_u32_e32 v15, s2, v11
	s_cmp_neq_f32 s18, 0
	s_load_b64 s[30:31], s[0:1], 0x60
	v_lshrrev_b32_e32 v17, 5, v0
	v_and_b32_e32 v1, 31, v0
	v_lshrrev_b32_e32 v0, 3, v0
	s_cselect_b32 s34, -1, 0
	s_cmp_neq_f32 s19, 0
	v_add_nc_u32_e32 v22, 16, v15
	v_lshl_add_u32 v21, v11, 6, 0x800
	v_add_nc_u32_e32 v14, s2, v0
	v_lshl_or_b32 v0, v0, 6, v4
	s_wait_kmcnt 0x0
	v_mad_co_u64_u32 v[4:5], null, s26, v15, 0
	s_cselect_b32 s0, -1, 0
	s_ashr_i32 s1, s5, 31
	v_add_nc_u32_e32 v19, 0x800, v0
	s_or_b32 s36, s34, s0
	s_mul_i32 s1, s10, s1
	s_cmp_neq_f32 s6, 0
	v_mov_b32_e32 v0, v5
	v_or_b32_e32 v2, s5, v1
	v_lshlrev_b32_e32 v1, 3, v1
	v_cmp_gt_i64_e64 s37, s[16:17], 0
	s_mov_b32 s29, 0
	v_cmp_gt_i32_e64 s0, s4, v2
	v_cmp_le_i32_e64 s34, s4, v2
	v_mul_lo_u32 v7, s11, v2
	v_mad_co_u64_u32 v[2:3], null, s10, v2, 0
	v_lshl_or_b32 v18, v17, 8, v1
	v_dual_mov_b32 v1, 0 :: v_dual_lshlrev_b32 v20, 3, v6
	v_add_nc_u32_e32 v8, s5, v6
	s_cselect_b32 s10, -1, 0
	s_xor_b32 s11, s3, -1
	s_delay_alu instid0(VALU_DEP_4)
	v_add3_u32 v3, v3, s1, v7
	v_mad_co_u64_u32 v[6:7], null, s26, v22, 0
	v_mad_co_u64_u32 v[9:10], null, s27, v15, v[0:1]
	v_add_nc_u32_e32 v10, 16, v8
	v_cmp_gt_i32_e64 s1, s4, v15
	v_cmp_le_i32_e64 s2, v8, v15
	v_cmp_gt_i32_e64 s3, s4, v22
	v_mov_b32_e32 v0, v7
	v_ashrrev_i32_e32 v11, 31, v10
	v_mov_b32_e32 v5, v9
	v_ashrrev_i32_e32 v9, 31, v8
	s_and_b32 s26, s1, s2
	v_mad_co_u64_u32 v[12:13], null, s27, v22, v[0:1]
	v_cmp_le_i32_e64 s2, v10, v15
	v_cmp_le_i32_e64 s5, v10, v22
	v_lshlrev_b64_e32 v[2:3], 3, v[2:3]
	v_lshlrev_b64_e32 v[4:5], 3, v[4:5]
	;; [unrolled: 1-line block ×3, first 2 shown]
	s_and_b32 s1, s1, s2
	v_mov_b32_e32 v7, v12
	v_cmp_gt_i32_e32 vcc_lo, s4, v14
	v_cmp_le_i32_e64 s4, v8, v22
	v_lshlrev_b64_e32 v[8:9], 3, v[8:9]
	v_lshlrev_b32_e32 v22, 3, v14
	v_lshlrev_b64_e32 v[6:7], 3, v[6:7]
	s_and_b32 s35, s3, s5
	s_and_b32 s27, s3, s4
	;; [unrolled: 1-line block ×3, first 2 shown]
	s_lshl_b64 s[2:3], s[22:23], 3
	s_wait_alu 0xfffe
	s_or_b32 s22, s10, s11
	s_lshl_b64 s[4:5], s[12:13], 3
	s_xor_b32 s23, vcc_lo, -1
	s_lshl_b64 s[10:11], s[30:31], 3
                                        ; implicit-def: $vgpr12_vgpr13
	s_branch .LBB529_8
.LBB529_7:                              ;   in Loop: Header=BB529_8 Depth=1
	s_wait_alu 0xfffe
	s_or_b32 exec_lo, exec_lo, s12
	s_add_co_i32 s28, s28, 0x10000
	s_delay_alu instid0(SALU_CYCLE_1)
	s_cmp_lt_u32 s28, s33
	s_cbranch_scc0 .LBB529_42
.LBB529_8:                              ; =>This Loop Header: Depth=1
                                        ;     Child Loop BB529_11 Depth 2
	s_lshl_b64 s[12:13], s[28:29], 3
	s_and_not1_b32 vcc_lo, exec_lo, s36
	s_wait_alu 0xfffe
	s_add_nc_u64 s[30:31], s[24:25], s[12:13]
	global_load_b64 v[14:15], v1, s[30:31]
	s_cbranch_vccnz .LBB529_21
; %bb.9:                                ;   in Loop: Header=BB529_8 Depth=1
	s_add_nc_u64 s[30:31], s[8:9], s[12:13]
	s_add_nc_u64 s[12:13], s[14:15], s[12:13]
	s_clause 0x1
	global_load_b64 v[23:24], v1, s[30:31]
	global_load_b64 v[25:26], v1, s[12:13]
	v_dual_mov_b32 v27, 0 :: v_dual_mov_b32 v28, 0
	v_dual_mov_b32 v30, 0 :: v_dual_mov_b32 v29, 0
	;; [unrolled: 1-line block ×4, first 2 shown]
	s_mov_b64 s[12:13], 0
	s_wait_loadcnt 0x1
	v_add_co_u32 v0, vcc_lo, v23, s4
	s_wait_alu 0xfffd
	v_add_co_ci_u32_e64 v24, null, s5, v24, vcc_lo
	s_wait_loadcnt 0x0
	v_add_co_u32 v25, vcc_lo, v25, s2
	s_wait_alu 0xfffd
	v_add_co_ci_u32_e64 v26, null, s3, v26, vcc_lo
	v_add_co_u32 v23, vcc_lo, v0, v2
	s_wait_alu 0xfffd
	v_add_co_ci_u32_e64 v24, null, v24, v3, vcc_lo
	;; [unrolled: 3-line block ×3, first 2 shown]
	s_branch .LBB529_11
.LBB529_10:                             ;   in Loop: Header=BB529_11 Depth=2
	s_or_b32 exec_lo, exec_lo, s30
	s_wait_dscnt 0x0
	s_barrier_signal -1
	s_barrier_wait -1
	global_inv scope:SCOPE_SE
	ds_load_b128 v[35:38], v21
	ds_load_2addr_b64 v[39:42], v20 offset1:16
	ds_load_b128 v[43:46], v21 offset:1024
	ds_load_b128 v[47:50], v21 offset:16
	ds_load_b128 v[51:54], v21 offset:32
	ds_load_b128 v[55:58], v21 offset:48
	ds_load_2addr_b64 v[59:62], v20 offset0:32 offset1:48
	ds_load_b128 v[63:66], v21 offset:1040
	s_add_nc_u64 s[12:13], s[12:13], 8
	s_wait_alu 0xfffe
	v_cmp_gt_i64_e64 s30, s[16:17], s[12:13]
	s_and_b32 vcc_lo, exec_lo, s30
	s_wait_dscnt 0x6
	v_dual_mul_f32 v0, v36, v40 :: v_dual_mul_f32 v69, v35, v42
	v_dual_mul_f32 v67, v35, v40 :: v_dual_mul_f32 v68, v36, v42
	s_wait_dscnt 0x5
	v_mul_f32_e32 v71, v44, v42
	s_delay_alu instid0(VALU_DEP_3) | instskip(SKIP_3) | instid1(VALU_DEP_4)
	v_fma_f32 v0, v35, v39, -v0
	v_dual_mul_f32 v42, v43, v42 :: v_dual_fmac_f32 v69, v36, v41
	v_fmac_f32_e32 v67, v36, v39
	v_fma_f32 v35, v35, v41, -v68
	v_add_f32_e32 v0, v33, v0
	v_mul_f32_e32 v70, v44, v40
	s_delay_alu instid0(VALU_DEP_4) | instskip(NEXT) | instid1(VALU_DEP_4)
	v_dual_mul_f32 v40, v43, v40 :: v_dual_add_f32 v33, v34, v67
	v_add_f32_e32 v34, v31, v35
	v_fmac_f32_e32 v42, v44, v41
	s_delay_alu instid0(VALU_DEP_4) | instskip(NEXT) | instid1(VALU_DEP_4)
	v_fma_f32 v36, v43, v39, -v70
	v_fmac_f32_e32 v40, v44, v39
	v_fma_f32 v39, v43, v41, -v71
	s_wait_dscnt 0x1
	v_dual_mul_f32 v41, v37, v60 :: v_dual_add_f32 v32, v32, v69
	v_mul_f32_e32 v43, v38, v62
	v_add_f32_e32 v35, v29, v36
	v_dual_add_f32 v36, v30, v40 :: v_dual_add_f32 v39, v28, v39
	ds_load_2addr_b64 v[28:31], v20 offset0:64 offset1:80
	v_fmac_f32_e32 v41, v38, v59
	v_dual_mul_f32 v40, v38, v60 :: v_dual_add_f32 v27, v27, v42
	v_mul_f32_e32 v42, v37, v62
	s_delay_alu instid0(VALU_DEP_3) | instskip(NEXT) | instid1(VALU_DEP_3)
	v_add_f32_e32 v41, v33, v41
	v_fma_f32 v40, v37, v59, -v40
	v_fma_f32 v37, v37, v61, -v43
	v_mul_f32_e32 v33, v45, v60
	s_delay_alu instid0(VALU_DEP_3) | instskip(SKIP_1) | instid1(VALU_DEP_4)
	v_add_f32_e32 v0, v0, v40
	v_mul_f32_e32 v40, v46, v60
	v_add_f32_e32 v37, v34, v37
	v_fmac_f32_e32 v42, v38, v61
	v_mul_f32_e32 v38, v46, v62
	v_fmac_f32_e32 v33, v46, v59
	v_fma_f32 v34, v45, v59, -v40
	s_delay_alu instid0(VALU_DEP_4) | instskip(SKIP_4) | instid1(VALU_DEP_3)
	v_add_f32_e32 v40, v32, v42
	v_mul_f32_e32 v42, v45, v62
	v_fma_f32 v32, v45, v61, -v38
	s_wait_dscnt 0x0
	v_dual_add_f32 v43, v35, v34 :: v_dual_mul_f32 v34, v48, v29
	v_dual_mul_f32 v45, v48, v31 :: v_dual_fmac_f32 v42, v46, v61
	v_mul_f32_e32 v38, v47, v29
	v_add_f32_e32 v39, v39, v32
	s_delay_alu instid0(VALU_DEP_3) | instskip(SKIP_3) | instid1(VALU_DEP_3)
	v_add_f32_e32 v42, v27, v42
	v_mul_f32_e32 v27, v47, v31
	v_fma_f32 v44, v47, v28, -v34
	v_fmac_f32_e32 v38, v48, v28
	v_fmac_f32_e32 v27, v48, v30
	s_delay_alu instid0(VALU_DEP_3)
	v_add_f32_e32 v0, v0, v44
	v_fma_f32 v44, v47, v30, -v45
	v_add_f32_e32 v36, v36, v33
	ds_load_2addr_b64 v[32:35], v20 offset0:96 offset1:112
	v_dual_add_f32 v38, v41, v38 :: v_dual_mul_f32 v41, v64, v29
	v_mul_f32_e32 v29, v63, v29
	v_dual_add_f32 v37, v37, v44 :: v_dual_mul_f32 v44, v64, v31
	v_mul_f32_e32 v31, v63, v31
	s_delay_alu instid0(VALU_DEP_4) | instskip(NEXT) | instid1(VALU_DEP_4)
	v_fma_f32 v41, v63, v28, -v41
	v_fmac_f32_e32 v29, v64, v28
	v_add_f32_e32 v40, v40, v27
	v_fma_f32 v27, v63, v30, -v44
	v_fmac_f32_e32 v31, v64, v30
	v_add_f32_e32 v41, v43, v41
	s_delay_alu instid0(VALU_DEP_3) | instskip(SKIP_4) | instid1(VALU_DEP_2)
	v_dual_add_f32 v43, v36, v29 :: v_dual_add_f32 v44, v39, v27
	ds_load_2addr_b64 v[27:30], v20 offset0:128 offset1:144
	s_wait_dscnt 0x1
	v_mul_f32_e32 v36, v50, v33
	v_dual_mul_f32 v39, v49, v33 :: v_dual_mul_f32 v48, v66, v35
	v_fma_f32 v36, v49, v32, -v36
	v_mul_f32_e32 v45, v50, v35
	s_delay_alu instid0(VALU_DEP_3) | instskip(NEXT) | instid1(VALU_DEP_3)
	v_fmac_f32_e32 v39, v50, v32
	v_add_f32_e32 v0, v0, v36
	s_delay_alu instid0(VALU_DEP_3) | instskip(SKIP_3) | instid1(VALU_DEP_4)
	v_fma_f32 v45, v49, v34, -v45
	v_add_f32_e32 v42, v42, v31
	v_dual_mul_f32 v31, v49, v35 :: v_dual_mul_f32 v36, v66, v33
	v_dual_add_f32 v46, v38, v39 :: v_dual_mul_f32 v33, v65, v33
	v_add_f32_e32 v45, v37, v45
	s_delay_alu instid0(VALU_DEP_3) | instskip(NEXT) | instid1(VALU_DEP_4)
	v_fmac_f32_e32 v31, v50, v34
	v_fma_f32 v47, v65, v32, -v36
	ds_load_b128 v[36:39], v21 offset:1056
	v_fmac_f32_e32 v33, v66, v32
	s_wait_dscnt 0x1
	v_mul_f32_e32 v32, v52, v28
	v_add_f32_e32 v49, v40, v31
	v_dual_mul_f32 v35, v65, v35 :: v_dual_mul_f32 v50, v51, v28
	s_delay_alu instid0(VALU_DEP_3)
	v_fma_f32 v40, v51, v27, -v32
	v_add_f32_e32 v47, v41, v47
	v_mul_f32_e32 v41, v52, v30
	v_fma_f32 v31, v65, v34, -v48
	v_dual_fmac_f32 v35, v66, v34 :: v_dual_fmac_f32 v50, v52, v27
	v_add_f32_e32 v0, v0, v40
	s_delay_alu instid0(VALU_DEP_4) | instskip(NEXT) | instid1(VALU_DEP_4)
	v_fma_f32 v59, v51, v29, -v41
	v_add_f32_e32 v44, v44, v31
	v_add_f32_e32 v48, v43, v33
	ds_load_2addr_b64 v[31:34], v20 offset0:160 offset1:176
	v_add_f32_e32 v35, v42, v35
	ds_load_b128 v[40:43], v21 offset:1072
	s_wait_dscnt 0x2
	v_dual_mul_f32 v51, v51, v30 :: v_dual_mul_f32 v60, v37, v28
	v_mul_f32_e32 v28, v36, v28
	s_delay_alu instid0(VALU_DEP_2) | instskip(SKIP_1) | instid1(VALU_DEP_3)
	v_dual_add_f32 v46, v46, v50 :: v_dual_fmac_f32 v51, v52, v29
	v_mul_f32_e32 v52, v37, v30
	v_fmac_f32_e32 v28, v37, v27
	v_fma_f32 v50, v36, v27, -v60
	s_delay_alu instid0(VALU_DEP_4) | instskip(SKIP_2) | instid1(VALU_DEP_2)
	v_add_f32_e32 v49, v49, v51
	v_mul_f32_e32 v51, v36, v30
	v_add_f32_e32 v45, v45, v59
	v_fmac_f32_e32 v51, v37, v29
	s_wait_dscnt 0x1
	v_mul_f32_e32 v37, v53, v32
	s_delay_alu instid0(VALU_DEP_1) | instskip(SKIP_4) | instid1(VALU_DEP_4)
	v_fmac_f32_e32 v37, v54, v31
	v_fma_f32 v27, v36, v29, -v52
	v_add_f32_e32 v36, v48, v28
	v_dual_mul_f32 v48, v54, v32 :: v_dual_add_f32 v47, v47, v50
	v_mul_f32_e32 v50, v54, v34
	v_add_f32_e32 v44, v44, v27
	ds_load_2addr_b64 v[27:30], v20 offset0:192 offset1:208
	v_fma_f32 v48, v53, v31, -v48
	v_add_f32_e32 v51, v35, v51
	v_dual_mul_f32 v35, v53, v34 :: v_dual_add_f32 v46, v46, v37
	v_mul_f32_e32 v37, v39, v32
	s_delay_alu instid0(VALU_DEP_4) | instskip(SKIP_4) | instid1(VALU_DEP_4)
	v_add_f32_e32 v0, v0, v48
	v_fma_f32 v48, v53, v33, -v50
	v_mul_f32_e32 v32, v38, v32
	v_fmac_f32_e32 v35, v54, v33
	v_fma_f32 v37, v38, v31, -v37
	v_dual_add_f32 v45, v45, v48 :: v_dual_mul_f32 v48, v39, v34
	s_delay_alu instid0(VALU_DEP_4) | instskip(NEXT) | instid1(VALU_DEP_4)
	v_dual_fmac_f32 v32, v39, v31 :: v_dual_mul_f32 v31, v38, v34
	v_add_f32_e32 v49, v49, v35
	s_delay_alu instid0(VALU_DEP_3) | instskip(NEXT) | instid1(VALU_DEP_3)
	v_fma_f32 v34, v38, v33, -v48
	v_dual_add_f32 v32, v36, v32 :: v_dual_fmac_f32 v31, v39, v33
	s_wait_dscnt 0x0
	s_delay_alu instid0(VALU_DEP_2) | instskip(SKIP_1) | instid1(VALU_DEP_3)
	v_dual_mul_f32 v48, v41, v28 :: v_dual_add_f32 v33, v44, v34
	v_mul_f32_e32 v34, v55, v28
	v_dual_mul_f32 v44, v56, v30 :: v_dual_add_f32 v31, v51, v31
	s_delay_alu instid0(VALU_DEP_2) | instskip(SKIP_1) | instid1(VALU_DEP_3)
	v_fmac_f32_e32 v34, v56, v27
	v_mul_f32_e32 v35, v56, v28
	v_fma_f32 v44, v55, v29, -v44
	v_mul_f32_e32 v28, v40, v28
	s_delay_alu instid0(VALU_DEP_4) | instskip(NEXT) | instid1(VALU_DEP_4)
	v_add_f32_e32 v34, v46, v34
	v_fma_f32 v39, v55, v27, -v35
	v_add_f32_e32 v47, v47, v37
	ds_load_2addr_b64 v[35:38], v20 offset0:224 offset1:240
	v_add_f32_e32 v44, v45, v44
	v_mul_f32_e32 v46, v41, v30
	v_dual_add_f32 v0, v0, v39 :: v_dual_mul_f32 v39, v55, v30
	v_fma_f32 v45, v40, v27, -v48
	v_fmac_f32_e32 v28, v41, v27
	v_mul_f32_e32 v30, v40, v30
	v_fma_f32 v40, v40, v29, -v46
	v_fmac_f32_e32 v39, v56, v29
	s_wait_loadcnt_dscnt 0x0
	s_barrier_signal -1
	v_fmac_f32_e32 v30, v41, v29
	v_add_f32_e32 v40, v33, v40
	v_add_f32_e32 v27, v49, v39
	v_dual_add_f32 v39, v47, v45 :: v_dual_add_f32 v28, v32, v28
	s_barrier_wait -1
	global_inv scope:SCOPE_SE
	v_mul_f32_e32 v29, v57, v36
	v_mul_f32_e32 v33, v58, v38
	s_delay_alu instid0(VALU_DEP_2) | instskip(SKIP_1) | instid1(VALU_DEP_3)
	v_fmac_f32_e32 v29, v58, v35
	v_dual_mul_f32 v32, v58, v36 :: v_dual_add_f32 v41, v31, v30
	v_fma_f32 v31, v57, v37, -v33
	s_delay_alu instid0(VALU_DEP_2) | instskip(NEXT) | instid1(VALU_DEP_2)
	v_fma_f32 v32, v57, v35, -v32
	v_dual_mul_f32 v30, v57, v38 :: v_dual_add_f32 v31, v44, v31
	v_mul_f32_e32 v44, v43, v38
	s_delay_alu instid0(VALU_DEP_3) | instskip(NEXT) | instid1(VALU_DEP_3)
	v_dual_mul_f32 v38, v42, v38 :: v_dual_add_f32 v33, v0, v32
	v_fmac_f32_e32 v30, v58, v37
	s_delay_alu instid0(VALU_DEP_2) | instskip(SKIP_2) | instid1(VALU_DEP_4)
	v_fmac_f32_e32 v38, v43, v37
	v_mul_f32_e32 v0, v43, v36
	v_mul_f32_e32 v36, v42, v36
	v_add_f32_e32 v32, v27, v30
	s_delay_alu instid0(VALU_DEP_4) | instskip(NEXT) | instid1(VALU_DEP_4)
	v_add_f32_e32 v27, v41, v38
	v_fma_f32 v0, v42, v35, -v0
	v_add_f32_e32 v34, v34, v29
	v_fmac_f32_e32 v36, v43, v35
	s_delay_alu instid0(VALU_DEP_3) | instskip(SKIP_1) | instid1(VALU_DEP_3)
	v_add_f32_e32 v29, v39, v0
	v_fma_f32 v0, v42, v37, -v44
	v_add_f32_e32 v30, v28, v36
	s_delay_alu instid0(VALU_DEP_2)
	v_add_f32_e32 v28, v40, v0
	s_wait_alu 0xfffe
	s_cbranch_vccz .LBB529_22
.LBB529_11:                             ;   Parent Loop BB529_8 Depth=1
                                        ; =>  This Inner Loop Header: Depth=2
	s_mov_b32 s30, 0
	s_mov_b32 s37, s34
	s_and_saveexec_b32 s31, s0
	s_cbranch_execnz .LBB529_19
; %bb.12:                               ;   in Loop: Header=BB529_11 Depth=2
	s_or_b32 exec_lo, exec_lo, s31
	s_and_saveexec_b32 s31, s37
	s_delay_alu instid0(SALU_CYCLE_1)
	s_xor_b32 s31, exec_lo, s31
	s_cbranch_execnz .LBB529_20
.LBB529_13:                             ;   in Loop: Header=BB529_11 Depth=2
	s_or_b32 exec_lo, exec_lo, s31
	v_mov_b32_e32 v35, 0
	s_and_saveexec_b32 s31, s30
	s_cbranch_execz .LBB529_15
.LBB529_14:                             ;   in Loop: Header=BB529_11 Depth=2
	v_lshlrev_b64_e32 v[35:36], 3, v[12:13]
	s_delay_alu instid0(VALU_DEP_1) | instskip(SKIP_1) | instid1(VALU_DEP_2)
	v_add_co_u32 v35, vcc_lo, v23, v35
	s_wait_alu 0xfffd
	v_add_co_ci_u32_e64 v36, null, v24, v36, vcc_lo
	flat_load_b64 v[36:37], v[35:36]
	s_wait_loadcnt_dscnt 0x0
	v_xor_b32_e32 v35, 0x80000000, v37
	ds_store_b32 v18, v36
.LBB529_15:                             ;   in Loop: Header=BB529_11 Depth=2
	s_or_b32 exec_lo, exec_lo, s31
	s_wait_alu 0xfffe
	v_add_nc_u32_e32 v0, s12, v16
	ds_store_b32 v18, v35 offset:4
	v_cmp_le_u64_e32 vcc_lo, s[16:17], v[0:1]
	s_or_b32 s30, vcc_lo, s23
	s_delay_alu instid0(SALU_CYCLE_1) | instskip(NEXT) | instid1(SALU_CYCLE_1)
	s_and_saveexec_b32 s31, s30
	s_xor_b32 s30, exec_lo, s31
; %bb.16:                               ;   in Loop: Header=BB529_11 Depth=2
	v_mov_b32_e32 v0, v1
	ds_store_b64 v19, v[0:1]
; %bb.17:                               ;   in Loop: Header=BB529_11 Depth=2
	s_and_not1_saveexec_b32 s30, s30
	s_cbranch_execz .LBB529_10
; %bb.18:                               ;   in Loop: Header=BB529_11 Depth=2
	v_mad_co_u64_u32 v[35:36], null, s20, v0, 0
	s_delay_alu instid0(VALU_DEP_1) | instskip(NEXT) | instid1(VALU_DEP_1)
	v_mad_co_u64_u32 v[36:37], null, s21, v0, v[36:37]
	v_lshlrev_b64_e32 v[35:36], 3, v[35:36]
	s_delay_alu instid0(VALU_DEP_1) | instskip(SKIP_1) | instid1(VALU_DEP_2)
	v_add_co_u32 v35, vcc_lo, v25, v35
	s_wait_alu 0xfffd
	v_add_co_ci_u32_e64 v36, null, v26, v36, vcc_lo
	flat_load_b64 v[35:36], v[35:36]
	s_wait_loadcnt_dscnt 0x0
	ds_store_b64 v19, v[35:36]
	s_branch .LBB529_10
.LBB529_19:                             ;   in Loop: Header=BB529_11 Depth=2
	s_wait_alu 0xfffe
	v_add_nc_u32_e32 v0, s12, v17
	v_mov_b32_e32 v13, v1
	s_and_not1_b32 s37, s34, exec_lo
	s_mov_b32 s30, exec_lo
	s_delay_alu instid0(VALU_DEP_2) | instskip(SKIP_2) | instid1(SALU_CYCLE_1)
	v_cmp_le_u64_e32 vcc_lo, s[16:17], v[0:1]
	v_mov_b32_e32 v12, v0
	s_and_b32 s38, vcc_lo, exec_lo
	s_or_b32 s37, s37, s38
	s_or_b32 exec_lo, exec_lo, s31
	s_and_saveexec_b32 s31, s37
	s_delay_alu instid0(SALU_CYCLE_1)
	s_xor_b32 s31, exec_lo, s31
	s_cbranch_execz .LBB529_13
.LBB529_20:                             ;   in Loop: Header=BB529_11 Depth=2
	s_and_not1_b32 s30, s30, exec_lo
	ds_store_b32 v18, v1
	s_or_b32 exec_lo, exec_lo, s31
	v_mov_b32_e32 v35, 0
	s_and_saveexec_b32 s31, s30
	s_cbranch_execnz .LBB529_14
	s_branch .LBB529_15
.LBB529_21:                             ;   in Loop: Header=BB529_8 Depth=1
	v_dual_mov_b32 v33, v1 :: v_dual_mov_b32 v34, v1
	v_dual_mov_b32 v31, v1 :: v_dual_mov_b32 v32, v1
	v_dual_mov_b32 v29, v1 :: v_dual_mov_b32 v30, v1
	v_dual_mov_b32 v28, v1 :: v_dual_mov_b32 v27, v1
.LBB529_22:                             ;   in Loop: Header=BB529_8 Depth=1
	s_wait_loadcnt 0x0
	s_wait_alu 0xfffe
	v_add_co_u32 v0, vcc_lo, v14, s10
	s_wait_alu 0xfffd
	v_add_co_ci_u32_e64 v23, null, s11, v15, vcc_lo
	s_delay_alu instid0(VALU_DEP_2) | instskip(SKIP_1) | instid1(VALU_DEP_2)
	v_add_co_u32 v24, vcc_lo, v0, v4
	s_wait_alu 0xfffd
	v_add_co_ci_u32_e64 v25, null, v23, v5, vcc_lo
	s_and_saveexec_b32 s12, s26
	s_cbranch_execz .LBB529_27
; %bb.23:                               ;   in Loop: Header=BB529_8 Depth=1
	v_mul_f32_e32 v15, s18, v34
	v_mul_f32_e32 v14, s19, v34
	s_and_b32 vcc_lo, exec_lo, s22
	s_mov_b32 s13, -1
	s_delay_alu instid0(VALU_DEP_2) | instskip(NEXT) | instid1(VALU_DEP_2)
	v_fmac_f32_e32 v15, s19, v33
	v_fma_f32 v14, v33, s18, -v14
	s_wait_alu 0xfffe
	s_cbranch_vccz .LBB529_25
; %bb.24:                               ;   in Loop: Header=BB529_8 Depth=1
	v_add_co_u32 v33, vcc_lo, v24, v8
	s_wait_alu 0xfffd
	v_add_co_ci_u32_e64 v34, null, v25, v9, vcc_lo
	s_mov_b32 s13, 0
	flat_load_b64 v[35:36], v[33:34]
	s_wait_loadcnt_dscnt 0x0
	v_mul_f32_e32 v26, s7, v36
	s_delay_alu instid0(VALU_DEP_1) | instskip(SKIP_1) | instid1(VALU_DEP_1)
	v_fma_f32 v26, v35, s6, -v26
	v_mul_f32_e32 v36, s6, v36
	v_dual_fmac_f32 v36, s7, v35 :: v_dual_add_f32 v35, v14, v26
	s_delay_alu instid0(VALU_DEP_1)
	v_add_f32_e32 v36, v15, v36
	flat_store_b64 v[33:34], v[35:36]
.LBB529_25:                             ;   in Loop: Header=BB529_8 Depth=1
	s_wait_alu 0xfffe
	s_and_not1_b32 vcc_lo, exec_lo, s13
	s_wait_alu 0xfffe
	s_cbranch_vccnz .LBB529_27
; %bb.26:                               ;   in Loop: Header=BB529_8 Depth=1
	v_add_co_u32 v33, vcc_lo, v24, v8
	s_wait_alu 0xfffd
	v_add_co_ci_u32_e64 v34, null, v25, v9, vcc_lo
	flat_store_b64 v[33:34], v[14:15]
.LBB529_27:                             ;   in Loop: Header=BB529_8 Depth=1
	s_wait_alu 0xfffe
	s_or_b32 exec_lo, exec_lo, s12
	s_and_saveexec_b32 s12, s1
	s_cbranch_execz .LBB529_32
; %bb.28:                               ;   in Loop: Header=BB529_8 Depth=1
	v_mul_f32_e32 v15, s18, v32
	v_mul_f32_e32 v14, s19, v32
	s_and_not1_b32 vcc_lo, exec_lo, s22
	s_mov_b32 s13, -1
	s_delay_alu instid0(VALU_DEP_2) | instskip(NEXT) | instid1(VALU_DEP_2)
	v_fmac_f32_e32 v15, s19, v31
	v_fma_f32 v14, v31, s18, -v14
	s_wait_alu 0xfffe
	s_cbranch_vccnz .LBB529_30
; %bb.29:                               ;   in Loop: Header=BB529_8 Depth=1
	v_add_co_u32 v31, vcc_lo, v24, v10
	s_wait_alu 0xfffd
	v_add_co_ci_u32_e64 v32, null, v25, v11, vcc_lo
	s_mov_b32 s13, 0
	flat_load_b64 v[33:34], v[31:32]
	s_wait_loadcnt_dscnt 0x0
	v_mul_f32_e32 v26, s7, v34
	v_mul_f32_e32 v34, s6, v34
	s_delay_alu instid0(VALU_DEP_2) | instskip(NEXT) | instid1(VALU_DEP_1)
	v_fma_f32 v26, v33, s6, -v26
	v_dual_fmac_f32 v34, s7, v33 :: v_dual_add_f32 v33, v14, v26
	s_delay_alu instid0(VALU_DEP_1)
	v_add_f32_e32 v34, v15, v34
	flat_store_b64 v[31:32], v[33:34]
.LBB529_30:                             ;   in Loop: Header=BB529_8 Depth=1
	s_wait_alu 0xfffe
	s_and_not1_b32 vcc_lo, exec_lo, s13
	s_wait_alu 0xfffe
	s_cbranch_vccnz .LBB529_32
; %bb.31:                               ;   in Loop: Header=BB529_8 Depth=1
	v_add_co_u32 v24, vcc_lo, v24, v10
	s_wait_alu 0xfffd
	v_add_co_ci_u32_e64 v25, null, v25, v11, vcc_lo
	flat_store_b64 v[24:25], v[14:15]
.LBB529_32:                             ;   in Loop: Header=BB529_8 Depth=1
	s_wait_alu 0xfffe
	s_or_b32 exec_lo, exec_lo, s12
	v_add_co_u32 v0, vcc_lo, v0, v6
	s_wait_alu 0xfffd
	v_add_co_ci_u32_e64 v23, null, v23, v7, vcc_lo
	s_and_saveexec_b32 s12, s27
	s_cbranch_execz .LBB529_37
; %bb.33:                               ;   in Loop: Header=BB529_8 Depth=1
	v_mul_f32_e32 v15, s18, v30
	v_mul_f32_e32 v14, s19, v30
	s_and_not1_b32 vcc_lo, exec_lo, s22
	s_mov_b32 s13, -1
	s_delay_alu instid0(VALU_DEP_2) | instskip(NEXT) | instid1(VALU_DEP_2)
	v_fmac_f32_e32 v15, s19, v29
	v_fma_f32 v14, v29, s18, -v14
	s_wait_alu 0xfffe
	s_cbranch_vccnz .LBB529_35
; %bb.34:                               ;   in Loop: Header=BB529_8 Depth=1
	v_add_co_u32 v24, vcc_lo, v0, v8
	s_wait_alu 0xfffd
	v_add_co_ci_u32_e64 v25, null, v23, v9, vcc_lo
	s_mov_b32 s13, 0
	flat_load_b64 v[29:30], v[24:25]
	s_wait_loadcnt_dscnt 0x0
	v_mul_f32_e32 v26, s7, v30
	v_mul_f32_e32 v30, s6, v30
	s_delay_alu instid0(VALU_DEP_2) | instskip(NEXT) | instid1(VALU_DEP_1)
	v_fma_f32 v26, v29, s6, -v26
	v_dual_fmac_f32 v30, s7, v29 :: v_dual_add_f32 v29, v14, v26
	s_delay_alu instid0(VALU_DEP_1)
	v_add_f32_e32 v30, v15, v30
	flat_store_b64 v[24:25], v[29:30]
.LBB529_35:                             ;   in Loop: Header=BB529_8 Depth=1
	s_wait_alu 0xfffe
	s_and_not1_b32 vcc_lo, exec_lo, s13
	s_wait_alu 0xfffe
	s_cbranch_vccnz .LBB529_37
; %bb.36:                               ;   in Loop: Header=BB529_8 Depth=1
	v_add_co_u32 v24, vcc_lo, v0, v8
	s_wait_alu 0xfffd
	v_add_co_ci_u32_e64 v25, null, v23, v9, vcc_lo
	flat_store_b64 v[24:25], v[14:15]
.LBB529_37:                             ;   in Loop: Header=BB529_8 Depth=1
	s_wait_alu 0xfffe
	s_or_b32 exec_lo, exec_lo, s12
	s_and_saveexec_b32 s12, s35
	s_cbranch_execz .LBB529_7
; %bb.38:                               ;   in Loop: Header=BB529_8 Depth=1
	v_mul_f32_e32 v15, s18, v27
	v_mul_f32_e32 v14, s19, v27
	s_and_not1_b32 vcc_lo, exec_lo, s22
	s_mov_b32 s13, -1
	s_delay_alu instid0(VALU_DEP_2) | instskip(NEXT) | instid1(VALU_DEP_2)
	v_fmac_f32_e32 v15, s19, v28
	v_fma_f32 v14, v28, s18, -v14
	s_wait_alu 0xfffe
	s_cbranch_vccnz .LBB529_40
; %bb.39:                               ;   in Loop: Header=BB529_8 Depth=1
	v_add_co_u32 v24, vcc_lo, v0, v10
	s_wait_alu 0xfffd
	v_add_co_ci_u32_e64 v25, null, v23, v11, vcc_lo
	s_mov_b32 s13, 0
	flat_load_b64 v[26:27], v[24:25]
	s_wait_loadcnt_dscnt 0x0
	v_mul_f32_e32 v28, s7, v27
	v_mul_f32_e32 v27, s6, v27
	s_delay_alu instid0(VALU_DEP_1) | instskip(NEXT) | instid1(VALU_DEP_3)
	v_fmac_f32_e32 v27, s7, v26
	v_fma_f32 v28, v26, s6, -v28
	s_delay_alu instid0(VALU_DEP_1)
	v_dual_add_f32 v27, v15, v27 :: v_dual_add_f32 v26, v14, v28
	flat_store_b64 v[24:25], v[26:27]
.LBB529_40:                             ;   in Loop: Header=BB529_8 Depth=1
	s_wait_alu 0xfffe
	s_and_not1_b32 vcc_lo, exec_lo, s13
	s_wait_alu 0xfffe
	s_cbranch_vccnz .LBB529_7
; %bb.41:                               ;   in Loop: Header=BB529_8 Depth=1
	v_add_co_u32 v24, vcc_lo, v0, v10
	s_wait_alu 0xfffd
	v_add_co_ci_u32_e64 v25, null, v23, v11, vcc_lo
	flat_store_b64 v[24:25], v[14:15]
	s_branch .LBB529_7
.LBB529_42:
	s_endpgm
	.section	.rodata,"a",@progbits
	.p2align	6, 0x0
	.amdhsa_kernel _ZL29rocblas_internal_gemmt_kernelIlLi16ELi32ELi8ELc67ELc84ELc85ELb1ELb0E19rocblas_complex_numIfES1_PKPKS1_PKPS1_EviT_T9_T10_S9_lSB_S9_lSA_T11_S9_li
		.amdhsa_group_segment_fixed_size 4096
		.amdhsa_private_segment_fixed_size 0
		.amdhsa_kernarg_size 108
		.amdhsa_user_sgpr_count 2
		.amdhsa_user_sgpr_dispatch_ptr 0
		.amdhsa_user_sgpr_queue_ptr 0
		.amdhsa_user_sgpr_kernarg_segment_ptr 1
		.amdhsa_user_sgpr_dispatch_id 0
		.amdhsa_user_sgpr_private_segment_size 0
		.amdhsa_wavefront_size32 1
		.amdhsa_uses_dynamic_stack 0
		.amdhsa_enable_private_segment 0
		.amdhsa_system_sgpr_workgroup_id_x 1
		.amdhsa_system_sgpr_workgroup_id_y 1
		.amdhsa_system_sgpr_workgroup_id_z 1
		.amdhsa_system_sgpr_workgroup_info 0
		.amdhsa_system_vgpr_workitem_id 1
		.amdhsa_next_free_vgpr 72
		.amdhsa_next_free_sgpr 39
		.amdhsa_reserve_vcc 1
		.amdhsa_float_round_mode_32 0
		.amdhsa_float_round_mode_16_64 0
		.amdhsa_float_denorm_mode_32 3
		.amdhsa_float_denorm_mode_16_64 3
		.amdhsa_fp16_overflow 0
		.amdhsa_workgroup_processor_mode 1
		.amdhsa_memory_ordered 1
		.amdhsa_forward_progress 1
		.amdhsa_inst_pref_size 26
		.amdhsa_round_robin_scheduling 0
		.amdhsa_exception_fp_ieee_invalid_op 0
		.amdhsa_exception_fp_denorm_src 0
		.amdhsa_exception_fp_ieee_div_zero 0
		.amdhsa_exception_fp_ieee_overflow 0
		.amdhsa_exception_fp_ieee_underflow 0
		.amdhsa_exception_fp_ieee_inexact 0
		.amdhsa_exception_int_div_zero 0
	.end_amdhsa_kernel
	.section	.text._ZL29rocblas_internal_gemmt_kernelIlLi16ELi32ELi8ELc67ELc84ELc85ELb1ELb0E19rocblas_complex_numIfES1_PKPKS1_PKPS1_EviT_T9_T10_S9_lSB_S9_lSA_T11_S9_li,"axG",@progbits,_ZL29rocblas_internal_gemmt_kernelIlLi16ELi32ELi8ELc67ELc84ELc85ELb1ELb0E19rocblas_complex_numIfES1_PKPKS1_PKPS1_EviT_T9_T10_S9_lSB_S9_lSA_T11_S9_li,comdat
.Lfunc_end529:
	.size	_ZL29rocblas_internal_gemmt_kernelIlLi16ELi32ELi8ELc67ELc84ELc85ELb1ELb0E19rocblas_complex_numIfES1_PKPKS1_PKPS1_EviT_T9_T10_S9_lSB_S9_lSA_T11_S9_li, .Lfunc_end529-_ZL29rocblas_internal_gemmt_kernelIlLi16ELi32ELi8ELc67ELc84ELc85ELb1ELb0E19rocblas_complex_numIfES1_PKPKS1_PKPS1_EviT_T9_T10_S9_lSB_S9_lSA_T11_S9_li
                                        ; -- End function
	.set _ZL29rocblas_internal_gemmt_kernelIlLi16ELi32ELi8ELc67ELc84ELc85ELb1ELb0E19rocblas_complex_numIfES1_PKPKS1_PKPS1_EviT_T9_T10_S9_lSB_S9_lSA_T11_S9_li.num_vgpr, 72
	.set _ZL29rocblas_internal_gemmt_kernelIlLi16ELi32ELi8ELc67ELc84ELc85ELb1ELb0E19rocblas_complex_numIfES1_PKPKS1_PKPS1_EviT_T9_T10_S9_lSB_S9_lSA_T11_S9_li.num_agpr, 0
	.set _ZL29rocblas_internal_gemmt_kernelIlLi16ELi32ELi8ELc67ELc84ELc85ELb1ELb0E19rocblas_complex_numIfES1_PKPKS1_PKPS1_EviT_T9_T10_S9_lSB_S9_lSA_T11_S9_li.numbered_sgpr, 39
	.set _ZL29rocblas_internal_gemmt_kernelIlLi16ELi32ELi8ELc67ELc84ELc85ELb1ELb0E19rocblas_complex_numIfES1_PKPKS1_PKPS1_EviT_T9_T10_S9_lSB_S9_lSA_T11_S9_li.num_named_barrier, 0
	.set _ZL29rocblas_internal_gemmt_kernelIlLi16ELi32ELi8ELc67ELc84ELc85ELb1ELb0E19rocblas_complex_numIfES1_PKPKS1_PKPS1_EviT_T9_T10_S9_lSB_S9_lSA_T11_S9_li.private_seg_size, 0
	.set _ZL29rocblas_internal_gemmt_kernelIlLi16ELi32ELi8ELc67ELc84ELc85ELb1ELb0E19rocblas_complex_numIfES1_PKPKS1_PKPS1_EviT_T9_T10_S9_lSB_S9_lSA_T11_S9_li.uses_vcc, 1
	.set _ZL29rocblas_internal_gemmt_kernelIlLi16ELi32ELi8ELc67ELc84ELc85ELb1ELb0E19rocblas_complex_numIfES1_PKPKS1_PKPS1_EviT_T9_T10_S9_lSB_S9_lSA_T11_S9_li.uses_flat_scratch, 0
	.set _ZL29rocblas_internal_gemmt_kernelIlLi16ELi32ELi8ELc67ELc84ELc85ELb1ELb0E19rocblas_complex_numIfES1_PKPKS1_PKPS1_EviT_T9_T10_S9_lSB_S9_lSA_T11_S9_li.has_dyn_sized_stack, 0
	.set _ZL29rocblas_internal_gemmt_kernelIlLi16ELi32ELi8ELc67ELc84ELc85ELb1ELb0E19rocblas_complex_numIfES1_PKPKS1_PKPS1_EviT_T9_T10_S9_lSB_S9_lSA_T11_S9_li.has_recursion, 0
	.set _ZL29rocblas_internal_gemmt_kernelIlLi16ELi32ELi8ELc67ELc84ELc85ELb1ELb0E19rocblas_complex_numIfES1_PKPKS1_PKPS1_EviT_T9_T10_S9_lSB_S9_lSA_T11_S9_li.has_indirect_call, 0
	.section	.AMDGPU.csdata,"",@progbits
; Kernel info:
; codeLenInByte = 3304
; TotalNumSgprs: 41
; NumVgprs: 72
; ScratchSize: 0
; MemoryBound: 0
; FloatMode: 240
; IeeeMode: 1
; LDSByteSize: 4096 bytes/workgroup (compile time only)
; SGPRBlocks: 0
; VGPRBlocks: 8
; NumSGPRsForWavesPerEU: 41
; NumVGPRsForWavesPerEU: 72
; Occupancy: 16
; WaveLimiterHint : 1
; COMPUTE_PGM_RSRC2:SCRATCH_EN: 0
; COMPUTE_PGM_RSRC2:USER_SGPR: 2
; COMPUTE_PGM_RSRC2:TRAP_HANDLER: 0
; COMPUTE_PGM_RSRC2:TGID_X_EN: 1
; COMPUTE_PGM_RSRC2:TGID_Y_EN: 1
; COMPUTE_PGM_RSRC2:TGID_Z_EN: 1
; COMPUTE_PGM_RSRC2:TIDIG_COMP_CNT: 1
	.section	.text._ZL29rocblas_internal_gemmt_kernelIlLi16ELi32ELi8ELc67ELc67ELc85ELb1ELb1E19rocblas_complex_numIfES1_PKPKS1_PKPS1_EviT_T9_T10_S9_lSB_S9_lSA_T11_S9_li,"axG",@progbits,_ZL29rocblas_internal_gemmt_kernelIlLi16ELi32ELi8ELc67ELc67ELc85ELb1ELb1E19rocblas_complex_numIfES1_PKPKS1_PKPS1_EviT_T9_T10_S9_lSB_S9_lSA_T11_S9_li,comdat
	.globl	_ZL29rocblas_internal_gemmt_kernelIlLi16ELi32ELi8ELc67ELc67ELc85ELb1ELb1E19rocblas_complex_numIfES1_PKPKS1_PKPS1_EviT_T9_T10_S9_lSB_S9_lSA_T11_S9_li ; -- Begin function _ZL29rocblas_internal_gemmt_kernelIlLi16ELi32ELi8ELc67ELc67ELc85ELb1ELb1E19rocblas_complex_numIfES1_PKPKS1_PKPS1_EviT_T9_T10_S9_lSB_S9_lSA_T11_S9_li
	.p2align	8
	.type	_ZL29rocblas_internal_gemmt_kernelIlLi16ELi32ELi8ELc67ELc67ELc85ELb1ELb1E19rocblas_complex_numIfES1_PKPKS1_PKPS1_EviT_T9_T10_S9_lSB_S9_lSA_T11_S9_li,@function
_ZL29rocblas_internal_gemmt_kernelIlLi16ELi32ELi8ELc67ELc67ELc85ELb1ELb1E19rocblas_complex_numIfES1_PKPKS1_PKPS1_EviT_T9_T10_S9_lSB_S9_lSA_T11_S9_li: ; @_ZL29rocblas_internal_gemmt_kernelIlLi16ELi32ELi8ELc67ELc67ELc85ELb1ELb1E19rocblas_complex_numIfES1_PKPKS1_PKPS1_EviT_T9_T10_S9_lSB_S9_lSA_T11_S9_li
; %bb.0:
	s_clause 0x1
	s_load_b64 s[6:7], s[0:1], 0x48
	s_load_b128 s[16:19], s[0:1], 0x8
	s_wait_kmcnt 0x0
	s_cmp_eq_f32 s6, 1.0
	s_cselect_b32 s2, -1, 0
	s_and_b32 s3, s7, 0x7fffffff
	s_delay_alu instid0(SALU_CYCLE_1) | instskip(SKIP_1) | instid1(SALU_CYCLE_1)
	s_cmp_eq_u32 s3, 0
	s_cselect_b32 s3, -1, 0
	s_and_b32 s4, s2, s3
	s_mov_b32 s2, 0
	s_and_not1_b32 vcc_lo, exec_lo, s4
	s_mov_b32 s4, -1
	s_cbranch_vccnz .LBB530_4
; %bb.1:
	s_cmp_lg_u64 s[16:17], 0
	s_cbranch_scc0 .LBB530_3
; %bb.2:
	s_cmp_neq_f32 s18, 0
	s_cselect_b32 s2, -1, 0
	s_cmp_neq_f32 s19, 0
	s_cselect_b32 s4, -1, 0
	s_delay_alu instid0(SALU_CYCLE_1)
	s_or_b32 s2, s2, s4
.LBB530_3:
	s_delay_alu instid0(SALU_CYCLE_1)
	s_mov_b32 s4, s2
.LBB530_4:
	s_delay_alu instid0(SALU_CYCLE_1)
	s_and_b32 vcc_lo, exec_lo, s4
	s_cbranch_vccz .LBB530_42
; %bb.5:
	s_load_b32 s33, s[0:1], 0x68
	s_lshr_b32 s28, ttmp7, 16
	s_wait_kmcnt 0x0
	s_cmp_ge_u32 s28, s33
	s_cbranch_scc1 .LBB530_42
; %bb.6:
	s_clause 0x3
	s_load_b32 s4, s[0:1], 0x0
	s_load_b256 s[8:15], s[0:1], 0x18
	s_load_b128 s[20:23], s[0:1], 0x38
	s_load_b128 s[24:27], s[0:1], 0x50
	v_and_b32_e32 v6, 0x3ff, v0
	v_bfe_u32 v11, v0, 10, 10
	v_and_b32_e32 v16, 7, v0
	s_lshl_b32 s2, ttmp7, 5
	s_lshl_b32 s5, ttmp9, 5
	s_and_b32 s2, s2, 0x1fffe0
	v_lshl_add_u32 v0, v11, 4, v6
	v_lshlrev_b32_e32 v4, 3, v16
	v_add_nc_u32_e32 v15, s2, v11
	s_cmp_neq_f32 s18, 0
	s_load_b64 s[30:31], s[0:1], 0x60
	v_lshrrev_b32_e32 v17, 5, v0
	v_and_b32_e32 v1, 31, v0
	v_lshrrev_b32_e32 v0, 3, v0
	s_cselect_b32 s34, -1, 0
	s_cmp_neq_f32 s19, 0
	v_add_nc_u32_e32 v22, 16, v15
	v_lshl_add_u32 v21, v11, 6, 0x800
	v_add_nc_u32_e32 v14, s2, v0
	v_lshl_or_b32 v0, v0, 6, v4
	s_wait_kmcnt 0x0
	v_mad_co_u64_u32 v[4:5], null, s26, v15, 0
	s_cselect_b32 s0, -1, 0
	s_ashr_i32 s1, s5, 31
	v_add_nc_u32_e32 v19, 0x800, v0
	s_or_b32 s36, s34, s0
	s_mul_i32 s1, s10, s1
	s_cmp_neq_f32 s6, 0
	v_mov_b32_e32 v0, v5
	v_or_b32_e32 v2, s5, v1
	v_lshlrev_b32_e32 v1, 3, v1
	v_cmp_gt_i64_e64 s37, s[16:17], 0
	s_mov_b32 s29, 0
	v_cmp_gt_i32_e64 s0, s4, v2
	v_cmp_le_i32_e64 s34, s4, v2
	v_mul_lo_u32 v7, s11, v2
	v_mad_co_u64_u32 v[2:3], null, s10, v2, 0
	v_lshl_or_b32 v18, v17, 8, v1
	v_dual_mov_b32 v1, 0 :: v_dual_lshlrev_b32 v20, 3, v6
	v_add_nc_u32_e32 v8, s5, v6
	s_cselect_b32 s10, -1, 0
	s_xor_b32 s11, s3, -1
	s_delay_alu instid0(VALU_DEP_4)
	v_add3_u32 v3, v3, s1, v7
	v_mad_co_u64_u32 v[6:7], null, s26, v22, 0
	v_mad_co_u64_u32 v[9:10], null, s27, v15, v[0:1]
	v_add_nc_u32_e32 v10, 16, v8
	v_cmp_gt_i32_e64 s1, s4, v15
	v_cmp_le_i32_e64 s2, v8, v15
	v_cmp_gt_i32_e64 s3, s4, v22
	v_mov_b32_e32 v0, v7
	v_ashrrev_i32_e32 v11, 31, v10
	v_mov_b32_e32 v5, v9
	v_ashrrev_i32_e32 v9, 31, v8
	s_and_b32 s26, s1, s2
	v_mad_co_u64_u32 v[12:13], null, s27, v22, v[0:1]
	v_cmp_le_i32_e64 s2, v10, v15
	v_cmp_le_i32_e64 s5, v10, v22
	v_lshlrev_b64_e32 v[2:3], 3, v[2:3]
	v_lshlrev_b64_e32 v[4:5], 3, v[4:5]
	;; [unrolled: 1-line block ×3, first 2 shown]
	s_and_b32 s1, s1, s2
	v_mov_b32_e32 v7, v12
	v_cmp_gt_i32_e32 vcc_lo, s4, v14
	v_cmp_le_i32_e64 s4, v8, v22
	v_lshlrev_b64_e32 v[8:9], 3, v[8:9]
	v_lshlrev_b32_e32 v22, 3, v14
	v_lshlrev_b64_e32 v[6:7], 3, v[6:7]
	s_and_b32 s35, s3, s5
	s_and_b32 s27, s3, s4
	;; [unrolled: 1-line block ×3, first 2 shown]
	s_lshl_b64 s[2:3], s[22:23], 3
	s_wait_alu 0xfffe
	s_or_b32 s22, s10, s11
	s_lshl_b64 s[4:5], s[12:13], 3
	s_xor_b32 s23, vcc_lo, -1
	s_lshl_b64 s[10:11], s[30:31], 3
                                        ; implicit-def: $vgpr12_vgpr13
	s_branch .LBB530_8
.LBB530_7:                              ;   in Loop: Header=BB530_8 Depth=1
	s_wait_alu 0xfffe
	s_or_b32 exec_lo, exec_lo, s12
	s_add_co_i32 s28, s28, 0x10000
	s_delay_alu instid0(SALU_CYCLE_1)
	s_cmp_lt_u32 s28, s33
	s_cbranch_scc0 .LBB530_42
.LBB530_8:                              ; =>This Loop Header: Depth=1
                                        ;     Child Loop BB530_11 Depth 2
	s_lshl_b64 s[12:13], s[28:29], 3
	s_and_not1_b32 vcc_lo, exec_lo, s36
	s_wait_alu 0xfffe
	s_add_nc_u64 s[30:31], s[24:25], s[12:13]
	global_load_b64 v[14:15], v1, s[30:31]
	s_cbranch_vccnz .LBB530_21
; %bb.9:                                ;   in Loop: Header=BB530_8 Depth=1
	s_add_nc_u64 s[30:31], s[8:9], s[12:13]
	s_add_nc_u64 s[12:13], s[14:15], s[12:13]
	s_clause 0x1
	global_load_b64 v[23:24], v1, s[30:31]
	global_load_b64 v[25:26], v1, s[12:13]
	v_dual_mov_b32 v27, 0 :: v_dual_mov_b32 v28, 0
	v_dual_mov_b32 v30, 0 :: v_dual_mov_b32 v29, 0
	;; [unrolled: 1-line block ×4, first 2 shown]
	s_mov_b64 s[12:13], 0
	s_wait_loadcnt 0x1
	v_add_co_u32 v0, vcc_lo, v23, s4
	s_wait_alu 0xfffd
	v_add_co_ci_u32_e64 v24, null, s5, v24, vcc_lo
	s_wait_loadcnt 0x0
	v_add_co_u32 v25, vcc_lo, v25, s2
	s_wait_alu 0xfffd
	v_add_co_ci_u32_e64 v26, null, s3, v26, vcc_lo
	v_add_co_u32 v23, vcc_lo, v0, v2
	s_wait_alu 0xfffd
	v_add_co_ci_u32_e64 v24, null, v24, v3, vcc_lo
	;; [unrolled: 3-line block ×3, first 2 shown]
	s_branch .LBB530_11
.LBB530_10:                             ;   in Loop: Header=BB530_11 Depth=2
	s_or_b32 exec_lo, exec_lo, s30
	ds_store_b32 v19, v35 offset:4
	s_wait_dscnt 0x0
	s_barrier_signal -1
	s_barrier_wait -1
	global_inv scope:SCOPE_SE
	ds_load_b128 v[35:38], v21
	ds_load_2addr_b64 v[39:42], v20 offset1:16
	ds_load_b128 v[43:46], v21 offset:1024
	ds_load_b128 v[47:50], v21 offset:16
	;; [unrolled: 1-line block ×4, first 2 shown]
	ds_load_2addr_b64 v[59:62], v20 offset0:32 offset1:48
	ds_load_b128 v[63:66], v21 offset:1040
	s_add_nc_u64 s[12:13], s[12:13], 8
	s_wait_alu 0xfffe
	v_cmp_gt_i64_e64 s30, s[16:17], s[12:13]
	s_and_b32 vcc_lo, exec_lo, s30
	s_wait_dscnt 0x6
	v_dual_mul_f32 v0, v36, v40 :: v_dual_mul_f32 v69, v35, v42
	v_dual_mul_f32 v67, v35, v40 :: v_dual_mul_f32 v68, v36, v42
	s_wait_dscnt 0x5
	v_mul_f32_e32 v71, v44, v42
	s_delay_alu instid0(VALU_DEP_3) | instskip(SKIP_3) | instid1(VALU_DEP_4)
	v_fma_f32 v0, v35, v39, -v0
	v_dual_mul_f32 v42, v43, v42 :: v_dual_fmac_f32 v69, v36, v41
	v_fmac_f32_e32 v67, v36, v39
	v_fma_f32 v35, v35, v41, -v68
	v_add_f32_e32 v0, v33, v0
	v_mul_f32_e32 v70, v44, v40
	s_delay_alu instid0(VALU_DEP_4) | instskip(NEXT) | instid1(VALU_DEP_4)
	v_dual_mul_f32 v40, v43, v40 :: v_dual_add_f32 v33, v34, v67
	v_add_f32_e32 v34, v31, v35
	v_fma_f32 v31, v43, v41, -v71
	s_delay_alu instid0(VALU_DEP_4) | instskip(NEXT) | instid1(VALU_DEP_4)
	v_fma_f32 v36, v43, v39, -v70
	v_fmac_f32_e32 v40, v44, v39
	s_wait_dscnt 0x1
	v_dual_add_f32 v32, v32, v69 :: v_dual_mul_f32 v39, v38, v60
	v_dual_fmac_f32 v42, v44, v41 :: v_dual_mul_f32 v43, v38, v62
	v_add_f32_e32 v35, v29, v36
	v_add_f32_e32 v36, v30, v40
	v_dual_add_f32 v40, v28, v31 :: v_dual_mul_f32 v41, v37, v60
	ds_load_2addr_b64 v[28:31], v20 offset0:64 offset1:80
	v_fma_f32 v39, v37, v59, -v39
	v_add_f32_e32 v27, v27, v42
	v_dual_mul_f32 v42, v37, v62 :: v_dual_fmac_f32 v41, v38, v59
	v_fma_f32 v37, v37, v61, -v43
	s_delay_alu instid0(VALU_DEP_4) | instskip(NEXT) | instid1(VALU_DEP_3)
	v_dual_add_f32 v0, v0, v39 :: v_dual_mul_f32 v39, v46, v60
	v_fmac_f32_e32 v42, v38, v61
	s_delay_alu instid0(VALU_DEP_4)
	v_add_f32_e32 v41, v33, v41
	v_mul_f32_e32 v33, v45, v60
	v_add_f32_e32 v37, v34, v37
	v_fma_f32 v34, v45, v59, -v39
	v_mul_f32_e32 v38, v46, v62
	v_add_f32_e32 v39, v32, v42
	v_dual_mul_f32 v42, v45, v62 :: v_dual_fmac_f32 v33, v46, v59
	s_delay_alu instid0(VALU_DEP_4) | instskip(NEXT) | instid1(VALU_DEP_4)
	v_add_f32_e32 v43, v35, v34
	v_fma_f32 v32, v45, v61, -v38
	s_wait_dscnt 0x0
	v_mul_f32_e32 v34, v48, v29
	v_dual_fmac_f32 v42, v46, v61 :: v_dual_mul_f32 v45, v48, v31
	s_delay_alu instid0(VALU_DEP_3) | instskip(SKIP_1) | instid1(VALU_DEP_4)
	v_add_f32_e32 v40, v40, v32
	v_add_f32_e32 v36, v36, v33
	v_fma_f32 v44, v47, v28, -v34
	s_delay_alu instid0(VALU_DEP_4)
	v_add_f32_e32 v42, v27, v42
	v_mul_f32_e32 v27, v47, v31
	v_mul_f32_e32 v38, v47, v29
	ds_load_2addr_b64 v[32:35], v20 offset0:96 offset1:112
	v_add_f32_e32 v0, v0, v44
	v_fma_f32 v44, v47, v30, -v45
	v_fmac_f32_e32 v27, v48, v30
	v_fmac_f32_e32 v38, v48, v28
	s_delay_alu instid0(VALU_DEP_3) | instskip(NEXT) | instid1(VALU_DEP_2)
	v_dual_add_f32 v37, v37, v44 :: v_dual_mul_f32 v44, v64, v31
	v_dual_add_f32 v38, v41, v38 :: v_dual_mul_f32 v41, v64, v29
	v_mul_f32_e32 v29, v63, v29
	v_mul_f32_e32 v31, v63, v31
	v_add_f32_e32 v45, v39, v27
	v_fma_f32 v27, v63, v30, -v44
	v_fma_f32 v41, v63, v28, -v41
	v_fmac_f32_e32 v29, v64, v28
	v_fmac_f32_e32 v31, v64, v30
	s_delay_alu instid0(VALU_DEP_3) | instskip(SKIP_1) | instid1(VALU_DEP_3)
	v_dual_add_f32 v40, v40, v27 :: v_dual_add_f32 v41, v43, v41
	s_wait_dscnt 0x0
	v_dual_add_f32 v43, v36, v29 :: v_dual_mul_f32 v44, v50, v35
	ds_load_2addr_b64 v[27:30], v20 offset0:128 offset1:144
	v_mul_f32_e32 v36, v50, v33
	v_mul_f32_e32 v48, v66, v35
	v_fma_f32 v44, v49, v34, -v44
	s_delay_alu instid0(VALU_DEP_3) | instskip(NEXT) | instid1(VALU_DEP_1)
	v_fma_f32 v36, v49, v32, -v36
	v_add_f32_e32 v0, v0, v36
	v_mul_f32_e32 v36, v66, v33
	v_dual_mul_f32 v39, v49, v33 :: v_dual_add_f32 v42, v42, v31
	v_mul_f32_e32 v31, v49, v35
	v_mul_f32_e32 v33, v65, v33
	s_delay_alu instid0(VALU_DEP_4) | instskip(NEXT) | instid1(VALU_DEP_2)
	v_fma_f32 v47, v65, v32, -v36
	v_fmac_f32_e32 v33, v66, v32
	v_fmac_f32_e32 v39, v50, v32
	s_wait_dscnt 0x0
	v_dual_mul_f32 v32, v52, v28 :: v_dual_fmac_f32 v31, v50, v34
	s_delay_alu instid0(VALU_DEP_1) | instskip(SKIP_1) | instid1(VALU_DEP_2)
	v_dual_mul_f32 v50, v51, v28 :: v_dual_add_f32 v45, v45, v31
	v_fma_f32 v31, v65, v34, -v48
	v_fmac_f32_e32 v50, v52, v27
	v_add_f32_e32 v48, v43, v33
	v_add_f32_e32 v46, v38, v39
	;; [unrolled: 1-line block ×4, first 2 shown]
	v_fma_f32 v40, v51, v27, -v32
	v_mul_f32_e32 v35, v65, v35
	v_mul_f32_e32 v41, v52, v30
	v_add_f32_e32 v46, v46, v50
	s_delay_alu instid0(VALU_DEP_4) | instskip(NEXT) | instid1(VALU_DEP_4)
	v_add_f32_e32 v0, v0, v40
	v_dual_add_f32 v44, v37, v44 :: v_dual_fmac_f32 v35, v66, v34
	ds_load_b128 v[36:39], v21 offset:1056
	ds_load_2addr_b64 v[31:34], v20 offset0:160 offset1:176
	v_fma_f32 v59, v51, v29, -v41
	v_mul_f32_e32 v51, v51, v30
	v_add_f32_e32 v35, v42, v35
	ds_load_b128 v[40:43], v21 offset:1072
	v_add_f32_e32 v44, v44, v59
	s_wait_dscnt 0x2
	v_dual_fmac_f32 v51, v52, v29 :: v_dual_mul_f32 v52, v37, v30
	v_mul_f32_e32 v60, v37, v28
	v_mul_f32_e32 v28, v36, v28
	s_delay_alu instid0(VALU_DEP_2) | instskip(NEXT) | instid1(VALU_DEP_2)
	v_fma_f32 v50, v36, v27, -v60
	v_fmac_f32_e32 v28, v37, v27
	v_add_f32_e32 v45, v45, v51
	v_mul_f32_e32 v51, v36, v30
	v_fma_f32 v27, v36, v29, -v52
	s_delay_alu instid0(VALU_DEP_4) | instskip(SKIP_1) | instid1(VALU_DEP_3)
	v_dual_add_f32 v47, v47, v50 :: v_dual_add_f32 v36, v48, v28
	s_wait_dscnt 0x1
	v_dual_mul_f32 v48, v54, v32 :: v_dual_fmac_f32 v51, v37, v29
	v_dual_mul_f32 v50, v54, v34 :: v_dual_mul_f32 v37, v53, v32
	s_delay_alu instid0(VALU_DEP_2) | instskip(SKIP_4) | instid1(VALU_DEP_1)
	v_fma_f32 v48, v53, v31, -v48
	v_add_f32_e32 v49, v49, v27
	ds_load_2addr_b64 v[27:30], v20 offset0:192 offset1:208
	v_add_f32_e32 v0, v0, v48
	v_fma_f32 v48, v53, v33, -v50
	v_add_f32_e32 v44, v44, v48
	v_dual_mul_f32 v48, v39, v34 :: v_dual_fmac_f32 v37, v54, v31
	v_add_f32_e32 v51, v35, v51
	s_delay_alu instid0(VALU_DEP_2) | instskip(SKIP_2) | instid1(VALU_DEP_3)
	v_dual_mul_f32 v35, v53, v34 :: v_dual_add_f32 v46, v46, v37
	v_mul_f32_e32 v37, v39, v32
	v_mul_f32_e32 v32, v38, v32
	v_fmac_f32_e32 v35, v54, v33
	s_delay_alu instid0(VALU_DEP_3) | instskip(NEXT) | instid1(VALU_DEP_3)
	v_fma_f32 v37, v38, v31, -v37
	v_dual_fmac_f32 v32, v39, v31 :: v_dual_mul_f32 v31, v38, v34
	v_fma_f32 v34, v38, v33, -v48
	s_wait_dscnt 0x0
	v_dual_add_f32 v45, v45, v35 :: v_dual_mul_f32 v48, v56, v30
	s_delay_alu instid0(VALU_DEP_3) | instskip(NEXT) | instid1(VALU_DEP_3)
	v_dual_add_f32 v32, v36, v32 :: v_dual_fmac_f32 v31, v39, v33
	v_dual_add_f32 v33, v49, v34 :: v_dual_mul_f32 v34, v55, v28
	v_add_f32_e32 v47, v47, v37
	s_delay_alu instid0(VALU_DEP_4) | instskip(NEXT) | instid1(VALU_DEP_3)
	v_fma_f32 v48, v55, v29, -v48
	v_dual_mul_f32 v49, v41, v28 :: v_dual_fmac_f32 v34, v56, v27
	v_mul_f32_e32 v35, v56, v28
	v_mul_f32_e32 v28, v40, v28
	s_delay_alu instid0(VALU_DEP_4)
	v_add_f32_e32 v44, v44, v48
	v_mul_f32_e32 v48, v41, v30
	v_add_f32_e32 v34, v46, v34
	v_fma_f32 v39, v55, v27, -v35
	ds_load_2addr_b64 v[35:38], v20 offset0:224 offset1:240
	v_fmac_f32_e32 v28, v41, v27
	s_wait_loadcnt_dscnt 0x0
	s_barrier_signal -1
	v_dual_add_f32 v0, v0, v39 :: v_dual_mul_f32 v39, v55, v30
	v_dual_add_f32 v31, v51, v31 :: v_dual_mul_f32 v30, v40, v30
	v_fma_f32 v46, v40, v27, -v49
	v_fma_f32 v40, v40, v29, -v48
	s_delay_alu instid0(VALU_DEP_4)
	v_fmac_f32_e32 v39, v56, v29
	v_add_f32_e32 v28, v32, v28
	v_fmac_f32_e32 v30, v41, v29
	s_barrier_wait -1
	v_add_f32_e32 v40, v33, v40
	v_add_f32_e32 v27, v45, v39
	;; [unrolled: 1-line block ×3, first 2 shown]
	global_inv scope:SCOPE_SE
	v_mul_f32_e32 v32, v58, v36
	v_mul_f32_e32 v33, v58, v38
	v_add_f32_e32 v41, v31, v30
	s_delay_alu instid0(VALU_DEP_3) | instskip(SKIP_1) | instid1(VALU_DEP_4)
	v_fma_f32 v32, v57, v35, -v32
	v_mul_f32_e32 v30, v57, v38
	v_fma_f32 v31, v57, v37, -v33
	s_delay_alu instid0(VALU_DEP_3) | instskip(NEXT) | instid1(VALU_DEP_3)
	v_add_f32_e32 v33, v0, v32
	v_dual_mul_f32 v29, v57, v36 :: v_dual_fmac_f32 v30, v58, v37
	s_delay_alu instid0(VALU_DEP_3) | instskip(NEXT) | instid1(VALU_DEP_2)
	v_dual_mul_f32 v0, v43, v36 :: v_dual_add_f32 v31, v44, v31
	v_dual_mul_f32 v44, v43, v38 :: v_dual_fmac_f32 v29, v58, v35
	s_delay_alu instid0(VALU_DEP_3) | instskip(NEXT) | instid1(VALU_DEP_3)
	v_add_f32_e32 v32, v27, v30
	v_fma_f32 v0, v42, v35, -v0
	v_mul_f32_e32 v38, v42, v38
	s_delay_alu instid0(VALU_DEP_2) | instskip(NEXT) | instid1(VALU_DEP_2)
	v_dual_add_f32 v34, v34, v29 :: v_dual_add_f32 v29, v39, v0
	v_fmac_f32_e32 v38, v43, v37
	v_mul_f32_e32 v36, v42, v36
	v_fma_f32 v0, v42, v37, -v44
	s_delay_alu instid0(VALU_DEP_2) | instskip(NEXT) | instid1(VALU_DEP_1)
	v_dual_add_f32 v27, v41, v38 :: v_dual_fmac_f32 v36, v43, v35
	v_add_f32_e32 v30, v28, v36
	s_delay_alu instid0(VALU_DEP_3)
	v_add_f32_e32 v28, v40, v0
	s_wait_alu 0xfffe
	s_cbranch_vccz .LBB530_22
.LBB530_11:                             ;   Parent Loop BB530_8 Depth=1
                                        ; =>  This Inner Loop Header: Depth=2
	s_mov_b32 s30, 0
	s_mov_b32 s37, s34
	s_and_saveexec_b32 s31, s0
	s_cbranch_execnz .LBB530_19
; %bb.12:                               ;   in Loop: Header=BB530_11 Depth=2
	s_or_b32 exec_lo, exec_lo, s31
	s_and_saveexec_b32 s31, s37
	s_delay_alu instid0(SALU_CYCLE_1)
	s_xor_b32 s31, exec_lo, s31
	s_cbranch_execnz .LBB530_20
.LBB530_13:                             ;   in Loop: Header=BB530_11 Depth=2
	s_or_b32 exec_lo, exec_lo, s31
	v_mov_b32_e32 v35, 0
	s_and_saveexec_b32 s31, s30
	s_cbranch_execz .LBB530_15
.LBB530_14:                             ;   in Loop: Header=BB530_11 Depth=2
	v_lshlrev_b64_e32 v[35:36], 3, v[12:13]
	s_delay_alu instid0(VALU_DEP_1) | instskip(SKIP_1) | instid1(VALU_DEP_2)
	v_add_co_u32 v35, vcc_lo, v23, v35
	s_wait_alu 0xfffd
	v_add_co_ci_u32_e64 v36, null, v24, v36, vcc_lo
	flat_load_b64 v[36:37], v[35:36]
	s_wait_loadcnt_dscnt 0x0
	v_xor_b32_e32 v35, 0x80000000, v37
	ds_store_b32 v18, v36
.LBB530_15:                             ;   in Loop: Header=BB530_11 Depth=2
	s_or_b32 exec_lo, exec_lo, s31
	s_wait_alu 0xfffe
	v_add_nc_u32_e32 v0, s12, v16
	ds_store_b32 v18, v35 offset:4
	v_cmp_le_u64_e32 vcc_lo, s[16:17], v[0:1]
	s_or_b32 s30, vcc_lo, s23
	s_delay_alu instid0(SALU_CYCLE_1) | instskip(NEXT) | instid1(SALU_CYCLE_1)
	s_and_saveexec_b32 s31, s30
	s_xor_b32 s30, exec_lo, s31
; %bb.16:                               ;   in Loop: Header=BB530_11 Depth=2
	ds_store_b32 v19, v1
; %bb.17:                               ;   in Loop: Header=BB530_11 Depth=2
	s_or_saveexec_b32 s30, s30
	v_mov_b32_e32 v35, 0
	s_xor_b32 exec_lo, exec_lo, s30
	s_cbranch_execz .LBB530_10
; %bb.18:                               ;   in Loop: Header=BB530_11 Depth=2
	v_mad_co_u64_u32 v[35:36], null, s20, v0, 0
	s_delay_alu instid0(VALU_DEP_1) | instskip(NEXT) | instid1(VALU_DEP_1)
	v_mad_co_u64_u32 v[36:37], null, s21, v0, v[36:37]
	v_lshlrev_b64_e32 v[35:36], 3, v[35:36]
	s_delay_alu instid0(VALU_DEP_1) | instskip(SKIP_1) | instid1(VALU_DEP_2)
	v_add_co_u32 v35, vcc_lo, v25, v35
	s_wait_alu 0xfffd
	v_add_co_ci_u32_e64 v36, null, v26, v36, vcc_lo
	flat_load_b64 v[36:37], v[35:36]
	s_wait_loadcnt_dscnt 0x0
	v_xor_b32_e32 v35, 0x80000000, v37
	ds_store_b32 v19, v36
	s_branch .LBB530_10
.LBB530_19:                             ;   in Loop: Header=BB530_11 Depth=2
	s_wait_alu 0xfffe
	v_add_nc_u32_e32 v0, s12, v17
	v_mov_b32_e32 v13, v1
	s_and_not1_b32 s37, s34, exec_lo
	s_mov_b32 s30, exec_lo
	s_delay_alu instid0(VALU_DEP_2) | instskip(SKIP_2) | instid1(SALU_CYCLE_1)
	v_cmp_le_u64_e32 vcc_lo, s[16:17], v[0:1]
	v_mov_b32_e32 v12, v0
	s_and_b32 s38, vcc_lo, exec_lo
	s_or_b32 s37, s37, s38
	s_or_b32 exec_lo, exec_lo, s31
	s_and_saveexec_b32 s31, s37
	s_delay_alu instid0(SALU_CYCLE_1)
	s_xor_b32 s31, exec_lo, s31
	s_cbranch_execz .LBB530_13
.LBB530_20:                             ;   in Loop: Header=BB530_11 Depth=2
	s_and_not1_b32 s30, s30, exec_lo
	ds_store_b32 v18, v1
	s_or_b32 exec_lo, exec_lo, s31
	v_mov_b32_e32 v35, 0
	s_and_saveexec_b32 s31, s30
	s_cbranch_execnz .LBB530_14
	s_branch .LBB530_15
.LBB530_21:                             ;   in Loop: Header=BB530_8 Depth=1
	v_dual_mov_b32 v33, v1 :: v_dual_mov_b32 v34, v1
	v_dual_mov_b32 v31, v1 :: v_dual_mov_b32 v32, v1
	;; [unrolled: 1-line block ×4, first 2 shown]
.LBB530_22:                             ;   in Loop: Header=BB530_8 Depth=1
	s_wait_loadcnt 0x0
	s_wait_alu 0xfffe
	v_add_co_u32 v0, vcc_lo, v14, s10
	s_wait_alu 0xfffd
	v_add_co_ci_u32_e64 v23, null, s11, v15, vcc_lo
	s_delay_alu instid0(VALU_DEP_2) | instskip(SKIP_1) | instid1(VALU_DEP_2)
	v_add_co_u32 v24, vcc_lo, v0, v4
	s_wait_alu 0xfffd
	v_add_co_ci_u32_e64 v25, null, v23, v5, vcc_lo
	s_and_saveexec_b32 s12, s26
	s_cbranch_execz .LBB530_27
; %bb.23:                               ;   in Loop: Header=BB530_8 Depth=1
	v_mul_f32_e32 v15, s18, v34
	v_mul_f32_e32 v14, s19, v34
	s_and_b32 vcc_lo, exec_lo, s22
	s_mov_b32 s13, -1
	s_delay_alu instid0(VALU_DEP_2) | instskip(NEXT) | instid1(VALU_DEP_2)
	v_fmac_f32_e32 v15, s19, v33
	v_fma_f32 v14, v33, s18, -v14
	s_wait_alu 0xfffe
	s_cbranch_vccz .LBB530_25
; %bb.24:                               ;   in Loop: Header=BB530_8 Depth=1
	v_add_co_u32 v33, vcc_lo, v24, v8
	s_wait_alu 0xfffd
	v_add_co_ci_u32_e64 v34, null, v25, v9, vcc_lo
	s_mov_b32 s13, 0
	flat_load_b64 v[35:36], v[33:34]
	s_wait_loadcnt_dscnt 0x0
	v_mul_f32_e32 v26, s7, v36
	s_delay_alu instid0(VALU_DEP_1) | instskip(SKIP_1) | instid1(VALU_DEP_1)
	v_fma_f32 v26, v35, s6, -v26
	v_mul_f32_e32 v36, s6, v36
	v_dual_fmac_f32 v36, s7, v35 :: v_dual_add_f32 v35, v14, v26
	s_delay_alu instid0(VALU_DEP_1)
	v_add_f32_e32 v36, v15, v36
	flat_store_b64 v[33:34], v[35:36]
.LBB530_25:                             ;   in Loop: Header=BB530_8 Depth=1
	s_wait_alu 0xfffe
	s_and_not1_b32 vcc_lo, exec_lo, s13
	s_wait_alu 0xfffe
	s_cbranch_vccnz .LBB530_27
; %bb.26:                               ;   in Loop: Header=BB530_8 Depth=1
	v_add_co_u32 v33, vcc_lo, v24, v8
	s_wait_alu 0xfffd
	v_add_co_ci_u32_e64 v34, null, v25, v9, vcc_lo
	flat_store_b64 v[33:34], v[14:15]
.LBB530_27:                             ;   in Loop: Header=BB530_8 Depth=1
	s_wait_alu 0xfffe
	s_or_b32 exec_lo, exec_lo, s12
	s_and_saveexec_b32 s12, s1
	s_cbranch_execz .LBB530_32
; %bb.28:                               ;   in Loop: Header=BB530_8 Depth=1
	v_mul_f32_e32 v15, s18, v32
	v_mul_f32_e32 v14, s19, v32
	s_and_not1_b32 vcc_lo, exec_lo, s22
	s_mov_b32 s13, -1
	s_delay_alu instid0(VALU_DEP_2) | instskip(NEXT) | instid1(VALU_DEP_2)
	v_fmac_f32_e32 v15, s19, v31
	v_fma_f32 v14, v31, s18, -v14
	s_wait_alu 0xfffe
	s_cbranch_vccnz .LBB530_30
; %bb.29:                               ;   in Loop: Header=BB530_8 Depth=1
	v_add_co_u32 v31, vcc_lo, v24, v10
	s_wait_alu 0xfffd
	v_add_co_ci_u32_e64 v32, null, v25, v11, vcc_lo
	s_mov_b32 s13, 0
	flat_load_b64 v[33:34], v[31:32]
	s_wait_loadcnt_dscnt 0x0
	v_mul_f32_e32 v26, s7, v34
	v_mul_f32_e32 v34, s6, v34
	s_delay_alu instid0(VALU_DEP_2) | instskip(NEXT) | instid1(VALU_DEP_1)
	v_fma_f32 v26, v33, s6, -v26
	v_dual_fmac_f32 v34, s7, v33 :: v_dual_add_f32 v33, v14, v26
	s_delay_alu instid0(VALU_DEP_1)
	v_add_f32_e32 v34, v15, v34
	flat_store_b64 v[31:32], v[33:34]
.LBB530_30:                             ;   in Loop: Header=BB530_8 Depth=1
	s_wait_alu 0xfffe
	s_and_not1_b32 vcc_lo, exec_lo, s13
	s_wait_alu 0xfffe
	s_cbranch_vccnz .LBB530_32
; %bb.31:                               ;   in Loop: Header=BB530_8 Depth=1
	v_add_co_u32 v24, vcc_lo, v24, v10
	s_wait_alu 0xfffd
	v_add_co_ci_u32_e64 v25, null, v25, v11, vcc_lo
	flat_store_b64 v[24:25], v[14:15]
.LBB530_32:                             ;   in Loop: Header=BB530_8 Depth=1
	s_wait_alu 0xfffe
	s_or_b32 exec_lo, exec_lo, s12
	v_add_co_u32 v0, vcc_lo, v0, v6
	s_wait_alu 0xfffd
	v_add_co_ci_u32_e64 v23, null, v23, v7, vcc_lo
	s_and_saveexec_b32 s12, s27
	s_cbranch_execz .LBB530_37
; %bb.33:                               ;   in Loop: Header=BB530_8 Depth=1
	v_mul_f32_e32 v15, s18, v30
	v_mul_f32_e32 v14, s19, v30
	s_and_not1_b32 vcc_lo, exec_lo, s22
	s_mov_b32 s13, -1
	s_delay_alu instid0(VALU_DEP_2) | instskip(NEXT) | instid1(VALU_DEP_2)
	v_fmac_f32_e32 v15, s19, v29
	v_fma_f32 v14, v29, s18, -v14
	s_wait_alu 0xfffe
	s_cbranch_vccnz .LBB530_35
; %bb.34:                               ;   in Loop: Header=BB530_8 Depth=1
	v_add_co_u32 v24, vcc_lo, v0, v8
	s_wait_alu 0xfffd
	v_add_co_ci_u32_e64 v25, null, v23, v9, vcc_lo
	s_mov_b32 s13, 0
	flat_load_b64 v[29:30], v[24:25]
	s_wait_loadcnt_dscnt 0x0
	v_mul_f32_e32 v26, s7, v30
	v_mul_f32_e32 v30, s6, v30
	s_delay_alu instid0(VALU_DEP_2) | instskip(NEXT) | instid1(VALU_DEP_1)
	v_fma_f32 v26, v29, s6, -v26
	v_dual_fmac_f32 v30, s7, v29 :: v_dual_add_f32 v29, v14, v26
	s_delay_alu instid0(VALU_DEP_1)
	v_add_f32_e32 v30, v15, v30
	flat_store_b64 v[24:25], v[29:30]
.LBB530_35:                             ;   in Loop: Header=BB530_8 Depth=1
	s_wait_alu 0xfffe
	s_and_not1_b32 vcc_lo, exec_lo, s13
	s_wait_alu 0xfffe
	s_cbranch_vccnz .LBB530_37
; %bb.36:                               ;   in Loop: Header=BB530_8 Depth=1
	v_add_co_u32 v24, vcc_lo, v0, v8
	s_wait_alu 0xfffd
	v_add_co_ci_u32_e64 v25, null, v23, v9, vcc_lo
	flat_store_b64 v[24:25], v[14:15]
.LBB530_37:                             ;   in Loop: Header=BB530_8 Depth=1
	s_wait_alu 0xfffe
	s_or_b32 exec_lo, exec_lo, s12
	s_and_saveexec_b32 s12, s35
	s_cbranch_execz .LBB530_7
; %bb.38:                               ;   in Loop: Header=BB530_8 Depth=1
	v_mul_f32_e32 v15, s18, v27
	v_mul_f32_e32 v14, s19, v27
	s_and_not1_b32 vcc_lo, exec_lo, s22
	s_mov_b32 s13, -1
	s_delay_alu instid0(VALU_DEP_2) | instskip(NEXT) | instid1(VALU_DEP_2)
	v_fmac_f32_e32 v15, s19, v28
	v_fma_f32 v14, v28, s18, -v14
	s_wait_alu 0xfffe
	s_cbranch_vccnz .LBB530_40
; %bb.39:                               ;   in Loop: Header=BB530_8 Depth=1
	v_add_co_u32 v24, vcc_lo, v0, v10
	s_wait_alu 0xfffd
	v_add_co_ci_u32_e64 v25, null, v23, v11, vcc_lo
	s_mov_b32 s13, 0
	flat_load_b64 v[26:27], v[24:25]
	s_wait_loadcnt_dscnt 0x0
	v_mul_f32_e32 v28, s7, v27
	v_mul_f32_e32 v27, s6, v27
	s_delay_alu instid0(VALU_DEP_1) | instskip(NEXT) | instid1(VALU_DEP_3)
	v_fmac_f32_e32 v27, s7, v26
	v_fma_f32 v28, v26, s6, -v28
	s_delay_alu instid0(VALU_DEP_1)
	v_dual_add_f32 v27, v15, v27 :: v_dual_add_f32 v26, v14, v28
	flat_store_b64 v[24:25], v[26:27]
.LBB530_40:                             ;   in Loop: Header=BB530_8 Depth=1
	s_wait_alu 0xfffe
	s_and_not1_b32 vcc_lo, exec_lo, s13
	s_wait_alu 0xfffe
	s_cbranch_vccnz .LBB530_7
; %bb.41:                               ;   in Loop: Header=BB530_8 Depth=1
	v_add_co_u32 v24, vcc_lo, v0, v10
	s_wait_alu 0xfffd
	v_add_co_ci_u32_e64 v25, null, v23, v11, vcc_lo
	flat_store_b64 v[24:25], v[14:15]
	s_branch .LBB530_7
.LBB530_42:
	s_endpgm
	.section	.rodata,"a",@progbits
	.p2align	6, 0x0
	.amdhsa_kernel _ZL29rocblas_internal_gemmt_kernelIlLi16ELi32ELi8ELc67ELc67ELc85ELb1ELb1E19rocblas_complex_numIfES1_PKPKS1_PKPS1_EviT_T9_T10_S9_lSB_S9_lSA_T11_S9_li
		.amdhsa_group_segment_fixed_size 4096
		.amdhsa_private_segment_fixed_size 0
		.amdhsa_kernarg_size 108
		.amdhsa_user_sgpr_count 2
		.amdhsa_user_sgpr_dispatch_ptr 0
		.amdhsa_user_sgpr_queue_ptr 0
		.amdhsa_user_sgpr_kernarg_segment_ptr 1
		.amdhsa_user_sgpr_dispatch_id 0
		.amdhsa_user_sgpr_private_segment_size 0
		.amdhsa_wavefront_size32 1
		.amdhsa_uses_dynamic_stack 0
		.amdhsa_enable_private_segment 0
		.amdhsa_system_sgpr_workgroup_id_x 1
		.amdhsa_system_sgpr_workgroup_id_y 1
		.amdhsa_system_sgpr_workgroup_id_z 1
		.amdhsa_system_sgpr_workgroup_info 0
		.amdhsa_system_vgpr_workitem_id 1
		.amdhsa_next_free_vgpr 72
		.amdhsa_next_free_sgpr 39
		.amdhsa_reserve_vcc 1
		.amdhsa_float_round_mode_32 0
		.amdhsa_float_round_mode_16_64 0
		.amdhsa_float_denorm_mode_32 3
		.amdhsa_float_denorm_mode_16_64 3
		.amdhsa_fp16_overflow 0
		.amdhsa_workgroup_processor_mode 1
		.amdhsa_memory_ordered 1
		.amdhsa_forward_progress 1
		.amdhsa_inst_pref_size 26
		.amdhsa_round_robin_scheduling 0
		.amdhsa_exception_fp_ieee_invalid_op 0
		.amdhsa_exception_fp_denorm_src 0
		.amdhsa_exception_fp_ieee_div_zero 0
		.amdhsa_exception_fp_ieee_overflow 0
		.amdhsa_exception_fp_ieee_underflow 0
		.amdhsa_exception_fp_ieee_inexact 0
		.amdhsa_exception_int_div_zero 0
	.end_amdhsa_kernel
	.section	.text._ZL29rocblas_internal_gemmt_kernelIlLi16ELi32ELi8ELc67ELc67ELc85ELb1ELb1E19rocblas_complex_numIfES1_PKPKS1_PKPS1_EviT_T9_T10_S9_lSB_S9_lSA_T11_S9_li,"axG",@progbits,_ZL29rocblas_internal_gemmt_kernelIlLi16ELi32ELi8ELc67ELc67ELc85ELb1ELb1E19rocblas_complex_numIfES1_PKPKS1_PKPS1_EviT_T9_T10_S9_lSB_S9_lSA_T11_S9_li,comdat
.Lfunc_end530:
	.size	_ZL29rocblas_internal_gemmt_kernelIlLi16ELi32ELi8ELc67ELc67ELc85ELb1ELb1E19rocblas_complex_numIfES1_PKPKS1_PKPS1_EviT_T9_T10_S9_lSB_S9_lSA_T11_S9_li, .Lfunc_end530-_ZL29rocblas_internal_gemmt_kernelIlLi16ELi32ELi8ELc67ELc67ELc85ELb1ELb1E19rocblas_complex_numIfES1_PKPKS1_PKPS1_EviT_T9_T10_S9_lSB_S9_lSA_T11_S9_li
                                        ; -- End function
	.set _ZL29rocblas_internal_gemmt_kernelIlLi16ELi32ELi8ELc67ELc67ELc85ELb1ELb1E19rocblas_complex_numIfES1_PKPKS1_PKPS1_EviT_T9_T10_S9_lSB_S9_lSA_T11_S9_li.num_vgpr, 72
	.set _ZL29rocblas_internal_gemmt_kernelIlLi16ELi32ELi8ELc67ELc67ELc85ELb1ELb1E19rocblas_complex_numIfES1_PKPKS1_PKPS1_EviT_T9_T10_S9_lSB_S9_lSA_T11_S9_li.num_agpr, 0
	.set _ZL29rocblas_internal_gemmt_kernelIlLi16ELi32ELi8ELc67ELc67ELc85ELb1ELb1E19rocblas_complex_numIfES1_PKPKS1_PKPS1_EviT_T9_T10_S9_lSB_S9_lSA_T11_S9_li.numbered_sgpr, 39
	.set _ZL29rocblas_internal_gemmt_kernelIlLi16ELi32ELi8ELc67ELc67ELc85ELb1ELb1E19rocblas_complex_numIfES1_PKPKS1_PKPS1_EviT_T9_T10_S9_lSB_S9_lSA_T11_S9_li.num_named_barrier, 0
	.set _ZL29rocblas_internal_gemmt_kernelIlLi16ELi32ELi8ELc67ELc67ELc85ELb1ELb1E19rocblas_complex_numIfES1_PKPKS1_PKPS1_EviT_T9_T10_S9_lSB_S9_lSA_T11_S9_li.private_seg_size, 0
	.set _ZL29rocblas_internal_gemmt_kernelIlLi16ELi32ELi8ELc67ELc67ELc85ELb1ELb1E19rocblas_complex_numIfES1_PKPKS1_PKPS1_EviT_T9_T10_S9_lSB_S9_lSA_T11_S9_li.uses_vcc, 1
	.set _ZL29rocblas_internal_gemmt_kernelIlLi16ELi32ELi8ELc67ELc67ELc85ELb1ELb1E19rocblas_complex_numIfES1_PKPKS1_PKPS1_EviT_T9_T10_S9_lSB_S9_lSA_T11_S9_li.uses_flat_scratch, 0
	.set _ZL29rocblas_internal_gemmt_kernelIlLi16ELi32ELi8ELc67ELc67ELc85ELb1ELb1E19rocblas_complex_numIfES1_PKPKS1_PKPS1_EviT_T9_T10_S9_lSB_S9_lSA_T11_S9_li.has_dyn_sized_stack, 0
	.set _ZL29rocblas_internal_gemmt_kernelIlLi16ELi32ELi8ELc67ELc67ELc85ELb1ELb1E19rocblas_complex_numIfES1_PKPKS1_PKPS1_EviT_T9_T10_S9_lSB_S9_lSA_T11_S9_li.has_recursion, 0
	.set _ZL29rocblas_internal_gemmt_kernelIlLi16ELi32ELi8ELc67ELc67ELc85ELb1ELb1E19rocblas_complex_numIfES1_PKPKS1_PKPS1_EviT_T9_T10_S9_lSB_S9_lSA_T11_S9_li.has_indirect_call, 0
	.section	.AMDGPU.csdata,"",@progbits
; Kernel info:
; codeLenInByte = 3320
; TotalNumSgprs: 41
; NumVgprs: 72
; ScratchSize: 0
; MemoryBound: 0
; FloatMode: 240
; IeeeMode: 1
; LDSByteSize: 4096 bytes/workgroup (compile time only)
; SGPRBlocks: 0
; VGPRBlocks: 8
; NumSGPRsForWavesPerEU: 41
; NumVGPRsForWavesPerEU: 72
; Occupancy: 16
; WaveLimiterHint : 1
; COMPUTE_PGM_RSRC2:SCRATCH_EN: 0
; COMPUTE_PGM_RSRC2:USER_SGPR: 2
; COMPUTE_PGM_RSRC2:TRAP_HANDLER: 0
; COMPUTE_PGM_RSRC2:TGID_X_EN: 1
; COMPUTE_PGM_RSRC2:TGID_Y_EN: 1
; COMPUTE_PGM_RSRC2:TGID_Z_EN: 1
; COMPUTE_PGM_RSRC2:TIDIG_COMP_CNT: 1
	.section	.text._ZL29rocblas_internal_gemmt_kernelIlLi16ELi32ELi8ELc78ELc78ELc76ELb0ELb0E19rocblas_complex_numIfES1_PKPKS1_PKPS1_EviT_T9_T10_S9_lSB_S9_lSA_T11_S9_li,"axG",@progbits,_ZL29rocblas_internal_gemmt_kernelIlLi16ELi32ELi8ELc78ELc78ELc76ELb0ELb0E19rocblas_complex_numIfES1_PKPKS1_PKPS1_EviT_T9_T10_S9_lSB_S9_lSA_T11_S9_li,comdat
	.globl	_ZL29rocblas_internal_gemmt_kernelIlLi16ELi32ELi8ELc78ELc78ELc76ELb0ELb0E19rocblas_complex_numIfES1_PKPKS1_PKPS1_EviT_T9_T10_S9_lSB_S9_lSA_T11_S9_li ; -- Begin function _ZL29rocblas_internal_gemmt_kernelIlLi16ELi32ELi8ELc78ELc78ELc76ELb0ELb0E19rocblas_complex_numIfES1_PKPKS1_PKPS1_EviT_T9_T10_S9_lSB_S9_lSA_T11_S9_li
	.p2align	8
	.type	_ZL29rocblas_internal_gemmt_kernelIlLi16ELi32ELi8ELc78ELc78ELc76ELb0ELb0E19rocblas_complex_numIfES1_PKPKS1_PKPS1_EviT_T9_T10_S9_lSB_S9_lSA_T11_S9_li,@function
_ZL29rocblas_internal_gemmt_kernelIlLi16ELi32ELi8ELc78ELc78ELc76ELb0ELb0E19rocblas_complex_numIfES1_PKPKS1_PKPS1_EviT_T9_T10_S9_lSB_S9_lSA_T11_S9_li: ; @_ZL29rocblas_internal_gemmt_kernelIlLi16ELi32ELi8ELc78ELc78ELc76ELb0ELb0E19rocblas_complex_numIfES1_PKPKS1_PKPS1_EviT_T9_T10_S9_lSB_S9_lSA_T11_S9_li
; %bb.0:
	s_clause 0x1
	s_load_b64 s[24:25], s[0:1], 0x48
	s_load_b128 s[16:19], s[0:1], 0x8
	s_wait_kmcnt 0x0
	s_cmp_eq_f32 s24, 1.0
	s_cselect_b32 s3, -1, 0
	s_and_b32 s2, s25, 0x7fffffff
	s_delay_alu instid0(SALU_CYCLE_1) | instskip(SKIP_1) | instid1(SALU_CYCLE_1)
	s_cmp_eq_u32 s2, 0
	s_cselect_b32 s2, -1, 0
	s_and_b32 s4, s3, s2
	s_mov_b32 s3, 0
	s_and_not1_b32 vcc_lo, exec_lo, s4
	s_mov_b32 s4, -1
	s_cbranch_vccnz .LBB531_4
; %bb.1:
	s_cmp_lg_u64 s[16:17], 0
	s_cbranch_scc0 .LBB531_3
; %bb.2:
	s_cmp_neq_f32 s18, 0
	s_cselect_b32 s3, -1, 0
	s_cmp_neq_f32 s19, 0
	s_cselect_b32 s4, -1, 0
	s_delay_alu instid0(SALU_CYCLE_1)
	s_or_b32 s3, s3, s4
.LBB531_3:
	s_delay_alu instid0(SALU_CYCLE_1)
	s_mov_b32 s4, s3
.LBB531_4:
	s_delay_alu instid0(SALU_CYCLE_1)
	s_and_b32 vcc_lo, exec_lo, s4
	s_cbranch_vccz .LBB531_42
; %bb.5:
	s_load_b32 s30, s[0:1], 0x68
	s_lshr_b32 s26, ttmp7, 16
	s_wait_kmcnt 0x0
	s_cmp_ge_u32 s26, s30
	s_cbranch_scc1 .LBB531_42
; %bb.6:
	s_clause 0x2
	s_load_b32 s33, s[0:1], 0x0
	s_load_b256 s[8:15], s[0:1], 0x18
	s_load_b128 s[20:23], s[0:1], 0x50
	v_bfe_u32 v12, v0, 10, 10
	s_lshl_b32 s3, ttmp7, 5
	v_and_b32_e32 v11, 0x3ff, v0
	s_and_b32 s3, s3, 0x1fffe0
	s_clause 0x1
	s_load_b128 s[4:7], s[0:1], 0x38
	s_load_b64 s[28:29], s[0:1], 0x60
	v_add_nc_u32_e32 v13, s3, v12
	s_lshl_b32 s34, ttmp9, 5
	s_cmp_neq_f32 s18, 0
	v_lshl_add_u32 v23, v12, 6, 0x800
	v_cmp_gt_i64_e64 s36, s[16:17], 0
	s_mov_b32 s27, 0
	s_cselect_b32 s0, -1, 0
	s_cmp_neq_f32 s19, 0
	s_cselect_b32 s1, -1, 0
	s_delay_alu instid0(SALU_CYCLE_1)
	s_or_b32 s35, s0, s1
	s_wait_kmcnt 0x0
	v_mad_co_u64_u32 v[6:7], null, s22, v13, 0
	v_and_b32_e32 v18, 7, v0
	v_lshl_add_u32 v0, v12, 4, v11
	s_cmp_neq_f32 s24, 0
	s_delay_alu instid0(VALU_DEP_1)
	v_lshrrev_b32_e32 v3, 3, v0
	v_lshrrev_b32_e32 v19, 5, v0
	v_and_b32_e32 v0, 31, v0
	s_cselect_b32 s37, -1, 0
	s_xor_b32 s38, s2, -1
	v_add_nc_u32_e32 v8, s3, v3
	s_delay_alu instid0(VALU_DEP_2) | instskip(SKIP_1) | instid1(VALU_DEP_3)
	v_or_b32_e32 v2, s34, v0
	v_lshlrev_b32_e32 v9, 3, v0
	v_mad_co_u64_u32 v[4:5], null, s4, v8, 0
	s_delay_alu instid0(VALU_DEP_3) | instskip(NEXT) | instid1(VALU_DEP_3)
	v_cmp_gt_i32_e64 s0, s33, v2
	v_lshl_or_b32 v20, v19, 8, v9
	v_cmp_le_i32_e64 s31, s33, v2
	s_delay_alu instid0(VALU_DEP_4) | instskip(SKIP_1) | instid1(VALU_DEP_2)
	v_dual_mov_b32 v0, v5 :: v_dual_lshlrev_b32 v5, 3, v18
	v_lshlrev_b32_e32 v22, 3, v11
	v_mad_co_u64_u32 v[0:1], null, s5, v8, v[0:1]
	s_delay_alu instid0(VALU_DEP_3) | instskip(SKIP_1) | instid1(VALU_DEP_2)
	v_lshl_or_b32 v1, v3, 6, v5
	v_ashrrev_i32_e32 v3, 31, v2
	v_add_nc_u32_e32 v21, 0x800, v1
	v_mov_b32_e32 v1, v7
	v_mov_b32_e32 v5, v0
	v_cmp_gt_i32_e32 vcc_lo, s33, v8
	s_delay_alu instid0(VALU_DEP_3) | instskip(SKIP_3) | instid1(VALU_DEP_4)
	v_mad_co_u64_u32 v[0:1], null, s23, v13, v[1:2]
	v_add_nc_u32_e32 v14, 16, v13
	v_lshlrev_b64_e32 v[2:3], 3, v[2:3]
	v_lshlrev_b64_e32 v[4:5], 3, v[4:5]
	v_mov_b32_e32 v7, v0
	s_delay_alu instid0(VALU_DEP_4) | instskip(NEXT) | instid1(VALU_DEP_2)
	v_mad_co_u64_u32 v[8:9], null, s22, v14, 0
	v_lshlrev_b64_e32 v[6:7], 3, v[6:7]
	s_delay_alu instid0(VALU_DEP_2) | instskip(NEXT) | instid1(VALU_DEP_1)
	v_mov_b32_e32 v0, v9
	v_mad_co_u64_u32 v[0:1], null, s23, v14, v[0:1]
	v_dual_mov_b32 v1, 0 :: v_dual_add_nc_u32 v10, s34, v11
	s_and_b32 s34, s35, s36
	s_or_b32 s35, s37, s38
	s_xor_b32 s36, vcc_lo, -1
	s_delay_alu instid0(VALU_DEP_1) | instskip(SKIP_3) | instid1(VALU_DEP_4)
	v_dual_mov_b32 v9, v0 :: v_dual_add_nc_u32 v12, 16, v10
	v_cmp_le_i32_e64 s1, v13, v10
	v_cmp_gt_i32_e64 s2, s33, v10
	v_ashrrev_i32_e32 v11, 31, v10
	v_lshlrev_b64_e32 v[8:9], 3, v[8:9]
	v_cmp_le_i32_e64 s3, v13, v12
	v_ashrrev_i32_e32 v13, 31, v12
	v_cmp_gt_i32_e64 s4, s33, v12
	s_and_b32 s22, s1, s2
	v_cmp_le_i32_e64 s1, v14, v10
	v_cmp_le_i32_e64 s5, v14, v12
	v_lshlrev_b64_e32 v[10:11], 3, v[10:11]
	v_lshlrev_b64_e32 v[12:13], 3, v[12:13]
	s_and_b32 s23, s3, s4
	s_and_b32 s1, s1, s2
	;; [unrolled: 1-line block ×3, first 2 shown]
	s_lshl_b64 s[2:3], s[6:7], 3
	s_lshl_b64 s[4:5], s[12:13], 3
	;; [unrolled: 1-line block ×3, first 2 shown]
                                        ; implicit-def: $vgpr14_vgpr15
	s_branch .LBB531_8
.LBB531_7:                              ;   in Loop: Header=BB531_8 Depth=1
	s_wait_alu 0xfffe
	s_or_b32 exec_lo, exec_lo, s12
	s_add_co_i32 s26, s26, 0x10000
	s_delay_alu instid0(SALU_CYCLE_1)
	s_cmp_lt_u32 s26, s30
	s_cbranch_scc0 .LBB531_42
.LBB531_8:                              ; =>This Loop Header: Depth=1
                                        ;     Child Loop BB531_11 Depth 2
	s_lshl_b64 s[12:13], s[26:27], 3
	s_wait_alu 0xfffe
	s_and_not1_b32 vcc_lo, exec_lo, s34
	s_add_nc_u64 s[28:29], s[20:21], s[12:13]
	global_load_b64 v[16:17], v1, s[28:29]
	s_wait_alu 0xfffe
	s_cbranch_vccnz .LBB531_21
; %bb.9:                                ;   in Loop: Header=BB531_8 Depth=1
	s_add_nc_u64 s[28:29], s[8:9], s[12:13]
	s_add_nc_u64 s[12:13], s[14:15], s[12:13]
	s_clause 0x1
	global_load_b64 v[24:25], v1, s[28:29]
	global_load_b64 v[26:27], v1, s[12:13]
	v_dual_mov_b32 v28, 0 :: v_dual_mov_b32 v29, 0
	v_dual_mov_b32 v31, 0 :: v_dual_mov_b32 v30, 0
	;; [unrolled: 1-line block ×4, first 2 shown]
	s_mov_b64 s[12:13], 0
	s_wait_loadcnt 0x1
	v_add_co_u32 v0, vcc_lo, v24, s4
	s_wait_alu 0xfffd
	v_add_co_ci_u32_e64 v25, null, s5, v25, vcc_lo
	s_wait_loadcnt 0x0
	v_add_co_u32 v26, vcc_lo, v26, s2
	s_wait_alu 0xfffd
	v_add_co_ci_u32_e64 v27, null, s3, v27, vcc_lo
	v_add_co_u32 v24, vcc_lo, v0, v2
	s_wait_alu 0xfffd
	v_add_co_ci_u32_e64 v25, null, v25, v3, vcc_lo
	;; [unrolled: 3-line block ×3, first 2 shown]
	s_branch .LBB531_11
.LBB531_10:                             ;   in Loop: Header=BB531_11 Depth=2
	s_or_b32 exec_lo, exec_lo, s28
	s_wait_dscnt 0x0
	s_barrier_signal -1
	s_barrier_wait -1
	global_inv scope:SCOPE_SE
	ds_load_b128 v[36:39], v23
	ds_load_2addr_b64 v[40:43], v22 offset1:16
	ds_load_b128 v[44:47], v23 offset:1024
	ds_load_b128 v[48:51], v23 offset:16
	;; [unrolled: 1-line block ×4, first 2 shown]
	ds_load_2addr_b64 v[60:63], v22 offset0:32 offset1:48
	ds_load_b128 v[64:67], v23 offset:1040
	s_add_nc_u64 s[12:13], s[12:13], 8
	s_wait_alu 0xfffe
	v_cmp_gt_i64_e64 s28, s[16:17], s[12:13]
	s_and_b32 vcc_lo, exec_lo, s28
	s_wait_dscnt 0x6
	v_mul_f32_e32 v0, v37, v41
	v_dual_mul_f32 v68, v36, v41 :: v_dual_mul_f32 v69, v37, v43
	s_wait_dscnt 0x5
	v_dual_mul_f32 v70, v36, v43 :: v_dual_mul_f32 v71, v45, v41
	v_dual_mul_f32 v41, v44, v41 :: v_dual_mul_f32 v72, v45, v43
	v_mul_f32_e32 v43, v44, v43
	v_fma_f32 v0, v36, v40, -v0
	v_fma_f32 v36, v36, v42, -v69
	v_fmac_f32_e32 v70, v37, v42
	v_fmac_f32_e32 v41, v45, v40
	;; [unrolled: 1-line block ×3, first 2 shown]
	v_fma_f32 v37, v44, v40, -v71
	v_fma_f32 v40, v44, v42, -v72
	v_dual_add_f32 v0, v34, v0 :: v_dual_fmac_f32 v43, v45, v42
	s_delay_alu instid0(VALU_DEP_4) | instskip(NEXT) | instid1(VALU_DEP_4)
	v_add_f32_e32 v34, v35, v68
	v_dual_add_f32 v35, v32, v36 :: v_dual_add_f32 v36, v30, v37
	v_add_f32_e32 v37, v31, v41
	s_wait_dscnt 0x1
	v_dual_mul_f32 v41, v39, v61 :: v_dual_add_f32 v40, v29, v40
	ds_load_2addr_b64 v[29:32], v22 offset0:64 offset1:80
	v_dual_add_f32 v33, v33, v70 :: v_dual_mul_f32 v44, v39, v63
	v_fma_f32 v41, v38, v60, -v41
	v_add_f32_e32 v28, v28, v43
	s_delay_alu instid0(VALU_DEP_2) | instskip(NEXT) | instid1(VALU_DEP_1)
	v_dual_mul_f32 v43, v38, v63 :: v_dual_add_f32 v0, v0, v41
	v_dual_mul_f32 v42, v38, v61 :: v_dual_fmac_f32 v43, v39, v62
	v_fma_f32 v38, v38, v62, -v44
	v_mul_f32_e32 v41, v47, v61
	s_delay_alu instid0(VALU_DEP_3) | instskip(SKIP_1) | instid1(VALU_DEP_4)
	v_fmac_f32_e32 v42, v39, v60
	v_mul_f32_e32 v39, v47, v63
	v_add_f32_e32 v38, v35, v38
	s_delay_alu instid0(VALU_DEP_4) | instskip(NEXT) | instid1(VALU_DEP_4)
	v_fma_f32 v35, v46, v60, -v41
	v_dual_add_f32 v41, v33, v43 :: v_dual_add_f32 v42, v34, v42
	v_mul_f32_e32 v43, v46, v63
	v_mul_f32_e32 v34, v46, v61
	v_fma_f32 v33, v46, v62, -v39
	s_wait_dscnt 0x0
	v_mul_f32_e32 v39, v48, v30
	v_fmac_f32_e32 v43, v47, v62
	v_fmac_f32_e32 v34, v47, v60
	v_dual_add_f32 v44, v36, v35 :: v_dual_mul_f32 v35, v49, v30
	s_delay_alu instid0(VALU_DEP_3) | instskip(NEXT) | instid1(VALU_DEP_3)
	v_dual_mul_f32 v46, v49, v32 :: v_dual_add_f32 v43, v28, v43
	v_add_f32_e32 v37, v37, v34
	v_dual_fmac_f32 v39, v49, v29 :: v_dual_mul_f32 v28, v48, v32
	v_add_f32_e32 v40, v40, v33
	v_fma_f32 v45, v48, v29, -v35
	ds_load_2addr_b64 v[33:36], v22 offset0:96 offset1:112
	v_add_f32_e32 v39, v42, v39
	v_fmac_f32_e32 v28, v49, v31
	v_add_f32_e32 v0, v0, v45
	v_fma_f32 v45, v48, v31, -v46
	s_delay_alu instid0(VALU_DEP_1) | instskip(SKIP_2) | instid1(VALU_DEP_2)
	v_dual_add_f32 v41, v41, v28 :: v_dual_add_f32 v38, v38, v45
	v_mul_f32_e32 v45, v65, v32
	v_mul_f32_e32 v32, v64, v32
	v_fma_f32 v28, v64, v31, -v45
	v_mul_f32_e32 v42, v65, v30
	s_delay_alu instid0(VALU_DEP_3)
	v_fmac_f32_e32 v32, v65, v31
	s_wait_dscnt 0x0
	v_dual_mul_f32 v30, v64, v30 :: v_dual_mul_f32 v49, v67, v36
	v_add_f32_e32 v45, v40, v28
	v_fma_f32 v42, v64, v29, -v42
	v_dual_mul_f32 v40, v50, v34 :: v_dual_add_f32 v43, v43, v32
	s_delay_alu instid0(VALU_DEP_4) | instskip(SKIP_1) | instid1(VALU_DEP_3)
	v_fmac_f32_e32 v30, v65, v29
	v_mul_f32_e32 v32, v50, v36
	v_fmac_f32_e32 v40, v51, v33
	v_add_f32_e32 v42, v44, v42
	s_delay_alu instid0(VALU_DEP_4)
	v_add_f32_e32 v44, v37, v30
	ds_load_2addr_b64 v[28:31], v22 offset0:128 offset1:144
	v_mul_f32_e32 v37, v51, v34
	v_mul_f32_e32 v46, v51, v36
	v_fmac_f32_e32 v32, v51, v35
	v_mul_f32_e32 v36, v66, v36
	s_delay_alu instid0(VALU_DEP_4) | instskip(NEXT) | instid1(VALU_DEP_1)
	v_fma_f32 v37, v50, v33, -v37
	v_dual_add_f32 v0, v0, v37 :: v_dual_mul_f32 v37, v67, v34
	v_mul_f32_e32 v34, v66, v34
	s_delay_alu instid0(VALU_DEP_2)
	v_fma_f32 v48, v66, v33, -v37
	s_wait_dscnt 0x0
	v_mul_f32_e32 v51, v52, v29
	v_fma_f32 v46, v50, v35, -v46
	v_add_f32_e32 v50, v41, v32
	v_fma_f32 v32, v66, v35, -v49
	s_delay_alu instid0(VALU_DEP_4) | instskip(NEXT) | instid1(VALU_DEP_4)
	v_fmac_f32_e32 v51, v53, v28
	v_dual_add_f32 v47, v39, v40 :: v_dual_add_f32 v46, v38, v46
	ds_load_b128 v[37:40], v23 offset:1056
	v_fmac_f32_e32 v34, v67, v33
	v_mul_f32_e32 v33, v53, v29
	v_dual_add_f32 v45, v45, v32 :: v_dual_fmac_f32 v36, v67, v35
	v_dual_add_f32 v47, v47, v51 :: v_dual_add_f32 v48, v42, v48
	s_delay_alu instid0(VALU_DEP_4) | instskip(NEXT) | instid1(VALU_DEP_4)
	v_add_f32_e32 v49, v44, v34
	v_fma_f32 v41, v52, v28, -v33
	ds_load_2addr_b64 v[32:35], v22 offset0:160 offset1:176
	v_mul_f32_e32 v42, v53, v31
	v_add_f32_e32 v36, v43, v36
	v_add_f32_e32 v0, v0, v41
	s_delay_alu instid0(VALU_DEP_3)
	v_fma_f32 v60, v52, v30, -v42
	v_mul_f32_e32 v52, v52, v31
	ds_load_b128 v[41:44], v23 offset:1072
	s_wait_dscnt 0x2
	v_mul_f32_e32 v61, v38, v29
	v_mul_f32_e32 v29, v37, v29
	v_dual_fmac_f32 v52, v53, v30 :: v_dual_mul_f32 v53, v38, v31
	s_delay_alu instid0(VALU_DEP_3) | instskip(NEXT) | instid1(VALU_DEP_3)
	v_fma_f32 v51, v37, v28, -v61
	v_fmac_f32_e32 v29, v38, v28
	s_delay_alu instid0(VALU_DEP_3) | instskip(SKIP_2) | instid1(VALU_DEP_4)
	v_add_f32_e32 v50, v50, v52
	v_mul_f32_e32 v52, v37, v31
	v_fma_f32 v28, v37, v30, -v53
	v_add_f32_e32 v37, v49, v29
	s_wait_dscnt 0x1
	s_delay_alu instid0(VALU_DEP_3) | instskip(NEXT) | instid1(VALU_DEP_3)
	v_dual_mul_f32 v49, v55, v33 :: v_dual_fmac_f32 v52, v38, v30
	v_add_f32_e32 v45, v45, v28
	ds_load_2addr_b64 v[28:31], v22 offset0:192 offset1:208
	v_mul_f32_e32 v38, v54, v33
	v_fma_f32 v49, v54, v32, -v49
	v_add_f32_e32 v46, v46, v60
	s_delay_alu instid0(VALU_DEP_3) | instskip(NEXT) | instid1(VALU_DEP_1)
	v_fmac_f32_e32 v38, v55, v32
	v_dual_add_f32 v0, v0, v49 :: v_dual_add_f32 v47, v47, v38
	v_add_f32_e32 v48, v48, v51
	v_dual_mul_f32 v51, v55, v35 :: v_dual_mul_f32 v38, v40, v33
	v_mul_f32_e32 v33, v39, v33
	s_delay_alu instid0(VALU_DEP_2) | instskip(NEXT) | instid1(VALU_DEP_3)
	v_fma_f32 v49, v54, v34, -v51
	v_fma_f32 v38, v39, v32, -v38
	s_delay_alu instid0(VALU_DEP_3) | instskip(NEXT) | instid1(VALU_DEP_3)
	v_dual_fmac_f32 v33, v40, v32 :: v_dual_mul_f32 v32, v39, v35
	v_dual_add_f32 v46, v46, v49 :: v_dual_mul_f32 v49, v40, v35
	s_delay_alu instid0(VALU_DEP_2) | instskip(SKIP_1) | instid1(VALU_DEP_4)
	v_dual_add_f32 v52, v36, v52 :: v_dual_add_f32 v33, v37, v33
	v_mul_f32_e32 v36, v54, v35
	v_fmac_f32_e32 v32, v40, v34
	s_delay_alu instid0(VALU_DEP_4) | instskip(SKIP_1) | instid1(VALU_DEP_3)
	v_fma_f32 v35, v39, v34, -v49
	s_wait_dscnt 0x0
	v_dual_mul_f32 v49, v42, v29 :: v_dual_fmac_f32 v36, v55, v34
	s_delay_alu instid0(VALU_DEP_2) | instskip(SKIP_1) | instid1(VALU_DEP_2)
	v_dual_add_f32 v34, v45, v35 :: v_dual_mul_f32 v35, v56, v29
	v_mul_f32_e32 v45, v57, v31
	v_dual_fmac_f32 v35, v57, v28 :: v_dual_add_f32 v48, v48, v38
	s_delay_alu instid0(VALU_DEP_2) | instskip(NEXT) | instid1(VALU_DEP_2)
	v_fma_f32 v45, v56, v30, -v45
	v_dual_add_f32 v35, v47, v35 :: v_dual_add_f32 v50, v50, v36
	v_mul_f32_e32 v36, v57, v29
	v_mul_f32_e32 v29, v41, v29
	;; [unrolled: 1-line block ×3, first 2 shown]
	v_add_f32_e32 v45, v46, v45
	v_fma_f32 v46, v41, v28, -v49
	v_fma_f32 v40, v56, v28, -v36
	ds_load_2addr_b64 v[36:39], v22 offset0:224 offset1:240
	v_fmac_f32_e32 v29, v42, v28
	v_add_f32_e32 v32, v52, v32
	s_wait_loadcnt_dscnt 0x0
	s_barrier_signal -1
	s_barrier_wait -1
	v_dual_add_f32 v29, v33, v29 :: v_dual_add_f32 v0, v0, v40
	v_mul_f32_e32 v40, v56, v31
	v_mul_f32_e32 v31, v41, v31
	v_fma_f32 v41, v41, v30, -v47
	global_inv scope:SCOPE_SE
	v_fmac_f32_e32 v40, v57, v30
	v_fmac_f32_e32 v31, v42, v30
	s_delay_alu instid0(VALU_DEP_1) | instskip(SKIP_3) | instid1(VALU_DEP_3)
	v_dual_add_f32 v41, v34, v41 :: v_dual_add_f32 v42, v32, v31
	v_mul_f32_e32 v33, v59, v37
	v_mul_f32_e32 v34, v59, v39
	;; [unrolled: 1-line block ×3, first 2 shown]
	v_fma_f32 v33, v58, v36, -v33
	s_delay_alu instid0(VALU_DEP_3) | instskip(NEXT) | instid1(VALU_DEP_2)
	v_fma_f32 v32, v58, v38, -v34
	v_dual_fmac_f32 v31, v59, v38 :: v_dual_add_f32 v34, v0, v33
	v_mul_f32_e32 v0, v44, v37
	s_delay_alu instid0(VALU_DEP_3)
	v_dual_add_f32 v32, v45, v32 :: v_dual_mul_f32 v45, v44, v39
	v_add_f32_e32 v28, v50, v40
	v_mul_f32_e32 v30, v58, v37
	v_dual_add_f32 v40, v48, v46 :: v_dual_mul_f32 v37, v43, v37
	v_fma_f32 v0, v43, v36, -v0
	v_mul_f32_e32 v39, v43, v39
	s_delay_alu instid0(VALU_DEP_4) | instskip(NEXT) | instid1(VALU_DEP_4)
	v_dual_add_f32 v33, v28, v31 :: v_dual_fmac_f32 v30, v59, v36
	v_fmac_f32_e32 v37, v44, v36
	s_delay_alu instid0(VALU_DEP_3) | instskip(NEXT) | instid1(VALU_DEP_3)
	v_fmac_f32_e32 v39, v44, v38
	v_dual_add_f32 v35, v35, v30 :: v_dual_add_f32 v30, v40, v0
	v_fma_f32 v0, v43, v38, -v45
	s_delay_alu instid0(VALU_DEP_3) | instskip(NEXT) | instid1(VALU_DEP_2)
	v_dual_add_f32 v31, v29, v37 :: v_dual_add_f32 v28, v42, v39
	v_add_f32_e32 v29, v41, v0
	s_wait_alu 0xfffe
	s_cbranch_vccz .LBB531_22
.LBB531_11:                             ;   Parent Loop BB531_8 Depth=1
                                        ; =>  This Inner Loop Header: Depth=2
	s_mov_b32 s28, 0
	s_mov_b32 s37, s31
	s_and_saveexec_b32 s29, s0
	s_cbranch_execnz .LBB531_19
; %bb.12:                               ;   in Loop: Header=BB531_11 Depth=2
	s_or_b32 exec_lo, exec_lo, s29
	s_and_saveexec_b32 s29, s37
	s_delay_alu instid0(SALU_CYCLE_1)
	s_xor_b32 s29, exec_lo, s29
	s_cbranch_execnz .LBB531_20
.LBB531_13:                             ;   in Loop: Header=BB531_11 Depth=2
	s_or_b32 exec_lo, exec_lo, s29
	s_and_saveexec_b32 s29, s28
	s_cbranch_execz .LBB531_15
.LBB531_14:                             ;   in Loop: Header=BB531_11 Depth=2
	v_mul_lo_u32 v0, s11, v14
	v_mul_lo_u32 v38, s10, v15
	v_mad_co_u64_u32 v[36:37], null, s10, v14, 0
	s_delay_alu instid0(VALU_DEP_1) | instskip(NEXT) | instid1(VALU_DEP_1)
	v_add3_u32 v37, v37, v38, v0
	v_lshlrev_b64_e32 v[36:37], 3, v[36:37]
	s_delay_alu instid0(VALU_DEP_1) | instskip(SKIP_1) | instid1(VALU_DEP_2)
	v_add_co_u32 v36, vcc_lo, v24, v36
	s_wait_alu 0xfffd
	v_add_co_ci_u32_e64 v37, null, v25, v37, vcc_lo
	flat_load_b64 v[36:37], v[36:37]
	s_wait_loadcnt_dscnt 0x0
	ds_store_b64 v20, v[36:37]
.LBB531_15:                             ;   in Loop: Header=BB531_11 Depth=2
	s_or_b32 exec_lo, exec_lo, s29
	s_wait_alu 0xfffe
	v_add_nc_u32_e32 v0, s12, v18
	s_delay_alu instid0(VALU_DEP_1) | instskip(SKIP_1) | instid1(SALU_CYCLE_1)
	v_cmp_le_u64_e32 vcc_lo, s[16:17], v[0:1]
	s_or_b32 s28, vcc_lo, s36
	s_and_saveexec_b32 s29, s28
	s_delay_alu instid0(SALU_CYCLE_1)
	s_xor_b32 s28, exec_lo, s29
; %bb.16:                               ;   in Loop: Header=BB531_11 Depth=2
	v_mov_b32_e32 v0, v1
	ds_store_b64 v21, v[0:1]
; %bb.17:                               ;   in Loop: Header=BB531_11 Depth=2
	s_and_not1_saveexec_b32 s28, s28
	s_cbranch_execz .LBB531_10
; %bb.18:                               ;   in Loop: Header=BB531_11 Depth=2
	v_lshlrev_b64_e32 v[36:37], 3, v[0:1]
	s_delay_alu instid0(VALU_DEP_1) | instskip(SKIP_1) | instid1(VALU_DEP_2)
	v_add_co_u32 v36, vcc_lo, v26, v36
	s_wait_alu 0xfffd
	v_add_co_ci_u32_e64 v37, null, v27, v37, vcc_lo
	flat_load_b64 v[36:37], v[36:37]
	s_wait_loadcnt_dscnt 0x0
	ds_store_b64 v21, v[36:37]
	s_branch .LBB531_10
.LBB531_19:                             ;   in Loop: Header=BB531_11 Depth=2
	s_wait_alu 0xfffe
	v_add_nc_u32_e32 v0, s12, v19
	v_mov_b32_e32 v15, v1
	s_and_not1_b32 s37, s31, exec_lo
	s_mov_b32 s28, exec_lo
	s_delay_alu instid0(VALU_DEP_2) | instskip(SKIP_2) | instid1(SALU_CYCLE_1)
	v_cmp_le_u64_e32 vcc_lo, s[16:17], v[0:1]
	v_mov_b32_e32 v14, v0
	s_and_b32 s38, vcc_lo, exec_lo
	s_or_b32 s37, s37, s38
	s_or_b32 exec_lo, exec_lo, s29
	s_and_saveexec_b32 s29, s37
	s_delay_alu instid0(SALU_CYCLE_1)
	s_xor_b32 s29, exec_lo, s29
	s_cbranch_execz .LBB531_13
.LBB531_20:                             ;   in Loop: Header=BB531_11 Depth=2
	v_mov_b32_e32 v0, v1
	s_and_not1_b32 s28, s28, exec_lo
	ds_store_b64 v20, v[0:1]
	s_or_b32 exec_lo, exec_lo, s29
	s_and_saveexec_b32 s29, s28
	s_cbranch_execnz .LBB531_14
	s_branch .LBB531_15
.LBB531_21:                             ;   in Loop: Header=BB531_8 Depth=1
	v_dual_mov_b32 v34, v1 :: v_dual_mov_b32 v35, v1
	v_dual_mov_b32 v32, v1 :: v_dual_mov_b32 v33, v1
	;; [unrolled: 1-line block ×4, first 2 shown]
.LBB531_22:                             ;   in Loop: Header=BB531_8 Depth=1
	s_wait_loadcnt 0x0
	v_add_co_u32 v0, vcc_lo, v16, s6
	s_wait_alu 0xfffd
	v_add_co_ci_u32_e64 v24, null, s7, v17, vcc_lo
	s_delay_alu instid0(VALU_DEP_2) | instskip(SKIP_1) | instid1(VALU_DEP_2)
	v_add_co_u32 v25, vcc_lo, v0, v6
	s_wait_alu 0xfffd
	v_add_co_ci_u32_e64 v26, null, v24, v7, vcc_lo
	s_and_saveexec_b32 s12, s22
	s_cbranch_execz .LBB531_27
; %bb.23:                               ;   in Loop: Header=BB531_8 Depth=1
	v_mul_f32_e32 v17, s18, v35
	v_mul_f32_e32 v16, s19, v35
	s_and_b32 vcc_lo, exec_lo, s35
	s_mov_b32 s13, -1
	s_delay_alu instid0(VALU_DEP_2) | instskip(NEXT) | instid1(VALU_DEP_2)
	v_fmac_f32_e32 v17, s19, v34
	v_fma_f32 v16, v34, s18, -v16
	s_wait_alu 0xfffe
	s_cbranch_vccz .LBB531_25
; %bb.24:                               ;   in Loop: Header=BB531_8 Depth=1
	v_add_co_u32 v34, vcc_lo, v25, v10
	s_wait_alu 0xfffd
	v_add_co_ci_u32_e64 v35, null, v26, v11, vcc_lo
	s_mov_b32 s13, 0
	flat_load_b64 v[36:37], v[34:35]
	s_wait_loadcnt_dscnt 0x0
	v_mul_f32_e32 v27, s25, v37
	s_delay_alu instid0(VALU_DEP_1) | instskip(SKIP_1) | instid1(VALU_DEP_1)
	v_fma_f32 v27, v36, s24, -v27
	v_mul_f32_e32 v37, s24, v37
	v_dual_fmac_f32 v37, s25, v36 :: v_dual_add_f32 v36, v16, v27
	s_delay_alu instid0(VALU_DEP_1)
	v_add_f32_e32 v37, v17, v37
	flat_store_b64 v[34:35], v[36:37]
.LBB531_25:                             ;   in Loop: Header=BB531_8 Depth=1
	s_wait_alu 0xfffe
	s_and_not1_b32 vcc_lo, exec_lo, s13
	s_wait_alu 0xfffe
	s_cbranch_vccnz .LBB531_27
; %bb.26:                               ;   in Loop: Header=BB531_8 Depth=1
	v_add_co_u32 v34, vcc_lo, v25, v10
	s_wait_alu 0xfffd
	v_add_co_ci_u32_e64 v35, null, v26, v11, vcc_lo
	flat_store_b64 v[34:35], v[16:17]
.LBB531_27:                             ;   in Loop: Header=BB531_8 Depth=1
	s_wait_alu 0xfffe
	s_or_b32 exec_lo, exec_lo, s12
	s_and_saveexec_b32 s12, s23
	s_cbranch_execz .LBB531_32
; %bb.28:                               ;   in Loop: Header=BB531_8 Depth=1
	v_mul_f32_e32 v17, s18, v33
	v_mul_f32_e32 v16, s19, v33
	s_and_not1_b32 vcc_lo, exec_lo, s35
	s_mov_b32 s13, -1
	s_delay_alu instid0(VALU_DEP_2) | instskip(NEXT) | instid1(VALU_DEP_2)
	v_fmac_f32_e32 v17, s19, v32
	v_fma_f32 v16, v32, s18, -v16
	s_wait_alu 0xfffe
	s_cbranch_vccnz .LBB531_30
; %bb.29:                               ;   in Loop: Header=BB531_8 Depth=1
	v_add_co_u32 v32, vcc_lo, v25, v12
	s_wait_alu 0xfffd
	v_add_co_ci_u32_e64 v33, null, v26, v13, vcc_lo
	s_mov_b32 s13, 0
	flat_load_b64 v[34:35], v[32:33]
	s_wait_loadcnt_dscnt 0x0
	v_mul_f32_e32 v27, s25, v35
	v_mul_f32_e32 v35, s24, v35
	s_delay_alu instid0(VALU_DEP_2) | instskip(NEXT) | instid1(VALU_DEP_1)
	v_fma_f32 v27, v34, s24, -v27
	v_dual_fmac_f32 v35, s25, v34 :: v_dual_add_f32 v34, v16, v27
	s_delay_alu instid0(VALU_DEP_1)
	v_add_f32_e32 v35, v17, v35
	flat_store_b64 v[32:33], v[34:35]
.LBB531_30:                             ;   in Loop: Header=BB531_8 Depth=1
	s_wait_alu 0xfffe
	s_and_not1_b32 vcc_lo, exec_lo, s13
	s_wait_alu 0xfffe
	s_cbranch_vccnz .LBB531_32
; %bb.31:                               ;   in Loop: Header=BB531_8 Depth=1
	v_add_co_u32 v25, vcc_lo, v25, v12
	s_wait_alu 0xfffd
	v_add_co_ci_u32_e64 v26, null, v26, v13, vcc_lo
	flat_store_b64 v[25:26], v[16:17]
.LBB531_32:                             ;   in Loop: Header=BB531_8 Depth=1
	s_wait_alu 0xfffe
	s_or_b32 exec_lo, exec_lo, s12
	v_add_co_u32 v0, vcc_lo, v0, v8
	s_wait_alu 0xfffd
	v_add_co_ci_u32_e64 v24, null, v24, v9, vcc_lo
	s_and_saveexec_b32 s12, s1
	s_cbranch_execz .LBB531_37
; %bb.33:                               ;   in Loop: Header=BB531_8 Depth=1
	v_mul_f32_e32 v17, s18, v31
	v_mul_f32_e32 v16, s19, v31
	s_and_not1_b32 vcc_lo, exec_lo, s35
	s_mov_b32 s13, -1
	s_delay_alu instid0(VALU_DEP_2) | instskip(NEXT) | instid1(VALU_DEP_2)
	v_fmac_f32_e32 v17, s19, v30
	v_fma_f32 v16, v30, s18, -v16
	s_wait_alu 0xfffe
	s_cbranch_vccnz .LBB531_35
; %bb.34:                               ;   in Loop: Header=BB531_8 Depth=1
	v_add_co_u32 v25, vcc_lo, v0, v10
	s_wait_alu 0xfffd
	v_add_co_ci_u32_e64 v26, null, v24, v11, vcc_lo
	s_mov_b32 s13, 0
	flat_load_b64 v[30:31], v[25:26]
	s_wait_loadcnt_dscnt 0x0
	v_mul_f32_e32 v27, s25, v31
	v_mul_f32_e32 v31, s24, v31
	s_delay_alu instid0(VALU_DEP_2) | instskip(NEXT) | instid1(VALU_DEP_1)
	v_fma_f32 v27, v30, s24, -v27
	v_dual_fmac_f32 v31, s25, v30 :: v_dual_add_f32 v30, v16, v27
	s_delay_alu instid0(VALU_DEP_1)
	v_add_f32_e32 v31, v17, v31
	flat_store_b64 v[25:26], v[30:31]
.LBB531_35:                             ;   in Loop: Header=BB531_8 Depth=1
	s_wait_alu 0xfffe
	s_and_not1_b32 vcc_lo, exec_lo, s13
	s_wait_alu 0xfffe
	s_cbranch_vccnz .LBB531_37
; %bb.36:                               ;   in Loop: Header=BB531_8 Depth=1
	v_add_co_u32 v25, vcc_lo, v0, v10
	s_wait_alu 0xfffd
	v_add_co_ci_u32_e64 v26, null, v24, v11, vcc_lo
	flat_store_b64 v[25:26], v[16:17]
.LBB531_37:                             ;   in Loop: Header=BB531_8 Depth=1
	s_wait_alu 0xfffe
	s_or_b32 exec_lo, exec_lo, s12
	s_and_saveexec_b32 s12, s33
	s_cbranch_execz .LBB531_7
; %bb.38:                               ;   in Loop: Header=BB531_8 Depth=1
	v_mul_f32_e32 v17, s18, v28
	v_mul_f32_e32 v16, s19, v28
	s_and_not1_b32 vcc_lo, exec_lo, s35
	s_mov_b32 s13, -1
	s_delay_alu instid0(VALU_DEP_2) | instskip(NEXT) | instid1(VALU_DEP_2)
	v_fmac_f32_e32 v17, s19, v29
	v_fma_f32 v16, v29, s18, -v16
	s_wait_alu 0xfffe
	s_cbranch_vccnz .LBB531_40
; %bb.39:                               ;   in Loop: Header=BB531_8 Depth=1
	v_add_co_u32 v25, vcc_lo, v0, v12
	s_wait_alu 0xfffd
	v_add_co_ci_u32_e64 v26, null, v24, v13, vcc_lo
	s_mov_b32 s13, 0
	flat_load_b64 v[27:28], v[25:26]
	s_wait_loadcnt_dscnt 0x0
	v_mul_f32_e32 v29, s25, v28
	v_mul_f32_e32 v28, s24, v28
	s_delay_alu instid0(VALU_DEP_1) | instskip(NEXT) | instid1(VALU_DEP_3)
	v_fmac_f32_e32 v28, s25, v27
	v_fma_f32 v29, v27, s24, -v29
	s_delay_alu instid0(VALU_DEP_1)
	v_dual_add_f32 v28, v17, v28 :: v_dual_add_f32 v27, v16, v29
	flat_store_b64 v[25:26], v[27:28]
.LBB531_40:                             ;   in Loop: Header=BB531_8 Depth=1
	s_wait_alu 0xfffe
	s_and_not1_b32 vcc_lo, exec_lo, s13
	s_wait_alu 0xfffe
	s_cbranch_vccnz .LBB531_7
; %bb.41:                               ;   in Loop: Header=BB531_8 Depth=1
	v_add_co_u32 v25, vcc_lo, v0, v12
	s_wait_alu 0xfffd
	v_add_co_ci_u32_e64 v26, null, v24, v13, vcc_lo
	flat_store_b64 v[25:26], v[16:17]
	s_branch .LBB531_7
.LBB531_42:
	s_endpgm
	.section	.rodata,"a",@progbits
	.p2align	6, 0x0
	.amdhsa_kernel _ZL29rocblas_internal_gemmt_kernelIlLi16ELi32ELi8ELc78ELc78ELc76ELb0ELb0E19rocblas_complex_numIfES1_PKPKS1_PKPS1_EviT_T9_T10_S9_lSB_S9_lSA_T11_S9_li
		.amdhsa_group_segment_fixed_size 4096
		.amdhsa_private_segment_fixed_size 0
		.amdhsa_kernarg_size 108
		.amdhsa_user_sgpr_count 2
		.amdhsa_user_sgpr_dispatch_ptr 0
		.amdhsa_user_sgpr_queue_ptr 0
		.amdhsa_user_sgpr_kernarg_segment_ptr 1
		.amdhsa_user_sgpr_dispatch_id 0
		.amdhsa_user_sgpr_private_segment_size 0
		.amdhsa_wavefront_size32 1
		.amdhsa_uses_dynamic_stack 0
		.amdhsa_enable_private_segment 0
		.amdhsa_system_sgpr_workgroup_id_x 1
		.amdhsa_system_sgpr_workgroup_id_y 1
		.amdhsa_system_sgpr_workgroup_id_z 1
		.amdhsa_system_sgpr_workgroup_info 0
		.amdhsa_system_vgpr_workitem_id 1
		.amdhsa_next_free_vgpr 73
		.amdhsa_next_free_sgpr 39
		.amdhsa_reserve_vcc 1
		.amdhsa_float_round_mode_32 0
		.amdhsa_float_round_mode_16_64 0
		.amdhsa_float_denorm_mode_32 3
		.amdhsa_float_denorm_mode_16_64 3
		.amdhsa_fp16_overflow 0
		.amdhsa_workgroup_processor_mode 1
		.amdhsa_memory_ordered 1
		.amdhsa_forward_progress 1
		.amdhsa_inst_pref_size 27
		.amdhsa_round_robin_scheduling 0
		.amdhsa_exception_fp_ieee_invalid_op 0
		.amdhsa_exception_fp_denorm_src 0
		.amdhsa_exception_fp_ieee_div_zero 0
		.amdhsa_exception_fp_ieee_overflow 0
		.amdhsa_exception_fp_ieee_underflow 0
		.amdhsa_exception_fp_ieee_inexact 0
		.amdhsa_exception_int_div_zero 0
	.end_amdhsa_kernel
	.section	.text._ZL29rocblas_internal_gemmt_kernelIlLi16ELi32ELi8ELc78ELc78ELc76ELb0ELb0E19rocblas_complex_numIfES1_PKPKS1_PKPS1_EviT_T9_T10_S9_lSB_S9_lSA_T11_S9_li,"axG",@progbits,_ZL29rocblas_internal_gemmt_kernelIlLi16ELi32ELi8ELc78ELc78ELc76ELb0ELb0E19rocblas_complex_numIfES1_PKPKS1_PKPS1_EviT_T9_T10_S9_lSB_S9_lSA_T11_S9_li,comdat
.Lfunc_end531:
	.size	_ZL29rocblas_internal_gemmt_kernelIlLi16ELi32ELi8ELc78ELc78ELc76ELb0ELb0E19rocblas_complex_numIfES1_PKPKS1_PKPS1_EviT_T9_T10_S9_lSB_S9_lSA_T11_S9_li, .Lfunc_end531-_ZL29rocblas_internal_gemmt_kernelIlLi16ELi32ELi8ELc78ELc78ELc76ELb0ELb0E19rocblas_complex_numIfES1_PKPKS1_PKPS1_EviT_T9_T10_S9_lSB_S9_lSA_T11_S9_li
                                        ; -- End function
	.set _ZL29rocblas_internal_gemmt_kernelIlLi16ELi32ELi8ELc78ELc78ELc76ELb0ELb0E19rocblas_complex_numIfES1_PKPKS1_PKPS1_EviT_T9_T10_S9_lSB_S9_lSA_T11_S9_li.num_vgpr, 73
	.set _ZL29rocblas_internal_gemmt_kernelIlLi16ELi32ELi8ELc78ELc78ELc76ELb0ELb0E19rocblas_complex_numIfES1_PKPKS1_PKPS1_EviT_T9_T10_S9_lSB_S9_lSA_T11_S9_li.num_agpr, 0
	.set _ZL29rocblas_internal_gemmt_kernelIlLi16ELi32ELi8ELc78ELc78ELc76ELb0ELb0E19rocblas_complex_numIfES1_PKPKS1_PKPS1_EviT_T9_T10_S9_lSB_S9_lSA_T11_S9_li.numbered_sgpr, 39
	.set _ZL29rocblas_internal_gemmt_kernelIlLi16ELi32ELi8ELc78ELc78ELc76ELb0ELb0E19rocblas_complex_numIfES1_PKPKS1_PKPS1_EviT_T9_T10_S9_lSB_S9_lSA_T11_S9_li.num_named_barrier, 0
	.set _ZL29rocblas_internal_gemmt_kernelIlLi16ELi32ELi8ELc78ELc78ELc76ELb0ELb0E19rocblas_complex_numIfES1_PKPKS1_PKPS1_EviT_T9_T10_S9_lSB_S9_lSA_T11_S9_li.private_seg_size, 0
	.set _ZL29rocblas_internal_gemmt_kernelIlLi16ELi32ELi8ELc78ELc78ELc76ELb0ELb0E19rocblas_complex_numIfES1_PKPKS1_PKPS1_EviT_T9_T10_S9_lSB_S9_lSA_T11_S9_li.uses_vcc, 1
	.set _ZL29rocblas_internal_gemmt_kernelIlLi16ELi32ELi8ELc78ELc78ELc76ELb0ELb0E19rocblas_complex_numIfES1_PKPKS1_PKPS1_EviT_T9_T10_S9_lSB_S9_lSA_T11_S9_li.uses_flat_scratch, 0
	.set _ZL29rocblas_internal_gemmt_kernelIlLi16ELi32ELi8ELc78ELc78ELc76ELb0ELb0E19rocblas_complex_numIfES1_PKPKS1_PKPS1_EviT_T9_T10_S9_lSB_S9_lSA_T11_S9_li.has_dyn_sized_stack, 0
	.set _ZL29rocblas_internal_gemmt_kernelIlLi16ELi32ELi8ELc78ELc78ELc76ELb0ELb0E19rocblas_complex_numIfES1_PKPKS1_PKPS1_EviT_T9_T10_S9_lSB_S9_lSA_T11_S9_li.has_recursion, 0
	.set _ZL29rocblas_internal_gemmt_kernelIlLi16ELi32ELi8ELc78ELc78ELc76ELb0ELb0E19rocblas_complex_numIfES1_PKPKS1_PKPS1_EviT_T9_T10_S9_lSB_S9_lSA_T11_S9_li.has_indirect_call, 0
	.section	.AMDGPU.csdata,"",@progbits
; Kernel info:
; codeLenInByte = 3332
; TotalNumSgprs: 41
; NumVgprs: 73
; ScratchSize: 0
; MemoryBound: 0
; FloatMode: 240
; IeeeMode: 1
; LDSByteSize: 4096 bytes/workgroup (compile time only)
; SGPRBlocks: 0
; VGPRBlocks: 9
; NumSGPRsForWavesPerEU: 41
; NumVGPRsForWavesPerEU: 73
; Occupancy: 16
; WaveLimiterHint : 1
; COMPUTE_PGM_RSRC2:SCRATCH_EN: 0
; COMPUTE_PGM_RSRC2:USER_SGPR: 2
; COMPUTE_PGM_RSRC2:TRAP_HANDLER: 0
; COMPUTE_PGM_RSRC2:TGID_X_EN: 1
; COMPUTE_PGM_RSRC2:TGID_Y_EN: 1
; COMPUTE_PGM_RSRC2:TGID_Z_EN: 1
; COMPUTE_PGM_RSRC2:TIDIG_COMP_CNT: 1
	.section	.text._ZL29rocblas_internal_gemmt_kernelIlLi16ELi32ELi8ELc78ELc84ELc76ELb0ELb0E19rocblas_complex_numIfES1_PKPKS1_PKPS1_EviT_T9_T10_S9_lSB_S9_lSA_T11_S9_li,"axG",@progbits,_ZL29rocblas_internal_gemmt_kernelIlLi16ELi32ELi8ELc78ELc84ELc76ELb0ELb0E19rocblas_complex_numIfES1_PKPKS1_PKPS1_EviT_T9_T10_S9_lSB_S9_lSA_T11_S9_li,comdat
	.globl	_ZL29rocblas_internal_gemmt_kernelIlLi16ELi32ELi8ELc78ELc84ELc76ELb0ELb0E19rocblas_complex_numIfES1_PKPKS1_PKPS1_EviT_T9_T10_S9_lSB_S9_lSA_T11_S9_li ; -- Begin function _ZL29rocblas_internal_gemmt_kernelIlLi16ELi32ELi8ELc78ELc84ELc76ELb0ELb0E19rocblas_complex_numIfES1_PKPKS1_PKPS1_EviT_T9_T10_S9_lSB_S9_lSA_T11_S9_li
	.p2align	8
	.type	_ZL29rocblas_internal_gemmt_kernelIlLi16ELi32ELi8ELc78ELc84ELc76ELb0ELb0E19rocblas_complex_numIfES1_PKPKS1_PKPS1_EviT_T9_T10_S9_lSB_S9_lSA_T11_S9_li,@function
_ZL29rocblas_internal_gemmt_kernelIlLi16ELi32ELi8ELc78ELc84ELc76ELb0ELb0E19rocblas_complex_numIfES1_PKPKS1_PKPS1_EviT_T9_T10_S9_lSB_S9_lSA_T11_S9_li: ; @_ZL29rocblas_internal_gemmt_kernelIlLi16ELi32ELi8ELc78ELc84ELc76ELb0ELb0E19rocblas_complex_numIfES1_PKPKS1_PKPS1_EviT_T9_T10_S9_lSB_S9_lSA_T11_S9_li
; %bb.0:
	s_clause 0x1
	s_load_b64 s[6:7], s[0:1], 0x48
	s_load_b128 s[16:19], s[0:1], 0x8
	s_wait_kmcnt 0x0
	s_cmp_eq_f32 s6, 1.0
	s_cselect_b32 s3, -1, 0
	s_and_b32 s2, s7, 0x7fffffff
	s_delay_alu instid0(SALU_CYCLE_1) | instskip(SKIP_1) | instid1(SALU_CYCLE_1)
	s_cmp_eq_u32 s2, 0
	s_cselect_b32 s2, -1, 0
	s_and_b32 s4, s3, s2
	s_mov_b32 s3, 0
	s_and_not1_b32 vcc_lo, exec_lo, s4
	s_mov_b32 s4, -1
	s_cbranch_vccnz .LBB532_4
; %bb.1:
	s_cmp_lg_u64 s[16:17], 0
	s_cbranch_scc0 .LBB532_3
; %bb.2:
	s_cmp_neq_f32 s18, 0
	s_cselect_b32 s3, -1, 0
	s_cmp_neq_f32 s19, 0
	s_cselect_b32 s4, -1, 0
	s_delay_alu instid0(SALU_CYCLE_1)
	s_or_b32 s3, s3, s4
.LBB532_3:
	s_delay_alu instid0(SALU_CYCLE_1)
	s_mov_b32 s4, s3
.LBB532_4:
	s_delay_alu instid0(SALU_CYCLE_1)
	s_and_b32 vcc_lo, exec_lo, s4
	s_cbranch_vccz .LBB532_42
; %bb.5:
	s_load_b32 s33, s[0:1], 0x68
	s_lshr_b32 s28, ttmp7, 16
	s_wait_kmcnt 0x0
	s_cmp_ge_u32 s28, s33
	s_cbranch_scc1 .LBB532_42
; %bb.6:
	s_clause 0x1
	s_load_b128 s[20:23], s[0:1], 0x38
	s_load_b128 s[24:27], s[0:1], 0x50
	v_bfe_u32 v10, v0, 10, 10
	s_lshl_b32 s3, ttmp7, 5
	v_and_b32_e32 v16, 7, v0
	s_and_b32 s3, s3, 0x1fffe0
	s_lshl_b32 s5, ttmp9, 5
	v_add_nc_u32_e32 v11, s3, v10
	s_load_b32 s4, s[0:1], 0x0
	s_cmp_neq_f32 s18, 0
	s_clause 0x1
	s_load_b256 s[8:15], s[0:1], 0x18
	s_load_b64 s[30:31], s[0:1], 0x60
	v_add_nc_u32_e32 v15, 16, v11
	s_cselect_b32 s34, -1, 0
	s_cmp_neq_f32 s19, 0
	v_lshl_add_u32 v21, v10, 6, 0x800
	v_cmp_gt_i64_e64 s37, s[16:17], 0
	s_mov_b32 s29, 0
	s_cselect_b32 s0, -1, 0
	s_delay_alu instid0(SALU_CYCLE_1)
	s_or_b32 s36, s34, s0
	s_wait_kmcnt 0x0
	v_mad_co_u64_u32 v[4:5], null, s26, v11, 0
	v_and_b32_e32 v9, 0x3ff, v0
	s_cmp_neq_f32 s6, 0
	s_cselect_b32 s38, -1, 0
	s_delay_alu instid0(VALU_DEP_1) | instskip(SKIP_3) | instid1(VALU_DEP_1)
	v_lshl_add_u32 v0, v10, 4, v9
	s_xor_b32 s39, s2, -1
	s_and_b32 s36, s36, s37
	s_or_b32 s37, s38, s39
	v_and_b32_e32 v1, 31, v0
	v_lshrrev_b32_e32 v17, 5, v0
	v_lshrrev_b32_e32 v0, 3, v0
	s_delay_alu instid0(VALU_DEP_3) | instskip(SKIP_1) | instid1(VALU_DEP_3)
	v_or_b32_e32 v2, s5, v1
	v_lshlrev_b32_e32 v1, 3, v1
	v_add_nc_u32_e32 v14, s3, v0
	s_delay_alu instid0(VALU_DEP_3) | instskip(NEXT) | instid1(VALU_DEP_3)
	v_cmp_gt_i32_e64 s0, s4, v2
	v_lshl_or_b32 v18, v17, 8, v1
	v_mov_b32_e32 v1, 0
	v_lshlrev_b32_e32 v3, 3, v16
	v_cmp_le_i32_e64 s34, s4, v2
	s_delay_alu instid0(VALU_DEP_2) | instskip(SKIP_1) | instid1(VALU_DEP_2)
	v_lshl_or_b32 v0, v0, 6, v3
	v_ashrrev_i32_e32 v3, 31, v2
	v_dual_mov_b32 v0, v5 :: v_dual_add_nc_u32 v19, 0x800, v0
	v_add_nc_u32_e32 v8, s5, v9
	v_lshlrev_b32_e32 v20, 3, v9
	s_delay_alu instid0(VALU_DEP_4) | instskip(NEXT) | instid1(VALU_DEP_4)
	v_lshlrev_b64_e32 v[2:3], 3, v[2:3]
	v_mad_co_u64_u32 v[5:6], null, s27, v11, v[0:1]
	v_mad_co_u64_u32 v[6:7], null, s26, v15, 0
	v_add_nc_u32_e32 v10, 16, v8
	v_cmp_le_i32_e64 s1, v11, v8
	v_cmp_gt_i32_e64 s2, s4, v8
	v_ashrrev_i32_e32 v9, 31, v8
	v_lshlrev_b64_e32 v[4:5], 3, v[4:5]
	v_cmp_le_i32_e64 s3, v11, v10
	v_mov_b32_e32 v0, v7
	v_ashrrev_i32_e32 v11, 31, v10
	s_and_b32 s26, s1, s2
	v_cmp_le_i32_e64 s1, v15, v8
	v_cmp_le_i32_e64 s5, v15, v10
	v_mad_co_u64_u32 v[12:13], null, s27, v15, v[0:1]
	v_lshlrev_b64_e32 v[8:9], 3, v[8:9]
	s_delay_alu instid0(VALU_DEP_4) | instskip(NEXT) | instid1(VALU_DEP_2)
	s_and_b32 s1, s1, s2
	v_mov_b32_e32 v7, v12
	v_cmp_gt_i32_e32 vcc_lo, s4, v14
	v_cmp_gt_i32_e64 s4, s4, v10
	v_lshlrev_b64_e32 v[10:11], 3, v[10:11]
	v_lshlrev_b32_e32 v22, 3, v14
	v_lshlrev_b64_e32 v[6:7], 3, v[6:7]
	s_xor_b32 s38, vcc_lo, -1
	s_and_b32 s27, s3, s4
	s_and_b32 s35, s5, s4
	s_lshl_b64 s[2:3], s[22:23], 3
	s_lshl_b64 s[4:5], s[12:13], 3
	;; [unrolled: 1-line block ×3, first 2 shown]
                                        ; implicit-def: $vgpr12_vgpr13
	s_branch .LBB532_8
.LBB532_7:                              ;   in Loop: Header=BB532_8 Depth=1
	s_wait_alu 0xfffe
	s_or_b32 exec_lo, exec_lo, s22
	s_add_co_i32 s28, s28, 0x10000
	s_delay_alu instid0(SALU_CYCLE_1)
	s_cmp_lt_u32 s28, s33
	s_cbranch_scc0 .LBB532_42
.LBB532_8:                              ; =>This Loop Header: Depth=1
                                        ;     Child Loop BB532_11 Depth 2
	s_lshl_b64 s[22:23], s[28:29], 3
	s_and_not1_b32 vcc_lo, exec_lo, s36
	s_wait_alu 0xfffe
	s_add_nc_u64 s[30:31], s[24:25], s[22:23]
	global_load_b64 v[14:15], v1, s[30:31]
	s_cbranch_vccnz .LBB532_21
; %bb.9:                                ;   in Loop: Header=BB532_8 Depth=1
	s_add_nc_u64 s[30:31], s[8:9], s[22:23]
	s_add_nc_u64 s[22:23], s[14:15], s[22:23]
	s_clause 0x1
	global_load_b64 v[23:24], v1, s[30:31]
	global_load_b64 v[25:26], v1, s[22:23]
	v_dual_mov_b32 v27, 0 :: v_dual_mov_b32 v28, 0
	v_dual_mov_b32 v30, 0 :: v_dual_mov_b32 v29, 0
	;; [unrolled: 1-line block ×4, first 2 shown]
	s_mov_b64 s[22:23], 0
	s_wait_loadcnt 0x1
	v_add_co_u32 v0, vcc_lo, v23, s4
	s_wait_alu 0xfffd
	v_add_co_ci_u32_e64 v24, null, s5, v24, vcc_lo
	s_wait_loadcnt 0x0
	v_add_co_u32 v25, vcc_lo, v25, s2
	s_wait_alu 0xfffd
	v_add_co_ci_u32_e64 v26, null, s3, v26, vcc_lo
	v_add_co_u32 v23, vcc_lo, v0, v2
	s_wait_alu 0xfffd
	v_add_co_ci_u32_e64 v24, null, v24, v3, vcc_lo
	;; [unrolled: 3-line block ×3, first 2 shown]
	s_branch .LBB532_11
.LBB532_10:                             ;   in Loop: Header=BB532_11 Depth=2
	s_or_b32 exec_lo, exec_lo, s30
	s_wait_dscnt 0x0
	s_barrier_signal -1
	s_barrier_wait -1
	global_inv scope:SCOPE_SE
	ds_load_b128 v[35:38], v21
	ds_load_2addr_b64 v[39:42], v20 offset1:16
	ds_load_b128 v[43:46], v21 offset:1024
	ds_load_b128 v[47:50], v21 offset:16
	;; [unrolled: 1-line block ×4, first 2 shown]
	ds_load_2addr_b64 v[59:62], v20 offset0:32 offset1:48
	ds_load_b128 v[63:66], v21 offset:1040
	s_add_nc_u64 s[22:23], s[22:23], 8
	s_wait_alu 0xfffe
	v_cmp_gt_i64_e64 s30, s[16:17], s[22:23]
	s_and_b32 vcc_lo, exec_lo, s30
	s_wait_dscnt 0x6
	v_dual_mul_f32 v0, v36, v40 :: v_dual_mul_f32 v69, v35, v42
	v_dual_mul_f32 v67, v35, v40 :: v_dual_mul_f32 v68, v36, v42
	s_wait_dscnt 0x5
	v_mul_f32_e32 v71, v44, v42
	s_delay_alu instid0(VALU_DEP_3) | instskip(SKIP_3) | instid1(VALU_DEP_4)
	v_fma_f32 v0, v35, v39, -v0
	v_dual_mul_f32 v42, v43, v42 :: v_dual_fmac_f32 v69, v36, v41
	v_fmac_f32_e32 v67, v36, v39
	v_fma_f32 v35, v35, v41, -v68
	v_add_f32_e32 v0, v33, v0
	v_mul_f32_e32 v70, v44, v40
	s_delay_alu instid0(VALU_DEP_4) | instskip(NEXT) | instid1(VALU_DEP_4)
	v_dual_mul_f32 v40, v43, v40 :: v_dual_add_f32 v33, v34, v67
	v_add_f32_e32 v34, v31, v35
	v_fmac_f32_e32 v42, v44, v41
	s_delay_alu instid0(VALU_DEP_4) | instskip(NEXT) | instid1(VALU_DEP_4)
	v_fma_f32 v36, v43, v39, -v70
	v_fmac_f32_e32 v40, v44, v39
	v_fma_f32 v39, v43, v41, -v71
	s_wait_dscnt 0x1
	v_dual_mul_f32 v41, v37, v60 :: v_dual_add_f32 v32, v32, v69
	v_mul_f32_e32 v43, v38, v62
	v_add_f32_e32 v35, v29, v36
	v_dual_add_f32 v36, v30, v40 :: v_dual_add_f32 v39, v28, v39
	ds_load_2addr_b64 v[28:31], v20 offset0:64 offset1:80
	v_fmac_f32_e32 v41, v38, v59
	v_dual_mul_f32 v40, v38, v60 :: v_dual_add_f32 v27, v27, v42
	v_mul_f32_e32 v42, v37, v62
	s_delay_alu instid0(VALU_DEP_3) | instskip(NEXT) | instid1(VALU_DEP_3)
	v_add_f32_e32 v41, v33, v41
	v_fma_f32 v40, v37, v59, -v40
	v_fma_f32 v37, v37, v61, -v43
	v_mul_f32_e32 v33, v45, v60
	s_delay_alu instid0(VALU_DEP_3) | instskip(SKIP_1) | instid1(VALU_DEP_4)
	v_add_f32_e32 v0, v0, v40
	v_mul_f32_e32 v40, v46, v60
	v_add_f32_e32 v37, v34, v37
	v_fmac_f32_e32 v42, v38, v61
	v_mul_f32_e32 v38, v46, v62
	v_fmac_f32_e32 v33, v46, v59
	v_fma_f32 v34, v45, v59, -v40
	s_delay_alu instid0(VALU_DEP_4) | instskip(SKIP_4) | instid1(VALU_DEP_3)
	v_add_f32_e32 v40, v32, v42
	v_mul_f32_e32 v42, v45, v62
	v_fma_f32 v32, v45, v61, -v38
	s_wait_dscnt 0x0
	v_dual_add_f32 v43, v35, v34 :: v_dual_mul_f32 v34, v48, v29
	v_dual_mul_f32 v45, v48, v31 :: v_dual_fmac_f32 v42, v46, v61
	v_mul_f32_e32 v38, v47, v29
	v_add_f32_e32 v39, v39, v32
	s_delay_alu instid0(VALU_DEP_3) | instskip(SKIP_3) | instid1(VALU_DEP_3)
	v_add_f32_e32 v42, v27, v42
	v_mul_f32_e32 v27, v47, v31
	v_fma_f32 v44, v47, v28, -v34
	v_fmac_f32_e32 v38, v48, v28
	v_fmac_f32_e32 v27, v48, v30
	s_delay_alu instid0(VALU_DEP_3)
	v_add_f32_e32 v0, v0, v44
	v_fma_f32 v44, v47, v30, -v45
	v_add_f32_e32 v36, v36, v33
	ds_load_2addr_b64 v[32:35], v20 offset0:96 offset1:112
	v_dual_add_f32 v38, v41, v38 :: v_dual_mul_f32 v41, v64, v29
	v_mul_f32_e32 v29, v63, v29
	v_dual_add_f32 v37, v37, v44 :: v_dual_mul_f32 v44, v64, v31
	v_mul_f32_e32 v31, v63, v31
	s_delay_alu instid0(VALU_DEP_4) | instskip(NEXT) | instid1(VALU_DEP_4)
	v_fma_f32 v41, v63, v28, -v41
	v_fmac_f32_e32 v29, v64, v28
	v_add_f32_e32 v40, v40, v27
	v_fma_f32 v27, v63, v30, -v44
	v_fmac_f32_e32 v31, v64, v30
	v_add_f32_e32 v41, v43, v41
	s_delay_alu instid0(VALU_DEP_3) | instskip(SKIP_4) | instid1(VALU_DEP_2)
	v_dual_add_f32 v43, v36, v29 :: v_dual_add_f32 v44, v39, v27
	ds_load_2addr_b64 v[27:30], v20 offset0:128 offset1:144
	s_wait_dscnt 0x1
	v_mul_f32_e32 v36, v50, v33
	v_dual_mul_f32 v39, v49, v33 :: v_dual_mul_f32 v48, v66, v35
	v_fma_f32 v36, v49, v32, -v36
	v_mul_f32_e32 v45, v50, v35
	s_delay_alu instid0(VALU_DEP_3) | instskip(NEXT) | instid1(VALU_DEP_3)
	v_fmac_f32_e32 v39, v50, v32
	v_add_f32_e32 v0, v0, v36
	s_delay_alu instid0(VALU_DEP_3) | instskip(SKIP_3) | instid1(VALU_DEP_4)
	v_fma_f32 v45, v49, v34, -v45
	v_add_f32_e32 v42, v42, v31
	v_dual_mul_f32 v31, v49, v35 :: v_dual_mul_f32 v36, v66, v33
	v_dual_add_f32 v46, v38, v39 :: v_dual_mul_f32 v33, v65, v33
	v_add_f32_e32 v45, v37, v45
	s_delay_alu instid0(VALU_DEP_3) | instskip(NEXT) | instid1(VALU_DEP_4)
	v_fmac_f32_e32 v31, v50, v34
	v_fma_f32 v47, v65, v32, -v36
	ds_load_b128 v[36:39], v21 offset:1056
	v_fmac_f32_e32 v33, v66, v32
	s_wait_dscnt 0x1
	v_mul_f32_e32 v32, v52, v28
	v_add_f32_e32 v49, v40, v31
	v_dual_mul_f32 v35, v65, v35 :: v_dual_mul_f32 v50, v51, v28
	s_delay_alu instid0(VALU_DEP_3)
	v_fma_f32 v40, v51, v27, -v32
	v_add_f32_e32 v47, v41, v47
	v_mul_f32_e32 v41, v52, v30
	v_fma_f32 v31, v65, v34, -v48
	v_dual_fmac_f32 v35, v66, v34 :: v_dual_fmac_f32 v50, v52, v27
	v_add_f32_e32 v0, v0, v40
	s_delay_alu instid0(VALU_DEP_4) | instskip(NEXT) | instid1(VALU_DEP_4)
	v_fma_f32 v59, v51, v29, -v41
	v_add_f32_e32 v44, v44, v31
	v_add_f32_e32 v48, v43, v33
	ds_load_2addr_b64 v[31:34], v20 offset0:160 offset1:176
	v_add_f32_e32 v35, v42, v35
	ds_load_b128 v[40:43], v21 offset:1072
	s_wait_dscnt 0x2
	v_dual_mul_f32 v51, v51, v30 :: v_dual_mul_f32 v60, v37, v28
	v_mul_f32_e32 v28, v36, v28
	s_delay_alu instid0(VALU_DEP_2) | instskip(SKIP_1) | instid1(VALU_DEP_3)
	v_dual_add_f32 v46, v46, v50 :: v_dual_fmac_f32 v51, v52, v29
	v_mul_f32_e32 v52, v37, v30
	v_fmac_f32_e32 v28, v37, v27
	v_fma_f32 v50, v36, v27, -v60
	s_delay_alu instid0(VALU_DEP_4) | instskip(SKIP_2) | instid1(VALU_DEP_2)
	v_add_f32_e32 v49, v49, v51
	v_mul_f32_e32 v51, v36, v30
	v_add_f32_e32 v45, v45, v59
	v_fmac_f32_e32 v51, v37, v29
	s_wait_dscnt 0x1
	v_mul_f32_e32 v37, v53, v32
	s_delay_alu instid0(VALU_DEP_1) | instskip(SKIP_4) | instid1(VALU_DEP_4)
	v_fmac_f32_e32 v37, v54, v31
	v_fma_f32 v27, v36, v29, -v52
	v_add_f32_e32 v36, v48, v28
	v_dual_mul_f32 v48, v54, v32 :: v_dual_add_f32 v47, v47, v50
	v_mul_f32_e32 v50, v54, v34
	v_add_f32_e32 v44, v44, v27
	ds_load_2addr_b64 v[27:30], v20 offset0:192 offset1:208
	v_fma_f32 v48, v53, v31, -v48
	v_add_f32_e32 v51, v35, v51
	v_dual_mul_f32 v35, v53, v34 :: v_dual_add_f32 v46, v46, v37
	v_mul_f32_e32 v37, v39, v32
	s_delay_alu instid0(VALU_DEP_4) | instskip(SKIP_4) | instid1(VALU_DEP_4)
	v_add_f32_e32 v0, v0, v48
	v_fma_f32 v48, v53, v33, -v50
	v_mul_f32_e32 v32, v38, v32
	v_fmac_f32_e32 v35, v54, v33
	v_fma_f32 v37, v38, v31, -v37
	v_dual_add_f32 v45, v45, v48 :: v_dual_mul_f32 v48, v39, v34
	s_delay_alu instid0(VALU_DEP_4) | instskip(NEXT) | instid1(VALU_DEP_4)
	v_dual_fmac_f32 v32, v39, v31 :: v_dual_mul_f32 v31, v38, v34
	v_add_f32_e32 v49, v49, v35
	s_delay_alu instid0(VALU_DEP_3) | instskip(NEXT) | instid1(VALU_DEP_3)
	v_fma_f32 v34, v38, v33, -v48
	v_dual_add_f32 v32, v36, v32 :: v_dual_fmac_f32 v31, v39, v33
	s_wait_dscnt 0x0
	s_delay_alu instid0(VALU_DEP_2) | instskip(SKIP_1) | instid1(VALU_DEP_3)
	v_dual_mul_f32 v48, v41, v28 :: v_dual_add_f32 v33, v44, v34
	v_mul_f32_e32 v34, v55, v28
	v_dual_mul_f32 v44, v56, v30 :: v_dual_add_f32 v31, v51, v31
	s_delay_alu instid0(VALU_DEP_2) | instskip(SKIP_1) | instid1(VALU_DEP_3)
	v_fmac_f32_e32 v34, v56, v27
	v_mul_f32_e32 v35, v56, v28
	v_fma_f32 v44, v55, v29, -v44
	v_mul_f32_e32 v28, v40, v28
	s_delay_alu instid0(VALU_DEP_4) | instskip(NEXT) | instid1(VALU_DEP_4)
	v_add_f32_e32 v34, v46, v34
	v_fma_f32 v39, v55, v27, -v35
	v_add_f32_e32 v47, v47, v37
	ds_load_2addr_b64 v[35:38], v20 offset0:224 offset1:240
	v_add_f32_e32 v44, v45, v44
	v_mul_f32_e32 v46, v41, v30
	v_dual_add_f32 v0, v0, v39 :: v_dual_mul_f32 v39, v55, v30
	v_fma_f32 v45, v40, v27, -v48
	v_fmac_f32_e32 v28, v41, v27
	v_mul_f32_e32 v30, v40, v30
	v_fma_f32 v40, v40, v29, -v46
	v_fmac_f32_e32 v39, v56, v29
	s_wait_loadcnt_dscnt 0x0
	s_barrier_signal -1
	v_fmac_f32_e32 v30, v41, v29
	v_add_f32_e32 v40, v33, v40
	v_add_f32_e32 v27, v49, v39
	v_dual_add_f32 v39, v47, v45 :: v_dual_add_f32 v28, v32, v28
	s_barrier_wait -1
	global_inv scope:SCOPE_SE
	v_mul_f32_e32 v29, v57, v36
	v_mul_f32_e32 v33, v58, v38
	s_delay_alu instid0(VALU_DEP_2) | instskip(SKIP_1) | instid1(VALU_DEP_3)
	v_fmac_f32_e32 v29, v58, v35
	v_dual_mul_f32 v32, v58, v36 :: v_dual_add_f32 v41, v31, v30
	v_fma_f32 v31, v57, v37, -v33
	s_delay_alu instid0(VALU_DEP_2) | instskip(NEXT) | instid1(VALU_DEP_2)
	v_fma_f32 v32, v57, v35, -v32
	v_dual_mul_f32 v30, v57, v38 :: v_dual_add_f32 v31, v44, v31
	v_mul_f32_e32 v44, v43, v38
	s_delay_alu instid0(VALU_DEP_3) | instskip(NEXT) | instid1(VALU_DEP_3)
	v_dual_mul_f32 v38, v42, v38 :: v_dual_add_f32 v33, v0, v32
	v_fmac_f32_e32 v30, v58, v37
	s_delay_alu instid0(VALU_DEP_2) | instskip(SKIP_2) | instid1(VALU_DEP_4)
	v_fmac_f32_e32 v38, v43, v37
	v_mul_f32_e32 v0, v43, v36
	v_mul_f32_e32 v36, v42, v36
	v_add_f32_e32 v32, v27, v30
	s_delay_alu instid0(VALU_DEP_4) | instskip(NEXT) | instid1(VALU_DEP_4)
	v_add_f32_e32 v27, v41, v38
	v_fma_f32 v0, v42, v35, -v0
	v_add_f32_e32 v34, v34, v29
	v_fmac_f32_e32 v36, v43, v35
	s_delay_alu instid0(VALU_DEP_3) | instskip(SKIP_1) | instid1(VALU_DEP_3)
	v_add_f32_e32 v29, v39, v0
	v_fma_f32 v0, v42, v37, -v44
	v_add_f32_e32 v30, v28, v36
	s_delay_alu instid0(VALU_DEP_2)
	v_add_f32_e32 v28, v40, v0
	s_wait_alu 0xfffe
	s_cbranch_vccz .LBB532_22
.LBB532_11:                             ;   Parent Loop BB532_8 Depth=1
                                        ; =>  This Inner Loop Header: Depth=2
	s_mov_b32 s30, 0
	s_mov_b32 s39, s34
	s_and_saveexec_b32 s31, s0
	s_cbranch_execnz .LBB532_19
; %bb.12:                               ;   in Loop: Header=BB532_11 Depth=2
	s_or_b32 exec_lo, exec_lo, s31
	s_and_saveexec_b32 s31, s39
	s_delay_alu instid0(SALU_CYCLE_1)
	s_xor_b32 s31, exec_lo, s31
	s_cbranch_execnz .LBB532_20
.LBB532_13:                             ;   in Loop: Header=BB532_11 Depth=2
	s_or_b32 exec_lo, exec_lo, s31
	s_and_saveexec_b32 s31, s30
	s_cbranch_execz .LBB532_15
.LBB532_14:                             ;   in Loop: Header=BB532_11 Depth=2
	v_mul_lo_u32 v0, s11, v12
	v_mul_lo_u32 v37, s10, v13
	v_mad_co_u64_u32 v[35:36], null, s10, v12, 0
	s_delay_alu instid0(VALU_DEP_1) | instskip(NEXT) | instid1(VALU_DEP_1)
	v_add3_u32 v36, v36, v37, v0
	v_lshlrev_b64_e32 v[35:36], 3, v[35:36]
	s_delay_alu instid0(VALU_DEP_1) | instskip(SKIP_1) | instid1(VALU_DEP_2)
	v_add_co_u32 v35, vcc_lo, v23, v35
	s_wait_alu 0xfffd
	v_add_co_ci_u32_e64 v36, null, v24, v36, vcc_lo
	flat_load_b64 v[35:36], v[35:36]
	s_wait_loadcnt_dscnt 0x0
	ds_store_b64 v18, v[35:36]
.LBB532_15:                             ;   in Loop: Header=BB532_11 Depth=2
	s_or_b32 exec_lo, exec_lo, s31
	s_wait_alu 0xfffe
	v_add_nc_u32_e32 v0, s22, v16
	s_delay_alu instid0(VALU_DEP_1) | instskip(SKIP_1) | instid1(SALU_CYCLE_1)
	v_cmp_le_u64_e32 vcc_lo, s[16:17], v[0:1]
	s_or_b32 s30, vcc_lo, s38
	s_and_saveexec_b32 s31, s30
	s_delay_alu instid0(SALU_CYCLE_1)
	s_xor_b32 s30, exec_lo, s31
; %bb.16:                               ;   in Loop: Header=BB532_11 Depth=2
	v_mov_b32_e32 v0, v1
	ds_store_b64 v19, v[0:1]
; %bb.17:                               ;   in Loop: Header=BB532_11 Depth=2
	s_and_not1_saveexec_b32 s30, s30
	s_cbranch_execz .LBB532_10
; %bb.18:                               ;   in Loop: Header=BB532_11 Depth=2
	v_mad_co_u64_u32 v[35:36], null, s20, v0, 0
	s_delay_alu instid0(VALU_DEP_1) | instskip(NEXT) | instid1(VALU_DEP_1)
	v_mad_co_u64_u32 v[36:37], null, s21, v0, v[36:37]
	v_lshlrev_b64_e32 v[35:36], 3, v[35:36]
	s_delay_alu instid0(VALU_DEP_1) | instskip(SKIP_1) | instid1(VALU_DEP_2)
	v_add_co_u32 v35, vcc_lo, v25, v35
	s_wait_alu 0xfffd
	v_add_co_ci_u32_e64 v36, null, v26, v36, vcc_lo
	flat_load_b64 v[35:36], v[35:36]
	s_wait_loadcnt_dscnt 0x0
	ds_store_b64 v19, v[35:36]
	s_branch .LBB532_10
.LBB532_19:                             ;   in Loop: Header=BB532_11 Depth=2
	s_wait_alu 0xfffe
	v_add_nc_u32_e32 v0, s22, v17
	v_mov_b32_e32 v13, v1
	s_and_not1_b32 s39, s34, exec_lo
	s_mov_b32 s30, exec_lo
	s_delay_alu instid0(VALU_DEP_2) | instskip(SKIP_2) | instid1(SALU_CYCLE_1)
	v_cmp_le_u64_e32 vcc_lo, s[16:17], v[0:1]
	v_mov_b32_e32 v12, v0
	s_and_b32 s40, vcc_lo, exec_lo
	s_or_b32 s39, s39, s40
	s_or_b32 exec_lo, exec_lo, s31
	s_and_saveexec_b32 s31, s39
	s_delay_alu instid0(SALU_CYCLE_1)
	s_xor_b32 s31, exec_lo, s31
	s_cbranch_execz .LBB532_13
.LBB532_20:                             ;   in Loop: Header=BB532_11 Depth=2
	v_mov_b32_e32 v0, v1
	s_and_not1_b32 s30, s30, exec_lo
	ds_store_b64 v18, v[0:1]
	s_or_b32 exec_lo, exec_lo, s31
	s_and_saveexec_b32 s31, s30
	s_cbranch_execnz .LBB532_14
	s_branch .LBB532_15
.LBB532_21:                             ;   in Loop: Header=BB532_8 Depth=1
	v_dual_mov_b32 v33, v1 :: v_dual_mov_b32 v34, v1
	v_dual_mov_b32 v31, v1 :: v_dual_mov_b32 v32, v1
	v_dual_mov_b32 v29, v1 :: v_dual_mov_b32 v30, v1
	v_dual_mov_b32 v28, v1 :: v_dual_mov_b32 v27, v1
.LBB532_22:                             ;   in Loop: Header=BB532_8 Depth=1
	s_wait_loadcnt 0x0
	v_add_co_u32 v0, vcc_lo, v14, s12
	s_wait_alu 0xfffd
	v_add_co_ci_u32_e64 v23, null, s13, v15, vcc_lo
	s_delay_alu instid0(VALU_DEP_2) | instskip(SKIP_1) | instid1(VALU_DEP_2)
	v_add_co_u32 v24, vcc_lo, v0, v4
	s_wait_alu 0xfffd
	v_add_co_ci_u32_e64 v25, null, v23, v5, vcc_lo
	s_wait_alu 0xfffe
	s_and_saveexec_b32 s22, s26
	s_cbranch_execz .LBB532_27
; %bb.23:                               ;   in Loop: Header=BB532_8 Depth=1
	v_mul_f32_e32 v15, s18, v34
	v_mul_f32_e32 v14, s19, v34
	s_and_b32 vcc_lo, exec_lo, s37
	s_mov_b32 s23, -1
	s_delay_alu instid0(VALU_DEP_2) | instskip(NEXT) | instid1(VALU_DEP_2)
	v_fmac_f32_e32 v15, s19, v33
	v_fma_f32 v14, v33, s18, -v14
	s_wait_alu 0xfffe
	s_cbranch_vccz .LBB532_25
; %bb.24:                               ;   in Loop: Header=BB532_8 Depth=1
	v_add_co_u32 v33, vcc_lo, v24, v8
	s_wait_alu 0xfffd
	v_add_co_ci_u32_e64 v34, null, v25, v9, vcc_lo
	s_mov_b32 s23, 0
	flat_load_b64 v[35:36], v[33:34]
	s_wait_loadcnt_dscnt 0x0
	v_mul_f32_e32 v26, s7, v36
	s_delay_alu instid0(VALU_DEP_1) | instskip(SKIP_1) | instid1(VALU_DEP_1)
	v_fma_f32 v26, v35, s6, -v26
	v_mul_f32_e32 v36, s6, v36
	v_dual_fmac_f32 v36, s7, v35 :: v_dual_add_f32 v35, v14, v26
	s_delay_alu instid0(VALU_DEP_1)
	v_add_f32_e32 v36, v15, v36
	flat_store_b64 v[33:34], v[35:36]
.LBB532_25:                             ;   in Loop: Header=BB532_8 Depth=1
	s_wait_alu 0xfffe
	s_and_not1_b32 vcc_lo, exec_lo, s23
	s_wait_alu 0xfffe
	s_cbranch_vccnz .LBB532_27
; %bb.26:                               ;   in Loop: Header=BB532_8 Depth=1
	v_add_co_u32 v33, vcc_lo, v24, v8
	s_wait_alu 0xfffd
	v_add_co_ci_u32_e64 v34, null, v25, v9, vcc_lo
	flat_store_b64 v[33:34], v[14:15]
.LBB532_27:                             ;   in Loop: Header=BB532_8 Depth=1
	s_wait_alu 0xfffe
	s_or_b32 exec_lo, exec_lo, s22
	s_and_saveexec_b32 s22, s27
	s_cbranch_execz .LBB532_32
; %bb.28:                               ;   in Loop: Header=BB532_8 Depth=1
	v_mul_f32_e32 v15, s18, v32
	v_mul_f32_e32 v14, s19, v32
	s_and_not1_b32 vcc_lo, exec_lo, s37
	s_mov_b32 s23, -1
	s_delay_alu instid0(VALU_DEP_2) | instskip(NEXT) | instid1(VALU_DEP_2)
	v_fmac_f32_e32 v15, s19, v31
	v_fma_f32 v14, v31, s18, -v14
	s_wait_alu 0xfffe
	s_cbranch_vccnz .LBB532_30
; %bb.29:                               ;   in Loop: Header=BB532_8 Depth=1
	v_add_co_u32 v31, vcc_lo, v24, v10
	s_wait_alu 0xfffd
	v_add_co_ci_u32_e64 v32, null, v25, v11, vcc_lo
	s_mov_b32 s23, 0
	flat_load_b64 v[33:34], v[31:32]
	s_wait_loadcnt_dscnt 0x0
	v_mul_f32_e32 v26, s7, v34
	v_mul_f32_e32 v34, s6, v34
	s_delay_alu instid0(VALU_DEP_2) | instskip(NEXT) | instid1(VALU_DEP_1)
	v_fma_f32 v26, v33, s6, -v26
	v_dual_fmac_f32 v34, s7, v33 :: v_dual_add_f32 v33, v14, v26
	s_delay_alu instid0(VALU_DEP_1)
	v_add_f32_e32 v34, v15, v34
	flat_store_b64 v[31:32], v[33:34]
.LBB532_30:                             ;   in Loop: Header=BB532_8 Depth=1
	s_wait_alu 0xfffe
	s_and_not1_b32 vcc_lo, exec_lo, s23
	s_wait_alu 0xfffe
	s_cbranch_vccnz .LBB532_32
; %bb.31:                               ;   in Loop: Header=BB532_8 Depth=1
	v_add_co_u32 v24, vcc_lo, v24, v10
	s_wait_alu 0xfffd
	v_add_co_ci_u32_e64 v25, null, v25, v11, vcc_lo
	flat_store_b64 v[24:25], v[14:15]
.LBB532_32:                             ;   in Loop: Header=BB532_8 Depth=1
	s_wait_alu 0xfffe
	s_or_b32 exec_lo, exec_lo, s22
	v_add_co_u32 v0, vcc_lo, v0, v6
	s_wait_alu 0xfffd
	v_add_co_ci_u32_e64 v23, null, v23, v7, vcc_lo
	s_and_saveexec_b32 s22, s1
	s_cbranch_execz .LBB532_37
; %bb.33:                               ;   in Loop: Header=BB532_8 Depth=1
	v_mul_f32_e32 v15, s18, v30
	v_mul_f32_e32 v14, s19, v30
	s_and_not1_b32 vcc_lo, exec_lo, s37
	s_mov_b32 s23, -1
	s_delay_alu instid0(VALU_DEP_2) | instskip(NEXT) | instid1(VALU_DEP_2)
	v_fmac_f32_e32 v15, s19, v29
	v_fma_f32 v14, v29, s18, -v14
	s_wait_alu 0xfffe
	s_cbranch_vccnz .LBB532_35
; %bb.34:                               ;   in Loop: Header=BB532_8 Depth=1
	v_add_co_u32 v24, vcc_lo, v0, v8
	s_wait_alu 0xfffd
	v_add_co_ci_u32_e64 v25, null, v23, v9, vcc_lo
	s_mov_b32 s23, 0
	flat_load_b64 v[29:30], v[24:25]
	s_wait_loadcnt_dscnt 0x0
	v_mul_f32_e32 v26, s7, v30
	v_mul_f32_e32 v30, s6, v30
	s_delay_alu instid0(VALU_DEP_2) | instskip(NEXT) | instid1(VALU_DEP_1)
	v_fma_f32 v26, v29, s6, -v26
	v_dual_fmac_f32 v30, s7, v29 :: v_dual_add_f32 v29, v14, v26
	s_delay_alu instid0(VALU_DEP_1)
	v_add_f32_e32 v30, v15, v30
	flat_store_b64 v[24:25], v[29:30]
.LBB532_35:                             ;   in Loop: Header=BB532_8 Depth=1
	s_wait_alu 0xfffe
	s_and_not1_b32 vcc_lo, exec_lo, s23
	s_wait_alu 0xfffe
	s_cbranch_vccnz .LBB532_37
; %bb.36:                               ;   in Loop: Header=BB532_8 Depth=1
	v_add_co_u32 v24, vcc_lo, v0, v8
	s_wait_alu 0xfffd
	v_add_co_ci_u32_e64 v25, null, v23, v9, vcc_lo
	flat_store_b64 v[24:25], v[14:15]
.LBB532_37:                             ;   in Loop: Header=BB532_8 Depth=1
	s_wait_alu 0xfffe
	s_or_b32 exec_lo, exec_lo, s22
	s_and_saveexec_b32 s22, s35
	s_cbranch_execz .LBB532_7
; %bb.38:                               ;   in Loop: Header=BB532_8 Depth=1
	v_mul_f32_e32 v15, s18, v27
	v_mul_f32_e32 v14, s19, v27
	s_and_not1_b32 vcc_lo, exec_lo, s37
	s_mov_b32 s23, -1
	s_delay_alu instid0(VALU_DEP_2) | instskip(NEXT) | instid1(VALU_DEP_2)
	v_fmac_f32_e32 v15, s19, v28
	v_fma_f32 v14, v28, s18, -v14
	s_wait_alu 0xfffe
	s_cbranch_vccnz .LBB532_40
; %bb.39:                               ;   in Loop: Header=BB532_8 Depth=1
	v_add_co_u32 v24, vcc_lo, v0, v10
	s_wait_alu 0xfffd
	v_add_co_ci_u32_e64 v25, null, v23, v11, vcc_lo
	s_mov_b32 s23, 0
	flat_load_b64 v[26:27], v[24:25]
	s_wait_loadcnt_dscnt 0x0
	v_mul_f32_e32 v28, s7, v27
	v_mul_f32_e32 v27, s6, v27
	s_delay_alu instid0(VALU_DEP_1) | instskip(NEXT) | instid1(VALU_DEP_3)
	v_fmac_f32_e32 v27, s7, v26
	v_fma_f32 v28, v26, s6, -v28
	s_delay_alu instid0(VALU_DEP_1)
	v_dual_add_f32 v27, v15, v27 :: v_dual_add_f32 v26, v14, v28
	flat_store_b64 v[24:25], v[26:27]
.LBB532_40:                             ;   in Loop: Header=BB532_8 Depth=1
	s_wait_alu 0xfffe
	s_and_not1_b32 vcc_lo, exec_lo, s23
	s_wait_alu 0xfffe
	s_cbranch_vccnz .LBB532_7
; %bb.41:                               ;   in Loop: Header=BB532_8 Depth=1
	v_add_co_u32 v24, vcc_lo, v0, v10
	s_wait_alu 0xfffd
	v_add_co_ci_u32_e64 v25, null, v23, v11, vcc_lo
	flat_store_b64 v[24:25], v[14:15]
	s_branch .LBB532_7
.LBB532_42:
	s_endpgm
	.section	.rodata,"a",@progbits
	.p2align	6, 0x0
	.amdhsa_kernel _ZL29rocblas_internal_gemmt_kernelIlLi16ELi32ELi8ELc78ELc84ELc76ELb0ELb0E19rocblas_complex_numIfES1_PKPKS1_PKPS1_EviT_T9_T10_S9_lSB_S9_lSA_T11_S9_li
		.amdhsa_group_segment_fixed_size 4096
		.amdhsa_private_segment_fixed_size 0
		.amdhsa_kernarg_size 108
		.amdhsa_user_sgpr_count 2
		.amdhsa_user_sgpr_dispatch_ptr 0
		.amdhsa_user_sgpr_queue_ptr 0
		.amdhsa_user_sgpr_kernarg_segment_ptr 1
		.amdhsa_user_sgpr_dispatch_id 0
		.amdhsa_user_sgpr_private_segment_size 0
		.amdhsa_wavefront_size32 1
		.amdhsa_uses_dynamic_stack 0
		.amdhsa_enable_private_segment 0
		.amdhsa_system_sgpr_workgroup_id_x 1
		.amdhsa_system_sgpr_workgroup_id_y 1
		.amdhsa_system_sgpr_workgroup_id_z 1
		.amdhsa_system_sgpr_workgroup_info 0
		.amdhsa_system_vgpr_workitem_id 1
		.amdhsa_next_free_vgpr 72
		.amdhsa_next_free_sgpr 41
		.amdhsa_reserve_vcc 1
		.amdhsa_float_round_mode_32 0
		.amdhsa_float_round_mode_16_64 0
		.amdhsa_float_denorm_mode_32 3
		.amdhsa_float_denorm_mode_16_64 3
		.amdhsa_fp16_overflow 0
		.amdhsa_workgroup_processor_mode 1
		.amdhsa_memory_ordered 1
		.amdhsa_forward_progress 1
		.amdhsa_inst_pref_size 26
		.amdhsa_round_robin_scheduling 0
		.amdhsa_exception_fp_ieee_invalid_op 0
		.amdhsa_exception_fp_denorm_src 0
		.amdhsa_exception_fp_ieee_div_zero 0
		.amdhsa_exception_fp_ieee_overflow 0
		.amdhsa_exception_fp_ieee_underflow 0
		.amdhsa_exception_fp_ieee_inexact 0
		.amdhsa_exception_int_div_zero 0
	.end_amdhsa_kernel
	.section	.text._ZL29rocblas_internal_gemmt_kernelIlLi16ELi32ELi8ELc78ELc84ELc76ELb0ELb0E19rocblas_complex_numIfES1_PKPKS1_PKPS1_EviT_T9_T10_S9_lSB_S9_lSA_T11_S9_li,"axG",@progbits,_ZL29rocblas_internal_gemmt_kernelIlLi16ELi32ELi8ELc78ELc84ELc76ELb0ELb0E19rocblas_complex_numIfES1_PKPKS1_PKPS1_EviT_T9_T10_S9_lSB_S9_lSA_T11_S9_li,comdat
.Lfunc_end532:
	.size	_ZL29rocblas_internal_gemmt_kernelIlLi16ELi32ELi8ELc78ELc84ELc76ELb0ELb0E19rocblas_complex_numIfES1_PKPKS1_PKPS1_EviT_T9_T10_S9_lSB_S9_lSA_T11_S9_li, .Lfunc_end532-_ZL29rocblas_internal_gemmt_kernelIlLi16ELi32ELi8ELc78ELc84ELc76ELb0ELb0E19rocblas_complex_numIfES1_PKPKS1_PKPS1_EviT_T9_T10_S9_lSB_S9_lSA_T11_S9_li
                                        ; -- End function
	.set _ZL29rocblas_internal_gemmt_kernelIlLi16ELi32ELi8ELc78ELc84ELc76ELb0ELb0E19rocblas_complex_numIfES1_PKPKS1_PKPS1_EviT_T9_T10_S9_lSB_S9_lSA_T11_S9_li.num_vgpr, 72
	.set _ZL29rocblas_internal_gemmt_kernelIlLi16ELi32ELi8ELc78ELc84ELc76ELb0ELb0E19rocblas_complex_numIfES1_PKPKS1_PKPS1_EviT_T9_T10_S9_lSB_S9_lSA_T11_S9_li.num_agpr, 0
	.set _ZL29rocblas_internal_gemmt_kernelIlLi16ELi32ELi8ELc78ELc84ELc76ELb0ELb0E19rocblas_complex_numIfES1_PKPKS1_PKPS1_EviT_T9_T10_S9_lSB_S9_lSA_T11_S9_li.numbered_sgpr, 41
	.set _ZL29rocblas_internal_gemmt_kernelIlLi16ELi32ELi8ELc78ELc84ELc76ELb0ELb0E19rocblas_complex_numIfES1_PKPKS1_PKPS1_EviT_T9_T10_S9_lSB_S9_lSA_T11_S9_li.num_named_barrier, 0
	.set _ZL29rocblas_internal_gemmt_kernelIlLi16ELi32ELi8ELc78ELc84ELc76ELb0ELb0E19rocblas_complex_numIfES1_PKPKS1_PKPS1_EviT_T9_T10_S9_lSB_S9_lSA_T11_S9_li.private_seg_size, 0
	.set _ZL29rocblas_internal_gemmt_kernelIlLi16ELi32ELi8ELc78ELc84ELc76ELb0ELb0E19rocblas_complex_numIfES1_PKPKS1_PKPS1_EviT_T9_T10_S9_lSB_S9_lSA_T11_S9_li.uses_vcc, 1
	.set _ZL29rocblas_internal_gemmt_kernelIlLi16ELi32ELi8ELc78ELc84ELc76ELb0ELb0E19rocblas_complex_numIfES1_PKPKS1_PKPS1_EviT_T9_T10_S9_lSB_S9_lSA_T11_S9_li.uses_flat_scratch, 0
	.set _ZL29rocblas_internal_gemmt_kernelIlLi16ELi32ELi8ELc78ELc84ELc76ELb0ELb0E19rocblas_complex_numIfES1_PKPKS1_PKPS1_EviT_T9_T10_S9_lSB_S9_lSA_T11_S9_li.has_dyn_sized_stack, 0
	.set _ZL29rocblas_internal_gemmt_kernelIlLi16ELi32ELi8ELc78ELc84ELc76ELb0ELb0E19rocblas_complex_numIfES1_PKPKS1_PKPS1_EviT_T9_T10_S9_lSB_S9_lSA_T11_S9_li.has_recursion, 0
	.set _ZL29rocblas_internal_gemmt_kernelIlLi16ELi32ELi8ELc78ELc84ELc76ELb0ELb0E19rocblas_complex_numIfES1_PKPKS1_PKPS1_EviT_T9_T10_S9_lSB_S9_lSA_T11_S9_li.has_indirect_call, 0
	.section	.AMDGPU.csdata,"",@progbits
; Kernel info:
; codeLenInByte = 3316
; TotalNumSgprs: 43
; NumVgprs: 72
; ScratchSize: 0
; MemoryBound: 0
; FloatMode: 240
; IeeeMode: 1
; LDSByteSize: 4096 bytes/workgroup (compile time only)
; SGPRBlocks: 0
; VGPRBlocks: 8
; NumSGPRsForWavesPerEU: 43
; NumVGPRsForWavesPerEU: 72
; Occupancy: 16
; WaveLimiterHint : 1
; COMPUTE_PGM_RSRC2:SCRATCH_EN: 0
; COMPUTE_PGM_RSRC2:USER_SGPR: 2
; COMPUTE_PGM_RSRC2:TRAP_HANDLER: 0
; COMPUTE_PGM_RSRC2:TGID_X_EN: 1
; COMPUTE_PGM_RSRC2:TGID_Y_EN: 1
; COMPUTE_PGM_RSRC2:TGID_Z_EN: 1
; COMPUTE_PGM_RSRC2:TIDIG_COMP_CNT: 1
	.section	.text._ZL29rocblas_internal_gemmt_kernelIlLi16ELi32ELi8ELc78ELc67ELc76ELb0ELb1E19rocblas_complex_numIfES1_PKPKS1_PKPS1_EviT_T9_T10_S9_lSB_S9_lSA_T11_S9_li,"axG",@progbits,_ZL29rocblas_internal_gemmt_kernelIlLi16ELi32ELi8ELc78ELc67ELc76ELb0ELb1E19rocblas_complex_numIfES1_PKPKS1_PKPS1_EviT_T9_T10_S9_lSB_S9_lSA_T11_S9_li,comdat
	.globl	_ZL29rocblas_internal_gemmt_kernelIlLi16ELi32ELi8ELc78ELc67ELc76ELb0ELb1E19rocblas_complex_numIfES1_PKPKS1_PKPS1_EviT_T9_T10_S9_lSB_S9_lSA_T11_S9_li ; -- Begin function _ZL29rocblas_internal_gemmt_kernelIlLi16ELi32ELi8ELc78ELc67ELc76ELb0ELb1E19rocblas_complex_numIfES1_PKPKS1_PKPS1_EviT_T9_T10_S9_lSB_S9_lSA_T11_S9_li
	.p2align	8
	.type	_ZL29rocblas_internal_gemmt_kernelIlLi16ELi32ELi8ELc78ELc67ELc76ELb0ELb1E19rocblas_complex_numIfES1_PKPKS1_PKPS1_EviT_T9_T10_S9_lSB_S9_lSA_T11_S9_li,@function
_ZL29rocblas_internal_gemmt_kernelIlLi16ELi32ELi8ELc78ELc67ELc76ELb0ELb1E19rocblas_complex_numIfES1_PKPKS1_PKPS1_EviT_T9_T10_S9_lSB_S9_lSA_T11_S9_li: ; @_ZL29rocblas_internal_gemmt_kernelIlLi16ELi32ELi8ELc78ELc67ELc76ELb0ELb1E19rocblas_complex_numIfES1_PKPKS1_PKPS1_EviT_T9_T10_S9_lSB_S9_lSA_T11_S9_li
; %bb.0:
	s_clause 0x1
	s_load_b64 s[6:7], s[0:1], 0x48
	s_load_b128 s[16:19], s[0:1], 0x8
	s_wait_kmcnt 0x0
	s_cmp_eq_f32 s6, 1.0
	s_cselect_b32 s3, -1, 0
	s_and_b32 s2, s7, 0x7fffffff
	s_delay_alu instid0(SALU_CYCLE_1) | instskip(SKIP_1) | instid1(SALU_CYCLE_1)
	s_cmp_eq_u32 s2, 0
	s_cselect_b32 s2, -1, 0
	s_and_b32 s4, s3, s2
	s_mov_b32 s3, 0
	s_and_not1_b32 vcc_lo, exec_lo, s4
	s_mov_b32 s4, -1
	s_cbranch_vccnz .LBB533_4
; %bb.1:
	s_cmp_lg_u64 s[16:17], 0
	s_cbranch_scc0 .LBB533_3
; %bb.2:
	s_cmp_neq_f32 s18, 0
	s_cselect_b32 s3, -1, 0
	s_cmp_neq_f32 s19, 0
	s_cselect_b32 s4, -1, 0
	s_delay_alu instid0(SALU_CYCLE_1)
	s_or_b32 s3, s3, s4
.LBB533_3:
	s_delay_alu instid0(SALU_CYCLE_1)
	s_mov_b32 s4, s3
.LBB533_4:
	s_delay_alu instid0(SALU_CYCLE_1)
	s_and_b32 vcc_lo, exec_lo, s4
	s_cbranch_vccz .LBB533_42
; %bb.5:
	s_load_b32 s33, s[0:1], 0x68
	s_lshr_b32 s28, ttmp7, 16
	s_wait_kmcnt 0x0
	s_cmp_ge_u32 s28, s33
	s_cbranch_scc1 .LBB533_42
; %bb.6:
	s_clause 0x1
	s_load_b128 s[20:23], s[0:1], 0x38
	s_load_b128 s[24:27], s[0:1], 0x50
	v_bfe_u32 v10, v0, 10, 10
	s_lshl_b32 s3, ttmp7, 5
	v_and_b32_e32 v16, 7, v0
	s_and_b32 s3, s3, 0x1fffe0
	s_lshl_b32 s5, ttmp9, 5
	v_add_nc_u32_e32 v11, s3, v10
	s_load_b32 s4, s[0:1], 0x0
	s_cmp_neq_f32 s18, 0
	s_clause 0x1
	s_load_b256 s[8:15], s[0:1], 0x18
	s_load_b64 s[30:31], s[0:1], 0x60
	v_add_nc_u32_e32 v15, 16, v11
	s_cselect_b32 s34, -1, 0
	s_cmp_neq_f32 s19, 0
	v_lshl_add_u32 v21, v10, 6, 0x800
	v_cmp_gt_i64_e64 s37, s[16:17], 0
	s_mov_b32 s29, 0
	s_cselect_b32 s0, -1, 0
	s_delay_alu instid0(SALU_CYCLE_1)
	s_or_b32 s36, s34, s0
	s_wait_kmcnt 0x0
	v_mad_co_u64_u32 v[4:5], null, s26, v11, 0
	v_and_b32_e32 v9, 0x3ff, v0
	s_cmp_neq_f32 s6, 0
	s_cselect_b32 s38, -1, 0
	s_delay_alu instid0(VALU_DEP_1) | instskip(SKIP_3) | instid1(VALU_DEP_1)
	v_lshl_add_u32 v0, v10, 4, v9
	s_xor_b32 s39, s2, -1
	s_and_b32 s36, s36, s37
	s_or_b32 s37, s38, s39
	v_and_b32_e32 v1, 31, v0
	v_lshrrev_b32_e32 v17, 5, v0
	v_lshrrev_b32_e32 v0, 3, v0
	s_delay_alu instid0(VALU_DEP_3) | instskip(SKIP_1) | instid1(VALU_DEP_3)
	v_or_b32_e32 v2, s5, v1
	v_lshlrev_b32_e32 v1, 3, v1
	v_add_nc_u32_e32 v14, s3, v0
	s_delay_alu instid0(VALU_DEP_3) | instskip(NEXT) | instid1(VALU_DEP_3)
	v_cmp_gt_i32_e64 s0, s4, v2
	v_lshl_or_b32 v18, v17, 8, v1
	v_mov_b32_e32 v1, 0
	v_lshlrev_b32_e32 v3, 3, v16
	v_cmp_le_i32_e64 s34, s4, v2
	s_delay_alu instid0(VALU_DEP_2) | instskip(SKIP_1) | instid1(VALU_DEP_2)
	v_lshl_or_b32 v0, v0, 6, v3
	v_ashrrev_i32_e32 v3, 31, v2
	v_dual_mov_b32 v0, v5 :: v_dual_add_nc_u32 v19, 0x800, v0
	v_add_nc_u32_e32 v8, s5, v9
	v_lshlrev_b32_e32 v20, 3, v9
	s_delay_alu instid0(VALU_DEP_4) | instskip(NEXT) | instid1(VALU_DEP_4)
	v_lshlrev_b64_e32 v[2:3], 3, v[2:3]
	v_mad_co_u64_u32 v[5:6], null, s27, v11, v[0:1]
	v_mad_co_u64_u32 v[6:7], null, s26, v15, 0
	v_add_nc_u32_e32 v10, 16, v8
	v_cmp_le_i32_e64 s1, v11, v8
	v_cmp_gt_i32_e64 s2, s4, v8
	v_ashrrev_i32_e32 v9, 31, v8
	v_lshlrev_b64_e32 v[4:5], 3, v[4:5]
	v_cmp_le_i32_e64 s3, v11, v10
	v_mov_b32_e32 v0, v7
	v_ashrrev_i32_e32 v11, 31, v10
	s_and_b32 s26, s1, s2
	v_cmp_le_i32_e64 s1, v15, v8
	v_cmp_le_i32_e64 s5, v15, v10
	v_mad_co_u64_u32 v[12:13], null, s27, v15, v[0:1]
	v_lshlrev_b64_e32 v[8:9], 3, v[8:9]
	s_delay_alu instid0(VALU_DEP_4) | instskip(NEXT) | instid1(VALU_DEP_2)
	s_and_b32 s1, s1, s2
	v_mov_b32_e32 v7, v12
	v_cmp_gt_i32_e32 vcc_lo, s4, v14
	v_cmp_gt_i32_e64 s4, s4, v10
	v_lshlrev_b64_e32 v[10:11], 3, v[10:11]
	v_lshlrev_b32_e32 v22, 3, v14
	v_lshlrev_b64_e32 v[6:7], 3, v[6:7]
	s_xor_b32 s38, vcc_lo, -1
	s_and_b32 s27, s3, s4
	s_and_b32 s35, s5, s4
	s_lshl_b64 s[2:3], s[22:23], 3
	s_lshl_b64 s[4:5], s[12:13], 3
	;; [unrolled: 1-line block ×3, first 2 shown]
                                        ; implicit-def: $vgpr12_vgpr13
	s_branch .LBB533_8
.LBB533_7:                              ;   in Loop: Header=BB533_8 Depth=1
	s_wait_alu 0xfffe
	s_or_b32 exec_lo, exec_lo, s22
	s_add_co_i32 s28, s28, 0x10000
	s_delay_alu instid0(SALU_CYCLE_1)
	s_cmp_lt_u32 s28, s33
	s_cbranch_scc0 .LBB533_42
.LBB533_8:                              ; =>This Loop Header: Depth=1
                                        ;     Child Loop BB533_11 Depth 2
	s_lshl_b64 s[22:23], s[28:29], 3
	s_and_not1_b32 vcc_lo, exec_lo, s36
	s_wait_alu 0xfffe
	s_add_nc_u64 s[30:31], s[24:25], s[22:23]
	global_load_b64 v[14:15], v1, s[30:31]
	s_cbranch_vccnz .LBB533_21
; %bb.9:                                ;   in Loop: Header=BB533_8 Depth=1
	s_add_nc_u64 s[30:31], s[8:9], s[22:23]
	s_add_nc_u64 s[22:23], s[14:15], s[22:23]
	s_clause 0x1
	global_load_b64 v[23:24], v1, s[30:31]
	global_load_b64 v[25:26], v1, s[22:23]
	v_dual_mov_b32 v27, 0 :: v_dual_mov_b32 v28, 0
	v_dual_mov_b32 v30, 0 :: v_dual_mov_b32 v29, 0
	v_dual_mov_b32 v32, 0 :: v_dual_mov_b32 v31, 0
	v_dual_mov_b32 v34, 0 :: v_dual_mov_b32 v33, 0
	s_mov_b64 s[22:23], 0
	s_wait_loadcnt 0x1
	v_add_co_u32 v0, vcc_lo, v23, s4
	s_wait_alu 0xfffd
	v_add_co_ci_u32_e64 v24, null, s5, v24, vcc_lo
	s_wait_loadcnt 0x0
	v_add_co_u32 v25, vcc_lo, v25, s2
	s_wait_alu 0xfffd
	v_add_co_ci_u32_e64 v26, null, s3, v26, vcc_lo
	v_add_co_u32 v23, vcc_lo, v0, v2
	s_wait_alu 0xfffd
	v_add_co_ci_u32_e64 v24, null, v24, v3, vcc_lo
	;; [unrolled: 3-line block ×3, first 2 shown]
	s_branch .LBB533_11
.LBB533_10:                             ;   in Loop: Header=BB533_11 Depth=2
	s_or_b32 exec_lo, exec_lo, s30
	ds_store_b32 v19, v35 offset:4
	s_wait_dscnt 0x0
	s_barrier_signal -1
	s_barrier_wait -1
	global_inv scope:SCOPE_SE
	ds_load_b128 v[35:38], v21
	ds_load_2addr_b64 v[39:42], v20 offset1:16
	ds_load_b128 v[43:46], v21 offset:1024
	ds_load_b128 v[47:50], v21 offset:16
	;; [unrolled: 1-line block ×4, first 2 shown]
	ds_load_2addr_b64 v[59:62], v20 offset0:32 offset1:48
	ds_load_b128 v[63:66], v21 offset:1040
	s_add_nc_u64 s[22:23], s[22:23], 8
	s_wait_alu 0xfffe
	v_cmp_gt_i64_e64 s30, s[16:17], s[22:23]
	s_and_b32 vcc_lo, exec_lo, s30
	s_wait_dscnt 0x6
	v_dual_mul_f32 v0, v36, v40 :: v_dual_mul_f32 v69, v35, v42
	v_dual_mul_f32 v67, v35, v40 :: v_dual_mul_f32 v68, v36, v42
	s_wait_dscnt 0x5
	v_mul_f32_e32 v71, v44, v42
	s_delay_alu instid0(VALU_DEP_3) | instskip(SKIP_3) | instid1(VALU_DEP_4)
	v_fma_f32 v0, v35, v39, -v0
	v_dual_mul_f32 v42, v43, v42 :: v_dual_fmac_f32 v69, v36, v41
	v_fmac_f32_e32 v67, v36, v39
	v_fma_f32 v35, v35, v41, -v68
	v_add_f32_e32 v0, v33, v0
	v_mul_f32_e32 v70, v44, v40
	s_delay_alu instid0(VALU_DEP_4) | instskip(NEXT) | instid1(VALU_DEP_4)
	v_dual_mul_f32 v40, v43, v40 :: v_dual_add_f32 v33, v34, v67
	v_add_f32_e32 v34, v31, v35
	v_fma_f32 v31, v43, v41, -v71
	s_delay_alu instid0(VALU_DEP_4) | instskip(NEXT) | instid1(VALU_DEP_4)
	v_fma_f32 v36, v43, v39, -v70
	v_fmac_f32_e32 v40, v44, v39
	s_wait_dscnt 0x1
	v_dual_add_f32 v32, v32, v69 :: v_dual_mul_f32 v39, v38, v60
	v_dual_fmac_f32 v42, v44, v41 :: v_dual_mul_f32 v43, v38, v62
	v_add_f32_e32 v35, v29, v36
	v_add_f32_e32 v36, v30, v40
	v_dual_add_f32 v40, v28, v31 :: v_dual_mul_f32 v41, v37, v60
	ds_load_2addr_b64 v[28:31], v20 offset0:64 offset1:80
	v_fma_f32 v39, v37, v59, -v39
	v_add_f32_e32 v27, v27, v42
	v_dual_mul_f32 v42, v37, v62 :: v_dual_fmac_f32 v41, v38, v59
	v_fma_f32 v37, v37, v61, -v43
	s_delay_alu instid0(VALU_DEP_4) | instskip(NEXT) | instid1(VALU_DEP_3)
	v_dual_add_f32 v0, v0, v39 :: v_dual_mul_f32 v39, v46, v60
	v_fmac_f32_e32 v42, v38, v61
	s_delay_alu instid0(VALU_DEP_4)
	v_add_f32_e32 v41, v33, v41
	v_mul_f32_e32 v33, v45, v60
	v_add_f32_e32 v37, v34, v37
	v_fma_f32 v34, v45, v59, -v39
	v_mul_f32_e32 v38, v46, v62
	v_add_f32_e32 v39, v32, v42
	v_dual_mul_f32 v42, v45, v62 :: v_dual_fmac_f32 v33, v46, v59
	s_delay_alu instid0(VALU_DEP_4) | instskip(NEXT) | instid1(VALU_DEP_4)
	v_add_f32_e32 v43, v35, v34
	v_fma_f32 v32, v45, v61, -v38
	s_wait_dscnt 0x0
	v_mul_f32_e32 v34, v48, v29
	v_dual_fmac_f32 v42, v46, v61 :: v_dual_mul_f32 v45, v48, v31
	s_delay_alu instid0(VALU_DEP_3) | instskip(SKIP_1) | instid1(VALU_DEP_4)
	v_add_f32_e32 v40, v40, v32
	v_add_f32_e32 v36, v36, v33
	v_fma_f32 v44, v47, v28, -v34
	s_delay_alu instid0(VALU_DEP_4)
	v_add_f32_e32 v42, v27, v42
	v_mul_f32_e32 v27, v47, v31
	v_mul_f32_e32 v38, v47, v29
	ds_load_2addr_b64 v[32:35], v20 offset0:96 offset1:112
	v_add_f32_e32 v0, v0, v44
	v_fma_f32 v44, v47, v30, -v45
	v_fmac_f32_e32 v27, v48, v30
	v_fmac_f32_e32 v38, v48, v28
	s_delay_alu instid0(VALU_DEP_3) | instskip(NEXT) | instid1(VALU_DEP_2)
	v_dual_add_f32 v37, v37, v44 :: v_dual_mul_f32 v44, v64, v31
	v_dual_add_f32 v38, v41, v38 :: v_dual_mul_f32 v41, v64, v29
	v_mul_f32_e32 v29, v63, v29
	v_mul_f32_e32 v31, v63, v31
	v_add_f32_e32 v45, v39, v27
	v_fma_f32 v27, v63, v30, -v44
	v_fma_f32 v41, v63, v28, -v41
	v_fmac_f32_e32 v29, v64, v28
	v_fmac_f32_e32 v31, v64, v30
	s_delay_alu instid0(VALU_DEP_3) | instskip(SKIP_1) | instid1(VALU_DEP_3)
	v_dual_add_f32 v40, v40, v27 :: v_dual_add_f32 v41, v43, v41
	s_wait_dscnt 0x0
	v_dual_add_f32 v43, v36, v29 :: v_dual_mul_f32 v44, v50, v35
	ds_load_2addr_b64 v[27:30], v20 offset0:128 offset1:144
	v_mul_f32_e32 v36, v50, v33
	v_mul_f32_e32 v48, v66, v35
	v_fma_f32 v44, v49, v34, -v44
	s_delay_alu instid0(VALU_DEP_3) | instskip(NEXT) | instid1(VALU_DEP_1)
	v_fma_f32 v36, v49, v32, -v36
	v_add_f32_e32 v0, v0, v36
	v_mul_f32_e32 v36, v66, v33
	v_dual_mul_f32 v39, v49, v33 :: v_dual_add_f32 v42, v42, v31
	v_mul_f32_e32 v31, v49, v35
	v_mul_f32_e32 v33, v65, v33
	s_delay_alu instid0(VALU_DEP_4) | instskip(NEXT) | instid1(VALU_DEP_2)
	v_fma_f32 v47, v65, v32, -v36
	v_fmac_f32_e32 v33, v66, v32
	v_fmac_f32_e32 v39, v50, v32
	s_wait_dscnt 0x0
	v_dual_mul_f32 v32, v52, v28 :: v_dual_fmac_f32 v31, v50, v34
	s_delay_alu instid0(VALU_DEP_1) | instskip(SKIP_1) | instid1(VALU_DEP_2)
	v_dual_mul_f32 v50, v51, v28 :: v_dual_add_f32 v45, v45, v31
	v_fma_f32 v31, v65, v34, -v48
	v_fmac_f32_e32 v50, v52, v27
	v_add_f32_e32 v48, v43, v33
	v_add_f32_e32 v46, v38, v39
	;; [unrolled: 1-line block ×4, first 2 shown]
	v_fma_f32 v40, v51, v27, -v32
	v_mul_f32_e32 v35, v65, v35
	v_mul_f32_e32 v41, v52, v30
	v_add_f32_e32 v46, v46, v50
	s_delay_alu instid0(VALU_DEP_4) | instskip(NEXT) | instid1(VALU_DEP_4)
	v_add_f32_e32 v0, v0, v40
	v_dual_add_f32 v44, v37, v44 :: v_dual_fmac_f32 v35, v66, v34
	ds_load_b128 v[36:39], v21 offset:1056
	ds_load_2addr_b64 v[31:34], v20 offset0:160 offset1:176
	v_fma_f32 v59, v51, v29, -v41
	v_mul_f32_e32 v51, v51, v30
	v_add_f32_e32 v35, v42, v35
	ds_load_b128 v[40:43], v21 offset:1072
	v_add_f32_e32 v44, v44, v59
	s_wait_dscnt 0x2
	v_dual_fmac_f32 v51, v52, v29 :: v_dual_mul_f32 v52, v37, v30
	v_mul_f32_e32 v60, v37, v28
	v_mul_f32_e32 v28, v36, v28
	s_delay_alu instid0(VALU_DEP_2) | instskip(NEXT) | instid1(VALU_DEP_2)
	v_fma_f32 v50, v36, v27, -v60
	v_fmac_f32_e32 v28, v37, v27
	v_add_f32_e32 v45, v45, v51
	v_mul_f32_e32 v51, v36, v30
	v_fma_f32 v27, v36, v29, -v52
	s_delay_alu instid0(VALU_DEP_4) | instskip(SKIP_1) | instid1(VALU_DEP_3)
	v_dual_add_f32 v47, v47, v50 :: v_dual_add_f32 v36, v48, v28
	s_wait_dscnt 0x1
	v_dual_mul_f32 v48, v54, v32 :: v_dual_fmac_f32 v51, v37, v29
	v_dual_mul_f32 v50, v54, v34 :: v_dual_mul_f32 v37, v53, v32
	s_delay_alu instid0(VALU_DEP_2) | instskip(SKIP_4) | instid1(VALU_DEP_1)
	v_fma_f32 v48, v53, v31, -v48
	v_add_f32_e32 v49, v49, v27
	ds_load_2addr_b64 v[27:30], v20 offset0:192 offset1:208
	v_add_f32_e32 v0, v0, v48
	v_fma_f32 v48, v53, v33, -v50
	v_add_f32_e32 v44, v44, v48
	v_dual_mul_f32 v48, v39, v34 :: v_dual_fmac_f32 v37, v54, v31
	v_add_f32_e32 v51, v35, v51
	s_delay_alu instid0(VALU_DEP_2) | instskip(SKIP_2) | instid1(VALU_DEP_3)
	v_dual_mul_f32 v35, v53, v34 :: v_dual_add_f32 v46, v46, v37
	v_mul_f32_e32 v37, v39, v32
	v_mul_f32_e32 v32, v38, v32
	v_fmac_f32_e32 v35, v54, v33
	s_delay_alu instid0(VALU_DEP_3) | instskip(NEXT) | instid1(VALU_DEP_3)
	v_fma_f32 v37, v38, v31, -v37
	v_dual_fmac_f32 v32, v39, v31 :: v_dual_mul_f32 v31, v38, v34
	v_fma_f32 v34, v38, v33, -v48
	s_wait_dscnt 0x0
	v_dual_add_f32 v45, v45, v35 :: v_dual_mul_f32 v48, v56, v30
	s_delay_alu instid0(VALU_DEP_3) | instskip(NEXT) | instid1(VALU_DEP_3)
	v_dual_add_f32 v32, v36, v32 :: v_dual_fmac_f32 v31, v39, v33
	v_dual_add_f32 v33, v49, v34 :: v_dual_mul_f32 v34, v55, v28
	v_add_f32_e32 v47, v47, v37
	s_delay_alu instid0(VALU_DEP_4) | instskip(NEXT) | instid1(VALU_DEP_3)
	v_fma_f32 v48, v55, v29, -v48
	v_dual_mul_f32 v49, v41, v28 :: v_dual_fmac_f32 v34, v56, v27
	v_mul_f32_e32 v35, v56, v28
	v_mul_f32_e32 v28, v40, v28
	s_delay_alu instid0(VALU_DEP_4)
	v_add_f32_e32 v44, v44, v48
	v_mul_f32_e32 v48, v41, v30
	v_add_f32_e32 v34, v46, v34
	v_fma_f32 v39, v55, v27, -v35
	ds_load_2addr_b64 v[35:38], v20 offset0:224 offset1:240
	v_fmac_f32_e32 v28, v41, v27
	s_wait_loadcnt_dscnt 0x0
	s_barrier_signal -1
	v_dual_add_f32 v0, v0, v39 :: v_dual_mul_f32 v39, v55, v30
	v_dual_add_f32 v31, v51, v31 :: v_dual_mul_f32 v30, v40, v30
	v_fma_f32 v46, v40, v27, -v49
	v_fma_f32 v40, v40, v29, -v48
	s_delay_alu instid0(VALU_DEP_4)
	v_fmac_f32_e32 v39, v56, v29
	v_add_f32_e32 v28, v32, v28
	v_fmac_f32_e32 v30, v41, v29
	s_barrier_wait -1
	v_add_f32_e32 v40, v33, v40
	v_add_f32_e32 v27, v45, v39
	;; [unrolled: 1-line block ×3, first 2 shown]
	global_inv scope:SCOPE_SE
	v_mul_f32_e32 v32, v58, v36
	v_mul_f32_e32 v33, v58, v38
	v_add_f32_e32 v41, v31, v30
	s_delay_alu instid0(VALU_DEP_3) | instskip(SKIP_1) | instid1(VALU_DEP_4)
	v_fma_f32 v32, v57, v35, -v32
	v_mul_f32_e32 v30, v57, v38
	v_fma_f32 v31, v57, v37, -v33
	s_delay_alu instid0(VALU_DEP_3) | instskip(NEXT) | instid1(VALU_DEP_3)
	v_add_f32_e32 v33, v0, v32
	v_dual_mul_f32 v29, v57, v36 :: v_dual_fmac_f32 v30, v58, v37
	s_delay_alu instid0(VALU_DEP_3) | instskip(NEXT) | instid1(VALU_DEP_2)
	v_dual_mul_f32 v0, v43, v36 :: v_dual_add_f32 v31, v44, v31
	v_dual_mul_f32 v44, v43, v38 :: v_dual_fmac_f32 v29, v58, v35
	s_delay_alu instid0(VALU_DEP_3) | instskip(NEXT) | instid1(VALU_DEP_3)
	v_add_f32_e32 v32, v27, v30
	v_fma_f32 v0, v42, v35, -v0
	v_mul_f32_e32 v38, v42, v38
	s_delay_alu instid0(VALU_DEP_2) | instskip(NEXT) | instid1(VALU_DEP_2)
	v_dual_add_f32 v34, v34, v29 :: v_dual_add_f32 v29, v39, v0
	v_fmac_f32_e32 v38, v43, v37
	v_mul_f32_e32 v36, v42, v36
	v_fma_f32 v0, v42, v37, -v44
	s_delay_alu instid0(VALU_DEP_2) | instskip(NEXT) | instid1(VALU_DEP_1)
	v_dual_add_f32 v27, v41, v38 :: v_dual_fmac_f32 v36, v43, v35
	v_add_f32_e32 v30, v28, v36
	s_delay_alu instid0(VALU_DEP_3)
	v_add_f32_e32 v28, v40, v0
	s_wait_alu 0xfffe
	s_cbranch_vccz .LBB533_22
.LBB533_11:                             ;   Parent Loop BB533_8 Depth=1
                                        ; =>  This Inner Loop Header: Depth=2
	s_mov_b32 s30, 0
	s_mov_b32 s39, s34
	s_and_saveexec_b32 s31, s0
	s_cbranch_execnz .LBB533_19
; %bb.12:                               ;   in Loop: Header=BB533_11 Depth=2
	s_or_b32 exec_lo, exec_lo, s31
	s_and_saveexec_b32 s31, s39
	s_delay_alu instid0(SALU_CYCLE_1)
	s_xor_b32 s31, exec_lo, s31
	s_cbranch_execnz .LBB533_20
.LBB533_13:                             ;   in Loop: Header=BB533_11 Depth=2
	s_or_b32 exec_lo, exec_lo, s31
	s_and_saveexec_b32 s31, s30
	s_cbranch_execz .LBB533_15
.LBB533_14:                             ;   in Loop: Header=BB533_11 Depth=2
	v_mul_lo_u32 v0, s11, v12
	v_mul_lo_u32 v37, s10, v13
	v_mad_co_u64_u32 v[35:36], null, s10, v12, 0
	s_delay_alu instid0(VALU_DEP_1) | instskip(NEXT) | instid1(VALU_DEP_1)
	v_add3_u32 v36, v36, v37, v0
	v_lshlrev_b64_e32 v[35:36], 3, v[35:36]
	s_delay_alu instid0(VALU_DEP_1) | instskip(SKIP_1) | instid1(VALU_DEP_2)
	v_add_co_u32 v35, vcc_lo, v23, v35
	s_wait_alu 0xfffd
	v_add_co_ci_u32_e64 v36, null, v24, v36, vcc_lo
	flat_load_b64 v[35:36], v[35:36]
	s_wait_loadcnt_dscnt 0x0
	ds_store_b64 v18, v[35:36]
.LBB533_15:                             ;   in Loop: Header=BB533_11 Depth=2
	s_or_b32 exec_lo, exec_lo, s31
	s_wait_alu 0xfffe
	v_add_nc_u32_e32 v0, s22, v16
	s_delay_alu instid0(VALU_DEP_1) | instskip(SKIP_1) | instid1(SALU_CYCLE_1)
	v_cmp_le_u64_e32 vcc_lo, s[16:17], v[0:1]
	s_or_b32 s30, vcc_lo, s38
	s_and_saveexec_b32 s31, s30
	s_delay_alu instid0(SALU_CYCLE_1)
	s_xor_b32 s30, exec_lo, s31
; %bb.16:                               ;   in Loop: Header=BB533_11 Depth=2
	ds_store_b32 v19, v1
; %bb.17:                               ;   in Loop: Header=BB533_11 Depth=2
	s_or_saveexec_b32 s30, s30
	v_mov_b32_e32 v35, 0
	s_xor_b32 exec_lo, exec_lo, s30
	s_cbranch_execz .LBB533_10
; %bb.18:                               ;   in Loop: Header=BB533_11 Depth=2
	v_mad_co_u64_u32 v[35:36], null, s20, v0, 0
	s_delay_alu instid0(VALU_DEP_1) | instskip(NEXT) | instid1(VALU_DEP_1)
	v_mad_co_u64_u32 v[36:37], null, s21, v0, v[36:37]
	v_lshlrev_b64_e32 v[35:36], 3, v[35:36]
	s_delay_alu instid0(VALU_DEP_1) | instskip(SKIP_1) | instid1(VALU_DEP_2)
	v_add_co_u32 v35, vcc_lo, v25, v35
	s_wait_alu 0xfffd
	v_add_co_ci_u32_e64 v36, null, v26, v36, vcc_lo
	flat_load_b64 v[36:37], v[35:36]
	s_wait_loadcnt_dscnt 0x0
	v_xor_b32_e32 v35, 0x80000000, v37
	ds_store_b32 v19, v36
	s_branch .LBB533_10
.LBB533_19:                             ;   in Loop: Header=BB533_11 Depth=2
	s_wait_alu 0xfffe
	v_add_nc_u32_e32 v0, s22, v17
	v_mov_b32_e32 v13, v1
	s_and_not1_b32 s39, s34, exec_lo
	s_mov_b32 s30, exec_lo
	s_delay_alu instid0(VALU_DEP_2) | instskip(SKIP_2) | instid1(SALU_CYCLE_1)
	v_cmp_le_u64_e32 vcc_lo, s[16:17], v[0:1]
	v_mov_b32_e32 v12, v0
	s_and_b32 s40, vcc_lo, exec_lo
	s_or_b32 s39, s39, s40
	s_or_b32 exec_lo, exec_lo, s31
	s_and_saveexec_b32 s31, s39
	s_delay_alu instid0(SALU_CYCLE_1)
	s_xor_b32 s31, exec_lo, s31
	s_cbranch_execz .LBB533_13
.LBB533_20:                             ;   in Loop: Header=BB533_11 Depth=2
	v_mov_b32_e32 v0, v1
	s_and_not1_b32 s30, s30, exec_lo
	ds_store_b64 v18, v[0:1]
	s_or_b32 exec_lo, exec_lo, s31
	s_and_saveexec_b32 s31, s30
	s_cbranch_execnz .LBB533_14
	s_branch .LBB533_15
.LBB533_21:                             ;   in Loop: Header=BB533_8 Depth=1
	v_dual_mov_b32 v33, v1 :: v_dual_mov_b32 v34, v1
	v_dual_mov_b32 v31, v1 :: v_dual_mov_b32 v32, v1
	;; [unrolled: 1-line block ×4, first 2 shown]
.LBB533_22:                             ;   in Loop: Header=BB533_8 Depth=1
	s_wait_loadcnt 0x0
	v_add_co_u32 v0, vcc_lo, v14, s12
	s_wait_alu 0xfffd
	v_add_co_ci_u32_e64 v23, null, s13, v15, vcc_lo
	s_delay_alu instid0(VALU_DEP_2) | instskip(SKIP_1) | instid1(VALU_DEP_2)
	v_add_co_u32 v24, vcc_lo, v0, v4
	s_wait_alu 0xfffd
	v_add_co_ci_u32_e64 v25, null, v23, v5, vcc_lo
	s_wait_alu 0xfffe
	s_and_saveexec_b32 s22, s26
	s_cbranch_execz .LBB533_27
; %bb.23:                               ;   in Loop: Header=BB533_8 Depth=1
	v_mul_f32_e32 v15, s18, v34
	v_mul_f32_e32 v14, s19, v34
	s_and_b32 vcc_lo, exec_lo, s37
	s_mov_b32 s23, -1
	s_delay_alu instid0(VALU_DEP_2) | instskip(NEXT) | instid1(VALU_DEP_2)
	v_fmac_f32_e32 v15, s19, v33
	v_fma_f32 v14, v33, s18, -v14
	s_wait_alu 0xfffe
	s_cbranch_vccz .LBB533_25
; %bb.24:                               ;   in Loop: Header=BB533_8 Depth=1
	v_add_co_u32 v33, vcc_lo, v24, v8
	s_wait_alu 0xfffd
	v_add_co_ci_u32_e64 v34, null, v25, v9, vcc_lo
	s_mov_b32 s23, 0
	flat_load_b64 v[35:36], v[33:34]
	s_wait_loadcnt_dscnt 0x0
	v_mul_f32_e32 v26, s7, v36
	s_delay_alu instid0(VALU_DEP_1) | instskip(SKIP_1) | instid1(VALU_DEP_1)
	v_fma_f32 v26, v35, s6, -v26
	v_mul_f32_e32 v36, s6, v36
	v_dual_fmac_f32 v36, s7, v35 :: v_dual_add_f32 v35, v14, v26
	s_delay_alu instid0(VALU_DEP_1)
	v_add_f32_e32 v36, v15, v36
	flat_store_b64 v[33:34], v[35:36]
.LBB533_25:                             ;   in Loop: Header=BB533_8 Depth=1
	s_wait_alu 0xfffe
	s_and_not1_b32 vcc_lo, exec_lo, s23
	s_wait_alu 0xfffe
	s_cbranch_vccnz .LBB533_27
; %bb.26:                               ;   in Loop: Header=BB533_8 Depth=1
	v_add_co_u32 v33, vcc_lo, v24, v8
	s_wait_alu 0xfffd
	v_add_co_ci_u32_e64 v34, null, v25, v9, vcc_lo
	flat_store_b64 v[33:34], v[14:15]
.LBB533_27:                             ;   in Loop: Header=BB533_8 Depth=1
	s_wait_alu 0xfffe
	s_or_b32 exec_lo, exec_lo, s22
	s_and_saveexec_b32 s22, s27
	s_cbranch_execz .LBB533_32
; %bb.28:                               ;   in Loop: Header=BB533_8 Depth=1
	v_mul_f32_e32 v15, s18, v32
	v_mul_f32_e32 v14, s19, v32
	s_and_not1_b32 vcc_lo, exec_lo, s37
	s_mov_b32 s23, -1
	s_delay_alu instid0(VALU_DEP_2) | instskip(NEXT) | instid1(VALU_DEP_2)
	v_fmac_f32_e32 v15, s19, v31
	v_fma_f32 v14, v31, s18, -v14
	s_wait_alu 0xfffe
	s_cbranch_vccnz .LBB533_30
; %bb.29:                               ;   in Loop: Header=BB533_8 Depth=1
	v_add_co_u32 v31, vcc_lo, v24, v10
	s_wait_alu 0xfffd
	v_add_co_ci_u32_e64 v32, null, v25, v11, vcc_lo
	s_mov_b32 s23, 0
	flat_load_b64 v[33:34], v[31:32]
	s_wait_loadcnt_dscnt 0x0
	v_mul_f32_e32 v26, s7, v34
	v_mul_f32_e32 v34, s6, v34
	s_delay_alu instid0(VALU_DEP_2) | instskip(NEXT) | instid1(VALU_DEP_1)
	v_fma_f32 v26, v33, s6, -v26
	v_dual_fmac_f32 v34, s7, v33 :: v_dual_add_f32 v33, v14, v26
	s_delay_alu instid0(VALU_DEP_1)
	v_add_f32_e32 v34, v15, v34
	flat_store_b64 v[31:32], v[33:34]
.LBB533_30:                             ;   in Loop: Header=BB533_8 Depth=1
	s_wait_alu 0xfffe
	s_and_not1_b32 vcc_lo, exec_lo, s23
	s_wait_alu 0xfffe
	s_cbranch_vccnz .LBB533_32
; %bb.31:                               ;   in Loop: Header=BB533_8 Depth=1
	v_add_co_u32 v24, vcc_lo, v24, v10
	s_wait_alu 0xfffd
	v_add_co_ci_u32_e64 v25, null, v25, v11, vcc_lo
	flat_store_b64 v[24:25], v[14:15]
.LBB533_32:                             ;   in Loop: Header=BB533_8 Depth=1
	s_wait_alu 0xfffe
	s_or_b32 exec_lo, exec_lo, s22
	v_add_co_u32 v0, vcc_lo, v0, v6
	s_wait_alu 0xfffd
	v_add_co_ci_u32_e64 v23, null, v23, v7, vcc_lo
	s_and_saveexec_b32 s22, s1
	s_cbranch_execz .LBB533_37
; %bb.33:                               ;   in Loop: Header=BB533_8 Depth=1
	v_mul_f32_e32 v15, s18, v30
	v_mul_f32_e32 v14, s19, v30
	s_and_not1_b32 vcc_lo, exec_lo, s37
	s_mov_b32 s23, -1
	s_delay_alu instid0(VALU_DEP_2) | instskip(NEXT) | instid1(VALU_DEP_2)
	v_fmac_f32_e32 v15, s19, v29
	v_fma_f32 v14, v29, s18, -v14
	s_wait_alu 0xfffe
	s_cbranch_vccnz .LBB533_35
; %bb.34:                               ;   in Loop: Header=BB533_8 Depth=1
	v_add_co_u32 v24, vcc_lo, v0, v8
	s_wait_alu 0xfffd
	v_add_co_ci_u32_e64 v25, null, v23, v9, vcc_lo
	s_mov_b32 s23, 0
	flat_load_b64 v[29:30], v[24:25]
	s_wait_loadcnt_dscnt 0x0
	v_mul_f32_e32 v26, s7, v30
	v_mul_f32_e32 v30, s6, v30
	s_delay_alu instid0(VALU_DEP_2) | instskip(NEXT) | instid1(VALU_DEP_1)
	v_fma_f32 v26, v29, s6, -v26
	v_dual_fmac_f32 v30, s7, v29 :: v_dual_add_f32 v29, v14, v26
	s_delay_alu instid0(VALU_DEP_1)
	v_add_f32_e32 v30, v15, v30
	flat_store_b64 v[24:25], v[29:30]
.LBB533_35:                             ;   in Loop: Header=BB533_8 Depth=1
	s_wait_alu 0xfffe
	s_and_not1_b32 vcc_lo, exec_lo, s23
	s_wait_alu 0xfffe
	s_cbranch_vccnz .LBB533_37
; %bb.36:                               ;   in Loop: Header=BB533_8 Depth=1
	v_add_co_u32 v24, vcc_lo, v0, v8
	s_wait_alu 0xfffd
	v_add_co_ci_u32_e64 v25, null, v23, v9, vcc_lo
	flat_store_b64 v[24:25], v[14:15]
.LBB533_37:                             ;   in Loop: Header=BB533_8 Depth=1
	s_wait_alu 0xfffe
	s_or_b32 exec_lo, exec_lo, s22
	s_and_saveexec_b32 s22, s35
	s_cbranch_execz .LBB533_7
; %bb.38:                               ;   in Loop: Header=BB533_8 Depth=1
	v_mul_f32_e32 v15, s18, v27
	v_mul_f32_e32 v14, s19, v27
	s_and_not1_b32 vcc_lo, exec_lo, s37
	s_mov_b32 s23, -1
	s_delay_alu instid0(VALU_DEP_2) | instskip(NEXT) | instid1(VALU_DEP_2)
	v_fmac_f32_e32 v15, s19, v28
	v_fma_f32 v14, v28, s18, -v14
	s_wait_alu 0xfffe
	s_cbranch_vccnz .LBB533_40
; %bb.39:                               ;   in Loop: Header=BB533_8 Depth=1
	v_add_co_u32 v24, vcc_lo, v0, v10
	s_wait_alu 0xfffd
	v_add_co_ci_u32_e64 v25, null, v23, v11, vcc_lo
	s_mov_b32 s23, 0
	flat_load_b64 v[26:27], v[24:25]
	s_wait_loadcnt_dscnt 0x0
	v_mul_f32_e32 v28, s7, v27
	v_mul_f32_e32 v27, s6, v27
	s_delay_alu instid0(VALU_DEP_1) | instskip(NEXT) | instid1(VALU_DEP_3)
	v_fmac_f32_e32 v27, s7, v26
	v_fma_f32 v28, v26, s6, -v28
	s_delay_alu instid0(VALU_DEP_1)
	v_dual_add_f32 v27, v15, v27 :: v_dual_add_f32 v26, v14, v28
	flat_store_b64 v[24:25], v[26:27]
.LBB533_40:                             ;   in Loop: Header=BB533_8 Depth=1
	s_wait_alu 0xfffe
	s_and_not1_b32 vcc_lo, exec_lo, s23
	s_wait_alu 0xfffe
	s_cbranch_vccnz .LBB533_7
; %bb.41:                               ;   in Loop: Header=BB533_8 Depth=1
	v_add_co_u32 v24, vcc_lo, v0, v10
	s_wait_alu 0xfffd
	v_add_co_ci_u32_e64 v25, null, v23, v11, vcc_lo
	flat_store_b64 v[24:25], v[14:15]
	s_branch .LBB533_7
.LBB533_42:
	s_endpgm
	.section	.rodata,"a",@progbits
	.p2align	6, 0x0
	.amdhsa_kernel _ZL29rocblas_internal_gemmt_kernelIlLi16ELi32ELi8ELc78ELc67ELc76ELb0ELb1E19rocblas_complex_numIfES1_PKPKS1_PKPS1_EviT_T9_T10_S9_lSB_S9_lSA_T11_S9_li
		.amdhsa_group_segment_fixed_size 4096
		.amdhsa_private_segment_fixed_size 0
		.amdhsa_kernarg_size 108
		.amdhsa_user_sgpr_count 2
		.amdhsa_user_sgpr_dispatch_ptr 0
		.amdhsa_user_sgpr_queue_ptr 0
		.amdhsa_user_sgpr_kernarg_segment_ptr 1
		.amdhsa_user_sgpr_dispatch_id 0
		.amdhsa_user_sgpr_private_segment_size 0
		.amdhsa_wavefront_size32 1
		.amdhsa_uses_dynamic_stack 0
		.amdhsa_enable_private_segment 0
		.amdhsa_system_sgpr_workgroup_id_x 1
		.amdhsa_system_sgpr_workgroup_id_y 1
		.amdhsa_system_sgpr_workgroup_id_z 1
		.amdhsa_system_sgpr_workgroup_info 0
		.amdhsa_system_vgpr_workitem_id 1
		.amdhsa_next_free_vgpr 72
		.amdhsa_next_free_sgpr 41
		.amdhsa_reserve_vcc 1
		.amdhsa_float_round_mode_32 0
		.amdhsa_float_round_mode_16_64 0
		.amdhsa_float_denorm_mode_32 3
		.amdhsa_float_denorm_mode_16_64 3
		.amdhsa_fp16_overflow 0
		.amdhsa_workgroup_processor_mode 1
		.amdhsa_memory_ordered 1
		.amdhsa_forward_progress 1
		.amdhsa_inst_pref_size 27
		.amdhsa_round_robin_scheduling 0
		.amdhsa_exception_fp_ieee_invalid_op 0
		.amdhsa_exception_fp_denorm_src 0
		.amdhsa_exception_fp_ieee_div_zero 0
		.amdhsa_exception_fp_ieee_overflow 0
		.amdhsa_exception_fp_ieee_underflow 0
		.amdhsa_exception_fp_ieee_inexact 0
		.amdhsa_exception_int_div_zero 0
	.end_amdhsa_kernel
	.section	.text._ZL29rocblas_internal_gemmt_kernelIlLi16ELi32ELi8ELc78ELc67ELc76ELb0ELb1E19rocblas_complex_numIfES1_PKPKS1_PKPS1_EviT_T9_T10_S9_lSB_S9_lSA_T11_S9_li,"axG",@progbits,_ZL29rocblas_internal_gemmt_kernelIlLi16ELi32ELi8ELc78ELc67ELc76ELb0ELb1E19rocblas_complex_numIfES1_PKPKS1_PKPS1_EviT_T9_T10_S9_lSB_S9_lSA_T11_S9_li,comdat
.Lfunc_end533:
	.size	_ZL29rocblas_internal_gemmt_kernelIlLi16ELi32ELi8ELc78ELc67ELc76ELb0ELb1E19rocblas_complex_numIfES1_PKPKS1_PKPS1_EviT_T9_T10_S9_lSB_S9_lSA_T11_S9_li, .Lfunc_end533-_ZL29rocblas_internal_gemmt_kernelIlLi16ELi32ELi8ELc78ELc67ELc76ELb0ELb1E19rocblas_complex_numIfES1_PKPKS1_PKPS1_EviT_T9_T10_S9_lSB_S9_lSA_T11_S9_li
                                        ; -- End function
	.set _ZL29rocblas_internal_gemmt_kernelIlLi16ELi32ELi8ELc78ELc67ELc76ELb0ELb1E19rocblas_complex_numIfES1_PKPKS1_PKPS1_EviT_T9_T10_S9_lSB_S9_lSA_T11_S9_li.num_vgpr, 72
	.set _ZL29rocblas_internal_gemmt_kernelIlLi16ELi32ELi8ELc78ELc67ELc76ELb0ELb1E19rocblas_complex_numIfES1_PKPKS1_PKPS1_EviT_T9_T10_S9_lSB_S9_lSA_T11_S9_li.num_agpr, 0
	.set _ZL29rocblas_internal_gemmt_kernelIlLi16ELi32ELi8ELc78ELc67ELc76ELb0ELb1E19rocblas_complex_numIfES1_PKPKS1_PKPS1_EviT_T9_T10_S9_lSB_S9_lSA_T11_S9_li.numbered_sgpr, 41
	.set _ZL29rocblas_internal_gemmt_kernelIlLi16ELi32ELi8ELc78ELc67ELc76ELb0ELb1E19rocblas_complex_numIfES1_PKPKS1_PKPS1_EviT_T9_T10_S9_lSB_S9_lSA_T11_S9_li.num_named_barrier, 0
	.set _ZL29rocblas_internal_gemmt_kernelIlLi16ELi32ELi8ELc78ELc67ELc76ELb0ELb1E19rocblas_complex_numIfES1_PKPKS1_PKPS1_EviT_T9_T10_S9_lSB_S9_lSA_T11_S9_li.private_seg_size, 0
	.set _ZL29rocblas_internal_gemmt_kernelIlLi16ELi32ELi8ELc78ELc67ELc76ELb0ELb1E19rocblas_complex_numIfES1_PKPKS1_PKPS1_EviT_T9_T10_S9_lSB_S9_lSA_T11_S9_li.uses_vcc, 1
	.set _ZL29rocblas_internal_gemmt_kernelIlLi16ELi32ELi8ELc78ELc67ELc76ELb0ELb1E19rocblas_complex_numIfES1_PKPKS1_PKPS1_EviT_T9_T10_S9_lSB_S9_lSA_T11_S9_li.uses_flat_scratch, 0
	.set _ZL29rocblas_internal_gemmt_kernelIlLi16ELi32ELi8ELc78ELc67ELc76ELb0ELb1E19rocblas_complex_numIfES1_PKPKS1_PKPS1_EviT_T9_T10_S9_lSB_S9_lSA_T11_S9_li.has_dyn_sized_stack, 0
	.set _ZL29rocblas_internal_gemmt_kernelIlLi16ELi32ELi8ELc78ELc67ELc76ELb0ELb1E19rocblas_complex_numIfES1_PKPKS1_PKPS1_EviT_T9_T10_S9_lSB_S9_lSA_T11_S9_li.has_recursion, 0
	.set _ZL29rocblas_internal_gemmt_kernelIlLi16ELi32ELi8ELc78ELc67ELc76ELb0ELb1E19rocblas_complex_numIfES1_PKPKS1_PKPS1_EviT_T9_T10_S9_lSB_S9_lSA_T11_S9_li.has_indirect_call, 0
	.section	.AMDGPU.csdata,"",@progbits
; Kernel info:
; codeLenInByte = 3332
; TotalNumSgprs: 43
; NumVgprs: 72
; ScratchSize: 0
; MemoryBound: 0
; FloatMode: 240
; IeeeMode: 1
; LDSByteSize: 4096 bytes/workgroup (compile time only)
; SGPRBlocks: 0
; VGPRBlocks: 8
; NumSGPRsForWavesPerEU: 43
; NumVGPRsForWavesPerEU: 72
; Occupancy: 16
; WaveLimiterHint : 1
; COMPUTE_PGM_RSRC2:SCRATCH_EN: 0
; COMPUTE_PGM_RSRC2:USER_SGPR: 2
; COMPUTE_PGM_RSRC2:TRAP_HANDLER: 0
; COMPUTE_PGM_RSRC2:TGID_X_EN: 1
; COMPUTE_PGM_RSRC2:TGID_Y_EN: 1
; COMPUTE_PGM_RSRC2:TGID_Z_EN: 1
; COMPUTE_PGM_RSRC2:TIDIG_COMP_CNT: 1
	.section	.text._ZL29rocblas_internal_gemmt_kernelIlLi16ELi32ELi8ELc84ELc78ELc76ELb0ELb0E19rocblas_complex_numIfES1_PKPKS1_PKPS1_EviT_T9_T10_S9_lSB_S9_lSA_T11_S9_li,"axG",@progbits,_ZL29rocblas_internal_gemmt_kernelIlLi16ELi32ELi8ELc84ELc78ELc76ELb0ELb0E19rocblas_complex_numIfES1_PKPKS1_PKPS1_EviT_T9_T10_S9_lSB_S9_lSA_T11_S9_li,comdat
	.globl	_ZL29rocblas_internal_gemmt_kernelIlLi16ELi32ELi8ELc84ELc78ELc76ELb0ELb0E19rocblas_complex_numIfES1_PKPKS1_PKPS1_EviT_T9_T10_S9_lSB_S9_lSA_T11_S9_li ; -- Begin function _ZL29rocblas_internal_gemmt_kernelIlLi16ELi32ELi8ELc84ELc78ELc76ELb0ELb0E19rocblas_complex_numIfES1_PKPKS1_PKPS1_EviT_T9_T10_S9_lSB_S9_lSA_T11_S9_li
	.p2align	8
	.type	_ZL29rocblas_internal_gemmt_kernelIlLi16ELi32ELi8ELc84ELc78ELc76ELb0ELb0E19rocblas_complex_numIfES1_PKPKS1_PKPS1_EviT_T9_T10_S9_lSB_S9_lSA_T11_S9_li,@function
_ZL29rocblas_internal_gemmt_kernelIlLi16ELi32ELi8ELc84ELc78ELc76ELb0ELb0E19rocblas_complex_numIfES1_PKPKS1_PKPS1_EviT_T9_T10_S9_lSB_S9_lSA_T11_S9_li: ; @_ZL29rocblas_internal_gemmt_kernelIlLi16ELi32ELi8ELc84ELc78ELc76ELb0ELb0E19rocblas_complex_numIfES1_PKPKS1_PKPS1_EviT_T9_T10_S9_lSB_S9_lSA_T11_S9_li
; %bb.0:
	s_clause 0x1
	s_load_b64 s[24:25], s[0:1], 0x48
	s_load_b128 s[16:19], s[0:1], 0x8
	s_wait_kmcnt 0x0
	s_cmp_eq_f32 s24, 1.0
	s_cselect_b32 s3, -1, 0
	s_and_b32 s2, s25, 0x7fffffff
	s_delay_alu instid0(SALU_CYCLE_1) | instskip(SKIP_1) | instid1(SALU_CYCLE_1)
	s_cmp_eq_u32 s2, 0
	s_cselect_b32 s2, -1, 0
	s_and_b32 s4, s3, s2
	s_mov_b32 s3, 0
	s_and_not1_b32 vcc_lo, exec_lo, s4
	s_mov_b32 s4, -1
	s_cbranch_vccnz .LBB534_4
; %bb.1:
	s_cmp_lg_u64 s[16:17], 0
	s_cbranch_scc0 .LBB534_3
; %bb.2:
	s_cmp_neq_f32 s18, 0
	s_cselect_b32 s3, -1, 0
	s_cmp_neq_f32 s19, 0
	s_cselect_b32 s4, -1, 0
	s_delay_alu instid0(SALU_CYCLE_1)
	s_or_b32 s3, s3, s4
.LBB534_3:
	s_delay_alu instid0(SALU_CYCLE_1)
	s_mov_b32 s4, s3
.LBB534_4:
	s_delay_alu instid0(SALU_CYCLE_1)
	s_and_b32 vcc_lo, exec_lo, s4
	s_cbranch_vccz .LBB534_42
; %bb.5:
	s_load_b32 s30, s[0:1], 0x68
	s_lshr_b32 s26, ttmp7, 16
	s_wait_kmcnt 0x0
	s_cmp_ge_u32 s26, s30
	s_cbranch_scc1 .LBB534_42
; %bb.6:
	s_clause 0x1
	s_load_b128 s[4:7], s[0:1], 0x38
	s_load_b128 s[20:23], s[0:1], 0x50
	v_bfe_u32 v12, v0, 10, 10
	s_lshl_b32 s3, ttmp7, 5
	v_and_b32_e32 v11, 0x3ff, v0
	s_and_b32 s3, s3, 0x1fffe0
	s_clause 0x1
	s_load_b32 s33, s[0:1], 0x0
	s_load_b256 s[8:15], s[0:1], 0x18
	v_add_nc_u32_e32 v14, s3, v12
	s_lshl_b32 s34, ttmp9, 5
	s_cmp_neq_f32 s18, 0
	s_load_b64 s[28:29], s[0:1], 0x60
	v_lshl_add_u32 v23, v12, 6, 0x800
	v_cmp_gt_i64_e64 s36, s[16:17], 0
	s_cselect_b32 s31, -1, 0
	s_cmp_neq_f32 s19, 0
	s_mov_b32 s27, 0
	s_cselect_b32 s0, -1, 0
	s_ashr_i32 s1, s34, 31
	s_or_b32 s35, s31, s0
	s_wait_kmcnt 0x0
	v_mad_co_u64_u32 v[6:7], null, s22, v14, 0
	v_and_b32_e32 v18, 7, v0
	v_lshl_add_u32 v0, v12, 4, v11
	s_cmp_neq_f32 s24, 0
	s_mul_i32 s1, s10, s1
	s_delay_alu instid0(VALU_DEP_1) | instskip(SKIP_2) | instid1(VALU_DEP_3)
	v_lshrrev_b32_e32 v8, 3, v0
	v_and_b32_e32 v1, 31, v0
	v_lshrrev_b32_e32 v19, 5, v0
	v_add_nc_u32_e32 v9, s3, v8
	s_delay_alu instid0(VALU_DEP_3) | instskip(SKIP_1) | instid1(VALU_DEP_3)
	v_or_b32_e32 v0, s34, v1
	v_lshlrev_b32_e32 v10, 3, v1
	v_mad_co_u64_u32 v[4:5], null, s4, v9, 0
	s_delay_alu instid0(VALU_DEP_3)
	v_cmp_gt_i32_e64 s0, s33, v0
	v_cmp_le_i32_e64 s31, s33, v0
	v_mul_lo_u32 v13, s11, v0
	v_mad_co_u64_u32 v[2:3], null, s10, v0, 0
	v_cmp_gt_i32_e32 vcc_lo, s33, v9
	v_dual_mov_b32 v0, v5 :: v_dual_lshlrev_b32 v5, 3, v18
	s_cselect_b32 s10, -1, 0
	s_xor_b32 s11, s2, -1
	v_lshlrev_b32_e32 v22, 3, v11
	s_delay_alu instid0(VALU_DEP_2) | instskip(SKIP_2) | instid1(VALU_DEP_2)
	v_mad_co_u64_u32 v[0:1], null, s5, v9, v[0:1]
	v_lshl_or_b32 v1, v8, 6, v5
	v_add3_u32 v3, v3, s1, v13
	v_add_nc_u32_e32 v21, 0x800, v1
	v_mov_b32_e32 v1, v7
	v_mov_b32_e32 v5, v0
	v_lshl_or_b32 v20, v19, 8, v10
	s_delay_alu instid0(VALU_DEP_3) | instskip(SKIP_1) | instid1(VALU_DEP_4)
	v_mad_co_u64_u32 v[0:1], null, s23, v14, v[1:2]
	v_lshlrev_b64_e32 v[2:3], 3, v[2:3]
	v_lshlrev_b64_e32 v[4:5], 3, v[4:5]
	s_delay_alu instid0(VALU_DEP_3) | instskip(SKIP_1) | instid1(VALU_DEP_2)
	v_mov_b32_e32 v7, v0
	v_add_nc_u32_e32 v13, 16, v14
	v_lshlrev_b64_e32 v[6:7], 3, v[6:7]
	s_delay_alu instid0(VALU_DEP_2) | instskip(NEXT) | instid1(VALU_DEP_1)
	v_mad_co_u64_u32 v[8:9], null, s22, v13, 0
	v_mov_b32_e32 v0, v9
	s_delay_alu instid0(VALU_DEP_1) | instskip(SKIP_4) | instid1(VALU_DEP_1)
	v_mad_co_u64_u32 v[0:1], null, s23, v13, v[0:1]
	v_dual_mov_b32 v1, 0 :: v_dual_add_nc_u32 v10, s34, v11
	s_and_b32 s34, s35, s36
	s_wait_alu 0xfffe
	s_or_b32 s35, s10, s11
	v_dual_mov_b32 v9, v0 :: v_dual_add_nc_u32 v12, 16, v10
	v_cmp_le_i32_e64 s1, v14, v10
	v_cmp_gt_i32_e64 s2, s33, v10
	v_ashrrev_i32_e32 v11, 31, v10
	s_delay_alu instid0(VALU_DEP_4)
	v_lshlrev_b64_e32 v[8:9], 3, v[8:9]
	v_cmp_le_i32_e64 s5, v13, v12
	v_cmp_le_i32_e64 s3, v14, v12
	s_and_b32 s22, s1, s2
	v_cmp_le_i32_e64 s1, v13, v10
	v_ashrrev_i32_e32 v13, 31, v12
	v_cmp_gt_i32_e64 s4, s33, v12
	v_lshlrev_b64_e32 v[10:11], 3, v[10:11]
                                        ; implicit-def: $vgpr14_vgpr15
	s_and_b32 s1, s1, s2
	v_lshlrev_b64_e32 v[12:13], 3, v[12:13]
	s_and_b32 s23, s3, s4
	s_and_b32 s33, s5, s4
	s_lshl_b64 s[2:3], s[6:7], 3
	s_lshl_b64 s[4:5], s[12:13], 3
	s_xor_b32 s12, vcc_lo, -1
	s_lshl_b64 s[6:7], s[28:29], 3
	s_branch .LBB534_8
.LBB534_7:                              ;   in Loop: Header=BB534_8 Depth=1
	s_wait_alu 0xfffe
	s_or_b32 exec_lo, exec_lo, s10
	s_add_co_i32 s26, s26, 0x10000
	s_delay_alu instid0(SALU_CYCLE_1)
	s_cmp_lt_u32 s26, s30
	s_cbranch_scc0 .LBB534_42
.LBB534_8:                              ; =>This Loop Header: Depth=1
                                        ;     Child Loop BB534_11 Depth 2
	s_lshl_b64 s[10:11], s[26:27], 3
	s_and_not1_b32 vcc_lo, exec_lo, s34
	s_wait_alu 0xfffe
	s_add_nc_u64 s[28:29], s[20:21], s[10:11]
	global_load_b64 v[16:17], v1, s[28:29]
	s_cbranch_vccnz .LBB534_21
; %bb.9:                                ;   in Loop: Header=BB534_8 Depth=1
	s_add_nc_u64 s[28:29], s[8:9], s[10:11]
	s_add_nc_u64 s[10:11], s[14:15], s[10:11]
	s_clause 0x1
	global_load_b64 v[24:25], v1, s[28:29]
	global_load_b64 v[26:27], v1, s[10:11]
	v_dual_mov_b32 v28, 0 :: v_dual_mov_b32 v29, 0
	v_dual_mov_b32 v31, 0 :: v_dual_mov_b32 v30, 0
	;; [unrolled: 1-line block ×4, first 2 shown]
	s_mov_b64 s[10:11], 0
	s_wait_loadcnt 0x1
	v_add_co_u32 v0, vcc_lo, v24, s4
	s_wait_alu 0xfffd
	v_add_co_ci_u32_e64 v25, null, s5, v25, vcc_lo
	s_wait_loadcnt 0x0
	v_add_co_u32 v26, vcc_lo, v26, s2
	s_wait_alu 0xfffd
	v_add_co_ci_u32_e64 v27, null, s3, v27, vcc_lo
	v_add_co_u32 v24, vcc_lo, v0, v2
	s_wait_alu 0xfffd
	v_add_co_ci_u32_e64 v25, null, v25, v3, vcc_lo
	;; [unrolled: 3-line block ×3, first 2 shown]
	s_branch .LBB534_11
.LBB534_10:                             ;   in Loop: Header=BB534_11 Depth=2
	s_or_b32 exec_lo, exec_lo, s13
	s_wait_dscnt 0x0
	s_barrier_signal -1
	s_barrier_wait -1
	global_inv scope:SCOPE_SE
	ds_load_b128 v[36:39], v23
	ds_load_2addr_b64 v[40:43], v22 offset1:16
	ds_load_b128 v[44:47], v23 offset:1024
	ds_load_b128 v[48:51], v23 offset:16
	;; [unrolled: 1-line block ×4, first 2 shown]
	ds_load_2addr_b64 v[60:63], v22 offset0:32 offset1:48
	ds_load_b128 v[64:67], v23 offset:1040
	s_add_nc_u64 s[10:11], s[10:11], 8
	s_wait_alu 0xfffe
	v_cmp_gt_i64_e64 s13, s[16:17], s[10:11]
	s_and_b32 vcc_lo, exec_lo, s13
	s_wait_dscnt 0x6
	v_mul_f32_e32 v0, v37, v41
	v_dual_mul_f32 v68, v36, v41 :: v_dual_mul_f32 v69, v37, v43
	s_wait_dscnt 0x5
	v_dual_mul_f32 v70, v36, v43 :: v_dual_mul_f32 v71, v45, v41
	v_dual_mul_f32 v41, v44, v41 :: v_dual_mul_f32 v72, v45, v43
	v_mul_f32_e32 v43, v44, v43
	v_fma_f32 v0, v36, v40, -v0
	v_fma_f32 v36, v36, v42, -v69
	v_fmac_f32_e32 v70, v37, v42
	v_fmac_f32_e32 v41, v45, v40
	;; [unrolled: 1-line block ×3, first 2 shown]
	v_fma_f32 v37, v44, v40, -v71
	v_fma_f32 v40, v44, v42, -v72
	v_dual_add_f32 v0, v34, v0 :: v_dual_fmac_f32 v43, v45, v42
	s_delay_alu instid0(VALU_DEP_4) | instskip(NEXT) | instid1(VALU_DEP_4)
	v_add_f32_e32 v34, v35, v68
	v_dual_add_f32 v35, v32, v36 :: v_dual_add_f32 v36, v30, v37
	v_add_f32_e32 v37, v31, v41
	s_wait_dscnt 0x1
	v_dual_mul_f32 v41, v39, v61 :: v_dual_add_f32 v40, v29, v40
	ds_load_2addr_b64 v[29:32], v22 offset0:64 offset1:80
	v_dual_add_f32 v33, v33, v70 :: v_dual_mul_f32 v44, v39, v63
	v_fma_f32 v41, v38, v60, -v41
	v_add_f32_e32 v28, v28, v43
	s_delay_alu instid0(VALU_DEP_2) | instskip(NEXT) | instid1(VALU_DEP_1)
	v_dual_mul_f32 v43, v38, v63 :: v_dual_add_f32 v0, v0, v41
	v_dual_mul_f32 v42, v38, v61 :: v_dual_fmac_f32 v43, v39, v62
	v_fma_f32 v38, v38, v62, -v44
	v_mul_f32_e32 v41, v47, v61
	s_delay_alu instid0(VALU_DEP_3) | instskip(SKIP_1) | instid1(VALU_DEP_4)
	v_fmac_f32_e32 v42, v39, v60
	v_mul_f32_e32 v39, v47, v63
	v_add_f32_e32 v38, v35, v38
	s_delay_alu instid0(VALU_DEP_4) | instskip(NEXT) | instid1(VALU_DEP_4)
	v_fma_f32 v35, v46, v60, -v41
	v_dual_add_f32 v41, v33, v43 :: v_dual_add_f32 v42, v34, v42
	v_mul_f32_e32 v43, v46, v63
	v_mul_f32_e32 v34, v46, v61
	v_fma_f32 v33, v46, v62, -v39
	s_wait_dscnt 0x0
	v_mul_f32_e32 v39, v48, v30
	v_fmac_f32_e32 v43, v47, v62
	v_fmac_f32_e32 v34, v47, v60
	v_dual_add_f32 v44, v36, v35 :: v_dual_mul_f32 v35, v49, v30
	s_delay_alu instid0(VALU_DEP_3) | instskip(NEXT) | instid1(VALU_DEP_3)
	v_dual_mul_f32 v46, v49, v32 :: v_dual_add_f32 v43, v28, v43
	v_add_f32_e32 v37, v37, v34
	v_dual_fmac_f32 v39, v49, v29 :: v_dual_mul_f32 v28, v48, v32
	v_add_f32_e32 v40, v40, v33
	v_fma_f32 v45, v48, v29, -v35
	ds_load_2addr_b64 v[33:36], v22 offset0:96 offset1:112
	v_add_f32_e32 v39, v42, v39
	v_fmac_f32_e32 v28, v49, v31
	v_add_f32_e32 v0, v0, v45
	v_fma_f32 v45, v48, v31, -v46
	s_delay_alu instid0(VALU_DEP_1) | instskip(SKIP_2) | instid1(VALU_DEP_2)
	v_dual_add_f32 v41, v41, v28 :: v_dual_add_f32 v38, v38, v45
	v_mul_f32_e32 v45, v65, v32
	v_mul_f32_e32 v32, v64, v32
	v_fma_f32 v28, v64, v31, -v45
	v_mul_f32_e32 v42, v65, v30
	s_delay_alu instid0(VALU_DEP_3)
	v_fmac_f32_e32 v32, v65, v31
	s_wait_dscnt 0x0
	v_dual_mul_f32 v30, v64, v30 :: v_dual_mul_f32 v49, v67, v36
	v_add_f32_e32 v45, v40, v28
	v_fma_f32 v42, v64, v29, -v42
	v_dual_mul_f32 v40, v50, v34 :: v_dual_add_f32 v43, v43, v32
	s_delay_alu instid0(VALU_DEP_4) | instskip(SKIP_1) | instid1(VALU_DEP_3)
	v_fmac_f32_e32 v30, v65, v29
	v_mul_f32_e32 v32, v50, v36
	v_fmac_f32_e32 v40, v51, v33
	v_add_f32_e32 v42, v44, v42
	s_delay_alu instid0(VALU_DEP_4)
	v_add_f32_e32 v44, v37, v30
	ds_load_2addr_b64 v[28:31], v22 offset0:128 offset1:144
	v_mul_f32_e32 v37, v51, v34
	v_mul_f32_e32 v46, v51, v36
	v_fmac_f32_e32 v32, v51, v35
	v_mul_f32_e32 v36, v66, v36
	s_delay_alu instid0(VALU_DEP_4) | instskip(NEXT) | instid1(VALU_DEP_1)
	v_fma_f32 v37, v50, v33, -v37
	v_dual_add_f32 v0, v0, v37 :: v_dual_mul_f32 v37, v67, v34
	v_mul_f32_e32 v34, v66, v34
	s_delay_alu instid0(VALU_DEP_2)
	v_fma_f32 v48, v66, v33, -v37
	s_wait_dscnt 0x0
	v_mul_f32_e32 v51, v52, v29
	v_fma_f32 v46, v50, v35, -v46
	v_add_f32_e32 v50, v41, v32
	v_fma_f32 v32, v66, v35, -v49
	s_delay_alu instid0(VALU_DEP_4) | instskip(NEXT) | instid1(VALU_DEP_4)
	v_fmac_f32_e32 v51, v53, v28
	v_dual_add_f32 v47, v39, v40 :: v_dual_add_f32 v46, v38, v46
	ds_load_b128 v[37:40], v23 offset:1056
	v_fmac_f32_e32 v34, v67, v33
	v_mul_f32_e32 v33, v53, v29
	v_dual_add_f32 v45, v45, v32 :: v_dual_fmac_f32 v36, v67, v35
	v_dual_add_f32 v47, v47, v51 :: v_dual_add_f32 v48, v42, v48
	s_delay_alu instid0(VALU_DEP_4) | instskip(NEXT) | instid1(VALU_DEP_4)
	v_add_f32_e32 v49, v44, v34
	v_fma_f32 v41, v52, v28, -v33
	ds_load_2addr_b64 v[32:35], v22 offset0:160 offset1:176
	v_mul_f32_e32 v42, v53, v31
	v_add_f32_e32 v36, v43, v36
	v_add_f32_e32 v0, v0, v41
	s_delay_alu instid0(VALU_DEP_3)
	v_fma_f32 v60, v52, v30, -v42
	v_mul_f32_e32 v52, v52, v31
	ds_load_b128 v[41:44], v23 offset:1072
	s_wait_dscnt 0x2
	v_mul_f32_e32 v61, v38, v29
	v_mul_f32_e32 v29, v37, v29
	v_dual_fmac_f32 v52, v53, v30 :: v_dual_mul_f32 v53, v38, v31
	s_delay_alu instid0(VALU_DEP_3) | instskip(NEXT) | instid1(VALU_DEP_3)
	v_fma_f32 v51, v37, v28, -v61
	v_fmac_f32_e32 v29, v38, v28
	s_delay_alu instid0(VALU_DEP_3) | instskip(SKIP_2) | instid1(VALU_DEP_4)
	v_add_f32_e32 v50, v50, v52
	v_mul_f32_e32 v52, v37, v31
	v_fma_f32 v28, v37, v30, -v53
	v_add_f32_e32 v37, v49, v29
	s_wait_dscnt 0x1
	s_delay_alu instid0(VALU_DEP_3) | instskip(NEXT) | instid1(VALU_DEP_3)
	v_dual_mul_f32 v49, v55, v33 :: v_dual_fmac_f32 v52, v38, v30
	v_add_f32_e32 v45, v45, v28
	ds_load_2addr_b64 v[28:31], v22 offset0:192 offset1:208
	v_mul_f32_e32 v38, v54, v33
	v_fma_f32 v49, v54, v32, -v49
	v_add_f32_e32 v46, v46, v60
	s_delay_alu instid0(VALU_DEP_3) | instskip(NEXT) | instid1(VALU_DEP_1)
	v_fmac_f32_e32 v38, v55, v32
	v_dual_add_f32 v0, v0, v49 :: v_dual_add_f32 v47, v47, v38
	v_add_f32_e32 v48, v48, v51
	v_dual_mul_f32 v51, v55, v35 :: v_dual_mul_f32 v38, v40, v33
	v_mul_f32_e32 v33, v39, v33
	s_delay_alu instid0(VALU_DEP_2) | instskip(NEXT) | instid1(VALU_DEP_3)
	v_fma_f32 v49, v54, v34, -v51
	v_fma_f32 v38, v39, v32, -v38
	s_delay_alu instid0(VALU_DEP_3) | instskip(NEXT) | instid1(VALU_DEP_3)
	v_dual_fmac_f32 v33, v40, v32 :: v_dual_mul_f32 v32, v39, v35
	v_dual_add_f32 v46, v46, v49 :: v_dual_mul_f32 v49, v40, v35
	s_delay_alu instid0(VALU_DEP_2) | instskip(SKIP_1) | instid1(VALU_DEP_4)
	v_dual_add_f32 v52, v36, v52 :: v_dual_add_f32 v33, v37, v33
	v_mul_f32_e32 v36, v54, v35
	v_fmac_f32_e32 v32, v40, v34
	s_delay_alu instid0(VALU_DEP_4) | instskip(SKIP_1) | instid1(VALU_DEP_3)
	v_fma_f32 v35, v39, v34, -v49
	s_wait_dscnt 0x0
	v_dual_mul_f32 v49, v42, v29 :: v_dual_fmac_f32 v36, v55, v34
	s_delay_alu instid0(VALU_DEP_2) | instskip(SKIP_1) | instid1(VALU_DEP_2)
	v_dual_add_f32 v34, v45, v35 :: v_dual_mul_f32 v35, v56, v29
	v_mul_f32_e32 v45, v57, v31
	v_dual_fmac_f32 v35, v57, v28 :: v_dual_add_f32 v48, v48, v38
	s_delay_alu instid0(VALU_DEP_2) | instskip(NEXT) | instid1(VALU_DEP_2)
	v_fma_f32 v45, v56, v30, -v45
	v_dual_add_f32 v35, v47, v35 :: v_dual_add_f32 v50, v50, v36
	v_mul_f32_e32 v36, v57, v29
	v_mul_f32_e32 v29, v41, v29
	;; [unrolled: 1-line block ×3, first 2 shown]
	v_add_f32_e32 v45, v46, v45
	v_fma_f32 v46, v41, v28, -v49
	v_fma_f32 v40, v56, v28, -v36
	ds_load_2addr_b64 v[36:39], v22 offset0:224 offset1:240
	v_fmac_f32_e32 v29, v42, v28
	v_add_f32_e32 v32, v52, v32
	s_wait_loadcnt_dscnt 0x0
	s_barrier_signal -1
	s_barrier_wait -1
	v_dual_add_f32 v29, v33, v29 :: v_dual_add_f32 v0, v0, v40
	v_mul_f32_e32 v40, v56, v31
	v_mul_f32_e32 v31, v41, v31
	v_fma_f32 v41, v41, v30, -v47
	global_inv scope:SCOPE_SE
	v_fmac_f32_e32 v40, v57, v30
	v_fmac_f32_e32 v31, v42, v30
	s_delay_alu instid0(VALU_DEP_1) | instskip(SKIP_3) | instid1(VALU_DEP_3)
	v_dual_add_f32 v41, v34, v41 :: v_dual_add_f32 v42, v32, v31
	v_mul_f32_e32 v33, v59, v37
	v_mul_f32_e32 v34, v59, v39
	;; [unrolled: 1-line block ×3, first 2 shown]
	v_fma_f32 v33, v58, v36, -v33
	s_delay_alu instid0(VALU_DEP_3) | instskip(NEXT) | instid1(VALU_DEP_2)
	v_fma_f32 v32, v58, v38, -v34
	v_dual_fmac_f32 v31, v59, v38 :: v_dual_add_f32 v34, v0, v33
	v_mul_f32_e32 v0, v44, v37
	s_delay_alu instid0(VALU_DEP_3)
	v_dual_add_f32 v32, v45, v32 :: v_dual_mul_f32 v45, v44, v39
	v_add_f32_e32 v28, v50, v40
	v_mul_f32_e32 v30, v58, v37
	v_dual_add_f32 v40, v48, v46 :: v_dual_mul_f32 v37, v43, v37
	v_fma_f32 v0, v43, v36, -v0
	v_mul_f32_e32 v39, v43, v39
	s_delay_alu instid0(VALU_DEP_4) | instskip(NEXT) | instid1(VALU_DEP_4)
	v_dual_add_f32 v33, v28, v31 :: v_dual_fmac_f32 v30, v59, v36
	v_fmac_f32_e32 v37, v44, v36
	s_delay_alu instid0(VALU_DEP_3) | instskip(NEXT) | instid1(VALU_DEP_3)
	v_fmac_f32_e32 v39, v44, v38
	v_dual_add_f32 v35, v35, v30 :: v_dual_add_f32 v30, v40, v0
	v_fma_f32 v0, v43, v38, -v45
	s_delay_alu instid0(VALU_DEP_3) | instskip(NEXT) | instid1(VALU_DEP_2)
	v_dual_add_f32 v31, v29, v37 :: v_dual_add_f32 v28, v42, v39
	v_add_f32_e32 v29, v41, v0
	s_wait_alu 0xfffe
	s_cbranch_vccz .LBB534_22
.LBB534_11:                             ;   Parent Loop BB534_8 Depth=1
                                        ; =>  This Inner Loop Header: Depth=2
	s_mov_b32 s13, 0
	s_mov_b32 s29, s31
	s_and_saveexec_b32 s28, s0
	s_cbranch_execnz .LBB534_19
; %bb.12:                               ;   in Loop: Header=BB534_11 Depth=2
	s_or_b32 exec_lo, exec_lo, s28
	s_and_saveexec_b32 s28, s29
	s_delay_alu instid0(SALU_CYCLE_1)
	s_xor_b32 s28, exec_lo, s28
	s_cbranch_execnz .LBB534_20
.LBB534_13:                             ;   in Loop: Header=BB534_11 Depth=2
	s_or_b32 exec_lo, exec_lo, s28
	s_and_saveexec_b32 s28, s13
	s_cbranch_execz .LBB534_15
.LBB534_14:                             ;   in Loop: Header=BB534_11 Depth=2
	v_lshlrev_b64_e32 v[36:37], 3, v[14:15]
	s_delay_alu instid0(VALU_DEP_1) | instskip(SKIP_1) | instid1(VALU_DEP_2)
	v_add_co_u32 v36, vcc_lo, v24, v36
	s_wait_alu 0xfffd
	v_add_co_ci_u32_e64 v37, null, v25, v37, vcc_lo
	flat_load_b64 v[36:37], v[36:37]
	s_wait_loadcnt_dscnt 0x0
	ds_store_b64 v20, v[36:37]
.LBB534_15:                             ;   in Loop: Header=BB534_11 Depth=2
	s_or_b32 exec_lo, exec_lo, s28
	s_wait_alu 0xfffe
	v_add_nc_u32_e32 v0, s10, v18
	s_delay_alu instid0(VALU_DEP_1) | instskip(SKIP_1) | instid1(SALU_CYCLE_1)
	v_cmp_le_u64_e32 vcc_lo, s[16:17], v[0:1]
	s_or_b32 s13, vcc_lo, s12
	s_and_saveexec_b32 s28, s13
	s_delay_alu instid0(SALU_CYCLE_1)
	s_xor_b32 s13, exec_lo, s28
; %bb.16:                               ;   in Loop: Header=BB534_11 Depth=2
	v_mov_b32_e32 v0, v1
	ds_store_b64 v21, v[0:1]
; %bb.17:                               ;   in Loop: Header=BB534_11 Depth=2
	s_and_not1_saveexec_b32 s13, s13
	s_cbranch_execz .LBB534_10
; %bb.18:                               ;   in Loop: Header=BB534_11 Depth=2
	v_lshlrev_b64_e32 v[36:37], 3, v[0:1]
	s_delay_alu instid0(VALU_DEP_1) | instskip(SKIP_1) | instid1(VALU_DEP_2)
	v_add_co_u32 v36, vcc_lo, v26, v36
	s_wait_alu 0xfffd
	v_add_co_ci_u32_e64 v37, null, v27, v37, vcc_lo
	flat_load_b64 v[36:37], v[36:37]
	s_wait_loadcnt_dscnt 0x0
	ds_store_b64 v21, v[36:37]
	s_branch .LBB534_10
.LBB534_19:                             ;   in Loop: Header=BB534_11 Depth=2
	s_wait_alu 0xfffe
	v_add_nc_u32_e32 v0, s10, v19
	v_mov_b32_e32 v15, v1
	s_and_not1_b32 s29, s31, exec_lo
	s_mov_b32 s13, exec_lo
	s_delay_alu instid0(VALU_DEP_2) | instskip(SKIP_2) | instid1(SALU_CYCLE_1)
	v_cmp_le_u64_e32 vcc_lo, s[16:17], v[0:1]
	v_mov_b32_e32 v14, v0
	s_and_b32 s36, vcc_lo, exec_lo
	s_or_b32 s29, s29, s36
	s_or_b32 exec_lo, exec_lo, s28
	s_and_saveexec_b32 s28, s29
	s_delay_alu instid0(SALU_CYCLE_1)
	s_xor_b32 s28, exec_lo, s28
	s_cbranch_execz .LBB534_13
.LBB534_20:                             ;   in Loop: Header=BB534_11 Depth=2
	v_mov_b32_e32 v0, v1
	s_and_not1_b32 s13, s13, exec_lo
	ds_store_b64 v20, v[0:1]
	s_or_b32 exec_lo, exec_lo, s28
	s_and_saveexec_b32 s28, s13
	s_cbranch_execnz .LBB534_14
	s_branch .LBB534_15
.LBB534_21:                             ;   in Loop: Header=BB534_8 Depth=1
	v_dual_mov_b32 v34, v1 :: v_dual_mov_b32 v35, v1
	v_dual_mov_b32 v32, v1 :: v_dual_mov_b32 v33, v1
	;; [unrolled: 1-line block ×4, first 2 shown]
.LBB534_22:                             ;   in Loop: Header=BB534_8 Depth=1
	s_wait_loadcnt 0x0
	v_add_co_u32 v0, vcc_lo, v16, s6
	s_wait_alu 0xfffd
	v_add_co_ci_u32_e64 v24, null, s7, v17, vcc_lo
	s_delay_alu instid0(VALU_DEP_2) | instskip(SKIP_1) | instid1(VALU_DEP_2)
	v_add_co_u32 v25, vcc_lo, v0, v6
	s_wait_alu 0xfffd
	v_add_co_ci_u32_e64 v26, null, v24, v7, vcc_lo
	s_and_saveexec_b32 s10, s22
	s_cbranch_execz .LBB534_27
; %bb.23:                               ;   in Loop: Header=BB534_8 Depth=1
	v_mul_f32_e32 v17, s18, v35
	v_mul_f32_e32 v16, s19, v35
	s_and_b32 vcc_lo, exec_lo, s35
	s_mov_b32 s11, -1
	s_delay_alu instid0(VALU_DEP_2) | instskip(NEXT) | instid1(VALU_DEP_2)
	v_fmac_f32_e32 v17, s19, v34
	v_fma_f32 v16, v34, s18, -v16
	s_wait_alu 0xfffe
	s_cbranch_vccz .LBB534_25
; %bb.24:                               ;   in Loop: Header=BB534_8 Depth=1
	v_add_co_u32 v34, vcc_lo, v25, v10
	s_wait_alu 0xfffd
	v_add_co_ci_u32_e64 v35, null, v26, v11, vcc_lo
	s_mov_b32 s11, 0
	flat_load_b64 v[36:37], v[34:35]
	s_wait_loadcnt_dscnt 0x0
	v_mul_f32_e32 v27, s25, v37
	s_delay_alu instid0(VALU_DEP_1) | instskip(SKIP_1) | instid1(VALU_DEP_1)
	v_fma_f32 v27, v36, s24, -v27
	v_mul_f32_e32 v37, s24, v37
	v_dual_fmac_f32 v37, s25, v36 :: v_dual_add_f32 v36, v16, v27
	s_delay_alu instid0(VALU_DEP_1)
	v_add_f32_e32 v37, v17, v37
	flat_store_b64 v[34:35], v[36:37]
.LBB534_25:                             ;   in Loop: Header=BB534_8 Depth=1
	s_wait_alu 0xfffe
	s_and_not1_b32 vcc_lo, exec_lo, s11
	s_wait_alu 0xfffe
	s_cbranch_vccnz .LBB534_27
; %bb.26:                               ;   in Loop: Header=BB534_8 Depth=1
	v_add_co_u32 v34, vcc_lo, v25, v10
	s_wait_alu 0xfffd
	v_add_co_ci_u32_e64 v35, null, v26, v11, vcc_lo
	flat_store_b64 v[34:35], v[16:17]
.LBB534_27:                             ;   in Loop: Header=BB534_8 Depth=1
	s_wait_alu 0xfffe
	s_or_b32 exec_lo, exec_lo, s10
	s_and_saveexec_b32 s10, s23
	s_cbranch_execz .LBB534_32
; %bb.28:                               ;   in Loop: Header=BB534_8 Depth=1
	v_mul_f32_e32 v17, s18, v33
	v_mul_f32_e32 v16, s19, v33
	s_and_not1_b32 vcc_lo, exec_lo, s35
	s_mov_b32 s11, -1
	s_delay_alu instid0(VALU_DEP_2) | instskip(NEXT) | instid1(VALU_DEP_2)
	v_fmac_f32_e32 v17, s19, v32
	v_fma_f32 v16, v32, s18, -v16
	s_wait_alu 0xfffe
	s_cbranch_vccnz .LBB534_30
; %bb.29:                               ;   in Loop: Header=BB534_8 Depth=1
	v_add_co_u32 v32, vcc_lo, v25, v12
	s_wait_alu 0xfffd
	v_add_co_ci_u32_e64 v33, null, v26, v13, vcc_lo
	s_mov_b32 s11, 0
	flat_load_b64 v[34:35], v[32:33]
	s_wait_loadcnt_dscnt 0x0
	v_mul_f32_e32 v27, s25, v35
	v_mul_f32_e32 v35, s24, v35
	s_delay_alu instid0(VALU_DEP_2) | instskip(NEXT) | instid1(VALU_DEP_1)
	v_fma_f32 v27, v34, s24, -v27
	v_dual_fmac_f32 v35, s25, v34 :: v_dual_add_f32 v34, v16, v27
	s_delay_alu instid0(VALU_DEP_1)
	v_add_f32_e32 v35, v17, v35
	flat_store_b64 v[32:33], v[34:35]
.LBB534_30:                             ;   in Loop: Header=BB534_8 Depth=1
	s_wait_alu 0xfffe
	s_and_not1_b32 vcc_lo, exec_lo, s11
	s_wait_alu 0xfffe
	s_cbranch_vccnz .LBB534_32
; %bb.31:                               ;   in Loop: Header=BB534_8 Depth=1
	v_add_co_u32 v25, vcc_lo, v25, v12
	s_wait_alu 0xfffd
	v_add_co_ci_u32_e64 v26, null, v26, v13, vcc_lo
	flat_store_b64 v[25:26], v[16:17]
.LBB534_32:                             ;   in Loop: Header=BB534_8 Depth=1
	s_wait_alu 0xfffe
	s_or_b32 exec_lo, exec_lo, s10
	v_add_co_u32 v0, vcc_lo, v0, v8
	s_wait_alu 0xfffd
	v_add_co_ci_u32_e64 v24, null, v24, v9, vcc_lo
	s_and_saveexec_b32 s10, s1
	s_cbranch_execz .LBB534_37
; %bb.33:                               ;   in Loop: Header=BB534_8 Depth=1
	v_mul_f32_e32 v17, s18, v31
	v_mul_f32_e32 v16, s19, v31
	s_and_not1_b32 vcc_lo, exec_lo, s35
	s_mov_b32 s11, -1
	s_delay_alu instid0(VALU_DEP_2) | instskip(NEXT) | instid1(VALU_DEP_2)
	v_fmac_f32_e32 v17, s19, v30
	v_fma_f32 v16, v30, s18, -v16
	s_wait_alu 0xfffe
	s_cbranch_vccnz .LBB534_35
; %bb.34:                               ;   in Loop: Header=BB534_8 Depth=1
	v_add_co_u32 v25, vcc_lo, v0, v10
	s_wait_alu 0xfffd
	v_add_co_ci_u32_e64 v26, null, v24, v11, vcc_lo
	s_mov_b32 s11, 0
	flat_load_b64 v[30:31], v[25:26]
	s_wait_loadcnt_dscnt 0x0
	v_mul_f32_e32 v27, s25, v31
	v_mul_f32_e32 v31, s24, v31
	s_delay_alu instid0(VALU_DEP_2) | instskip(NEXT) | instid1(VALU_DEP_1)
	v_fma_f32 v27, v30, s24, -v27
	v_dual_fmac_f32 v31, s25, v30 :: v_dual_add_f32 v30, v16, v27
	s_delay_alu instid0(VALU_DEP_1)
	v_add_f32_e32 v31, v17, v31
	flat_store_b64 v[25:26], v[30:31]
.LBB534_35:                             ;   in Loop: Header=BB534_8 Depth=1
	s_wait_alu 0xfffe
	s_and_not1_b32 vcc_lo, exec_lo, s11
	s_wait_alu 0xfffe
	s_cbranch_vccnz .LBB534_37
; %bb.36:                               ;   in Loop: Header=BB534_8 Depth=1
	v_add_co_u32 v25, vcc_lo, v0, v10
	s_wait_alu 0xfffd
	v_add_co_ci_u32_e64 v26, null, v24, v11, vcc_lo
	flat_store_b64 v[25:26], v[16:17]
.LBB534_37:                             ;   in Loop: Header=BB534_8 Depth=1
	s_wait_alu 0xfffe
	s_or_b32 exec_lo, exec_lo, s10
	s_and_saveexec_b32 s10, s33
	s_cbranch_execz .LBB534_7
; %bb.38:                               ;   in Loop: Header=BB534_8 Depth=1
	v_mul_f32_e32 v17, s18, v28
	v_mul_f32_e32 v16, s19, v28
	s_and_not1_b32 vcc_lo, exec_lo, s35
	s_mov_b32 s11, -1
	s_delay_alu instid0(VALU_DEP_2) | instskip(NEXT) | instid1(VALU_DEP_2)
	v_fmac_f32_e32 v17, s19, v29
	v_fma_f32 v16, v29, s18, -v16
	s_wait_alu 0xfffe
	s_cbranch_vccnz .LBB534_40
; %bb.39:                               ;   in Loop: Header=BB534_8 Depth=1
	v_add_co_u32 v25, vcc_lo, v0, v12
	s_wait_alu 0xfffd
	v_add_co_ci_u32_e64 v26, null, v24, v13, vcc_lo
	s_mov_b32 s11, 0
	flat_load_b64 v[27:28], v[25:26]
	s_wait_loadcnt_dscnt 0x0
	v_mul_f32_e32 v29, s25, v28
	v_mul_f32_e32 v28, s24, v28
	s_delay_alu instid0(VALU_DEP_1) | instskip(NEXT) | instid1(VALU_DEP_3)
	v_fmac_f32_e32 v28, s25, v27
	v_fma_f32 v29, v27, s24, -v29
	s_delay_alu instid0(VALU_DEP_1)
	v_dual_add_f32 v28, v17, v28 :: v_dual_add_f32 v27, v16, v29
	flat_store_b64 v[25:26], v[27:28]
.LBB534_40:                             ;   in Loop: Header=BB534_8 Depth=1
	s_wait_alu 0xfffe
	s_and_not1_b32 vcc_lo, exec_lo, s11
	s_wait_alu 0xfffe
	s_cbranch_vccnz .LBB534_7
; %bb.41:                               ;   in Loop: Header=BB534_8 Depth=1
	v_add_co_u32 v25, vcc_lo, v0, v12
	s_wait_alu 0xfffd
	v_add_co_ci_u32_e64 v26, null, v24, v13, vcc_lo
	flat_store_b64 v[25:26], v[16:17]
	s_branch .LBB534_7
.LBB534_42:
	s_endpgm
	.section	.rodata,"a",@progbits
	.p2align	6, 0x0
	.amdhsa_kernel _ZL29rocblas_internal_gemmt_kernelIlLi16ELi32ELi8ELc84ELc78ELc76ELb0ELb0E19rocblas_complex_numIfES1_PKPKS1_PKPS1_EviT_T9_T10_S9_lSB_S9_lSA_T11_S9_li
		.amdhsa_group_segment_fixed_size 4096
		.amdhsa_private_segment_fixed_size 0
		.amdhsa_kernarg_size 108
		.amdhsa_user_sgpr_count 2
		.amdhsa_user_sgpr_dispatch_ptr 0
		.amdhsa_user_sgpr_queue_ptr 0
		.amdhsa_user_sgpr_kernarg_segment_ptr 1
		.amdhsa_user_sgpr_dispatch_id 0
		.amdhsa_user_sgpr_private_segment_size 0
		.amdhsa_wavefront_size32 1
		.amdhsa_uses_dynamic_stack 0
		.amdhsa_enable_private_segment 0
		.amdhsa_system_sgpr_workgroup_id_x 1
		.amdhsa_system_sgpr_workgroup_id_y 1
		.amdhsa_system_sgpr_workgroup_id_z 1
		.amdhsa_system_sgpr_workgroup_info 0
		.amdhsa_system_vgpr_workitem_id 1
		.amdhsa_next_free_vgpr 73
		.amdhsa_next_free_sgpr 37
		.amdhsa_reserve_vcc 1
		.amdhsa_float_round_mode_32 0
		.amdhsa_float_round_mode_16_64 0
		.amdhsa_float_denorm_mode_32 3
		.amdhsa_float_denorm_mode_16_64 3
		.amdhsa_fp16_overflow 0
		.amdhsa_workgroup_processor_mode 1
		.amdhsa_memory_ordered 1
		.amdhsa_forward_progress 1
		.amdhsa_inst_pref_size 26
		.amdhsa_round_robin_scheduling 0
		.amdhsa_exception_fp_ieee_invalid_op 0
		.amdhsa_exception_fp_denorm_src 0
		.amdhsa_exception_fp_ieee_div_zero 0
		.amdhsa_exception_fp_ieee_overflow 0
		.amdhsa_exception_fp_ieee_underflow 0
		.amdhsa_exception_fp_ieee_inexact 0
		.amdhsa_exception_int_div_zero 0
	.end_amdhsa_kernel
	.section	.text._ZL29rocblas_internal_gemmt_kernelIlLi16ELi32ELi8ELc84ELc78ELc76ELb0ELb0E19rocblas_complex_numIfES1_PKPKS1_PKPS1_EviT_T9_T10_S9_lSB_S9_lSA_T11_S9_li,"axG",@progbits,_ZL29rocblas_internal_gemmt_kernelIlLi16ELi32ELi8ELc84ELc78ELc76ELb0ELb0E19rocblas_complex_numIfES1_PKPKS1_PKPS1_EviT_T9_T10_S9_lSB_S9_lSA_T11_S9_li,comdat
.Lfunc_end534:
	.size	_ZL29rocblas_internal_gemmt_kernelIlLi16ELi32ELi8ELc84ELc78ELc76ELb0ELb0E19rocblas_complex_numIfES1_PKPKS1_PKPS1_EviT_T9_T10_S9_lSB_S9_lSA_T11_S9_li, .Lfunc_end534-_ZL29rocblas_internal_gemmt_kernelIlLi16ELi32ELi8ELc84ELc78ELc76ELb0ELb0E19rocblas_complex_numIfES1_PKPKS1_PKPS1_EviT_T9_T10_S9_lSB_S9_lSA_T11_S9_li
                                        ; -- End function
	.set _ZL29rocblas_internal_gemmt_kernelIlLi16ELi32ELi8ELc84ELc78ELc76ELb0ELb0E19rocblas_complex_numIfES1_PKPKS1_PKPS1_EviT_T9_T10_S9_lSB_S9_lSA_T11_S9_li.num_vgpr, 73
	.set _ZL29rocblas_internal_gemmt_kernelIlLi16ELi32ELi8ELc84ELc78ELc76ELb0ELb0E19rocblas_complex_numIfES1_PKPKS1_PKPS1_EviT_T9_T10_S9_lSB_S9_lSA_T11_S9_li.num_agpr, 0
	.set _ZL29rocblas_internal_gemmt_kernelIlLi16ELi32ELi8ELc84ELc78ELc76ELb0ELb0E19rocblas_complex_numIfES1_PKPKS1_PKPS1_EviT_T9_T10_S9_lSB_S9_lSA_T11_S9_li.numbered_sgpr, 37
	.set _ZL29rocblas_internal_gemmt_kernelIlLi16ELi32ELi8ELc84ELc78ELc76ELb0ELb0E19rocblas_complex_numIfES1_PKPKS1_PKPS1_EviT_T9_T10_S9_lSB_S9_lSA_T11_S9_li.num_named_barrier, 0
	.set _ZL29rocblas_internal_gemmt_kernelIlLi16ELi32ELi8ELc84ELc78ELc76ELb0ELb0E19rocblas_complex_numIfES1_PKPKS1_PKPS1_EviT_T9_T10_S9_lSB_S9_lSA_T11_S9_li.private_seg_size, 0
	.set _ZL29rocblas_internal_gemmt_kernelIlLi16ELi32ELi8ELc84ELc78ELc76ELb0ELb0E19rocblas_complex_numIfES1_PKPKS1_PKPS1_EviT_T9_T10_S9_lSB_S9_lSA_T11_S9_li.uses_vcc, 1
	.set _ZL29rocblas_internal_gemmt_kernelIlLi16ELi32ELi8ELc84ELc78ELc76ELb0ELb0E19rocblas_complex_numIfES1_PKPKS1_PKPS1_EviT_T9_T10_S9_lSB_S9_lSA_T11_S9_li.uses_flat_scratch, 0
	.set _ZL29rocblas_internal_gemmt_kernelIlLi16ELi32ELi8ELc84ELc78ELc76ELb0ELb0E19rocblas_complex_numIfES1_PKPKS1_PKPS1_EviT_T9_T10_S9_lSB_S9_lSA_T11_S9_li.has_dyn_sized_stack, 0
	.set _ZL29rocblas_internal_gemmt_kernelIlLi16ELi32ELi8ELc84ELc78ELc76ELb0ELb0E19rocblas_complex_numIfES1_PKPKS1_PKPS1_EviT_T9_T10_S9_lSB_S9_lSA_T11_S9_li.has_recursion, 0
	.set _ZL29rocblas_internal_gemmt_kernelIlLi16ELi32ELi8ELc84ELc78ELc76ELb0ELb0E19rocblas_complex_numIfES1_PKPKS1_PKPS1_EviT_T9_T10_S9_lSB_S9_lSA_T11_S9_li.has_indirect_call, 0
	.section	.AMDGPU.csdata,"",@progbits
; Kernel info:
; codeLenInByte = 3320
; TotalNumSgprs: 39
; NumVgprs: 73
; ScratchSize: 0
; MemoryBound: 0
; FloatMode: 240
; IeeeMode: 1
; LDSByteSize: 4096 bytes/workgroup (compile time only)
; SGPRBlocks: 0
; VGPRBlocks: 9
; NumSGPRsForWavesPerEU: 39
; NumVGPRsForWavesPerEU: 73
; Occupancy: 16
; WaveLimiterHint : 1
; COMPUTE_PGM_RSRC2:SCRATCH_EN: 0
; COMPUTE_PGM_RSRC2:USER_SGPR: 2
; COMPUTE_PGM_RSRC2:TRAP_HANDLER: 0
; COMPUTE_PGM_RSRC2:TGID_X_EN: 1
; COMPUTE_PGM_RSRC2:TGID_Y_EN: 1
; COMPUTE_PGM_RSRC2:TGID_Z_EN: 1
; COMPUTE_PGM_RSRC2:TIDIG_COMP_CNT: 1
	.section	.text._ZL29rocblas_internal_gemmt_kernelIlLi16ELi32ELi8ELc84ELc84ELc76ELb0ELb0E19rocblas_complex_numIfES1_PKPKS1_PKPS1_EviT_T9_T10_S9_lSB_S9_lSA_T11_S9_li,"axG",@progbits,_ZL29rocblas_internal_gemmt_kernelIlLi16ELi32ELi8ELc84ELc84ELc76ELb0ELb0E19rocblas_complex_numIfES1_PKPKS1_PKPS1_EviT_T9_T10_S9_lSB_S9_lSA_T11_S9_li,comdat
	.globl	_ZL29rocblas_internal_gemmt_kernelIlLi16ELi32ELi8ELc84ELc84ELc76ELb0ELb0E19rocblas_complex_numIfES1_PKPKS1_PKPS1_EviT_T9_T10_S9_lSB_S9_lSA_T11_S9_li ; -- Begin function _ZL29rocblas_internal_gemmt_kernelIlLi16ELi32ELi8ELc84ELc84ELc76ELb0ELb0E19rocblas_complex_numIfES1_PKPKS1_PKPS1_EviT_T9_T10_S9_lSB_S9_lSA_T11_S9_li
	.p2align	8
	.type	_ZL29rocblas_internal_gemmt_kernelIlLi16ELi32ELi8ELc84ELc84ELc76ELb0ELb0E19rocblas_complex_numIfES1_PKPKS1_PKPS1_EviT_T9_T10_S9_lSB_S9_lSA_T11_S9_li,@function
_ZL29rocblas_internal_gemmt_kernelIlLi16ELi32ELi8ELc84ELc84ELc76ELb0ELb0E19rocblas_complex_numIfES1_PKPKS1_PKPS1_EviT_T9_T10_S9_lSB_S9_lSA_T11_S9_li: ; @_ZL29rocblas_internal_gemmt_kernelIlLi16ELi32ELi8ELc84ELc84ELc76ELb0ELb0E19rocblas_complex_numIfES1_PKPKS1_PKPS1_EviT_T9_T10_S9_lSB_S9_lSA_T11_S9_li
; %bb.0:
	s_clause 0x1
	s_load_b64 s[6:7], s[0:1], 0x48
	s_load_b128 s[16:19], s[0:1], 0x8
	s_wait_kmcnt 0x0
	s_cmp_eq_f32 s6, 1.0
	s_cselect_b32 s3, -1, 0
	s_and_b32 s2, s7, 0x7fffffff
	s_delay_alu instid0(SALU_CYCLE_1) | instskip(SKIP_1) | instid1(SALU_CYCLE_1)
	s_cmp_eq_u32 s2, 0
	s_cselect_b32 s2, -1, 0
	s_and_b32 s4, s3, s2
	s_mov_b32 s3, 0
	s_and_not1_b32 vcc_lo, exec_lo, s4
	s_mov_b32 s4, -1
	s_cbranch_vccnz .LBB535_4
; %bb.1:
	s_cmp_lg_u64 s[16:17], 0
	s_cbranch_scc0 .LBB535_3
; %bb.2:
	s_cmp_neq_f32 s18, 0
	s_cselect_b32 s3, -1, 0
	s_cmp_neq_f32 s19, 0
	s_cselect_b32 s4, -1, 0
	s_delay_alu instid0(SALU_CYCLE_1)
	s_or_b32 s3, s3, s4
.LBB535_3:
	s_delay_alu instid0(SALU_CYCLE_1)
	s_mov_b32 s4, s3
.LBB535_4:
	s_delay_alu instid0(SALU_CYCLE_1)
	s_and_b32 vcc_lo, exec_lo, s4
	s_cbranch_vccz .LBB535_42
; %bb.5:
	s_load_b32 s33, s[0:1], 0x68
	s_lshr_b32 s28, ttmp7, 16
	s_wait_kmcnt 0x0
	s_cmp_ge_u32 s28, s33
	s_cbranch_scc1 .LBB535_42
; %bb.6:
	s_clause 0x3
	s_load_b32 s4, s[0:1], 0x0
	s_load_b256 s[8:15], s[0:1], 0x18
	s_load_b128 s[20:23], s[0:1], 0x38
	s_load_b128 s[24:27], s[0:1], 0x50
	v_bfe_u32 v10, v0, 10, 10
	s_lshl_b32 s3, ttmp7, 5
	v_and_b32_e32 v16, 7, v0
	s_and_b32 s3, s3, 0x1fffe0
	s_lshl_b32 s5, ttmp9, 5
	v_add_nc_u32_e32 v11, s3, v10
	s_cmp_neq_f32 s18, 0
	s_load_b64 s[30:31], s[0:1], 0x60
	v_lshl_add_u32 v21, v10, 6, 0x800
	v_cmp_gt_i64_e64 s37, s[16:17], 0
	s_cselect_b32 s34, -1, 0
	s_cmp_neq_f32 s19, 0
	v_add_nc_u32_e32 v15, 16, v11
	s_mov_b32 s29, 0
	s_cselect_b32 s0, -1, 0
	s_ashr_i32 s1, s5, 31
	s_or_b32 s36, s34, s0
	s_wait_kmcnt 0x0
	s_mul_i32 s1, s10, s1
	v_mad_co_u64_u32 v[4:5], null, s26, v11, 0
	v_and_b32_e32 v9, 0x3ff, v0
	s_cmp_neq_f32 s6, 0
	s_delay_alu instid0(VALU_DEP_1) | instskip(NEXT) | instid1(VALU_DEP_1)
	v_lshl_add_u32 v0, v10, 4, v9
	v_and_b32_e32 v1, 31, v0
	v_lshrrev_b32_e32 v17, 5, v0
	v_lshrrev_b32_e32 v0, 3, v0
	s_delay_alu instid0(VALU_DEP_3) | instskip(SKIP_1) | instid1(VALU_DEP_3)
	v_or_b32_e32 v2, s5, v1
	v_lshlrev_b32_e32 v1, 3, v1
	v_add_nc_u32_e32 v14, s3, v0
	s_delay_alu instid0(VALU_DEP_3) | instskip(NEXT) | instid1(VALU_DEP_3)
	v_cmp_gt_i32_e64 s0, s4, v2
	v_lshl_or_b32 v18, v17, 8, v1
	v_mov_b32_e32 v1, 0
	v_lshlrev_b32_e32 v7, 3, v16
	v_cmp_le_i32_e64 s34, s4, v2
	v_mul_lo_u32 v6, s11, v2
	v_mad_co_u64_u32 v[2:3], null, s10, v2, 0
	s_delay_alu instid0(VALU_DEP_4) | instskip(SKIP_3) | instid1(VALU_DEP_1)
	v_lshl_or_b32 v0, v0, 6, v7
	s_cselect_b32 s10, -1, 0
	s_xor_b32 s11, s2, -1
	s_and_b32 s36, s36, s37
	v_dual_mov_b32 v0, v5 :: v_dual_add_nc_u32 v19, 0x800, v0
	s_delay_alu instid0(VALU_DEP_3) | instskip(SKIP_2) | instid1(VALU_DEP_4)
	v_add3_u32 v3, v3, s1, v6
	v_add_nc_u32_e32 v8, s5, v9
	v_lshlrev_b32_e32 v20, 3, v9
	v_mad_co_u64_u32 v[5:6], null, s27, v11, v[0:1]
	v_mad_co_u64_u32 v[6:7], null, s26, v15, 0
	s_delay_alu instid0(VALU_DEP_4)
	v_add_nc_u32_e32 v10, 16, v8
	v_cmp_le_i32_e64 s1, v11, v8
	v_cmp_gt_i32_e64 s2, s4, v8
	v_ashrrev_i32_e32 v9, 31, v8
	v_lshlrev_b64_e32 v[2:3], 3, v[2:3]
	v_cmp_le_i32_e64 s3, v11, v10
	v_mov_b32_e32 v0, v7
	v_ashrrev_i32_e32 v11, 31, v10
	s_and_b32 s26, s1, s2
	v_cmp_le_i32_e64 s1, v15, v8
	v_cmp_le_i32_e64 s5, v15, v10
	v_mad_co_u64_u32 v[12:13], null, s27, v15, v[0:1]
	v_lshlrev_b64_e32 v[4:5], 3, v[4:5]
	v_lshlrev_b64_e32 v[8:9], 3, v[8:9]
	s_and_b32 s1, s1, s2
	s_delay_alu instid0(VALU_DEP_3)
	v_mov_b32_e32 v7, v12
	v_cmp_gt_i32_e32 vcc_lo, s4, v14
	v_cmp_gt_i32_e64 s4, s4, v10
	v_lshlrev_b64_e32 v[10:11], 3, v[10:11]
	v_lshlrev_b32_e32 v22, 3, v14
	v_lshlrev_b64_e32 v[6:7], 3, v[6:7]
                                        ; implicit-def: $vgpr12_vgpr13
	s_and_b32 s27, s3, s4
	s_and_b32 s35, s5, s4
	s_lshl_b64 s[2:3], s[22:23], 3
	s_wait_alu 0xfffe
	s_or_b32 s22, s10, s11
	s_lshl_b64 s[4:5], s[12:13], 3
	s_xor_b32 s23, vcc_lo, -1
	s_lshl_b64 s[10:11], s[30:31], 3
	s_branch .LBB535_8
.LBB535_7:                              ;   in Loop: Header=BB535_8 Depth=1
	s_wait_alu 0xfffe
	s_or_b32 exec_lo, exec_lo, s12
	s_add_co_i32 s28, s28, 0x10000
	s_delay_alu instid0(SALU_CYCLE_1)
	s_cmp_lt_u32 s28, s33
	s_cbranch_scc0 .LBB535_42
.LBB535_8:                              ; =>This Loop Header: Depth=1
                                        ;     Child Loop BB535_11 Depth 2
	s_lshl_b64 s[12:13], s[28:29], 3
	s_and_not1_b32 vcc_lo, exec_lo, s36
	s_wait_alu 0xfffe
	s_add_nc_u64 s[30:31], s[24:25], s[12:13]
	global_load_b64 v[14:15], v1, s[30:31]
	s_cbranch_vccnz .LBB535_21
; %bb.9:                                ;   in Loop: Header=BB535_8 Depth=1
	s_add_nc_u64 s[30:31], s[8:9], s[12:13]
	s_add_nc_u64 s[12:13], s[14:15], s[12:13]
	s_clause 0x1
	global_load_b64 v[23:24], v1, s[30:31]
	global_load_b64 v[25:26], v1, s[12:13]
	v_dual_mov_b32 v27, 0 :: v_dual_mov_b32 v28, 0
	v_dual_mov_b32 v30, 0 :: v_dual_mov_b32 v29, 0
	;; [unrolled: 1-line block ×4, first 2 shown]
	s_mov_b64 s[12:13], 0
	s_wait_loadcnt 0x1
	v_add_co_u32 v0, vcc_lo, v23, s4
	s_wait_alu 0xfffd
	v_add_co_ci_u32_e64 v24, null, s5, v24, vcc_lo
	s_wait_loadcnt 0x0
	v_add_co_u32 v25, vcc_lo, v25, s2
	s_wait_alu 0xfffd
	v_add_co_ci_u32_e64 v26, null, s3, v26, vcc_lo
	v_add_co_u32 v23, vcc_lo, v0, v2
	s_wait_alu 0xfffd
	v_add_co_ci_u32_e64 v24, null, v24, v3, vcc_lo
	;; [unrolled: 3-line block ×3, first 2 shown]
	s_branch .LBB535_11
.LBB535_10:                             ;   in Loop: Header=BB535_11 Depth=2
	s_or_b32 exec_lo, exec_lo, s30
	s_wait_dscnt 0x0
	s_barrier_signal -1
	s_barrier_wait -1
	global_inv scope:SCOPE_SE
	ds_load_b128 v[35:38], v21
	ds_load_2addr_b64 v[39:42], v20 offset1:16
	ds_load_b128 v[43:46], v21 offset:1024
	ds_load_b128 v[47:50], v21 offset:16
	;; [unrolled: 1-line block ×4, first 2 shown]
	ds_load_2addr_b64 v[59:62], v20 offset0:32 offset1:48
	ds_load_b128 v[63:66], v21 offset:1040
	s_add_nc_u64 s[12:13], s[12:13], 8
	s_wait_alu 0xfffe
	v_cmp_gt_i64_e64 s30, s[16:17], s[12:13]
	s_and_b32 vcc_lo, exec_lo, s30
	s_wait_dscnt 0x6
	v_dual_mul_f32 v0, v36, v40 :: v_dual_mul_f32 v69, v35, v42
	v_dual_mul_f32 v67, v35, v40 :: v_dual_mul_f32 v68, v36, v42
	s_wait_dscnt 0x5
	v_mul_f32_e32 v71, v44, v42
	s_delay_alu instid0(VALU_DEP_3) | instskip(SKIP_3) | instid1(VALU_DEP_4)
	v_fma_f32 v0, v35, v39, -v0
	v_dual_mul_f32 v42, v43, v42 :: v_dual_fmac_f32 v69, v36, v41
	v_fmac_f32_e32 v67, v36, v39
	v_fma_f32 v35, v35, v41, -v68
	v_add_f32_e32 v0, v33, v0
	v_mul_f32_e32 v70, v44, v40
	s_delay_alu instid0(VALU_DEP_4) | instskip(NEXT) | instid1(VALU_DEP_4)
	v_dual_mul_f32 v40, v43, v40 :: v_dual_add_f32 v33, v34, v67
	v_add_f32_e32 v34, v31, v35
	v_fmac_f32_e32 v42, v44, v41
	s_delay_alu instid0(VALU_DEP_4) | instskip(NEXT) | instid1(VALU_DEP_4)
	v_fma_f32 v36, v43, v39, -v70
	v_fmac_f32_e32 v40, v44, v39
	v_fma_f32 v39, v43, v41, -v71
	s_wait_dscnt 0x1
	v_dual_mul_f32 v41, v37, v60 :: v_dual_add_f32 v32, v32, v69
	v_mul_f32_e32 v43, v38, v62
	v_add_f32_e32 v35, v29, v36
	v_dual_add_f32 v36, v30, v40 :: v_dual_add_f32 v39, v28, v39
	ds_load_2addr_b64 v[28:31], v20 offset0:64 offset1:80
	v_fmac_f32_e32 v41, v38, v59
	v_dual_mul_f32 v40, v38, v60 :: v_dual_add_f32 v27, v27, v42
	v_mul_f32_e32 v42, v37, v62
	s_delay_alu instid0(VALU_DEP_3) | instskip(NEXT) | instid1(VALU_DEP_3)
	v_add_f32_e32 v41, v33, v41
	v_fma_f32 v40, v37, v59, -v40
	v_fma_f32 v37, v37, v61, -v43
	v_mul_f32_e32 v33, v45, v60
	s_delay_alu instid0(VALU_DEP_3) | instskip(SKIP_1) | instid1(VALU_DEP_4)
	v_add_f32_e32 v0, v0, v40
	v_mul_f32_e32 v40, v46, v60
	v_add_f32_e32 v37, v34, v37
	v_fmac_f32_e32 v42, v38, v61
	v_mul_f32_e32 v38, v46, v62
	v_fmac_f32_e32 v33, v46, v59
	v_fma_f32 v34, v45, v59, -v40
	s_delay_alu instid0(VALU_DEP_4) | instskip(SKIP_4) | instid1(VALU_DEP_3)
	v_add_f32_e32 v40, v32, v42
	v_mul_f32_e32 v42, v45, v62
	v_fma_f32 v32, v45, v61, -v38
	s_wait_dscnt 0x0
	v_dual_add_f32 v43, v35, v34 :: v_dual_mul_f32 v34, v48, v29
	v_dual_mul_f32 v45, v48, v31 :: v_dual_fmac_f32 v42, v46, v61
	v_mul_f32_e32 v38, v47, v29
	v_add_f32_e32 v39, v39, v32
	s_delay_alu instid0(VALU_DEP_3) | instskip(SKIP_3) | instid1(VALU_DEP_3)
	v_add_f32_e32 v42, v27, v42
	v_mul_f32_e32 v27, v47, v31
	v_fma_f32 v44, v47, v28, -v34
	v_fmac_f32_e32 v38, v48, v28
	v_fmac_f32_e32 v27, v48, v30
	s_delay_alu instid0(VALU_DEP_3)
	v_add_f32_e32 v0, v0, v44
	v_fma_f32 v44, v47, v30, -v45
	v_add_f32_e32 v36, v36, v33
	ds_load_2addr_b64 v[32:35], v20 offset0:96 offset1:112
	v_dual_add_f32 v38, v41, v38 :: v_dual_mul_f32 v41, v64, v29
	v_mul_f32_e32 v29, v63, v29
	v_dual_add_f32 v37, v37, v44 :: v_dual_mul_f32 v44, v64, v31
	v_mul_f32_e32 v31, v63, v31
	s_delay_alu instid0(VALU_DEP_4) | instskip(NEXT) | instid1(VALU_DEP_4)
	v_fma_f32 v41, v63, v28, -v41
	v_fmac_f32_e32 v29, v64, v28
	v_add_f32_e32 v40, v40, v27
	v_fma_f32 v27, v63, v30, -v44
	v_fmac_f32_e32 v31, v64, v30
	v_add_f32_e32 v41, v43, v41
	s_delay_alu instid0(VALU_DEP_3) | instskip(SKIP_4) | instid1(VALU_DEP_2)
	v_dual_add_f32 v43, v36, v29 :: v_dual_add_f32 v44, v39, v27
	ds_load_2addr_b64 v[27:30], v20 offset0:128 offset1:144
	s_wait_dscnt 0x1
	v_mul_f32_e32 v36, v50, v33
	v_dual_mul_f32 v39, v49, v33 :: v_dual_mul_f32 v48, v66, v35
	v_fma_f32 v36, v49, v32, -v36
	v_mul_f32_e32 v45, v50, v35
	s_delay_alu instid0(VALU_DEP_3) | instskip(NEXT) | instid1(VALU_DEP_3)
	v_fmac_f32_e32 v39, v50, v32
	v_add_f32_e32 v0, v0, v36
	s_delay_alu instid0(VALU_DEP_3) | instskip(SKIP_3) | instid1(VALU_DEP_4)
	v_fma_f32 v45, v49, v34, -v45
	v_add_f32_e32 v42, v42, v31
	v_dual_mul_f32 v31, v49, v35 :: v_dual_mul_f32 v36, v66, v33
	v_dual_add_f32 v46, v38, v39 :: v_dual_mul_f32 v33, v65, v33
	v_add_f32_e32 v45, v37, v45
	s_delay_alu instid0(VALU_DEP_3) | instskip(NEXT) | instid1(VALU_DEP_4)
	v_fmac_f32_e32 v31, v50, v34
	v_fma_f32 v47, v65, v32, -v36
	ds_load_b128 v[36:39], v21 offset:1056
	v_fmac_f32_e32 v33, v66, v32
	s_wait_dscnt 0x1
	v_mul_f32_e32 v32, v52, v28
	v_add_f32_e32 v49, v40, v31
	v_dual_mul_f32 v35, v65, v35 :: v_dual_mul_f32 v50, v51, v28
	s_delay_alu instid0(VALU_DEP_3)
	v_fma_f32 v40, v51, v27, -v32
	v_add_f32_e32 v47, v41, v47
	v_mul_f32_e32 v41, v52, v30
	v_fma_f32 v31, v65, v34, -v48
	v_dual_fmac_f32 v35, v66, v34 :: v_dual_fmac_f32 v50, v52, v27
	v_add_f32_e32 v0, v0, v40
	s_delay_alu instid0(VALU_DEP_4) | instskip(NEXT) | instid1(VALU_DEP_4)
	v_fma_f32 v59, v51, v29, -v41
	v_add_f32_e32 v44, v44, v31
	v_add_f32_e32 v48, v43, v33
	ds_load_2addr_b64 v[31:34], v20 offset0:160 offset1:176
	v_add_f32_e32 v35, v42, v35
	ds_load_b128 v[40:43], v21 offset:1072
	s_wait_dscnt 0x2
	v_dual_mul_f32 v51, v51, v30 :: v_dual_mul_f32 v60, v37, v28
	v_mul_f32_e32 v28, v36, v28
	s_delay_alu instid0(VALU_DEP_2) | instskip(SKIP_1) | instid1(VALU_DEP_3)
	v_dual_add_f32 v46, v46, v50 :: v_dual_fmac_f32 v51, v52, v29
	v_mul_f32_e32 v52, v37, v30
	v_fmac_f32_e32 v28, v37, v27
	v_fma_f32 v50, v36, v27, -v60
	s_delay_alu instid0(VALU_DEP_4) | instskip(SKIP_2) | instid1(VALU_DEP_2)
	v_add_f32_e32 v49, v49, v51
	v_mul_f32_e32 v51, v36, v30
	v_add_f32_e32 v45, v45, v59
	v_fmac_f32_e32 v51, v37, v29
	s_wait_dscnt 0x1
	v_mul_f32_e32 v37, v53, v32
	s_delay_alu instid0(VALU_DEP_1) | instskip(SKIP_4) | instid1(VALU_DEP_4)
	v_fmac_f32_e32 v37, v54, v31
	v_fma_f32 v27, v36, v29, -v52
	v_add_f32_e32 v36, v48, v28
	v_dual_mul_f32 v48, v54, v32 :: v_dual_add_f32 v47, v47, v50
	v_mul_f32_e32 v50, v54, v34
	v_add_f32_e32 v44, v44, v27
	ds_load_2addr_b64 v[27:30], v20 offset0:192 offset1:208
	v_fma_f32 v48, v53, v31, -v48
	v_add_f32_e32 v51, v35, v51
	v_dual_mul_f32 v35, v53, v34 :: v_dual_add_f32 v46, v46, v37
	v_mul_f32_e32 v37, v39, v32
	s_delay_alu instid0(VALU_DEP_4) | instskip(SKIP_4) | instid1(VALU_DEP_4)
	v_add_f32_e32 v0, v0, v48
	v_fma_f32 v48, v53, v33, -v50
	v_mul_f32_e32 v32, v38, v32
	v_fmac_f32_e32 v35, v54, v33
	v_fma_f32 v37, v38, v31, -v37
	v_dual_add_f32 v45, v45, v48 :: v_dual_mul_f32 v48, v39, v34
	s_delay_alu instid0(VALU_DEP_4) | instskip(NEXT) | instid1(VALU_DEP_4)
	v_dual_fmac_f32 v32, v39, v31 :: v_dual_mul_f32 v31, v38, v34
	v_add_f32_e32 v49, v49, v35
	s_delay_alu instid0(VALU_DEP_3) | instskip(NEXT) | instid1(VALU_DEP_3)
	v_fma_f32 v34, v38, v33, -v48
	v_dual_add_f32 v32, v36, v32 :: v_dual_fmac_f32 v31, v39, v33
	s_wait_dscnt 0x0
	s_delay_alu instid0(VALU_DEP_2) | instskip(SKIP_1) | instid1(VALU_DEP_3)
	v_dual_mul_f32 v48, v41, v28 :: v_dual_add_f32 v33, v44, v34
	v_mul_f32_e32 v34, v55, v28
	v_dual_mul_f32 v44, v56, v30 :: v_dual_add_f32 v31, v51, v31
	s_delay_alu instid0(VALU_DEP_2) | instskip(SKIP_1) | instid1(VALU_DEP_3)
	v_fmac_f32_e32 v34, v56, v27
	v_mul_f32_e32 v35, v56, v28
	v_fma_f32 v44, v55, v29, -v44
	v_mul_f32_e32 v28, v40, v28
	s_delay_alu instid0(VALU_DEP_4) | instskip(NEXT) | instid1(VALU_DEP_4)
	v_add_f32_e32 v34, v46, v34
	v_fma_f32 v39, v55, v27, -v35
	v_add_f32_e32 v47, v47, v37
	ds_load_2addr_b64 v[35:38], v20 offset0:224 offset1:240
	v_add_f32_e32 v44, v45, v44
	v_mul_f32_e32 v46, v41, v30
	v_dual_add_f32 v0, v0, v39 :: v_dual_mul_f32 v39, v55, v30
	v_fma_f32 v45, v40, v27, -v48
	v_fmac_f32_e32 v28, v41, v27
	v_mul_f32_e32 v30, v40, v30
	v_fma_f32 v40, v40, v29, -v46
	v_fmac_f32_e32 v39, v56, v29
	s_wait_loadcnt_dscnt 0x0
	s_barrier_signal -1
	v_fmac_f32_e32 v30, v41, v29
	v_add_f32_e32 v40, v33, v40
	v_add_f32_e32 v27, v49, v39
	v_dual_add_f32 v39, v47, v45 :: v_dual_add_f32 v28, v32, v28
	s_barrier_wait -1
	global_inv scope:SCOPE_SE
	v_mul_f32_e32 v29, v57, v36
	v_mul_f32_e32 v33, v58, v38
	s_delay_alu instid0(VALU_DEP_2) | instskip(SKIP_1) | instid1(VALU_DEP_3)
	v_fmac_f32_e32 v29, v58, v35
	v_dual_mul_f32 v32, v58, v36 :: v_dual_add_f32 v41, v31, v30
	v_fma_f32 v31, v57, v37, -v33
	s_delay_alu instid0(VALU_DEP_2) | instskip(NEXT) | instid1(VALU_DEP_2)
	v_fma_f32 v32, v57, v35, -v32
	v_dual_mul_f32 v30, v57, v38 :: v_dual_add_f32 v31, v44, v31
	v_mul_f32_e32 v44, v43, v38
	s_delay_alu instid0(VALU_DEP_3) | instskip(NEXT) | instid1(VALU_DEP_3)
	v_dual_mul_f32 v38, v42, v38 :: v_dual_add_f32 v33, v0, v32
	v_fmac_f32_e32 v30, v58, v37
	s_delay_alu instid0(VALU_DEP_2) | instskip(SKIP_2) | instid1(VALU_DEP_4)
	v_fmac_f32_e32 v38, v43, v37
	v_mul_f32_e32 v0, v43, v36
	v_mul_f32_e32 v36, v42, v36
	v_add_f32_e32 v32, v27, v30
	s_delay_alu instid0(VALU_DEP_4) | instskip(NEXT) | instid1(VALU_DEP_4)
	v_add_f32_e32 v27, v41, v38
	v_fma_f32 v0, v42, v35, -v0
	v_add_f32_e32 v34, v34, v29
	v_fmac_f32_e32 v36, v43, v35
	s_delay_alu instid0(VALU_DEP_3) | instskip(SKIP_1) | instid1(VALU_DEP_3)
	v_add_f32_e32 v29, v39, v0
	v_fma_f32 v0, v42, v37, -v44
	v_add_f32_e32 v30, v28, v36
	s_delay_alu instid0(VALU_DEP_2)
	v_add_f32_e32 v28, v40, v0
	s_wait_alu 0xfffe
	s_cbranch_vccz .LBB535_22
.LBB535_11:                             ;   Parent Loop BB535_8 Depth=1
                                        ; =>  This Inner Loop Header: Depth=2
	s_mov_b32 s30, 0
	s_mov_b32 s37, s34
	s_and_saveexec_b32 s31, s0
	s_cbranch_execnz .LBB535_19
; %bb.12:                               ;   in Loop: Header=BB535_11 Depth=2
	s_or_b32 exec_lo, exec_lo, s31
	s_and_saveexec_b32 s31, s37
	s_delay_alu instid0(SALU_CYCLE_1)
	s_xor_b32 s31, exec_lo, s31
	s_cbranch_execnz .LBB535_20
.LBB535_13:                             ;   in Loop: Header=BB535_11 Depth=2
	s_or_b32 exec_lo, exec_lo, s31
	s_and_saveexec_b32 s31, s30
	s_cbranch_execz .LBB535_15
.LBB535_14:                             ;   in Loop: Header=BB535_11 Depth=2
	v_lshlrev_b64_e32 v[35:36], 3, v[12:13]
	s_delay_alu instid0(VALU_DEP_1) | instskip(SKIP_1) | instid1(VALU_DEP_2)
	v_add_co_u32 v35, vcc_lo, v23, v35
	s_wait_alu 0xfffd
	v_add_co_ci_u32_e64 v36, null, v24, v36, vcc_lo
	flat_load_b64 v[35:36], v[35:36]
	s_wait_loadcnt_dscnt 0x0
	ds_store_b64 v18, v[35:36]
.LBB535_15:                             ;   in Loop: Header=BB535_11 Depth=2
	s_or_b32 exec_lo, exec_lo, s31
	s_wait_alu 0xfffe
	v_add_nc_u32_e32 v0, s12, v16
	s_delay_alu instid0(VALU_DEP_1) | instskip(SKIP_1) | instid1(SALU_CYCLE_1)
	v_cmp_le_u64_e32 vcc_lo, s[16:17], v[0:1]
	s_or_b32 s30, vcc_lo, s23
	s_and_saveexec_b32 s31, s30
	s_delay_alu instid0(SALU_CYCLE_1)
	s_xor_b32 s30, exec_lo, s31
; %bb.16:                               ;   in Loop: Header=BB535_11 Depth=2
	v_mov_b32_e32 v0, v1
	ds_store_b64 v19, v[0:1]
; %bb.17:                               ;   in Loop: Header=BB535_11 Depth=2
	s_and_not1_saveexec_b32 s30, s30
	s_cbranch_execz .LBB535_10
; %bb.18:                               ;   in Loop: Header=BB535_11 Depth=2
	v_mad_co_u64_u32 v[35:36], null, s20, v0, 0
	s_delay_alu instid0(VALU_DEP_1) | instskip(NEXT) | instid1(VALU_DEP_1)
	v_mad_co_u64_u32 v[36:37], null, s21, v0, v[36:37]
	v_lshlrev_b64_e32 v[35:36], 3, v[35:36]
	s_delay_alu instid0(VALU_DEP_1) | instskip(SKIP_1) | instid1(VALU_DEP_2)
	v_add_co_u32 v35, vcc_lo, v25, v35
	s_wait_alu 0xfffd
	v_add_co_ci_u32_e64 v36, null, v26, v36, vcc_lo
	flat_load_b64 v[35:36], v[35:36]
	s_wait_loadcnt_dscnt 0x0
	ds_store_b64 v19, v[35:36]
	s_branch .LBB535_10
.LBB535_19:                             ;   in Loop: Header=BB535_11 Depth=2
	s_wait_alu 0xfffe
	v_add_nc_u32_e32 v0, s12, v17
	v_mov_b32_e32 v13, v1
	s_and_not1_b32 s37, s34, exec_lo
	s_mov_b32 s30, exec_lo
	s_delay_alu instid0(VALU_DEP_2) | instskip(SKIP_2) | instid1(SALU_CYCLE_1)
	v_cmp_le_u64_e32 vcc_lo, s[16:17], v[0:1]
	v_mov_b32_e32 v12, v0
	s_and_b32 s38, vcc_lo, exec_lo
	s_or_b32 s37, s37, s38
	s_or_b32 exec_lo, exec_lo, s31
	s_and_saveexec_b32 s31, s37
	s_delay_alu instid0(SALU_CYCLE_1)
	s_xor_b32 s31, exec_lo, s31
	s_cbranch_execz .LBB535_13
.LBB535_20:                             ;   in Loop: Header=BB535_11 Depth=2
	v_mov_b32_e32 v0, v1
	s_and_not1_b32 s30, s30, exec_lo
	ds_store_b64 v18, v[0:1]
	s_or_b32 exec_lo, exec_lo, s31
	s_and_saveexec_b32 s31, s30
	s_cbranch_execnz .LBB535_14
	s_branch .LBB535_15
.LBB535_21:                             ;   in Loop: Header=BB535_8 Depth=1
	v_dual_mov_b32 v33, v1 :: v_dual_mov_b32 v34, v1
	v_dual_mov_b32 v31, v1 :: v_dual_mov_b32 v32, v1
	;; [unrolled: 1-line block ×4, first 2 shown]
.LBB535_22:                             ;   in Loop: Header=BB535_8 Depth=1
	s_wait_loadcnt 0x0
	s_wait_alu 0xfffe
	v_add_co_u32 v0, vcc_lo, v14, s10
	s_wait_alu 0xfffd
	v_add_co_ci_u32_e64 v23, null, s11, v15, vcc_lo
	s_delay_alu instid0(VALU_DEP_2) | instskip(SKIP_1) | instid1(VALU_DEP_2)
	v_add_co_u32 v24, vcc_lo, v0, v4
	s_wait_alu 0xfffd
	v_add_co_ci_u32_e64 v25, null, v23, v5, vcc_lo
	s_and_saveexec_b32 s12, s26
	s_cbranch_execz .LBB535_27
; %bb.23:                               ;   in Loop: Header=BB535_8 Depth=1
	v_mul_f32_e32 v15, s18, v34
	v_mul_f32_e32 v14, s19, v34
	s_and_b32 vcc_lo, exec_lo, s22
	s_mov_b32 s13, -1
	s_delay_alu instid0(VALU_DEP_2) | instskip(NEXT) | instid1(VALU_DEP_2)
	v_fmac_f32_e32 v15, s19, v33
	v_fma_f32 v14, v33, s18, -v14
	s_wait_alu 0xfffe
	s_cbranch_vccz .LBB535_25
; %bb.24:                               ;   in Loop: Header=BB535_8 Depth=1
	v_add_co_u32 v33, vcc_lo, v24, v8
	s_wait_alu 0xfffd
	v_add_co_ci_u32_e64 v34, null, v25, v9, vcc_lo
	s_mov_b32 s13, 0
	flat_load_b64 v[35:36], v[33:34]
	s_wait_loadcnt_dscnt 0x0
	v_mul_f32_e32 v26, s7, v36
	s_delay_alu instid0(VALU_DEP_1) | instskip(SKIP_1) | instid1(VALU_DEP_1)
	v_fma_f32 v26, v35, s6, -v26
	v_mul_f32_e32 v36, s6, v36
	v_dual_fmac_f32 v36, s7, v35 :: v_dual_add_f32 v35, v14, v26
	s_delay_alu instid0(VALU_DEP_1)
	v_add_f32_e32 v36, v15, v36
	flat_store_b64 v[33:34], v[35:36]
.LBB535_25:                             ;   in Loop: Header=BB535_8 Depth=1
	s_wait_alu 0xfffe
	s_and_not1_b32 vcc_lo, exec_lo, s13
	s_wait_alu 0xfffe
	s_cbranch_vccnz .LBB535_27
; %bb.26:                               ;   in Loop: Header=BB535_8 Depth=1
	v_add_co_u32 v33, vcc_lo, v24, v8
	s_wait_alu 0xfffd
	v_add_co_ci_u32_e64 v34, null, v25, v9, vcc_lo
	flat_store_b64 v[33:34], v[14:15]
.LBB535_27:                             ;   in Loop: Header=BB535_8 Depth=1
	s_wait_alu 0xfffe
	s_or_b32 exec_lo, exec_lo, s12
	s_and_saveexec_b32 s12, s27
	s_cbranch_execz .LBB535_32
; %bb.28:                               ;   in Loop: Header=BB535_8 Depth=1
	v_mul_f32_e32 v15, s18, v32
	v_mul_f32_e32 v14, s19, v32
	s_and_not1_b32 vcc_lo, exec_lo, s22
	s_mov_b32 s13, -1
	s_delay_alu instid0(VALU_DEP_2) | instskip(NEXT) | instid1(VALU_DEP_2)
	v_fmac_f32_e32 v15, s19, v31
	v_fma_f32 v14, v31, s18, -v14
	s_wait_alu 0xfffe
	s_cbranch_vccnz .LBB535_30
; %bb.29:                               ;   in Loop: Header=BB535_8 Depth=1
	v_add_co_u32 v31, vcc_lo, v24, v10
	s_wait_alu 0xfffd
	v_add_co_ci_u32_e64 v32, null, v25, v11, vcc_lo
	s_mov_b32 s13, 0
	flat_load_b64 v[33:34], v[31:32]
	s_wait_loadcnt_dscnt 0x0
	v_mul_f32_e32 v26, s7, v34
	v_mul_f32_e32 v34, s6, v34
	s_delay_alu instid0(VALU_DEP_2) | instskip(NEXT) | instid1(VALU_DEP_1)
	v_fma_f32 v26, v33, s6, -v26
	v_dual_fmac_f32 v34, s7, v33 :: v_dual_add_f32 v33, v14, v26
	s_delay_alu instid0(VALU_DEP_1)
	v_add_f32_e32 v34, v15, v34
	flat_store_b64 v[31:32], v[33:34]
.LBB535_30:                             ;   in Loop: Header=BB535_8 Depth=1
	s_wait_alu 0xfffe
	s_and_not1_b32 vcc_lo, exec_lo, s13
	s_wait_alu 0xfffe
	s_cbranch_vccnz .LBB535_32
; %bb.31:                               ;   in Loop: Header=BB535_8 Depth=1
	v_add_co_u32 v24, vcc_lo, v24, v10
	s_wait_alu 0xfffd
	v_add_co_ci_u32_e64 v25, null, v25, v11, vcc_lo
	flat_store_b64 v[24:25], v[14:15]
.LBB535_32:                             ;   in Loop: Header=BB535_8 Depth=1
	s_wait_alu 0xfffe
	s_or_b32 exec_lo, exec_lo, s12
	v_add_co_u32 v0, vcc_lo, v0, v6
	s_wait_alu 0xfffd
	v_add_co_ci_u32_e64 v23, null, v23, v7, vcc_lo
	s_and_saveexec_b32 s12, s1
	s_cbranch_execz .LBB535_37
; %bb.33:                               ;   in Loop: Header=BB535_8 Depth=1
	v_mul_f32_e32 v15, s18, v30
	v_mul_f32_e32 v14, s19, v30
	s_and_not1_b32 vcc_lo, exec_lo, s22
	s_mov_b32 s13, -1
	s_delay_alu instid0(VALU_DEP_2) | instskip(NEXT) | instid1(VALU_DEP_2)
	v_fmac_f32_e32 v15, s19, v29
	v_fma_f32 v14, v29, s18, -v14
	s_wait_alu 0xfffe
	s_cbranch_vccnz .LBB535_35
; %bb.34:                               ;   in Loop: Header=BB535_8 Depth=1
	v_add_co_u32 v24, vcc_lo, v0, v8
	s_wait_alu 0xfffd
	v_add_co_ci_u32_e64 v25, null, v23, v9, vcc_lo
	s_mov_b32 s13, 0
	flat_load_b64 v[29:30], v[24:25]
	s_wait_loadcnt_dscnt 0x0
	v_mul_f32_e32 v26, s7, v30
	v_mul_f32_e32 v30, s6, v30
	s_delay_alu instid0(VALU_DEP_2) | instskip(NEXT) | instid1(VALU_DEP_1)
	v_fma_f32 v26, v29, s6, -v26
	v_dual_fmac_f32 v30, s7, v29 :: v_dual_add_f32 v29, v14, v26
	s_delay_alu instid0(VALU_DEP_1)
	v_add_f32_e32 v30, v15, v30
	flat_store_b64 v[24:25], v[29:30]
.LBB535_35:                             ;   in Loop: Header=BB535_8 Depth=1
	s_wait_alu 0xfffe
	s_and_not1_b32 vcc_lo, exec_lo, s13
	s_wait_alu 0xfffe
	s_cbranch_vccnz .LBB535_37
; %bb.36:                               ;   in Loop: Header=BB535_8 Depth=1
	v_add_co_u32 v24, vcc_lo, v0, v8
	s_wait_alu 0xfffd
	v_add_co_ci_u32_e64 v25, null, v23, v9, vcc_lo
	flat_store_b64 v[24:25], v[14:15]
.LBB535_37:                             ;   in Loop: Header=BB535_8 Depth=1
	s_wait_alu 0xfffe
	s_or_b32 exec_lo, exec_lo, s12
	s_and_saveexec_b32 s12, s35
	s_cbranch_execz .LBB535_7
; %bb.38:                               ;   in Loop: Header=BB535_8 Depth=1
	v_mul_f32_e32 v15, s18, v27
	v_mul_f32_e32 v14, s19, v27
	s_and_not1_b32 vcc_lo, exec_lo, s22
	s_mov_b32 s13, -1
	s_delay_alu instid0(VALU_DEP_2) | instskip(NEXT) | instid1(VALU_DEP_2)
	v_fmac_f32_e32 v15, s19, v28
	v_fma_f32 v14, v28, s18, -v14
	s_wait_alu 0xfffe
	s_cbranch_vccnz .LBB535_40
; %bb.39:                               ;   in Loop: Header=BB535_8 Depth=1
	v_add_co_u32 v24, vcc_lo, v0, v10
	s_wait_alu 0xfffd
	v_add_co_ci_u32_e64 v25, null, v23, v11, vcc_lo
	s_mov_b32 s13, 0
	flat_load_b64 v[26:27], v[24:25]
	s_wait_loadcnt_dscnt 0x0
	v_mul_f32_e32 v28, s7, v27
	v_mul_f32_e32 v27, s6, v27
	s_delay_alu instid0(VALU_DEP_1) | instskip(NEXT) | instid1(VALU_DEP_3)
	v_fmac_f32_e32 v27, s7, v26
	v_fma_f32 v28, v26, s6, -v28
	s_delay_alu instid0(VALU_DEP_1)
	v_dual_add_f32 v27, v15, v27 :: v_dual_add_f32 v26, v14, v28
	flat_store_b64 v[24:25], v[26:27]
.LBB535_40:                             ;   in Loop: Header=BB535_8 Depth=1
	s_wait_alu 0xfffe
	s_and_not1_b32 vcc_lo, exec_lo, s13
	s_wait_alu 0xfffe
	s_cbranch_vccnz .LBB535_7
; %bb.41:                               ;   in Loop: Header=BB535_8 Depth=1
	v_add_co_u32 v24, vcc_lo, v0, v10
	s_wait_alu 0xfffd
	v_add_co_ci_u32_e64 v25, null, v23, v11, vcc_lo
	flat_store_b64 v[24:25], v[14:15]
	s_branch .LBB535_7
.LBB535_42:
	s_endpgm
	.section	.rodata,"a",@progbits
	.p2align	6, 0x0
	.amdhsa_kernel _ZL29rocblas_internal_gemmt_kernelIlLi16ELi32ELi8ELc84ELc84ELc76ELb0ELb0E19rocblas_complex_numIfES1_PKPKS1_PKPS1_EviT_T9_T10_S9_lSB_S9_lSA_T11_S9_li
		.amdhsa_group_segment_fixed_size 4096
		.amdhsa_private_segment_fixed_size 0
		.amdhsa_kernarg_size 108
		.amdhsa_user_sgpr_count 2
		.amdhsa_user_sgpr_dispatch_ptr 0
		.amdhsa_user_sgpr_queue_ptr 0
		.amdhsa_user_sgpr_kernarg_segment_ptr 1
		.amdhsa_user_sgpr_dispatch_id 0
		.amdhsa_user_sgpr_private_segment_size 0
		.amdhsa_wavefront_size32 1
		.amdhsa_uses_dynamic_stack 0
		.amdhsa_enable_private_segment 0
		.amdhsa_system_sgpr_workgroup_id_x 1
		.amdhsa_system_sgpr_workgroup_id_y 1
		.amdhsa_system_sgpr_workgroup_id_z 1
		.amdhsa_system_sgpr_workgroup_info 0
		.amdhsa_system_vgpr_workitem_id 1
		.amdhsa_next_free_vgpr 72
		.amdhsa_next_free_sgpr 39
		.amdhsa_reserve_vcc 1
		.amdhsa_float_round_mode_32 0
		.amdhsa_float_round_mode_16_64 0
		.amdhsa_float_denorm_mode_32 3
		.amdhsa_float_denorm_mode_16_64 3
		.amdhsa_fp16_overflow 0
		.amdhsa_workgroup_processor_mode 1
		.amdhsa_memory_ordered 1
		.amdhsa_forward_progress 1
		.amdhsa_inst_pref_size 26
		.amdhsa_round_robin_scheduling 0
		.amdhsa_exception_fp_ieee_invalid_op 0
		.amdhsa_exception_fp_denorm_src 0
		.amdhsa_exception_fp_ieee_div_zero 0
		.amdhsa_exception_fp_ieee_overflow 0
		.amdhsa_exception_fp_ieee_underflow 0
		.amdhsa_exception_fp_ieee_inexact 0
		.amdhsa_exception_int_div_zero 0
	.end_amdhsa_kernel
	.section	.text._ZL29rocblas_internal_gemmt_kernelIlLi16ELi32ELi8ELc84ELc84ELc76ELb0ELb0E19rocblas_complex_numIfES1_PKPKS1_PKPS1_EviT_T9_T10_S9_lSB_S9_lSA_T11_S9_li,"axG",@progbits,_ZL29rocblas_internal_gemmt_kernelIlLi16ELi32ELi8ELc84ELc84ELc76ELb0ELb0E19rocblas_complex_numIfES1_PKPKS1_PKPS1_EviT_T9_T10_S9_lSB_S9_lSA_T11_S9_li,comdat
.Lfunc_end535:
	.size	_ZL29rocblas_internal_gemmt_kernelIlLi16ELi32ELi8ELc84ELc84ELc76ELb0ELb0E19rocblas_complex_numIfES1_PKPKS1_PKPS1_EviT_T9_T10_S9_lSB_S9_lSA_T11_S9_li, .Lfunc_end535-_ZL29rocblas_internal_gemmt_kernelIlLi16ELi32ELi8ELc84ELc84ELc76ELb0ELb0E19rocblas_complex_numIfES1_PKPKS1_PKPS1_EviT_T9_T10_S9_lSB_S9_lSA_T11_S9_li
                                        ; -- End function
	.set _ZL29rocblas_internal_gemmt_kernelIlLi16ELi32ELi8ELc84ELc84ELc76ELb0ELb0E19rocblas_complex_numIfES1_PKPKS1_PKPS1_EviT_T9_T10_S9_lSB_S9_lSA_T11_S9_li.num_vgpr, 72
	.set _ZL29rocblas_internal_gemmt_kernelIlLi16ELi32ELi8ELc84ELc84ELc76ELb0ELb0E19rocblas_complex_numIfES1_PKPKS1_PKPS1_EviT_T9_T10_S9_lSB_S9_lSA_T11_S9_li.num_agpr, 0
	.set _ZL29rocblas_internal_gemmt_kernelIlLi16ELi32ELi8ELc84ELc84ELc76ELb0ELb0E19rocblas_complex_numIfES1_PKPKS1_PKPS1_EviT_T9_T10_S9_lSB_S9_lSA_T11_S9_li.numbered_sgpr, 39
	.set _ZL29rocblas_internal_gemmt_kernelIlLi16ELi32ELi8ELc84ELc84ELc76ELb0ELb0E19rocblas_complex_numIfES1_PKPKS1_PKPS1_EviT_T9_T10_S9_lSB_S9_lSA_T11_S9_li.num_named_barrier, 0
	.set _ZL29rocblas_internal_gemmt_kernelIlLi16ELi32ELi8ELc84ELc84ELc76ELb0ELb0E19rocblas_complex_numIfES1_PKPKS1_PKPS1_EviT_T9_T10_S9_lSB_S9_lSA_T11_S9_li.private_seg_size, 0
	.set _ZL29rocblas_internal_gemmt_kernelIlLi16ELi32ELi8ELc84ELc84ELc76ELb0ELb0E19rocblas_complex_numIfES1_PKPKS1_PKPS1_EviT_T9_T10_S9_lSB_S9_lSA_T11_S9_li.uses_vcc, 1
	.set _ZL29rocblas_internal_gemmt_kernelIlLi16ELi32ELi8ELc84ELc84ELc76ELb0ELb0E19rocblas_complex_numIfES1_PKPKS1_PKPS1_EviT_T9_T10_S9_lSB_S9_lSA_T11_S9_li.uses_flat_scratch, 0
	.set _ZL29rocblas_internal_gemmt_kernelIlLi16ELi32ELi8ELc84ELc84ELc76ELb0ELb0E19rocblas_complex_numIfES1_PKPKS1_PKPS1_EviT_T9_T10_S9_lSB_S9_lSA_T11_S9_li.has_dyn_sized_stack, 0
	.set _ZL29rocblas_internal_gemmt_kernelIlLi16ELi32ELi8ELc84ELc84ELc76ELb0ELb0E19rocblas_complex_numIfES1_PKPKS1_PKPS1_EviT_T9_T10_S9_lSB_S9_lSA_T11_S9_li.has_recursion, 0
	.set _ZL29rocblas_internal_gemmt_kernelIlLi16ELi32ELi8ELc84ELc84ELc76ELb0ELb0E19rocblas_complex_numIfES1_PKPKS1_PKPS1_EviT_T9_T10_S9_lSB_S9_lSA_T11_S9_li.has_indirect_call, 0
	.section	.AMDGPU.csdata,"",@progbits
; Kernel info:
; codeLenInByte = 3308
; TotalNumSgprs: 41
; NumVgprs: 72
; ScratchSize: 0
; MemoryBound: 0
; FloatMode: 240
; IeeeMode: 1
; LDSByteSize: 4096 bytes/workgroup (compile time only)
; SGPRBlocks: 0
; VGPRBlocks: 8
; NumSGPRsForWavesPerEU: 41
; NumVGPRsForWavesPerEU: 72
; Occupancy: 16
; WaveLimiterHint : 1
; COMPUTE_PGM_RSRC2:SCRATCH_EN: 0
; COMPUTE_PGM_RSRC2:USER_SGPR: 2
; COMPUTE_PGM_RSRC2:TRAP_HANDLER: 0
; COMPUTE_PGM_RSRC2:TGID_X_EN: 1
; COMPUTE_PGM_RSRC2:TGID_Y_EN: 1
; COMPUTE_PGM_RSRC2:TGID_Z_EN: 1
; COMPUTE_PGM_RSRC2:TIDIG_COMP_CNT: 1
	.section	.text._ZL29rocblas_internal_gemmt_kernelIlLi16ELi32ELi8ELc84ELc67ELc76ELb0ELb1E19rocblas_complex_numIfES1_PKPKS1_PKPS1_EviT_T9_T10_S9_lSB_S9_lSA_T11_S9_li,"axG",@progbits,_ZL29rocblas_internal_gemmt_kernelIlLi16ELi32ELi8ELc84ELc67ELc76ELb0ELb1E19rocblas_complex_numIfES1_PKPKS1_PKPS1_EviT_T9_T10_S9_lSB_S9_lSA_T11_S9_li,comdat
	.globl	_ZL29rocblas_internal_gemmt_kernelIlLi16ELi32ELi8ELc84ELc67ELc76ELb0ELb1E19rocblas_complex_numIfES1_PKPKS1_PKPS1_EviT_T9_T10_S9_lSB_S9_lSA_T11_S9_li ; -- Begin function _ZL29rocblas_internal_gemmt_kernelIlLi16ELi32ELi8ELc84ELc67ELc76ELb0ELb1E19rocblas_complex_numIfES1_PKPKS1_PKPS1_EviT_T9_T10_S9_lSB_S9_lSA_T11_S9_li
	.p2align	8
	.type	_ZL29rocblas_internal_gemmt_kernelIlLi16ELi32ELi8ELc84ELc67ELc76ELb0ELb1E19rocblas_complex_numIfES1_PKPKS1_PKPS1_EviT_T9_T10_S9_lSB_S9_lSA_T11_S9_li,@function
_ZL29rocblas_internal_gemmt_kernelIlLi16ELi32ELi8ELc84ELc67ELc76ELb0ELb1E19rocblas_complex_numIfES1_PKPKS1_PKPS1_EviT_T9_T10_S9_lSB_S9_lSA_T11_S9_li: ; @_ZL29rocblas_internal_gemmt_kernelIlLi16ELi32ELi8ELc84ELc67ELc76ELb0ELb1E19rocblas_complex_numIfES1_PKPKS1_PKPS1_EviT_T9_T10_S9_lSB_S9_lSA_T11_S9_li
; %bb.0:
	s_clause 0x1
	s_load_b64 s[6:7], s[0:1], 0x48
	s_load_b128 s[16:19], s[0:1], 0x8
	s_wait_kmcnt 0x0
	s_cmp_eq_f32 s6, 1.0
	s_cselect_b32 s3, -1, 0
	s_and_b32 s2, s7, 0x7fffffff
	s_delay_alu instid0(SALU_CYCLE_1) | instskip(SKIP_1) | instid1(SALU_CYCLE_1)
	s_cmp_eq_u32 s2, 0
	s_cselect_b32 s2, -1, 0
	s_and_b32 s4, s3, s2
	s_mov_b32 s3, 0
	s_and_not1_b32 vcc_lo, exec_lo, s4
	s_mov_b32 s4, -1
	s_cbranch_vccnz .LBB536_4
; %bb.1:
	s_cmp_lg_u64 s[16:17], 0
	s_cbranch_scc0 .LBB536_3
; %bb.2:
	s_cmp_neq_f32 s18, 0
	s_cselect_b32 s3, -1, 0
	s_cmp_neq_f32 s19, 0
	s_cselect_b32 s4, -1, 0
	s_delay_alu instid0(SALU_CYCLE_1)
	s_or_b32 s3, s3, s4
.LBB536_3:
	s_delay_alu instid0(SALU_CYCLE_1)
	s_mov_b32 s4, s3
.LBB536_4:
	s_delay_alu instid0(SALU_CYCLE_1)
	s_and_b32 vcc_lo, exec_lo, s4
	s_cbranch_vccz .LBB536_42
; %bb.5:
	s_load_b32 s33, s[0:1], 0x68
	s_lshr_b32 s28, ttmp7, 16
	s_wait_kmcnt 0x0
	s_cmp_ge_u32 s28, s33
	s_cbranch_scc1 .LBB536_42
; %bb.6:
	s_clause 0x3
	s_load_b32 s4, s[0:1], 0x0
	s_load_b256 s[8:15], s[0:1], 0x18
	s_load_b128 s[20:23], s[0:1], 0x38
	s_load_b128 s[24:27], s[0:1], 0x50
	v_bfe_u32 v10, v0, 10, 10
	s_lshl_b32 s3, ttmp7, 5
	v_and_b32_e32 v16, 7, v0
	s_and_b32 s3, s3, 0x1fffe0
	s_lshl_b32 s5, ttmp9, 5
	v_add_nc_u32_e32 v11, s3, v10
	s_cmp_neq_f32 s18, 0
	s_load_b64 s[30:31], s[0:1], 0x60
	v_lshl_add_u32 v21, v10, 6, 0x800
	v_cmp_gt_i64_e64 s37, s[16:17], 0
	s_cselect_b32 s34, -1, 0
	s_cmp_neq_f32 s19, 0
	v_add_nc_u32_e32 v15, 16, v11
	s_mov_b32 s29, 0
	s_cselect_b32 s0, -1, 0
	s_ashr_i32 s1, s5, 31
	s_or_b32 s36, s34, s0
	s_wait_kmcnt 0x0
	s_mul_i32 s1, s10, s1
	v_mad_co_u64_u32 v[4:5], null, s26, v11, 0
	v_and_b32_e32 v9, 0x3ff, v0
	s_cmp_neq_f32 s6, 0
	s_delay_alu instid0(VALU_DEP_1) | instskip(NEXT) | instid1(VALU_DEP_1)
	v_lshl_add_u32 v0, v10, 4, v9
	v_and_b32_e32 v1, 31, v0
	v_lshrrev_b32_e32 v17, 5, v0
	v_lshrrev_b32_e32 v0, 3, v0
	s_delay_alu instid0(VALU_DEP_3) | instskip(SKIP_1) | instid1(VALU_DEP_3)
	v_or_b32_e32 v2, s5, v1
	v_lshlrev_b32_e32 v1, 3, v1
	v_add_nc_u32_e32 v14, s3, v0
	s_delay_alu instid0(VALU_DEP_3) | instskip(NEXT) | instid1(VALU_DEP_3)
	v_cmp_gt_i32_e64 s0, s4, v2
	v_lshl_or_b32 v18, v17, 8, v1
	v_mov_b32_e32 v1, 0
	v_lshlrev_b32_e32 v7, 3, v16
	v_cmp_le_i32_e64 s34, s4, v2
	v_mul_lo_u32 v6, s11, v2
	v_mad_co_u64_u32 v[2:3], null, s10, v2, 0
	s_delay_alu instid0(VALU_DEP_4) | instskip(SKIP_3) | instid1(VALU_DEP_1)
	v_lshl_or_b32 v0, v0, 6, v7
	s_cselect_b32 s10, -1, 0
	s_xor_b32 s11, s2, -1
	s_and_b32 s36, s36, s37
	v_dual_mov_b32 v0, v5 :: v_dual_add_nc_u32 v19, 0x800, v0
	s_delay_alu instid0(VALU_DEP_3) | instskip(SKIP_2) | instid1(VALU_DEP_4)
	v_add3_u32 v3, v3, s1, v6
	v_add_nc_u32_e32 v8, s5, v9
	v_lshlrev_b32_e32 v20, 3, v9
	v_mad_co_u64_u32 v[5:6], null, s27, v11, v[0:1]
	v_mad_co_u64_u32 v[6:7], null, s26, v15, 0
	s_delay_alu instid0(VALU_DEP_4)
	v_add_nc_u32_e32 v10, 16, v8
	v_cmp_le_i32_e64 s1, v11, v8
	v_cmp_gt_i32_e64 s2, s4, v8
	v_ashrrev_i32_e32 v9, 31, v8
	v_lshlrev_b64_e32 v[2:3], 3, v[2:3]
	v_cmp_le_i32_e64 s3, v11, v10
	v_mov_b32_e32 v0, v7
	v_ashrrev_i32_e32 v11, 31, v10
	s_and_b32 s26, s1, s2
	v_cmp_le_i32_e64 s1, v15, v8
	v_cmp_le_i32_e64 s5, v15, v10
	v_mad_co_u64_u32 v[12:13], null, s27, v15, v[0:1]
	v_lshlrev_b64_e32 v[4:5], 3, v[4:5]
	v_lshlrev_b64_e32 v[8:9], 3, v[8:9]
	s_and_b32 s1, s1, s2
	s_delay_alu instid0(VALU_DEP_3)
	v_mov_b32_e32 v7, v12
	v_cmp_gt_i32_e32 vcc_lo, s4, v14
	v_cmp_gt_i32_e64 s4, s4, v10
	v_lshlrev_b64_e32 v[10:11], 3, v[10:11]
	v_lshlrev_b32_e32 v22, 3, v14
	v_lshlrev_b64_e32 v[6:7], 3, v[6:7]
                                        ; implicit-def: $vgpr12_vgpr13
	s_and_b32 s27, s3, s4
	s_and_b32 s35, s5, s4
	s_lshl_b64 s[2:3], s[22:23], 3
	s_wait_alu 0xfffe
	s_or_b32 s22, s10, s11
	s_lshl_b64 s[4:5], s[12:13], 3
	s_xor_b32 s23, vcc_lo, -1
	s_lshl_b64 s[10:11], s[30:31], 3
	s_branch .LBB536_8
.LBB536_7:                              ;   in Loop: Header=BB536_8 Depth=1
	s_wait_alu 0xfffe
	s_or_b32 exec_lo, exec_lo, s12
	s_add_co_i32 s28, s28, 0x10000
	s_delay_alu instid0(SALU_CYCLE_1)
	s_cmp_lt_u32 s28, s33
	s_cbranch_scc0 .LBB536_42
.LBB536_8:                              ; =>This Loop Header: Depth=1
                                        ;     Child Loop BB536_11 Depth 2
	s_lshl_b64 s[12:13], s[28:29], 3
	s_and_not1_b32 vcc_lo, exec_lo, s36
	s_wait_alu 0xfffe
	s_add_nc_u64 s[30:31], s[24:25], s[12:13]
	global_load_b64 v[14:15], v1, s[30:31]
	s_cbranch_vccnz .LBB536_21
; %bb.9:                                ;   in Loop: Header=BB536_8 Depth=1
	s_add_nc_u64 s[30:31], s[8:9], s[12:13]
	s_add_nc_u64 s[12:13], s[14:15], s[12:13]
	s_clause 0x1
	global_load_b64 v[23:24], v1, s[30:31]
	global_load_b64 v[25:26], v1, s[12:13]
	v_dual_mov_b32 v27, 0 :: v_dual_mov_b32 v28, 0
	v_dual_mov_b32 v30, 0 :: v_dual_mov_b32 v29, 0
	;; [unrolled: 1-line block ×4, first 2 shown]
	s_mov_b64 s[12:13], 0
	s_wait_loadcnt 0x1
	v_add_co_u32 v0, vcc_lo, v23, s4
	s_wait_alu 0xfffd
	v_add_co_ci_u32_e64 v24, null, s5, v24, vcc_lo
	s_wait_loadcnt 0x0
	v_add_co_u32 v25, vcc_lo, v25, s2
	s_wait_alu 0xfffd
	v_add_co_ci_u32_e64 v26, null, s3, v26, vcc_lo
	v_add_co_u32 v23, vcc_lo, v0, v2
	s_wait_alu 0xfffd
	v_add_co_ci_u32_e64 v24, null, v24, v3, vcc_lo
	;; [unrolled: 3-line block ×3, first 2 shown]
	s_branch .LBB536_11
.LBB536_10:                             ;   in Loop: Header=BB536_11 Depth=2
	s_or_b32 exec_lo, exec_lo, s30
	ds_store_b32 v19, v35 offset:4
	s_wait_dscnt 0x0
	s_barrier_signal -1
	s_barrier_wait -1
	global_inv scope:SCOPE_SE
	ds_load_b128 v[35:38], v21
	ds_load_2addr_b64 v[39:42], v20 offset1:16
	ds_load_b128 v[43:46], v21 offset:1024
	ds_load_b128 v[47:50], v21 offset:16
	;; [unrolled: 1-line block ×4, first 2 shown]
	ds_load_2addr_b64 v[59:62], v20 offset0:32 offset1:48
	ds_load_b128 v[63:66], v21 offset:1040
	s_add_nc_u64 s[12:13], s[12:13], 8
	s_wait_alu 0xfffe
	v_cmp_gt_i64_e64 s30, s[16:17], s[12:13]
	s_and_b32 vcc_lo, exec_lo, s30
	s_wait_dscnt 0x6
	v_dual_mul_f32 v0, v36, v40 :: v_dual_mul_f32 v69, v35, v42
	v_dual_mul_f32 v67, v35, v40 :: v_dual_mul_f32 v68, v36, v42
	s_wait_dscnt 0x5
	v_mul_f32_e32 v71, v44, v42
	s_delay_alu instid0(VALU_DEP_3) | instskip(SKIP_3) | instid1(VALU_DEP_4)
	v_fma_f32 v0, v35, v39, -v0
	v_dual_mul_f32 v42, v43, v42 :: v_dual_fmac_f32 v69, v36, v41
	v_fmac_f32_e32 v67, v36, v39
	v_fma_f32 v35, v35, v41, -v68
	v_add_f32_e32 v0, v33, v0
	v_mul_f32_e32 v70, v44, v40
	s_delay_alu instid0(VALU_DEP_4) | instskip(NEXT) | instid1(VALU_DEP_4)
	v_dual_mul_f32 v40, v43, v40 :: v_dual_add_f32 v33, v34, v67
	v_add_f32_e32 v34, v31, v35
	v_fma_f32 v31, v43, v41, -v71
	s_delay_alu instid0(VALU_DEP_4) | instskip(NEXT) | instid1(VALU_DEP_4)
	v_fma_f32 v36, v43, v39, -v70
	v_fmac_f32_e32 v40, v44, v39
	s_wait_dscnt 0x1
	v_dual_add_f32 v32, v32, v69 :: v_dual_mul_f32 v39, v38, v60
	v_dual_fmac_f32 v42, v44, v41 :: v_dual_mul_f32 v43, v38, v62
	v_add_f32_e32 v35, v29, v36
	v_add_f32_e32 v36, v30, v40
	v_dual_add_f32 v40, v28, v31 :: v_dual_mul_f32 v41, v37, v60
	ds_load_2addr_b64 v[28:31], v20 offset0:64 offset1:80
	v_fma_f32 v39, v37, v59, -v39
	v_add_f32_e32 v27, v27, v42
	v_dual_mul_f32 v42, v37, v62 :: v_dual_fmac_f32 v41, v38, v59
	v_fma_f32 v37, v37, v61, -v43
	s_delay_alu instid0(VALU_DEP_4) | instskip(NEXT) | instid1(VALU_DEP_3)
	v_dual_add_f32 v0, v0, v39 :: v_dual_mul_f32 v39, v46, v60
	v_fmac_f32_e32 v42, v38, v61
	s_delay_alu instid0(VALU_DEP_4)
	v_add_f32_e32 v41, v33, v41
	v_mul_f32_e32 v33, v45, v60
	v_add_f32_e32 v37, v34, v37
	v_fma_f32 v34, v45, v59, -v39
	v_mul_f32_e32 v38, v46, v62
	v_add_f32_e32 v39, v32, v42
	v_dual_mul_f32 v42, v45, v62 :: v_dual_fmac_f32 v33, v46, v59
	s_delay_alu instid0(VALU_DEP_4) | instskip(NEXT) | instid1(VALU_DEP_4)
	v_add_f32_e32 v43, v35, v34
	v_fma_f32 v32, v45, v61, -v38
	s_wait_dscnt 0x0
	v_mul_f32_e32 v34, v48, v29
	v_dual_fmac_f32 v42, v46, v61 :: v_dual_mul_f32 v45, v48, v31
	s_delay_alu instid0(VALU_DEP_3) | instskip(SKIP_1) | instid1(VALU_DEP_4)
	v_add_f32_e32 v40, v40, v32
	v_add_f32_e32 v36, v36, v33
	v_fma_f32 v44, v47, v28, -v34
	s_delay_alu instid0(VALU_DEP_4)
	v_add_f32_e32 v42, v27, v42
	v_mul_f32_e32 v27, v47, v31
	v_mul_f32_e32 v38, v47, v29
	ds_load_2addr_b64 v[32:35], v20 offset0:96 offset1:112
	v_add_f32_e32 v0, v0, v44
	v_fma_f32 v44, v47, v30, -v45
	v_fmac_f32_e32 v27, v48, v30
	v_fmac_f32_e32 v38, v48, v28
	s_delay_alu instid0(VALU_DEP_3) | instskip(NEXT) | instid1(VALU_DEP_2)
	v_dual_add_f32 v37, v37, v44 :: v_dual_mul_f32 v44, v64, v31
	v_dual_add_f32 v38, v41, v38 :: v_dual_mul_f32 v41, v64, v29
	v_mul_f32_e32 v29, v63, v29
	v_mul_f32_e32 v31, v63, v31
	v_add_f32_e32 v45, v39, v27
	v_fma_f32 v27, v63, v30, -v44
	v_fma_f32 v41, v63, v28, -v41
	v_fmac_f32_e32 v29, v64, v28
	v_fmac_f32_e32 v31, v64, v30
	s_delay_alu instid0(VALU_DEP_3) | instskip(SKIP_1) | instid1(VALU_DEP_3)
	v_dual_add_f32 v40, v40, v27 :: v_dual_add_f32 v41, v43, v41
	s_wait_dscnt 0x0
	v_dual_add_f32 v43, v36, v29 :: v_dual_mul_f32 v44, v50, v35
	ds_load_2addr_b64 v[27:30], v20 offset0:128 offset1:144
	v_mul_f32_e32 v36, v50, v33
	v_mul_f32_e32 v48, v66, v35
	v_fma_f32 v44, v49, v34, -v44
	s_delay_alu instid0(VALU_DEP_3) | instskip(NEXT) | instid1(VALU_DEP_1)
	v_fma_f32 v36, v49, v32, -v36
	v_add_f32_e32 v0, v0, v36
	v_mul_f32_e32 v36, v66, v33
	v_dual_mul_f32 v39, v49, v33 :: v_dual_add_f32 v42, v42, v31
	v_mul_f32_e32 v31, v49, v35
	v_mul_f32_e32 v33, v65, v33
	s_delay_alu instid0(VALU_DEP_4) | instskip(NEXT) | instid1(VALU_DEP_2)
	v_fma_f32 v47, v65, v32, -v36
	v_fmac_f32_e32 v33, v66, v32
	v_fmac_f32_e32 v39, v50, v32
	s_wait_dscnt 0x0
	v_dual_mul_f32 v32, v52, v28 :: v_dual_fmac_f32 v31, v50, v34
	s_delay_alu instid0(VALU_DEP_1) | instskip(SKIP_1) | instid1(VALU_DEP_2)
	v_dual_mul_f32 v50, v51, v28 :: v_dual_add_f32 v45, v45, v31
	v_fma_f32 v31, v65, v34, -v48
	v_fmac_f32_e32 v50, v52, v27
	v_add_f32_e32 v48, v43, v33
	v_add_f32_e32 v46, v38, v39
	;; [unrolled: 1-line block ×4, first 2 shown]
	v_fma_f32 v40, v51, v27, -v32
	v_mul_f32_e32 v35, v65, v35
	v_mul_f32_e32 v41, v52, v30
	v_add_f32_e32 v46, v46, v50
	s_delay_alu instid0(VALU_DEP_4) | instskip(NEXT) | instid1(VALU_DEP_4)
	v_add_f32_e32 v0, v0, v40
	v_dual_add_f32 v44, v37, v44 :: v_dual_fmac_f32 v35, v66, v34
	ds_load_b128 v[36:39], v21 offset:1056
	ds_load_2addr_b64 v[31:34], v20 offset0:160 offset1:176
	v_fma_f32 v59, v51, v29, -v41
	v_mul_f32_e32 v51, v51, v30
	v_add_f32_e32 v35, v42, v35
	ds_load_b128 v[40:43], v21 offset:1072
	v_add_f32_e32 v44, v44, v59
	s_wait_dscnt 0x2
	v_dual_fmac_f32 v51, v52, v29 :: v_dual_mul_f32 v52, v37, v30
	v_mul_f32_e32 v60, v37, v28
	v_mul_f32_e32 v28, v36, v28
	s_delay_alu instid0(VALU_DEP_2) | instskip(NEXT) | instid1(VALU_DEP_2)
	v_fma_f32 v50, v36, v27, -v60
	v_fmac_f32_e32 v28, v37, v27
	v_add_f32_e32 v45, v45, v51
	v_mul_f32_e32 v51, v36, v30
	v_fma_f32 v27, v36, v29, -v52
	s_delay_alu instid0(VALU_DEP_4) | instskip(SKIP_1) | instid1(VALU_DEP_3)
	v_dual_add_f32 v47, v47, v50 :: v_dual_add_f32 v36, v48, v28
	s_wait_dscnt 0x1
	v_dual_mul_f32 v48, v54, v32 :: v_dual_fmac_f32 v51, v37, v29
	v_dual_mul_f32 v50, v54, v34 :: v_dual_mul_f32 v37, v53, v32
	s_delay_alu instid0(VALU_DEP_2) | instskip(SKIP_4) | instid1(VALU_DEP_1)
	v_fma_f32 v48, v53, v31, -v48
	v_add_f32_e32 v49, v49, v27
	ds_load_2addr_b64 v[27:30], v20 offset0:192 offset1:208
	v_add_f32_e32 v0, v0, v48
	v_fma_f32 v48, v53, v33, -v50
	v_add_f32_e32 v44, v44, v48
	v_dual_mul_f32 v48, v39, v34 :: v_dual_fmac_f32 v37, v54, v31
	v_add_f32_e32 v51, v35, v51
	s_delay_alu instid0(VALU_DEP_2) | instskip(SKIP_2) | instid1(VALU_DEP_3)
	v_dual_mul_f32 v35, v53, v34 :: v_dual_add_f32 v46, v46, v37
	v_mul_f32_e32 v37, v39, v32
	v_mul_f32_e32 v32, v38, v32
	v_fmac_f32_e32 v35, v54, v33
	s_delay_alu instid0(VALU_DEP_3) | instskip(NEXT) | instid1(VALU_DEP_3)
	v_fma_f32 v37, v38, v31, -v37
	v_dual_fmac_f32 v32, v39, v31 :: v_dual_mul_f32 v31, v38, v34
	v_fma_f32 v34, v38, v33, -v48
	s_wait_dscnt 0x0
	v_dual_add_f32 v45, v45, v35 :: v_dual_mul_f32 v48, v56, v30
	s_delay_alu instid0(VALU_DEP_3) | instskip(NEXT) | instid1(VALU_DEP_3)
	v_dual_add_f32 v32, v36, v32 :: v_dual_fmac_f32 v31, v39, v33
	v_dual_add_f32 v33, v49, v34 :: v_dual_mul_f32 v34, v55, v28
	v_add_f32_e32 v47, v47, v37
	s_delay_alu instid0(VALU_DEP_4) | instskip(NEXT) | instid1(VALU_DEP_3)
	v_fma_f32 v48, v55, v29, -v48
	v_dual_mul_f32 v49, v41, v28 :: v_dual_fmac_f32 v34, v56, v27
	v_mul_f32_e32 v35, v56, v28
	v_mul_f32_e32 v28, v40, v28
	s_delay_alu instid0(VALU_DEP_4)
	v_add_f32_e32 v44, v44, v48
	v_mul_f32_e32 v48, v41, v30
	v_add_f32_e32 v34, v46, v34
	v_fma_f32 v39, v55, v27, -v35
	ds_load_2addr_b64 v[35:38], v20 offset0:224 offset1:240
	v_fmac_f32_e32 v28, v41, v27
	s_wait_loadcnt_dscnt 0x0
	s_barrier_signal -1
	v_dual_add_f32 v0, v0, v39 :: v_dual_mul_f32 v39, v55, v30
	v_dual_add_f32 v31, v51, v31 :: v_dual_mul_f32 v30, v40, v30
	v_fma_f32 v46, v40, v27, -v49
	v_fma_f32 v40, v40, v29, -v48
	s_delay_alu instid0(VALU_DEP_4)
	v_fmac_f32_e32 v39, v56, v29
	v_add_f32_e32 v28, v32, v28
	v_fmac_f32_e32 v30, v41, v29
	s_barrier_wait -1
	v_add_f32_e32 v40, v33, v40
	v_add_f32_e32 v27, v45, v39
	;; [unrolled: 1-line block ×3, first 2 shown]
	global_inv scope:SCOPE_SE
	v_mul_f32_e32 v32, v58, v36
	v_mul_f32_e32 v33, v58, v38
	v_add_f32_e32 v41, v31, v30
	s_delay_alu instid0(VALU_DEP_3) | instskip(SKIP_1) | instid1(VALU_DEP_4)
	v_fma_f32 v32, v57, v35, -v32
	v_mul_f32_e32 v30, v57, v38
	v_fma_f32 v31, v57, v37, -v33
	s_delay_alu instid0(VALU_DEP_3) | instskip(NEXT) | instid1(VALU_DEP_3)
	v_add_f32_e32 v33, v0, v32
	v_dual_mul_f32 v29, v57, v36 :: v_dual_fmac_f32 v30, v58, v37
	s_delay_alu instid0(VALU_DEP_3) | instskip(NEXT) | instid1(VALU_DEP_2)
	v_dual_mul_f32 v0, v43, v36 :: v_dual_add_f32 v31, v44, v31
	v_dual_mul_f32 v44, v43, v38 :: v_dual_fmac_f32 v29, v58, v35
	s_delay_alu instid0(VALU_DEP_3) | instskip(NEXT) | instid1(VALU_DEP_3)
	v_add_f32_e32 v32, v27, v30
	v_fma_f32 v0, v42, v35, -v0
	v_mul_f32_e32 v38, v42, v38
	s_delay_alu instid0(VALU_DEP_2) | instskip(NEXT) | instid1(VALU_DEP_2)
	v_dual_add_f32 v34, v34, v29 :: v_dual_add_f32 v29, v39, v0
	v_fmac_f32_e32 v38, v43, v37
	v_mul_f32_e32 v36, v42, v36
	v_fma_f32 v0, v42, v37, -v44
	s_delay_alu instid0(VALU_DEP_2) | instskip(NEXT) | instid1(VALU_DEP_1)
	v_dual_add_f32 v27, v41, v38 :: v_dual_fmac_f32 v36, v43, v35
	v_add_f32_e32 v30, v28, v36
	s_delay_alu instid0(VALU_DEP_3)
	v_add_f32_e32 v28, v40, v0
	s_wait_alu 0xfffe
	s_cbranch_vccz .LBB536_22
.LBB536_11:                             ;   Parent Loop BB536_8 Depth=1
                                        ; =>  This Inner Loop Header: Depth=2
	s_mov_b32 s30, 0
	s_mov_b32 s37, s34
	s_and_saveexec_b32 s31, s0
	s_cbranch_execnz .LBB536_19
; %bb.12:                               ;   in Loop: Header=BB536_11 Depth=2
	s_or_b32 exec_lo, exec_lo, s31
	s_and_saveexec_b32 s31, s37
	s_delay_alu instid0(SALU_CYCLE_1)
	s_xor_b32 s31, exec_lo, s31
	s_cbranch_execnz .LBB536_20
.LBB536_13:                             ;   in Loop: Header=BB536_11 Depth=2
	s_or_b32 exec_lo, exec_lo, s31
	s_and_saveexec_b32 s31, s30
	s_cbranch_execz .LBB536_15
.LBB536_14:                             ;   in Loop: Header=BB536_11 Depth=2
	v_lshlrev_b64_e32 v[35:36], 3, v[12:13]
	s_delay_alu instid0(VALU_DEP_1) | instskip(SKIP_1) | instid1(VALU_DEP_2)
	v_add_co_u32 v35, vcc_lo, v23, v35
	s_wait_alu 0xfffd
	v_add_co_ci_u32_e64 v36, null, v24, v36, vcc_lo
	flat_load_b64 v[35:36], v[35:36]
	s_wait_loadcnt_dscnt 0x0
	ds_store_b64 v18, v[35:36]
.LBB536_15:                             ;   in Loop: Header=BB536_11 Depth=2
	s_or_b32 exec_lo, exec_lo, s31
	s_wait_alu 0xfffe
	v_add_nc_u32_e32 v0, s12, v16
	s_delay_alu instid0(VALU_DEP_1) | instskip(SKIP_1) | instid1(SALU_CYCLE_1)
	v_cmp_le_u64_e32 vcc_lo, s[16:17], v[0:1]
	s_or_b32 s30, vcc_lo, s23
	s_and_saveexec_b32 s31, s30
	s_delay_alu instid0(SALU_CYCLE_1)
	s_xor_b32 s30, exec_lo, s31
; %bb.16:                               ;   in Loop: Header=BB536_11 Depth=2
	ds_store_b32 v19, v1
; %bb.17:                               ;   in Loop: Header=BB536_11 Depth=2
	s_or_saveexec_b32 s30, s30
	v_mov_b32_e32 v35, 0
	s_xor_b32 exec_lo, exec_lo, s30
	s_cbranch_execz .LBB536_10
; %bb.18:                               ;   in Loop: Header=BB536_11 Depth=2
	v_mad_co_u64_u32 v[35:36], null, s20, v0, 0
	s_delay_alu instid0(VALU_DEP_1) | instskip(NEXT) | instid1(VALU_DEP_1)
	v_mad_co_u64_u32 v[36:37], null, s21, v0, v[36:37]
	v_lshlrev_b64_e32 v[35:36], 3, v[35:36]
	s_delay_alu instid0(VALU_DEP_1) | instskip(SKIP_1) | instid1(VALU_DEP_2)
	v_add_co_u32 v35, vcc_lo, v25, v35
	s_wait_alu 0xfffd
	v_add_co_ci_u32_e64 v36, null, v26, v36, vcc_lo
	flat_load_b64 v[36:37], v[35:36]
	s_wait_loadcnt_dscnt 0x0
	v_xor_b32_e32 v35, 0x80000000, v37
	ds_store_b32 v19, v36
	s_branch .LBB536_10
.LBB536_19:                             ;   in Loop: Header=BB536_11 Depth=2
	s_wait_alu 0xfffe
	v_add_nc_u32_e32 v0, s12, v17
	v_mov_b32_e32 v13, v1
	s_and_not1_b32 s37, s34, exec_lo
	s_mov_b32 s30, exec_lo
	s_delay_alu instid0(VALU_DEP_2) | instskip(SKIP_2) | instid1(SALU_CYCLE_1)
	v_cmp_le_u64_e32 vcc_lo, s[16:17], v[0:1]
	v_mov_b32_e32 v12, v0
	s_and_b32 s38, vcc_lo, exec_lo
	s_or_b32 s37, s37, s38
	s_or_b32 exec_lo, exec_lo, s31
	s_and_saveexec_b32 s31, s37
	s_delay_alu instid0(SALU_CYCLE_1)
	s_xor_b32 s31, exec_lo, s31
	s_cbranch_execz .LBB536_13
.LBB536_20:                             ;   in Loop: Header=BB536_11 Depth=2
	v_mov_b32_e32 v0, v1
	s_and_not1_b32 s30, s30, exec_lo
	ds_store_b64 v18, v[0:1]
	s_or_b32 exec_lo, exec_lo, s31
	s_and_saveexec_b32 s31, s30
	s_cbranch_execnz .LBB536_14
	s_branch .LBB536_15
.LBB536_21:                             ;   in Loop: Header=BB536_8 Depth=1
	v_dual_mov_b32 v33, v1 :: v_dual_mov_b32 v34, v1
	v_dual_mov_b32 v31, v1 :: v_dual_mov_b32 v32, v1
	;; [unrolled: 1-line block ×4, first 2 shown]
.LBB536_22:                             ;   in Loop: Header=BB536_8 Depth=1
	s_wait_loadcnt 0x0
	s_wait_alu 0xfffe
	v_add_co_u32 v0, vcc_lo, v14, s10
	s_wait_alu 0xfffd
	v_add_co_ci_u32_e64 v23, null, s11, v15, vcc_lo
	s_delay_alu instid0(VALU_DEP_2) | instskip(SKIP_1) | instid1(VALU_DEP_2)
	v_add_co_u32 v24, vcc_lo, v0, v4
	s_wait_alu 0xfffd
	v_add_co_ci_u32_e64 v25, null, v23, v5, vcc_lo
	s_and_saveexec_b32 s12, s26
	s_cbranch_execz .LBB536_27
; %bb.23:                               ;   in Loop: Header=BB536_8 Depth=1
	v_mul_f32_e32 v15, s18, v34
	v_mul_f32_e32 v14, s19, v34
	s_and_b32 vcc_lo, exec_lo, s22
	s_mov_b32 s13, -1
	s_delay_alu instid0(VALU_DEP_2) | instskip(NEXT) | instid1(VALU_DEP_2)
	v_fmac_f32_e32 v15, s19, v33
	v_fma_f32 v14, v33, s18, -v14
	s_wait_alu 0xfffe
	s_cbranch_vccz .LBB536_25
; %bb.24:                               ;   in Loop: Header=BB536_8 Depth=1
	v_add_co_u32 v33, vcc_lo, v24, v8
	s_wait_alu 0xfffd
	v_add_co_ci_u32_e64 v34, null, v25, v9, vcc_lo
	s_mov_b32 s13, 0
	flat_load_b64 v[35:36], v[33:34]
	s_wait_loadcnt_dscnt 0x0
	v_mul_f32_e32 v26, s7, v36
	s_delay_alu instid0(VALU_DEP_1) | instskip(SKIP_1) | instid1(VALU_DEP_1)
	v_fma_f32 v26, v35, s6, -v26
	v_mul_f32_e32 v36, s6, v36
	v_dual_fmac_f32 v36, s7, v35 :: v_dual_add_f32 v35, v14, v26
	s_delay_alu instid0(VALU_DEP_1)
	v_add_f32_e32 v36, v15, v36
	flat_store_b64 v[33:34], v[35:36]
.LBB536_25:                             ;   in Loop: Header=BB536_8 Depth=1
	s_wait_alu 0xfffe
	s_and_not1_b32 vcc_lo, exec_lo, s13
	s_wait_alu 0xfffe
	s_cbranch_vccnz .LBB536_27
; %bb.26:                               ;   in Loop: Header=BB536_8 Depth=1
	v_add_co_u32 v33, vcc_lo, v24, v8
	s_wait_alu 0xfffd
	v_add_co_ci_u32_e64 v34, null, v25, v9, vcc_lo
	flat_store_b64 v[33:34], v[14:15]
.LBB536_27:                             ;   in Loop: Header=BB536_8 Depth=1
	s_wait_alu 0xfffe
	s_or_b32 exec_lo, exec_lo, s12
	s_and_saveexec_b32 s12, s27
	s_cbranch_execz .LBB536_32
; %bb.28:                               ;   in Loop: Header=BB536_8 Depth=1
	v_mul_f32_e32 v15, s18, v32
	v_mul_f32_e32 v14, s19, v32
	s_and_not1_b32 vcc_lo, exec_lo, s22
	s_mov_b32 s13, -1
	s_delay_alu instid0(VALU_DEP_2) | instskip(NEXT) | instid1(VALU_DEP_2)
	v_fmac_f32_e32 v15, s19, v31
	v_fma_f32 v14, v31, s18, -v14
	s_wait_alu 0xfffe
	s_cbranch_vccnz .LBB536_30
; %bb.29:                               ;   in Loop: Header=BB536_8 Depth=1
	v_add_co_u32 v31, vcc_lo, v24, v10
	s_wait_alu 0xfffd
	v_add_co_ci_u32_e64 v32, null, v25, v11, vcc_lo
	s_mov_b32 s13, 0
	flat_load_b64 v[33:34], v[31:32]
	s_wait_loadcnt_dscnt 0x0
	v_mul_f32_e32 v26, s7, v34
	v_mul_f32_e32 v34, s6, v34
	s_delay_alu instid0(VALU_DEP_2) | instskip(NEXT) | instid1(VALU_DEP_1)
	v_fma_f32 v26, v33, s6, -v26
	v_dual_fmac_f32 v34, s7, v33 :: v_dual_add_f32 v33, v14, v26
	s_delay_alu instid0(VALU_DEP_1)
	v_add_f32_e32 v34, v15, v34
	flat_store_b64 v[31:32], v[33:34]
.LBB536_30:                             ;   in Loop: Header=BB536_8 Depth=1
	s_wait_alu 0xfffe
	s_and_not1_b32 vcc_lo, exec_lo, s13
	s_wait_alu 0xfffe
	s_cbranch_vccnz .LBB536_32
; %bb.31:                               ;   in Loop: Header=BB536_8 Depth=1
	v_add_co_u32 v24, vcc_lo, v24, v10
	s_wait_alu 0xfffd
	v_add_co_ci_u32_e64 v25, null, v25, v11, vcc_lo
	flat_store_b64 v[24:25], v[14:15]
.LBB536_32:                             ;   in Loop: Header=BB536_8 Depth=1
	s_wait_alu 0xfffe
	s_or_b32 exec_lo, exec_lo, s12
	v_add_co_u32 v0, vcc_lo, v0, v6
	s_wait_alu 0xfffd
	v_add_co_ci_u32_e64 v23, null, v23, v7, vcc_lo
	s_and_saveexec_b32 s12, s1
	s_cbranch_execz .LBB536_37
; %bb.33:                               ;   in Loop: Header=BB536_8 Depth=1
	v_mul_f32_e32 v15, s18, v30
	v_mul_f32_e32 v14, s19, v30
	s_and_not1_b32 vcc_lo, exec_lo, s22
	s_mov_b32 s13, -1
	s_delay_alu instid0(VALU_DEP_2) | instskip(NEXT) | instid1(VALU_DEP_2)
	v_fmac_f32_e32 v15, s19, v29
	v_fma_f32 v14, v29, s18, -v14
	s_wait_alu 0xfffe
	s_cbranch_vccnz .LBB536_35
; %bb.34:                               ;   in Loop: Header=BB536_8 Depth=1
	v_add_co_u32 v24, vcc_lo, v0, v8
	s_wait_alu 0xfffd
	v_add_co_ci_u32_e64 v25, null, v23, v9, vcc_lo
	s_mov_b32 s13, 0
	flat_load_b64 v[29:30], v[24:25]
	s_wait_loadcnt_dscnt 0x0
	v_mul_f32_e32 v26, s7, v30
	v_mul_f32_e32 v30, s6, v30
	s_delay_alu instid0(VALU_DEP_2) | instskip(NEXT) | instid1(VALU_DEP_1)
	v_fma_f32 v26, v29, s6, -v26
	v_dual_fmac_f32 v30, s7, v29 :: v_dual_add_f32 v29, v14, v26
	s_delay_alu instid0(VALU_DEP_1)
	v_add_f32_e32 v30, v15, v30
	flat_store_b64 v[24:25], v[29:30]
.LBB536_35:                             ;   in Loop: Header=BB536_8 Depth=1
	s_wait_alu 0xfffe
	s_and_not1_b32 vcc_lo, exec_lo, s13
	s_wait_alu 0xfffe
	s_cbranch_vccnz .LBB536_37
; %bb.36:                               ;   in Loop: Header=BB536_8 Depth=1
	v_add_co_u32 v24, vcc_lo, v0, v8
	s_wait_alu 0xfffd
	v_add_co_ci_u32_e64 v25, null, v23, v9, vcc_lo
	flat_store_b64 v[24:25], v[14:15]
.LBB536_37:                             ;   in Loop: Header=BB536_8 Depth=1
	s_wait_alu 0xfffe
	s_or_b32 exec_lo, exec_lo, s12
	s_and_saveexec_b32 s12, s35
	s_cbranch_execz .LBB536_7
; %bb.38:                               ;   in Loop: Header=BB536_8 Depth=1
	v_mul_f32_e32 v15, s18, v27
	v_mul_f32_e32 v14, s19, v27
	s_and_not1_b32 vcc_lo, exec_lo, s22
	s_mov_b32 s13, -1
	s_delay_alu instid0(VALU_DEP_2) | instskip(NEXT) | instid1(VALU_DEP_2)
	v_fmac_f32_e32 v15, s19, v28
	v_fma_f32 v14, v28, s18, -v14
	s_wait_alu 0xfffe
	s_cbranch_vccnz .LBB536_40
; %bb.39:                               ;   in Loop: Header=BB536_8 Depth=1
	v_add_co_u32 v24, vcc_lo, v0, v10
	s_wait_alu 0xfffd
	v_add_co_ci_u32_e64 v25, null, v23, v11, vcc_lo
	s_mov_b32 s13, 0
	flat_load_b64 v[26:27], v[24:25]
	s_wait_loadcnt_dscnt 0x0
	v_mul_f32_e32 v28, s7, v27
	v_mul_f32_e32 v27, s6, v27
	s_delay_alu instid0(VALU_DEP_1) | instskip(NEXT) | instid1(VALU_DEP_3)
	v_fmac_f32_e32 v27, s7, v26
	v_fma_f32 v28, v26, s6, -v28
	s_delay_alu instid0(VALU_DEP_1)
	v_dual_add_f32 v27, v15, v27 :: v_dual_add_f32 v26, v14, v28
	flat_store_b64 v[24:25], v[26:27]
.LBB536_40:                             ;   in Loop: Header=BB536_8 Depth=1
	s_wait_alu 0xfffe
	s_and_not1_b32 vcc_lo, exec_lo, s13
	s_wait_alu 0xfffe
	s_cbranch_vccnz .LBB536_7
; %bb.41:                               ;   in Loop: Header=BB536_8 Depth=1
	v_add_co_u32 v24, vcc_lo, v0, v10
	s_wait_alu 0xfffd
	v_add_co_ci_u32_e64 v25, null, v23, v11, vcc_lo
	flat_store_b64 v[24:25], v[14:15]
	s_branch .LBB536_7
.LBB536_42:
	s_endpgm
	.section	.rodata,"a",@progbits
	.p2align	6, 0x0
	.amdhsa_kernel _ZL29rocblas_internal_gemmt_kernelIlLi16ELi32ELi8ELc84ELc67ELc76ELb0ELb1E19rocblas_complex_numIfES1_PKPKS1_PKPS1_EviT_T9_T10_S9_lSB_S9_lSA_T11_S9_li
		.amdhsa_group_segment_fixed_size 4096
		.amdhsa_private_segment_fixed_size 0
		.amdhsa_kernarg_size 108
		.amdhsa_user_sgpr_count 2
		.amdhsa_user_sgpr_dispatch_ptr 0
		.amdhsa_user_sgpr_queue_ptr 0
		.amdhsa_user_sgpr_kernarg_segment_ptr 1
		.amdhsa_user_sgpr_dispatch_id 0
		.amdhsa_user_sgpr_private_segment_size 0
		.amdhsa_wavefront_size32 1
		.amdhsa_uses_dynamic_stack 0
		.amdhsa_enable_private_segment 0
		.amdhsa_system_sgpr_workgroup_id_x 1
		.amdhsa_system_sgpr_workgroup_id_y 1
		.amdhsa_system_sgpr_workgroup_id_z 1
		.amdhsa_system_sgpr_workgroup_info 0
		.amdhsa_system_vgpr_workitem_id 1
		.amdhsa_next_free_vgpr 72
		.amdhsa_next_free_sgpr 39
		.amdhsa_reserve_vcc 1
		.amdhsa_float_round_mode_32 0
		.amdhsa_float_round_mode_16_64 0
		.amdhsa_float_denorm_mode_32 3
		.amdhsa_float_denorm_mode_16_64 3
		.amdhsa_fp16_overflow 0
		.amdhsa_workgroup_processor_mode 1
		.amdhsa_memory_ordered 1
		.amdhsa_forward_progress 1
		.amdhsa_inst_pref_size 26
		.amdhsa_round_robin_scheduling 0
		.amdhsa_exception_fp_ieee_invalid_op 0
		.amdhsa_exception_fp_denorm_src 0
		.amdhsa_exception_fp_ieee_div_zero 0
		.amdhsa_exception_fp_ieee_overflow 0
		.amdhsa_exception_fp_ieee_underflow 0
		.amdhsa_exception_fp_ieee_inexact 0
		.amdhsa_exception_int_div_zero 0
	.end_amdhsa_kernel
	.section	.text._ZL29rocblas_internal_gemmt_kernelIlLi16ELi32ELi8ELc84ELc67ELc76ELb0ELb1E19rocblas_complex_numIfES1_PKPKS1_PKPS1_EviT_T9_T10_S9_lSB_S9_lSA_T11_S9_li,"axG",@progbits,_ZL29rocblas_internal_gemmt_kernelIlLi16ELi32ELi8ELc84ELc67ELc76ELb0ELb1E19rocblas_complex_numIfES1_PKPKS1_PKPS1_EviT_T9_T10_S9_lSB_S9_lSA_T11_S9_li,comdat
.Lfunc_end536:
	.size	_ZL29rocblas_internal_gemmt_kernelIlLi16ELi32ELi8ELc84ELc67ELc76ELb0ELb1E19rocblas_complex_numIfES1_PKPKS1_PKPS1_EviT_T9_T10_S9_lSB_S9_lSA_T11_S9_li, .Lfunc_end536-_ZL29rocblas_internal_gemmt_kernelIlLi16ELi32ELi8ELc84ELc67ELc76ELb0ELb1E19rocblas_complex_numIfES1_PKPKS1_PKPS1_EviT_T9_T10_S9_lSB_S9_lSA_T11_S9_li
                                        ; -- End function
	.set _ZL29rocblas_internal_gemmt_kernelIlLi16ELi32ELi8ELc84ELc67ELc76ELb0ELb1E19rocblas_complex_numIfES1_PKPKS1_PKPS1_EviT_T9_T10_S9_lSB_S9_lSA_T11_S9_li.num_vgpr, 72
	.set _ZL29rocblas_internal_gemmt_kernelIlLi16ELi32ELi8ELc84ELc67ELc76ELb0ELb1E19rocblas_complex_numIfES1_PKPKS1_PKPS1_EviT_T9_T10_S9_lSB_S9_lSA_T11_S9_li.num_agpr, 0
	.set _ZL29rocblas_internal_gemmt_kernelIlLi16ELi32ELi8ELc84ELc67ELc76ELb0ELb1E19rocblas_complex_numIfES1_PKPKS1_PKPS1_EviT_T9_T10_S9_lSB_S9_lSA_T11_S9_li.numbered_sgpr, 39
	.set _ZL29rocblas_internal_gemmt_kernelIlLi16ELi32ELi8ELc84ELc67ELc76ELb0ELb1E19rocblas_complex_numIfES1_PKPKS1_PKPS1_EviT_T9_T10_S9_lSB_S9_lSA_T11_S9_li.num_named_barrier, 0
	.set _ZL29rocblas_internal_gemmt_kernelIlLi16ELi32ELi8ELc84ELc67ELc76ELb0ELb1E19rocblas_complex_numIfES1_PKPKS1_PKPS1_EviT_T9_T10_S9_lSB_S9_lSA_T11_S9_li.private_seg_size, 0
	.set _ZL29rocblas_internal_gemmt_kernelIlLi16ELi32ELi8ELc84ELc67ELc76ELb0ELb1E19rocblas_complex_numIfES1_PKPKS1_PKPS1_EviT_T9_T10_S9_lSB_S9_lSA_T11_S9_li.uses_vcc, 1
	.set _ZL29rocblas_internal_gemmt_kernelIlLi16ELi32ELi8ELc84ELc67ELc76ELb0ELb1E19rocblas_complex_numIfES1_PKPKS1_PKPS1_EviT_T9_T10_S9_lSB_S9_lSA_T11_S9_li.uses_flat_scratch, 0
	.set _ZL29rocblas_internal_gemmt_kernelIlLi16ELi32ELi8ELc84ELc67ELc76ELb0ELb1E19rocblas_complex_numIfES1_PKPKS1_PKPS1_EviT_T9_T10_S9_lSB_S9_lSA_T11_S9_li.has_dyn_sized_stack, 0
	.set _ZL29rocblas_internal_gemmt_kernelIlLi16ELi32ELi8ELc84ELc67ELc76ELb0ELb1E19rocblas_complex_numIfES1_PKPKS1_PKPS1_EviT_T9_T10_S9_lSB_S9_lSA_T11_S9_li.has_recursion, 0
	.set _ZL29rocblas_internal_gemmt_kernelIlLi16ELi32ELi8ELc84ELc67ELc76ELb0ELb1E19rocblas_complex_numIfES1_PKPKS1_PKPS1_EviT_T9_T10_S9_lSB_S9_lSA_T11_S9_li.has_indirect_call, 0
	.section	.AMDGPU.csdata,"",@progbits
; Kernel info:
; codeLenInByte = 3324
; TotalNumSgprs: 41
; NumVgprs: 72
; ScratchSize: 0
; MemoryBound: 0
; FloatMode: 240
; IeeeMode: 1
; LDSByteSize: 4096 bytes/workgroup (compile time only)
; SGPRBlocks: 0
; VGPRBlocks: 8
; NumSGPRsForWavesPerEU: 41
; NumVGPRsForWavesPerEU: 72
; Occupancy: 16
; WaveLimiterHint : 1
; COMPUTE_PGM_RSRC2:SCRATCH_EN: 0
; COMPUTE_PGM_RSRC2:USER_SGPR: 2
; COMPUTE_PGM_RSRC2:TRAP_HANDLER: 0
; COMPUTE_PGM_RSRC2:TGID_X_EN: 1
; COMPUTE_PGM_RSRC2:TGID_Y_EN: 1
; COMPUTE_PGM_RSRC2:TGID_Z_EN: 1
; COMPUTE_PGM_RSRC2:TIDIG_COMP_CNT: 1
	.section	.text._ZL29rocblas_internal_gemmt_kernelIlLi16ELi32ELi8ELc67ELc78ELc76ELb1ELb0E19rocblas_complex_numIfES1_PKPKS1_PKPS1_EviT_T9_T10_S9_lSB_S9_lSA_T11_S9_li,"axG",@progbits,_ZL29rocblas_internal_gemmt_kernelIlLi16ELi32ELi8ELc67ELc78ELc76ELb1ELb0E19rocblas_complex_numIfES1_PKPKS1_PKPS1_EviT_T9_T10_S9_lSB_S9_lSA_T11_S9_li,comdat
	.globl	_ZL29rocblas_internal_gemmt_kernelIlLi16ELi32ELi8ELc67ELc78ELc76ELb1ELb0E19rocblas_complex_numIfES1_PKPKS1_PKPS1_EviT_T9_T10_S9_lSB_S9_lSA_T11_S9_li ; -- Begin function _ZL29rocblas_internal_gemmt_kernelIlLi16ELi32ELi8ELc67ELc78ELc76ELb1ELb0E19rocblas_complex_numIfES1_PKPKS1_PKPS1_EviT_T9_T10_S9_lSB_S9_lSA_T11_S9_li
	.p2align	8
	.type	_ZL29rocblas_internal_gemmt_kernelIlLi16ELi32ELi8ELc67ELc78ELc76ELb1ELb0E19rocblas_complex_numIfES1_PKPKS1_PKPS1_EviT_T9_T10_S9_lSB_S9_lSA_T11_S9_li,@function
_ZL29rocblas_internal_gemmt_kernelIlLi16ELi32ELi8ELc67ELc78ELc76ELb1ELb0E19rocblas_complex_numIfES1_PKPKS1_PKPS1_EviT_T9_T10_S9_lSB_S9_lSA_T11_S9_li: ; @_ZL29rocblas_internal_gemmt_kernelIlLi16ELi32ELi8ELc67ELc78ELc76ELb1ELb0E19rocblas_complex_numIfES1_PKPKS1_PKPS1_EviT_T9_T10_S9_lSB_S9_lSA_T11_S9_li
; %bb.0:
	s_clause 0x1
	s_load_b64 s[24:25], s[0:1], 0x48
	s_load_b128 s[16:19], s[0:1], 0x8
	s_wait_kmcnt 0x0
	s_cmp_eq_f32 s24, 1.0
	s_cselect_b32 s3, -1, 0
	s_and_b32 s2, s25, 0x7fffffff
	s_delay_alu instid0(SALU_CYCLE_1) | instskip(SKIP_1) | instid1(SALU_CYCLE_1)
	s_cmp_eq_u32 s2, 0
	s_cselect_b32 s2, -1, 0
	s_and_b32 s4, s3, s2
	s_mov_b32 s3, 0
	s_and_not1_b32 vcc_lo, exec_lo, s4
	s_mov_b32 s4, -1
	s_cbranch_vccnz .LBB537_4
; %bb.1:
	s_cmp_lg_u64 s[16:17], 0
	s_cbranch_scc0 .LBB537_3
; %bb.2:
	s_cmp_neq_f32 s18, 0
	s_cselect_b32 s3, -1, 0
	s_cmp_neq_f32 s19, 0
	s_cselect_b32 s4, -1, 0
	s_delay_alu instid0(SALU_CYCLE_1)
	s_or_b32 s3, s3, s4
.LBB537_3:
	s_delay_alu instid0(SALU_CYCLE_1)
	s_mov_b32 s4, s3
.LBB537_4:
	s_delay_alu instid0(SALU_CYCLE_1)
	s_and_b32 vcc_lo, exec_lo, s4
	s_cbranch_vccz .LBB537_42
; %bb.5:
	s_load_b32 s30, s[0:1], 0x68
	s_lshr_b32 s26, ttmp7, 16
	s_wait_kmcnt 0x0
	s_cmp_ge_u32 s26, s30
	s_cbranch_scc1 .LBB537_42
; %bb.6:
	s_clause 0x1
	s_load_b128 s[4:7], s[0:1], 0x38
	s_load_b128 s[20:23], s[0:1], 0x50
	v_bfe_u32 v12, v0, 10, 10
	s_lshl_b32 s3, ttmp7, 5
	v_and_b32_e32 v11, 0x3ff, v0
	s_and_b32 s3, s3, 0x1fffe0
	s_clause 0x1
	s_load_b32 s33, s[0:1], 0x0
	s_load_b256 s[8:15], s[0:1], 0x18
	v_add_nc_u32_e32 v14, s3, v12
	s_lshl_b32 s34, ttmp9, 5
	s_cmp_neq_f32 s18, 0
	s_load_b64 s[28:29], s[0:1], 0x60
	v_lshl_add_u32 v23, v12, 6, 0x800
	v_cmp_gt_i64_e64 s36, s[16:17], 0
	s_cselect_b32 s31, -1, 0
	s_cmp_neq_f32 s19, 0
	s_mov_b32 s27, 0
	s_cselect_b32 s0, -1, 0
	s_ashr_i32 s1, s34, 31
	s_or_b32 s35, s31, s0
	s_wait_kmcnt 0x0
	v_mad_co_u64_u32 v[6:7], null, s22, v14, 0
	v_and_b32_e32 v18, 7, v0
	v_lshl_add_u32 v0, v12, 4, v11
	s_cmp_neq_f32 s24, 0
	s_mul_i32 s1, s10, s1
	s_delay_alu instid0(VALU_DEP_1) | instskip(SKIP_2) | instid1(VALU_DEP_3)
	v_lshrrev_b32_e32 v8, 3, v0
	v_and_b32_e32 v1, 31, v0
	v_lshrrev_b32_e32 v19, 5, v0
	v_add_nc_u32_e32 v9, s3, v8
	s_delay_alu instid0(VALU_DEP_3) | instskip(SKIP_1) | instid1(VALU_DEP_3)
	v_or_b32_e32 v0, s34, v1
	v_lshlrev_b32_e32 v10, 3, v1
	v_mad_co_u64_u32 v[4:5], null, s4, v9, 0
	s_delay_alu instid0(VALU_DEP_3)
	v_cmp_gt_i32_e64 s0, s33, v0
	v_cmp_le_i32_e64 s31, s33, v0
	v_mul_lo_u32 v13, s11, v0
	v_mad_co_u64_u32 v[2:3], null, s10, v0, 0
	v_cmp_gt_i32_e32 vcc_lo, s33, v9
	v_dual_mov_b32 v0, v5 :: v_dual_lshlrev_b32 v5, 3, v18
	s_cselect_b32 s10, -1, 0
	s_xor_b32 s11, s2, -1
	v_lshlrev_b32_e32 v22, 3, v11
	s_delay_alu instid0(VALU_DEP_2) | instskip(SKIP_2) | instid1(VALU_DEP_2)
	v_mad_co_u64_u32 v[0:1], null, s5, v9, v[0:1]
	v_lshl_or_b32 v1, v8, 6, v5
	v_add3_u32 v3, v3, s1, v13
	v_add_nc_u32_e32 v21, 0x800, v1
	v_mov_b32_e32 v1, v7
	v_mov_b32_e32 v5, v0
	v_lshl_or_b32 v20, v19, 8, v10
	s_delay_alu instid0(VALU_DEP_3) | instskip(SKIP_1) | instid1(VALU_DEP_4)
	v_mad_co_u64_u32 v[0:1], null, s23, v14, v[1:2]
	v_lshlrev_b64_e32 v[2:3], 3, v[2:3]
	v_lshlrev_b64_e32 v[4:5], 3, v[4:5]
	s_delay_alu instid0(VALU_DEP_3) | instskip(SKIP_1) | instid1(VALU_DEP_2)
	v_mov_b32_e32 v7, v0
	v_add_nc_u32_e32 v13, 16, v14
	v_lshlrev_b64_e32 v[6:7], 3, v[6:7]
	s_delay_alu instid0(VALU_DEP_2) | instskip(NEXT) | instid1(VALU_DEP_1)
	v_mad_co_u64_u32 v[8:9], null, s22, v13, 0
	v_mov_b32_e32 v0, v9
	s_delay_alu instid0(VALU_DEP_1) | instskip(SKIP_4) | instid1(VALU_DEP_1)
	v_mad_co_u64_u32 v[0:1], null, s23, v13, v[0:1]
	v_dual_mov_b32 v1, 0 :: v_dual_add_nc_u32 v10, s34, v11
	s_and_b32 s34, s35, s36
	s_wait_alu 0xfffe
	s_or_b32 s35, s10, s11
	v_dual_mov_b32 v9, v0 :: v_dual_add_nc_u32 v12, 16, v10
	v_cmp_le_i32_e64 s1, v14, v10
	v_cmp_gt_i32_e64 s2, s33, v10
	v_ashrrev_i32_e32 v11, 31, v10
	s_delay_alu instid0(VALU_DEP_4)
	v_lshlrev_b64_e32 v[8:9], 3, v[8:9]
	v_cmp_le_i32_e64 s5, v13, v12
	v_cmp_le_i32_e64 s3, v14, v12
	s_and_b32 s22, s1, s2
	v_cmp_le_i32_e64 s1, v13, v10
	v_ashrrev_i32_e32 v13, 31, v12
	v_cmp_gt_i32_e64 s4, s33, v12
	v_lshlrev_b64_e32 v[10:11], 3, v[10:11]
                                        ; implicit-def: $vgpr14_vgpr15
	s_and_b32 s1, s1, s2
	v_lshlrev_b64_e32 v[12:13], 3, v[12:13]
	s_and_b32 s23, s3, s4
	s_and_b32 s33, s5, s4
	s_lshl_b64 s[2:3], s[6:7], 3
	s_lshl_b64 s[4:5], s[12:13], 3
	s_xor_b32 s12, vcc_lo, -1
	s_lshl_b64 s[6:7], s[28:29], 3
	s_branch .LBB537_8
.LBB537_7:                              ;   in Loop: Header=BB537_8 Depth=1
	s_wait_alu 0xfffe
	s_or_b32 exec_lo, exec_lo, s10
	s_add_co_i32 s26, s26, 0x10000
	s_delay_alu instid0(SALU_CYCLE_1)
	s_cmp_lt_u32 s26, s30
	s_cbranch_scc0 .LBB537_42
.LBB537_8:                              ; =>This Loop Header: Depth=1
                                        ;     Child Loop BB537_11 Depth 2
	s_lshl_b64 s[10:11], s[26:27], 3
	s_and_not1_b32 vcc_lo, exec_lo, s34
	s_wait_alu 0xfffe
	s_add_nc_u64 s[28:29], s[20:21], s[10:11]
	global_load_b64 v[16:17], v1, s[28:29]
	s_cbranch_vccnz .LBB537_21
; %bb.9:                                ;   in Loop: Header=BB537_8 Depth=1
	s_add_nc_u64 s[28:29], s[8:9], s[10:11]
	s_add_nc_u64 s[10:11], s[14:15], s[10:11]
	s_clause 0x1
	global_load_b64 v[24:25], v1, s[28:29]
	global_load_b64 v[26:27], v1, s[10:11]
	v_dual_mov_b32 v28, 0 :: v_dual_mov_b32 v29, 0
	v_dual_mov_b32 v31, 0 :: v_dual_mov_b32 v30, 0
	;; [unrolled: 1-line block ×4, first 2 shown]
	s_mov_b64 s[10:11], 0
	s_wait_loadcnt 0x1
	v_add_co_u32 v0, vcc_lo, v24, s4
	s_wait_alu 0xfffd
	v_add_co_ci_u32_e64 v25, null, s5, v25, vcc_lo
	s_wait_loadcnt 0x0
	v_add_co_u32 v26, vcc_lo, v26, s2
	s_wait_alu 0xfffd
	v_add_co_ci_u32_e64 v27, null, s3, v27, vcc_lo
	v_add_co_u32 v24, vcc_lo, v0, v2
	s_wait_alu 0xfffd
	v_add_co_ci_u32_e64 v25, null, v25, v3, vcc_lo
	;; [unrolled: 3-line block ×3, first 2 shown]
	s_branch .LBB537_11
.LBB537_10:                             ;   in Loop: Header=BB537_11 Depth=2
	s_or_b32 exec_lo, exec_lo, s13
	s_wait_dscnt 0x0
	s_barrier_signal -1
	s_barrier_wait -1
	global_inv scope:SCOPE_SE
	ds_load_b128 v[36:39], v23
	ds_load_2addr_b64 v[40:43], v22 offset1:16
	ds_load_b128 v[44:47], v23 offset:1024
	ds_load_b128 v[48:51], v23 offset:16
	;; [unrolled: 1-line block ×4, first 2 shown]
	ds_load_2addr_b64 v[60:63], v22 offset0:32 offset1:48
	ds_load_b128 v[64:67], v23 offset:1040
	s_add_nc_u64 s[10:11], s[10:11], 8
	s_wait_alu 0xfffe
	v_cmp_gt_i64_e64 s13, s[16:17], s[10:11]
	s_and_b32 vcc_lo, exec_lo, s13
	s_wait_dscnt 0x6
	v_mul_f32_e32 v0, v37, v41
	v_dual_mul_f32 v68, v36, v41 :: v_dual_mul_f32 v69, v37, v43
	s_wait_dscnt 0x5
	v_dual_mul_f32 v70, v36, v43 :: v_dual_mul_f32 v71, v45, v41
	v_dual_mul_f32 v41, v44, v41 :: v_dual_mul_f32 v72, v45, v43
	v_mul_f32_e32 v43, v44, v43
	v_fma_f32 v0, v36, v40, -v0
	v_fma_f32 v36, v36, v42, -v69
	v_fmac_f32_e32 v70, v37, v42
	v_fmac_f32_e32 v41, v45, v40
	;; [unrolled: 1-line block ×3, first 2 shown]
	v_fma_f32 v37, v44, v40, -v71
	v_fma_f32 v40, v44, v42, -v72
	v_dual_add_f32 v0, v34, v0 :: v_dual_fmac_f32 v43, v45, v42
	s_delay_alu instid0(VALU_DEP_4) | instskip(NEXT) | instid1(VALU_DEP_4)
	v_add_f32_e32 v34, v35, v68
	v_dual_add_f32 v35, v32, v36 :: v_dual_add_f32 v36, v30, v37
	v_add_f32_e32 v37, v31, v41
	s_wait_dscnt 0x1
	v_dual_mul_f32 v41, v39, v61 :: v_dual_add_f32 v40, v29, v40
	ds_load_2addr_b64 v[29:32], v22 offset0:64 offset1:80
	v_dual_add_f32 v33, v33, v70 :: v_dual_mul_f32 v44, v39, v63
	v_fma_f32 v41, v38, v60, -v41
	v_add_f32_e32 v28, v28, v43
	s_delay_alu instid0(VALU_DEP_2) | instskip(NEXT) | instid1(VALU_DEP_1)
	v_dual_mul_f32 v43, v38, v63 :: v_dual_add_f32 v0, v0, v41
	v_dual_mul_f32 v42, v38, v61 :: v_dual_fmac_f32 v43, v39, v62
	v_fma_f32 v38, v38, v62, -v44
	v_mul_f32_e32 v41, v47, v61
	s_delay_alu instid0(VALU_DEP_3) | instskip(SKIP_1) | instid1(VALU_DEP_4)
	v_fmac_f32_e32 v42, v39, v60
	v_mul_f32_e32 v39, v47, v63
	v_add_f32_e32 v38, v35, v38
	s_delay_alu instid0(VALU_DEP_4) | instskip(NEXT) | instid1(VALU_DEP_4)
	v_fma_f32 v35, v46, v60, -v41
	v_dual_add_f32 v41, v33, v43 :: v_dual_add_f32 v42, v34, v42
	v_mul_f32_e32 v43, v46, v63
	v_mul_f32_e32 v34, v46, v61
	v_fma_f32 v33, v46, v62, -v39
	s_wait_dscnt 0x0
	v_mul_f32_e32 v39, v48, v30
	v_fmac_f32_e32 v43, v47, v62
	v_fmac_f32_e32 v34, v47, v60
	v_dual_add_f32 v44, v36, v35 :: v_dual_mul_f32 v35, v49, v30
	s_delay_alu instid0(VALU_DEP_3) | instskip(NEXT) | instid1(VALU_DEP_3)
	v_dual_mul_f32 v46, v49, v32 :: v_dual_add_f32 v43, v28, v43
	v_add_f32_e32 v37, v37, v34
	v_dual_fmac_f32 v39, v49, v29 :: v_dual_mul_f32 v28, v48, v32
	v_add_f32_e32 v40, v40, v33
	v_fma_f32 v45, v48, v29, -v35
	ds_load_2addr_b64 v[33:36], v22 offset0:96 offset1:112
	v_add_f32_e32 v39, v42, v39
	v_fmac_f32_e32 v28, v49, v31
	v_add_f32_e32 v0, v0, v45
	v_fma_f32 v45, v48, v31, -v46
	s_delay_alu instid0(VALU_DEP_1) | instskip(SKIP_2) | instid1(VALU_DEP_2)
	v_dual_add_f32 v41, v41, v28 :: v_dual_add_f32 v38, v38, v45
	v_mul_f32_e32 v45, v65, v32
	v_mul_f32_e32 v32, v64, v32
	v_fma_f32 v28, v64, v31, -v45
	v_mul_f32_e32 v42, v65, v30
	s_delay_alu instid0(VALU_DEP_3)
	v_fmac_f32_e32 v32, v65, v31
	s_wait_dscnt 0x0
	v_dual_mul_f32 v30, v64, v30 :: v_dual_mul_f32 v49, v67, v36
	v_add_f32_e32 v45, v40, v28
	v_fma_f32 v42, v64, v29, -v42
	v_dual_mul_f32 v40, v50, v34 :: v_dual_add_f32 v43, v43, v32
	s_delay_alu instid0(VALU_DEP_4) | instskip(SKIP_1) | instid1(VALU_DEP_3)
	v_fmac_f32_e32 v30, v65, v29
	v_mul_f32_e32 v32, v50, v36
	v_fmac_f32_e32 v40, v51, v33
	v_add_f32_e32 v42, v44, v42
	s_delay_alu instid0(VALU_DEP_4)
	v_add_f32_e32 v44, v37, v30
	ds_load_2addr_b64 v[28:31], v22 offset0:128 offset1:144
	v_mul_f32_e32 v37, v51, v34
	v_mul_f32_e32 v46, v51, v36
	v_fmac_f32_e32 v32, v51, v35
	v_mul_f32_e32 v36, v66, v36
	s_delay_alu instid0(VALU_DEP_4) | instskip(NEXT) | instid1(VALU_DEP_1)
	v_fma_f32 v37, v50, v33, -v37
	v_dual_add_f32 v0, v0, v37 :: v_dual_mul_f32 v37, v67, v34
	v_mul_f32_e32 v34, v66, v34
	s_delay_alu instid0(VALU_DEP_2)
	v_fma_f32 v48, v66, v33, -v37
	s_wait_dscnt 0x0
	v_mul_f32_e32 v51, v52, v29
	v_fma_f32 v46, v50, v35, -v46
	v_add_f32_e32 v50, v41, v32
	v_fma_f32 v32, v66, v35, -v49
	s_delay_alu instid0(VALU_DEP_4) | instskip(NEXT) | instid1(VALU_DEP_4)
	v_fmac_f32_e32 v51, v53, v28
	v_dual_add_f32 v47, v39, v40 :: v_dual_add_f32 v46, v38, v46
	ds_load_b128 v[37:40], v23 offset:1056
	v_fmac_f32_e32 v34, v67, v33
	v_mul_f32_e32 v33, v53, v29
	v_dual_add_f32 v45, v45, v32 :: v_dual_fmac_f32 v36, v67, v35
	v_dual_add_f32 v47, v47, v51 :: v_dual_add_f32 v48, v42, v48
	s_delay_alu instid0(VALU_DEP_4) | instskip(NEXT) | instid1(VALU_DEP_4)
	v_add_f32_e32 v49, v44, v34
	v_fma_f32 v41, v52, v28, -v33
	ds_load_2addr_b64 v[32:35], v22 offset0:160 offset1:176
	v_mul_f32_e32 v42, v53, v31
	v_add_f32_e32 v36, v43, v36
	v_add_f32_e32 v0, v0, v41
	s_delay_alu instid0(VALU_DEP_3)
	v_fma_f32 v60, v52, v30, -v42
	v_mul_f32_e32 v52, v52, v31
	ds_load_b128 v[41:44], v23 offset:1072
	s_wait_dscnt 0x2
	v_mul_f32_e32 v61, v38, v29
	v_mul_f32_e32 v29, v37, v29
	v_dual_fmac_f32 v52, v53, v30 :: v_dual_mul_f32 v53, v38, v31
	s_delay_alu instid0(VALU_DEP_3) | instskip(NEXT) | instid1(VALU_DEP_3)
	v_fma_f32 v51, v37, v28, -v61
	v_fmac_f32_e32 v29, v38, v28
	s_delay_alu instid0(VALU_DEP_3) | instskip(SKIP_2) | instid1(VALU_DEP_4)
	v_add_f32_e32 v50, v50, v52
	v_mul_f32_e32 v52, v37, v31
	v_fma_f32 v28, v37, v30, -v53
	v_add_f32_e32 v37, v49, v29
	s_wait_dscnt 0x1
	s_delay_alu instid0(VALU_DEP_3) | instskip(NEXT) | instid1(VALU_DEP_3)
	v_dual_mul_f32 v49, v55, v33 :: v_dual_fmac_f32 v52, v38, v30
	v_add_f32_e32 v45, v45, v28
	ds_load_2addr_b64 v[28:31], v22 offset0:192 offset1:208
	v_mul_f32_e32 v38, v54, v33
	v_fma_f32 v49, v54, v32, -v49
	v_add_f32_e32 v46, v46, v60
	s_delay_alu instid0(VALU_DEP_3) | instskip(NEXT) | instid1(VALU_DEP_1)
	v_fmac_f32_e32 v38, v55, v32
	v_dual_add_f32 v0, v0, v49 :: v_dual_add_f32 v47, v47, v38
	v_add_f32_e32 v48, v48, v51
	v_dual_mul_f32 v51, v55, v35 :: v_dual_mul_f32 v38, v40, v33
	v_mul_f32_e32 v33, v39, v33
	s_delay_alu instid0(VALU_DEP_2) | instskip(NEXT) | instid1(VALU_DEP_3)
	v_fma_f32 v49, v54, v34, -v51
	v_fma_f32 v38, v39, v32, -v38
	s_delay_alu instid0(VALU_DEP_3) | instskip(NEXT) | instid1(VALU_DEP_3)
	v_dual_fmac_f32 v33, v40, v32 :: v_dual_mul_f32 v32, v39, v35
	v_dual_add_f32 v46, v46, v49 :: v_dual_mul_f32 v49, v40, v35
	s_delay_alu instid0(VALU_DEP_2) | instskip(SKIP_1) | instid1(VALU_DEP_4)
	v_dual_add_f32 v52, v36, v52 :: v_dual_add_f32 v33, v37, v33
	v_mul_f32_e32 v36, v54, v35
	v_fmac_f32_e32 v32, v40, v34
	s_delay_alu instid0(VALU_DEP_4) | instskip(SKIP_1) | instid1(VALU_DEP_3)
	v_fma_f32 v35, v39, v34, -v49
	s_wait_dscnt 0x0
	v_dual_mul_f32 v49, v42, v29 :: v_dual_fmac_f32 v36, v55, v34
	s_delay_alu instid0(VALU_DEP_2) | instskip(SKIP_1) | instid1(VALU_DEP_2)
	v_dual_add_f32 v34, v45, v35 :: v_dual_mul_f32 v35, v56, v29
	v_mul_f32_e32 v45, v57, v31
	v_dual_fmac_f32 v35, v57, v28 :: v_dual_add_f32 v48, v48, v38
	s_delay_alu instid0(VALU_DEP_2) | instskip(NEXT) | instid1(VALU_DEP_2)
	v_fma_f32 v45, v56, v30, -v45
	v_dual_add_f32 v35, v47, v35 :: v_dual_add_f32 v50, v50, v36
	v_mul_f32_e32 v36, v57, v29
	v_mul_f32_e32 v29, v41, v29
	;; [unrolled: 1-line block ×3, first 2 shown]
	v_add_f32_e32 v45, v46, v45
	v_fma_f32 v46, v41, v28, -v49
	v_fma_f32 v40, v56, v28, -v36
	ds_load_2addr_b64 v[36:39], v22 offset0:224 offset1:240
	v_fmac_f32_e32 v29, v42, v28
	v_add_f32_e32 v32, v52, v32
	s_wait_loadcnt_dscnt 0x0
	s_barrier_signal -1
	s_barrier_wait -1
	v_dual_add_f32 v29, v33, v29 :: v_dual_add_f32 v0, v0, v40
	v_mul_f32_e32 v40, v56, v31
	v_mul_f32_e32 v31, v41, v31
	v_fma_f32 v41, v41, v30, -v47
	global_inv scope:SCOPE_SE
	v_fmac_f32_e32 v40, v57, v30
	v_fmac_f32_e32 v31, v42, v30
	s_delay_alu instid0(VALU_DEP_1) | instskip(SKIP_3) | instid1(VALU_DEP_3)
	v_dual_add_f32 v41, v34, v41 :: v_dual_add_f32 v42, v32, v31
	v_mul_f32_e32 v33, v59, v37
	v_mul_f32_e32 v34, v59, v39
	;; [unrolled: 1-line block ×3, first 2 shown]
	v_fma_f32 v33, v58, v36, -v33
	s_delay_alu instid0(VALU_DEP_3) | instskip(NEXT) | instid1(VALU_DEP_2)
	v_fma_f32 v32, v58, v38, -v34
	v_dual_fmac_f32 v31, v59, v38 :: v_dual_add_f32 v34, v0, v33
	v_mul_f32_e32 v0, v44, v37
	s_delay_alu instid0(VALU_DEP_3)
	v_dual_add_f32 v32, v45, v32 :: v_dual_mul_f32 v45, v44, v39
	v_add_f32_e32 v28, v50, v40
	v_mul_f32_e32 v30, v58, v37
	v_dual_add_f32 v40, v48, v46 :: v_dual_mul_f32 v37, v43, v37
	v_fma_f32 v0, v43, v36, -v0
	v_mul_f32_e32 v39, v43, v39
	s_delay_alu instid0(VALU_DEP_4) | instskip(NEXT) | instid1(VALU_DEP_4)
	v_dual_add_f32 v33, v28, v31 :: v_dual_fmac_f32 v30, v59, v36
	v_fmac_f32_e32 v37, v44, v36
	s_delay_alu instid0(VALU_DEP_3) | instskip(NEXT) | instid1(VALU_DEP_3)
	v_fmac_f32_e32 v39, v44, v38
	v_dual_add_f32 v35, v35, v30 :: v_dual_add_f32 v30, v40, v0
	v_fma_f32 v0, v43, v38, -v45
	s_delay_alu instid0(VALU_DEP_3) | instskip(NEXT) | instid1(VALU_DEP_2)
	v_dual_add_f32 v31, v29, v37 :: v_dual_add_f32 v28, v42, v39
	v_add_f32_e32 v29, v41, v0
	s_wait_alu 0xfffe
	s_cbranch_vccz .LBB537_22
.LBB537_11:                             ;   Parent Loop BB537_8 Depth=1
                                        ; =>  This Inner Loop Header: Depth=2
	s_mov_b32 s13, 0
	s_mov_b32 s29, s31
	s_and_saveexec_b32 s28, s0
	s_cbranch_execnz .LBB537_19
; %bb.12:                               ;   in Loop: Header=BB537_11 Depth=2
	s_or_b32 exec_lo, exec_lo, s28
	s_and_saveexec_b32 s28, s29
	s_delay_alu instid0(SALU_CYCLE_1)
	s_xor_b32 s28, exec_lo, s28
	s_cbranch_execnz .LBB537_20
.LBB537_13:                             ;   in Loop: Header=BB537_11 Depth=2
	s_or_b32 exec_lo, exec_lo, s28
	v_mov_b32_e32 v36, 0
	s_and_saveexec_b32 s28, s13
	s_cbranch_execz .LBB537_15
.LBB537_14:                             ;   in Loop: Header=BB537_11 Depth=2
	v_lshlrev_b64_e32 v[36:37], 3, v[14:15]
	s_delay_alu instid0(VALU_DEP_1) | instskip(SKIP_1) | instid1(VALU_DEP_2)
	v_add_co_u32 v36, vcc_lo, v24, v36
	s_wait_alu 0xfffd
	v_add_co_ci_u32_e64 v37, null, v25, v37, vcc_lo
	flat_load_b64 v[37:38], v[36:37]
	s_wait_loadcnt_dscnt 0x0
	v_xor_b32_e32 v36, 0x80000000, v38
	ds_store_b32 v20, v37
.LBB537_15:                             ;   in Loop: Header=BB537_11 Depth=2
	s_or_b32 exec_lo, exec_lo, s28
	s_wait_alu 0xfffe
	v_add_nc_u32_e32 v0, s10, v18
	ds_store_b32 v20, v36 offset:4
	v_cmp_le_u64_e32 vcc_lo, s[16:17], v[0:1]
	s_or_b32 s13, vcc_lo, s12
	s_delay_alu instid0(SALU_CYCLE_1) | instskip(NEXT) | instid1(SALU_CYCLE_1)
	s_and_saveexec_b32 s28, s13
	s_xor_b32 s13, exec_lo, s28
; %bb.16:                               ;   in Loop: Header=BB537_11 Depth=2
	v_mov_b32_e32 v0, v1
	ds_store_b64 v21, v[0:1]
; %bb.17:                               ;   in Loop: Header=BB537_11 Depth=2
	s_and_not1_saveexec_b32 s13, s13
	s_cbranch_execz .LBB537_10
; %bb.18:                               ;   in Loop: Header=BB537_11 Depth=2
	v_lshlrev_b64_e32 v[36:37], 3, v[0:1]
	s_delay_alu instid0(VALU_DEP_1) | instskip(SKIP_1) | instid1(VALU_DEP_2)
	v_add_co_u32 v36, vcc_lo, v26, v36
	s_wait_alu 0xfffd
	v_add_co_ci_u32_e64 v37, null, v27, v37, vcc_lo
	flat_load_b64 v[36:37], v[36:37]
	s_wait_loadcnt_dscnt 0x0
	ds_store_b64 v21, v[36:37]
	s_branch .LBB537_10
.LBB537_19:                             ;   in Loop: Header=BB537_11 Depth=2
	s_wait_alu 0xfffe
	v_add_nc_u32_e32 v0, s10, v19
	v_mov_b32_e32 v15, v1
	s_and_not1_b32 s29, s31, exec_lo
	s_mov_b32 s13, exec_lo
	s_delay_alu instid0(VALU_DEP_2) | instskip(SKIP_2) | instid1(SALU_CYCLE_1)
	v_cmp_le_u64_e32 vcc_lo, s[16:17], v[0:1]
	v_mov_b32_e32 v14, v0
	s_and_b32 s36, vcc_lo, exec_lo
	s_or_b32 s29, s29, s36
	s_or_b32 exec_lo, exec_lo, s28
	s_and_saveexec_b32 s28, s29
	s_delay_alu instid0(SALU_CYCLE_1)
	s_xor_b32 s28, exec_lo, s28
	s_cbranch_execz .LBB537_13
.LBB537_20:                             ;   in Loop: Header=BB537_11 Depth=2
	s_and_not1_b32 s13, s13, exec_lo
	ds_store_b32 v20, v1
	s_or_b32 exec_lo, exec_lo, s28
	v_mov_b32_e32 v36, 0
	s_and_saveexec_b32 s28, s13
	s_cbranch_execnz .LBB537_14
	s_branch .LBB537_15
.LBB537_21:                             ;   in Loop: Header=BB537_8 Depth=1
	v_dual_mov_b32 v34, v1 :: v_dual_mov_b32 v35, v1
	v_dual_mov_b32 v32, v1 :: v_dual_mov_b32 v33, v1
	;; [unrolled: 1-line block ×4, first 2 shown]
.LBB537_22:                             ;   in Loop: Header=BB537_8 Depth=1
	s_wait_loadcnt 0x0
	v_add_co_u32 v0, vcc_lo, v16, s6
	s_wait_alu 0xfffd
	v_add_co_ci_u32_e64 v24, null, s7, v17, vcc_lo
	s_delay_alu instid0(VALU_DEP_2) | instskip(SKIP_1) | instid1(VALU_DEP_2)
	v_add_co_u32 v25, vcc_lo, v0, v6
	s_wait_alu 0xfffd
	v_add_co_ci_u32_e64 v26, null, v24, v7, vcc_lo
	s_and_saveexec_b32 s10, s22
	s_cbranch_execz .LBB537_27
; %bb.23:                               ;   in Loop: Header=BB537_8 Depth=1
	v_mul_f32_e32 v17, s18, v35
	v_mul_f32_e32 v16, s19, v35
	s_and_b32 vcc_lo, exec_lo, s35
	s_mov_b32 s11, -1
	s_delay_alu instid0(VALU_DEP_2) | instskip(NEXT) | instid1(VALU_DEP_2)
	v_fmac_f32_e32 v17, s19, v34
	v_fma_f32 v16, v34, s18, -v16
	s_wait_alu 0xfffe
	s_cbranch_vccz .LBB537_25
; %bb.24:                               ;   in Loop: Header=BB537_8 Depth=1
	v_add_co_u32 v34, vcc_lo, v25, v10
	s_wait_alu 0xfffd
	v_add_co_ci_u32_e64 v35, null, v26, v11, vcc_lo
	s_mov_b32 s11, 0
	flat_load_b64 v[36:37], v[34:35]
	s_wait_loadcnt_dscnt 0x0
	v_mul_f32_e32 v27, s25, v37
	s_delay_alu instid0(VALU_DEP_1) | instskip(SKIP_1) | instid1(VALU_DEP_1)
	v_fma_f32 v27, v36, s24, -v27
	v_mul_f32_e32 v37, s24, v37
	v_dual_fmac_f32 v37, s25, v36 :: v_dual_add_f32 v36, v16, v27
	s_delay_alu instid0(VALU_DEP_1)
	v_add_f32_e32 v37, v17, v37
	flat_store_b64 v[34:35], v[36:37]
.LBB537_25:                             ;   in Loop: Header=BB537_8 Depth=1
	s_wait_alu 0xfffe
	s_and_not1_b32 vcc_lo, exec_lo, s11
	s_wait_alu 0xfffe
	s_cbranch_vccnz .LBB537_27
; %bb.26:                               ;   in Loop: Header=BB537_8 Depth=1
	v_add_co_u32 v34, vcc_lo, v25, v10
	s_wait_alu 0xfffd
	v_add_co_ci_u32_e64 v35, null, v26, v11, vcc_lo
	flat_store_b64 v[34:35], v[16:17]
.LBB537_27:                             ;   in Loop: Header=BB537_8 Depth=1
	s_wait_alu 0xfffe
	s_or_b32 exec_lo, exec_lo, s10
	s_and_saveexec_b32 s10, s23
	s_cbranch_execz .LBB537_32
; %bb.28:                               ;   in Loop: Header=BB537_8 Depth=1
	v_mul_f32_e32 v17, s18, v33
	v_mul_f32_e32 v16, s19, v33
	s_and_not1_b32 vcc_lo, exec_lo, s35
	s_mov_b32 s11, -1
	s_delay_alu instid0(VALU_DEP_2) | instskip(NEXT) | instid1(VALU_DEP_2)
	v_fmac_f32_e32 v17, s19, v32
	v_fma_f32 v16, v32, s18, -v16
	s_wait_alu 0xfffe
	s_cbranch_vccnz .LBB537_30
; %bb.29:                               ;   in Loop: Header=BB537_8 Depth=1
	v_add_co_u32 v32, vcc_lo, v25, v12
	s_wait_alu 0xfffd
	v_add_co_ci_u32_e64 v33, null, v26, v13, vcc_lo
	s_mov_b32 s11, 0
	flat_load_b64 v[34:35], v[32:33]
	s_wait_loadcnt_dscnt 0x0
	v_mul_f32_e32 v27, s25, v35
	v_mul_f32_e32 v35, s24, v35
	s_delay_alu instid0(VALU_DEP_2) | instskip(NEXT) | instid1(VALU_DEP_1)
	v_fma_f32 v27, v34, s24, -v27
	v_dual_fmac_f32 v35, s25, v34 :: v_dual_add_f32 v34, v16, v27
	s_delay_alu instid0(VALU_DEP_1)
	v_add_f32_e32 v35, v17, v35
	flat_store_b64 v[32:33], v[34:35]
.LBB537_30:                             ;   in Loop: Header=BB537_8 Depth=1
	s_wait_alu 0xfffe
	s_and_not1_b32 vcc_lo, exec_lo, s11
	s_wait_alu 0xfffe
	s_cbranch_vccnz .LBB537_32
; %bb.31:                               ;   in Loop: Header=BB537_8 Depth=1
	v_add_co_u32 v25, vcc_lo, v25, v12
	s_wait_alu 0xfffd
	v_add_co_ci_u32_e64 v26, null, v26, v13, vcc_lo
	flat_store_b64 v[25:26], v[16:17]
.LBB537_32:                             ;   in Loop: Header=BB537_8 Depth=1
	s_wait_alu 0xfffe
	s_or_b32 exec_lo, exec_lo, s10
	v_add_co_u32 v0, vcc_lo, v0, v8
	s_wait_alu 0xfffd
	v_add_co_ci_u32_e64 v24, null, v24, v9, vcc_lo
	s_and_saveexec_b32 s10, s1
	s_cbranch_execz .LBB537_37
; %bb.33:                               ;   in Loop: Header=BB537_8 Depth=1
	v_mul_f32_e32 v17, s18, v31
	v_mul_f32_e32 v16, s19, v31
	s_and_not1_b32 vcc_lo, exec_lo, s35
	s_mov_b32 s11, -1
	s_delay_alu instid0(VALU_DEP_2) | instskip(NEXT) | instid1(VALU_DEP_2)
	v_fmac_f32_e32 v17, s19, v30
	v_fma_f32 v16, v30, s18, -v16
	s_wait_alu 0xfffe
	s_cbranch_vccnz .LBB537_35
; %bb.34:                               ;   in Loop: Header=BB537_8 Depth=1
	v_add_co_u32 v25, vcc_lo, v0, v10
	s_wait_alu 0xfffd
	v_add_co_ci_u32_e64 v26, null, v24, v11, vcc_lo
	s_mov_b32 s11, 0
	flat_load_b64 v[30:31], v[25:26]
	s_wait_loadcnt_dscnt 0x0
	v_mul_f32_e32 v27, s25, v31
	v_mul_f32_e32 v31, s24, v31
	s_delay_alu instid0(VALU_DEP_2) | instskip(NEXT) | instid1(VALU_DEP_1)
	v_fma_f32 v27, v30, s24, -v27
	v_dual_fmac_f32 v31, s25, v30 :: v_dual_add_f32 v30, v16, v27
	s_delay_alu instid0(VALU_DEP_1)
	v_add_f32_e32 v31, v17, v31
	flat_store_b64 v[25:26], v[30:31]
.LBB537_35:                             ;   in Loop: Header=BB537_8 Depth=1
	s_wait_alu 0xfffe
	s_and_not1_b32 vcc_lo, exec_lo, s11
	s_wait_alu 0xfffe
	s_cbranch_vccnz .LBB537_37
; %bb.36:                               ;   in Loop: Header=BB537_8 Depth=1
	v_add_co_u32 v25, vcc_lo, v0, v10
	s_wait_alu 0xfffd
	v_add_co_ci_u32_e64 v26, null, v24, v11, vcc_lo
	flat_store_b64 v[25:26], v[16:17]
.LBB537_37:                             ;   in Loop: Header=BB537_8 Depth=1
	s_wait_alu 0xfffe
	s_or_b32 exec_lo, exec_lo, s10
	s_and_saveexec_b32 s10, s33
	s_cbranch_execz .LBB537_7
; %bb.38:                               ;   in Loop: Header=BB537_8 Depth=1
	v_mul_f32_e32 v17, s18, v28
	v_mul_f32_e32 v16, s19, v28
	s_and_not1_b32 vcc_lo, exec_lo, s35
	s_mov_b32 s11, -1
	s_delay_alu instid0(VALU_DEP_2) | instskip(NEXT) | instid1(VALU_DEP_2)
	v_fmac_f32_e32 v17, s19, v29
	v_fma_f32 v16, v29, s18, -v16
	s_wait_alu 0xfffe
	s_cbranch_vccnz .LBB537_40
; %bb.39:                               ;   in Loop: Header=BB537_8 Depth=1
	v_add_co_u32 v25, vcc_lo, v0, v12
	s_wait_alu 0xfffd
	v_add_co_ci_u32_e64 v26, null, v24, v13, vcc_lo
	s_mov_b32 s11, 0
	flat_load_b64 v[27:28], v[25:26]
	s_wait_loadcnt_dscnt 0x0
	v_mul_f32_e32 v29, s25, v28
	v_mul_f32_e32 v28, s24, v28
	s_delay_alu instid0(VALU_DEP_1) | instskip(NEXT) | instid1(VALU_DEP_3)
	v_fmac_f32_e32 v28, s25, v27
	v_fma_f32 v29, v27, s24, -v29
	s_delay_alu instid0(VALU_DEP_1)
	v_dual_add_f32 v28, v17, v28 :: v_dual_add_f32 v27, v16, v29
	flat_store_b64 v[25:26], v[27:28]
.LBB537_40:                             ;   in Loop: Header=BB537_8 Depth=1
	s_wait_alu 0xfffe
	s_and_not1_b32 vcc_lo, exec_lo, s11
	s_wait_alu 0xfffe
	s_cbranch_vccnz .LBB537_7
; %bb.41:                               ;   in Loop: Header=BB537_8 Depth=1
	v_add_co_u32 v25, vcc_lo, v0, v12
	s_wait_alu 0xfffd
	v_add_co_ci_u32_e64 v26, null, v24, v13, vcc_lo
	flat_store_b64 v[25:26], v[16:17]
	s_branch .LBB537_7
.LBB537_42:
	s_endpgm
	.section	.rodata,"a",@progbits
	.p2align	6, 0x0
	.amdhsa_kernel _ZL29rocblas_internal_gemmt_kernelIlLi16ELi32ELi8ELc67ELc78ELc76ELb1ELb0E19rocblas_complex_numIfES1_PKPKS1_PKPS1_EviT_T9_T10_S9_lSB_S9_lSA_T11_S9_li
		.amdhsa_group_segment_fixed_size 4096
		.amdhsa_private_segment_fixed_size 0
		.amdhsa_kernarg_size 108
		.amdhsa_user_sgpr_count 2
		.amdhsa_user_sgpr_dispatch_ptr 0
		.amdhsa_user_sgpr_queue_ptr 0
		.amdhsa_user_sgpr_kernarg_segment_ptr 1
		.amdhsa_user_sgpr_dispatch_id 0
		.amdhsa_user_sgpr_private_segment_size 0
		.amdhsa_wavefront_size32 1
		.amdhsa_uses_dynamic_stack 0
		.amdhsa_enable_private_segment 0
		.amdhsa_system_sgpr_workgroup_id_x 1
		.amdhsa_system_sgpr_workgroup_id_y 1
		.amdhsa_system_sgpr_workgroup_id_z 1
		.amdhsa_system_sgpr_workgroup_info 0
		.amdhsa_system_vgpr_workitem_id 1
		.amdhsa_next_free_vgpr 73
		.amdhsa_next_free_sgpr 37
		.amdhsa_reserve_vcc 1
		.amdhsa_float_round_mode_32 0
		.amdhsa_float_round_mode_16_64 0
		.amdhsa_float_denorm_mode_32 3
		.amdhsa_float_denorm_mode_16_64 3
		.amdhsa_fp16_overflow 0
		.amdhsa_workgroup_processor_mode 1
		.amdhsa_memory_ordered 1
		.amdhsa_forward_progress 1
		.amdhsa_inst_pref_size 27
		.amdhsa_round_robin_scheduling 0
		.amdhsa_exception_fp_ieee_invalid_op 0
		.amdhsa_exception_fp_denorm_src 0
		.amdhsa_exception_fp_ieee_div_zero 0
		.amdhsa_exception_fp_ieee_overflow 0
		.amdhsa_exception_fp_ieee_underflow 0
		.amdhsa_exception_fp_ieee_inexact 0
		.amdhsa_exception_int_div_zero 0
	.end_amdhsa_kernel
	.section	.text._ZL29rocblas_internal_gemmt_kernelIlLi16ELi32ELi8ELc67ELc78ELc76ELb1ELb0E19rocblas_complex_numIfES1_PKPKS1_PKPS1_EviT_T9_T10_S9_lSB_S9_lSA_T11_S9_li,"axG",@progbits,_ZL29rocblas_internal_gemmt_kernelIlLi16ELi32ELi8ELc67ELc78ELc76ELb1ELb0E19rocblas_complex_numIfES1_PKPKS1_PKPS1_EviT_T9_T10_S9_lSB_S9_lSA_T11_S9_li,comdat
.Lfunc_end537:
	.size	_ZL29rocblas_internal_gemmt_kernelIlLi16ELi32ELi8ELc67ELc78ELc76ELb1ELb0E19rocblas_complex_numIfES1_PKPKS1_PKPS1_EviT_T9_T10_S9_lSB_S9_lSA_T11_S9_li, .Lfunc_end537-_ZL29rocblas_internal_gemmt_kernelIlLi16ELi32ELi8ELc67ELc78ELc76ELb1ELb0E19rocblas_complex_numIfES1_PKPKS1_PKPS1_EviT_T9_T10_S9_lSB_S9_lSA_T11_S9_li
                                        ; -- End function
	.set _ZL29rocblas_internal_gemmt_kernelIlLi16ELi32ELi8ELc67ELc78ELc76ELb1ELb0E19rocblas_complex_numIfES1_PKPKS1_PKPS1_EviT_T9_T10_S9_lSB_S9_lSA_T11_S9_li.num_vgpr, 73
	.set _ZL29rocblas_internal_gemmt_kernelIlLi16ELi32ELi8ELc67ELc78ELc76ELb1ELb0E19rocblas_complex_numIfES1_PKPKS1_PKPS1_EviT_T9_T10_S9_lSB_S9_lSA_T11_S9_li.num_agpr, 0
	.set _ZL29rocblas_internal_gemmt_kernelIlLi16ELi32ELi8ELc67ELc78ELc76ELb1ELb0E19rocblas_complex_numIfES1_PKPKS1_PKPS1_EviT_T9_T10_S9_lSB_S9_lSA_T11_S9_li.numbered_sgpr, 37
	.set _ZL29rocblas_internal_gemmt_kernelIlLi16ELi32ELi8ELc67ELc78ELc76ELb1ELb0E19rocblas_complex_numIfES1_PKPKS1_PKPS1_EviT_T9_T10_S9_lSB_S9_lSA_T11_S9_li.num_named_barrier, 0
	.set _ZL29rocblas_internal_gemmt_kernelIlLi16ELi32ELi8ELc67ELc78ELc76ELb1ELb0E19rocblas_complex_numIfES1_PKPKS1_PKPS1_EviT_T9_T10_S9_lSB_S9_lSA_T11_S9_li.private_seg_size, 0
	.set _ZL29rocblas_internal_gemmt_kernelIlLi16ELi32ELi8ELc67ELc78ELc76ELb1ELb0E19rocblas_complex_numIfES1_PKPKS1_PKPS1_EviT_T9_T10_S9_lSB_S9_lSA_T11_S9_li.uses_vcc, 1
	.set _ZL29rocblas_internal_gemmt_kernelIlLi16ELi32ELi8ELc67ELc78ELc76ELb1ELb0E19rocblas_complex_numIfES1_PKPKS1_PKPS1_EviT_T9_T10_S9_lSB_S9_lSA_T11_S9_li.uses_flat_scratch, 0
	.set _ZL29rocblas_internal_gemmt_kernelIlLi16ELi32ELi8ELc67ELc78ELc76ELb1ELb0E19rocblas_complex_numIfES1_PKPKS1_PKPS1_EviT_T9_T10_S9_lSB_S9_lSA_T11_S9_li.has_dyn_sized_stack, 0
	.set _ZL29rocblas_internal_gemmt_kernelIlLi16ELi32ELi8ELc67ELc78ELc76ELb1ELb0E19rocblas_complex_numIfES1_PKPKS1_PKPS1_EviT_T9_T10_S9_lSB_S9_lSA_T11_S9_li.has_recursion, 0
	.set _ZL29rocblas_internal_gemmt_kernelIlLi16ELi32ELi8ELc67ELc78ELc76ELb1ELb0E19rocblas_complex_numIfES1_PKPKS1_PKPS1_EviT_T9_T10_S9_lSB_S9_lSA_T11_S9_li.has_indirect_call, 0
	.section	.AMDGPU.csdata,"",@progbits
; Kernel info:
; codeLenInByte = 3336
; TotalNumSgprs: 39
; NumVgprs: 73
; ScratchSize: 0
; MemoryBound: 0
; FloatMode: 240
; IeeeMode: 1
; LDSByteSize: 4096 bytes/workgroup (compile time only)
; SGPRBlocks: 0
; VGPRBlocks: 9
; NumSGPRsForWavesPerEU: 39
; NumVGPRsForWavesPerEU: 73
; Occupancy: 16
; WaveLimiterHint : 1
; COMPUTE_PGM_RSRC2:SCRATCH_EN: 0
; COMPUTE_PGM_RSRC2:USER_SGPR: 2
; COMPUTE_PGM_RSRC2:TRAP_HANDLER: 0
; COMPUTE_PGM_RSRC2:TGID_X_EN: 1
; COMPUTE_PGM_RSRC2:TGID_Y_EN: 1
; COMPUTE_PGM_RSRC2:TGID_Z_EN: 1
; COMPUTE_PGM_RSRC2:TIDIG_COMP_CNT: 1
	.section	.text._ZL29rocblas_internal_gemmt_kernelIlLi16ELi32ELi8ELc67ELc84ELc76ELb1ELb0E19rocblas_complex_numIfES1_PKPKS1_PKPS1_EviT_T9_T10_S9_lSB_S9_lSA_T11_S9_li,"axG",@progbits,_ZL29rocblas_internal_gemmt_kernelIlLi16ELi32ELi8ELc67ELc84ELc76ELb1ELb0E19rocblas_complex_numIfES1_PKPKS1_PKPS1_EviT_T9_T10_S9_lSB_S9_lSA_T11_S9_li,comdat
	.globl	_ZL29rocblas_internal_gemmt_kernelIlLi16ELi32ELi8ELc67ELc84ELc76ELb1ELb0E19rocblas_complex_numIfES1_PKPKS1_PKPS1_EviT_T9_T10_S9_lSB_S9_lSA_T11_S9_li ; -- Begin function _ZL29rocblas_internal_gemmt_kernelIlLi16ELi32ELi8ELc67ELc84ELc76ELb1ELb0E19rocblas_complex_numIfES1_PKPKS1_PKPS1_EviT_T9_T10_S9_lSB_S9_lSA_T11_S9_li
	.p2align	8
	.type	_ZL29rocblas_internal_gemmt_kernelIlLi16ELi32ELi8ELc67ELc84ELc76ELb1ELb0E19rocblas_complex_numIfES1_PKPKS1_PKPS1_EviT_T9_T10_S9_lSB_S9_lSA_T11_S9_li,@function
_ZL29rocblas_internal_gemmt_kernelIlLi16ELi32ELi8ELc67ELc84ELc76ELb1ELb0E19rocblas_complex_numIfES1_PKPKS1_PKPS1_EviT_T9_T10_S9_lSB_S9_lSA_T11_S9_li: ; @_ZL29rocblas_internal_gemmt_kernelIlLi16ELi32ELi8ELc67ELc84ELc76ELb1ELb0E19rocblas_complex_numIfES1_PKPKS1_PKPS1_EviT_T9_T10_S9_lSB_S9_lSA_T11_S9_li
; %bb.0:
	s_clause 0x1
	s_load_b64 s[6:7], s[0:1], 0x48
	s_load_b128 s[16:19], s[0:1], 0x8
	s_wait_kmcnt 0x0
	s_cmp_eq_f32 s6, 1.0
	s_cselect_b32 s3, -1, 0
	s_and_b32 s2, s7, 0x7fffffff
	s_delay_alu instid0(SALU_CYCLE_1) | instskip(SKIP_1) | instid1(SALU_CYCLE_1)
	s_cmp_eq_u32 s2, 0
	s_cselect_b32 s2, -1, 0
	s_and_b32 s4, s3, s2
	s_mov_b32 s3, 0
	s_and_not1_b32 vcc_lo, exec_lo, s4
	s_mov_b32 s4, -1
	s_cbranch_vccnz .LBB538_4
; %bb.1:
	s_cmp_lg_u64 s[16:17], 0
	s_cbranch_scc0 .LBB538_3
; %bb.2:
	s_cmp_neq_f32 s18, 0
	s_cselect_b32 s3, -1, 0
	s_cmp_neq_f32 s19, 0
	s_cselect_b32 s4, -1, 0
	s_delay_alu instid0(SALU_CYCLE_1)
	s_or_b32 s3, s3, s4
.LBB538_3:
	s_delay_alu instid0(SALU_CYCLE_1)
	s_mov_b32 s4, s3
.LBB538_4:
	s_delay_alu instid0(SALU_CYCLE_1)
	s_and_b32 vcc_lo, exec_lo, s4
	s_cbranch_vccz .LBB538_42
; %bb.5:
	s_load_b32 s33, s[0:1], 0x68
	s_lshr_b32 s28, ttmp7, 16
	s_wait_kmcnt 0x0
	s_cmp_ge_u32 s28, s33
	s_cbranch_scc1 .LBB538_42
; %bb.6:
	s_clause 0x3
	s_load_b32 s4, s[0:1], 0x0
	s_load_b256 s[8:15], s[0:1], 0x18
	s_load_b128 s[20:23], s[0:1], 0x38
	s_load_b128 s[24:27], s[0:1], 0x50
	v_bfe_u32 v10, v0, 10, 10
	s_lshl_b32 s3, ttmp7, 5
	v_and_b32_e32 v16, 7, v0
	s_and_b32 s3, s3, 0x1fffe0
	s_lshl_b32 s5, ttmp9, 5
	v_add_nc_u32_e32 v11, s3, v10
	s_cmp_neq_f32 s18, 0
	s_load_b64 s[30:31], s[0:1], 0x60
	v_lshl_add_u32 v21, v10, 6, 0x800
	v_cmp_gt_i64_e64 s37, s[16:17], 0
	s_cselect_b32 s34, -1, 0
	s_cmp_neq_f32 s19, 0
	v_add_nc_u32_e32 v15, 16, v11
	s_mov_b32 s29, 0
	s_cselect_b32 s0, -1, 0
	s_ashr_i32 s1, s5, 31
	s_or_b32 s36, s34, s0
	s_wait_kmcnt 0x0
	s_mul_i32 s1, s10, s1
	v_mad_co_u64_u32 v[4:5], null, s26, v11, 0
	v_and_b32_e32 v9, 0x3ff, v0
	s_cmp_neq_f32 s6, 0
	s_delay_alu instid0(VALU_DEP_1) | instskip(NEXT) | instid1(VALU_DEP_1)
	v_lshl_add_u32 v0, v10, 4, v9
	v_and_b32_e32 v1, 31, v0
	v_lshrrev_b32_e32 v17, 5, v0
	v_lshrrev_b32_e32 v0, 3, v0
	s_delay_alu instid0(VALU_DEP_3) | instskip(SKIP_1) | instid1(VALU_DEP_3)
	v_or_b32_e32 v2, s5, v1
	v_lshlrev_b32_e32 v1, 3, v1
	v_add_nc_u32_e32 v14, s3, v0
	s_delay_alu instid0(VALU_DEP_3) | instskip(NEXT) | instid1(VALU_DEP_3)
	v_cmp_gt_i32_e64 s0, s4, v2
	v_lshl_or_b32 v18, v17, 8, v1
	v_mov_b32_e32 v1, 0
	v_lshlrev_b32_e32 v7, 3, v16
	v_cmp_le_i32_e64 s34, s4, v2
	v_mul_lo_u32 v6, s11, v2
	v_mad_co_u64_u32 v[2:3], null, s10, v2, 0
	s_delay_alu instid0(VALU_DEP_4) | instskip(SKIP_3) | instid1(VALU_DEP_1)
	v_lshl_or_b32 v0, v0, 6, v7
	s_cselect_b32 s10, -1, 0
	s_xor_b32 s11, s2, -1
	s_and_b32 s36, s36, s37
	v_dual_mov_b32 v0, v5 :: v_dual_add_nc_u32 v19, 0x800, v0
	s_delay_alu instid0(VALU_DEP_3) | instskip(SKIP_2) | instid1(VALU_DEP_4)
	v_add3_u32 v3, v3, s1, v6
	v_add_nc_u32_e32 v8, s5, v9
	v_lshlrev_b32_e32 v20, 3, v9
	v_mad_co_u64_u32 v[5:6], null, s27, v11, v[0:1]
	v_mad_co_u64_u32 v[6:7], null, s26, v15, 0
	s_delay_alu instid0(VALU_DEP_4)
	v_add_nc_u32_e32 v10, 16, v8
	v_cmp_le_i32_e64 s1, v11, v8
	v_cmp_gt_i32_e64 s2, s4, v8
	v_ashrrev_i32_e32 v9, 31, v8
	v_lshlrev_b64_e32 v[2:3], 3, v[2:3]
	v_cmp_le_i32_e64 s3, v11, v10
	v_mov_b32_e32 v0, v7
	v_ashrrev_i32_e32 v11, 31, v10
	s_and_b32 s26, s1, s2
	v_cmp_le_i32_e64 s1, v15, v8
	v_cmp_le_i32_e64 s5, v15, v10
	v_mad_co_u64_u32 v[12:13], null, s27, v15, v[0:1]
	v_lshlrev_b64_e32 v[4:5], 3, v[4:5]
	v_lshlrev_b64_e32 v[8:9], 3, v[8:9]
	s_and_b32 s1, s1, s2
	s_delay_alu instid0(VALU_DEP_3)
	v_mov_b32_e32 v7, v12
	v_cmp_gt_i32_e32 vcc_lo, s4, v14
	v_cmp_gt_i32_e64 s4, s4, v10
	v_lshlrev_b64_e32 v[10:11], 3, v[10:11]
	v_lshlrev_b32_e32 v22, 3, v14
	v_lshlrev_b64_e32 v[6:7], 3, v[6:7]
                                        ; implicit-def: $vgpr12_vgpr13
	s_and_b32 s27, s3, s4
	s_and_b32 s35, s5, s4
	s_lshl_b64 s[2:3], s[22:23], 3
	s_wait_alu 0xfffe
	s_or_b32 s22, s10, s11
	s_lshl_b64 s[4:5], s[12:13], 3
	s_xor_b32 s23, vcc_lo, -1
	s_lshl_b64 s[10:11], s[30:31], 3
	s_branch .LBB538_8
.LBB538_7:                              ;   in Loop: Header=BB538_8 Depth=1
	s_wait_alu 0xfffe
	s_or_b32 exec_lo, exec_lo, s12
	s_add_co_i32 s28, s28, 0x10000
	s_delay_alu instid0(SALU_CYCLE_1)
	s_cmp_lt_u32 s28, s33
	s_cbranch_scc0 .LBB538_42
.LBB538_8:                              ; =>This Loop Header: Depth=1
                                        ;     Child Loop BB538_11 Depth 2
	s_lshl_b64 s[12:13], s[28:29], 3
	s_and_not1_b32 vcc_lo, exec_lo, s36
	s_wait_alu 0xfffe
	s_add_nc_u64 s[30:31], s[24:25], s[12:13]
	global_load_b64 v[14:15], v1, s[30:31]
	s_cbranch_vccnz .LBB538_21
; %bb.9:                                ;   in Loop: Header=BB538_8 Depth=1
	s_add_nc_u64 s[30:31], s[8:9], s[12:13]
	s_add_nc_u64 s[12:13], s[14:15], s[12:13]
	s_clause 0x1
	global_load_b64 v[23:24], v1, s[30:31]
	global_load_b64 v[25:26], v1, s[12:13]
	v_dual_mov_b32 v27, 0 :: v_dual_mov_b32 v28, 0
	v_dual_mov_b32 v30, 0 :: v_dual_mov_b32 v29, 0
	;; [unrolled: 1-line block ×4, first 2 shown]
	s_mov_b64 s[12:13], 0
	s_wait_loadcnt 0x1
	v_add_co_u32 v0, vcc_lo, v23, s4
	s_wait_alu 0xfffd
	v_add_co_ci_u32_e64 v24, null, s5, v24, vcc_lo
	s_wait_loadcnt 0x0
	v_add_co_u32 v25, vcc_lo, v25, s2
	s_wait_alu 0xfffd
	v_add_co_ci_u32_e64 v26, null, s3, v26, vcc_lo
	v_add_co_u32 v23, vcc_lo, v0, v2
	s_wait_alu 0xfffd
	v_add_co_ci_u32_e64 v24, null, v24, v3, vcc_lo
	;; [unrolled: 3-line block ×3, first 2 shown]
	s_branch .LBB538_11
.LBB538_10:                             ;   in Loop: Header=BB538_11 Depth=2
	s_or_b32 exec_lo, exec_lo, s30
	s_wait_dscnt 0x0
	s_barrier_signal -1
	s_barrier_wait -1
	global_inv scope:SCOPE_SE
	ds_load_b128 v[35:38], v21
	ds_load_2addr_b64 v[39:42], v20 offset1:16
	ds_load_b128 v[43:46], v21 offset:1024
	ds_load_b128 v[47:50], v21 offset:16
	;; [unrolled: 1-line block ×4, first 2 shown]
	ds_load_2addr_b64 v[59:62], v20 offset0:32 offset1:48
	ds_load_b128 v[63:66], v21 offset:1040
	s_add_nc_u64 s[12:13], s[12:13], 8
	s_wait_alu 0xfffe
	v_cmp_gt_i64_e64 s30, s[16:17], s[12:13]
	s_and_b32 vcc_lo, exec_lo, s30
	s_wait_dscnt 0x6
	v_dual_mul_f32 v0, v36, v40 :: v_dual_mul_f32 v69, v35, v42
	v_dual_mul_f32 v67, v35, v40 :: v_dual_mul_f32 v68, v36, v42
	s_wait_dscnt 0x5
	v_mul_f32_e32 v71, v44, v42
	s_delay_alu instid0(VALU_DEP_3) | instskip(SKIP_3) | instid1(VALU_DEP_4)
	v_fma_f32 v0, v35, v39, -v0
	v_dual_mul_f32 v42, v43, v42 :: v_dual_fmac_f32 v69, v36, v41
	v_fmac_f32_e32 v67, v36, v39
	v_fma_f32 v35, v35, v41, -v68
	v_add_f32_e32 v0, v33, v0
	v_mul_f32_e32 v70, v44, v40
	s_delay_alu instid0(VALU_DEP_4) | instskip(NEXT) | instid1(VALU_DEP_4)
	v_dual_mul_f32 v40, v43, v40 :: v_dual_add_f32 v33, v34, v67
	v_add_f32_e32 v34, v31, v35
	v_fmac_f32_e32 v42, v44, v41
	s_delay_alu instid0(VALU_DEP_4) | instskip(NEXT) | instid1(VALU_DEP_4)
	v_fma_f32 v36, v43, v39, -v70
	v_fmac_f32_e32 v40, v44, v39
	v_fma_f32 v39, v43, v41, -v71
	s_wait_dscnt 0x1
	v_dual_mul_f32 v41, v37, v60 :: v_dual_add_f32 v32, v32, v69
	v_mul_f32_e32 v43, v38, v62
	v_add_f32_e32 v35, v29, v36
	v_dual_add_f32 v36, v30, v40 :: v_dual_add_f32 v39, v28, v39
	ds_load_2addr_b64 v[28:31], v20 offset0:64 offset1:80
	v_fmac_f32_e32 v41, v38, v59
	v_dual_mul_f32 v40, v38, v60 :: v_dual_add_f32 v27, v27, v42
	v_mul_f32_e32 v42, v37, v62
	s_delay_alu instid0(VALU_DEP_3) | instskip(NEXT) | instid1(VALU_DEP_3)
	v_add_f32_e32 v41, v33, v41
	v_fma_f32 v40, v37, v59, -v40
	v_fma_f32 v37, v37, v61, -v43
	v_mul_f32_e32 v33, v45, v60
	s_delay_alu instid0(VALU_DEP_3) | instskip(SKIP_1) | instid1(VALU_DEP_4)
	v_add_f32_e32 v0, v0, v40
	v_mul_f32_e32 v40, v46, v60
	v_add_f32_e32 v37, v34, v37
	v_fmac_f32_e32 v42, v38, v61
	v_mul_f32_e32 v38, v46, v62
	v_fmac_f32_e32 v33, v46, v59
	v_fma_f32 v34, v45, v59, -v40
	s_delay_alu instid0(VALU_DEP_4) | instskip(SKIP_4) | instid1(VALU_DEP_3)
	v_add_f32_e32 v40, v32, v42
	v_mul_f32_e32 v42, v45, v62
	v_fma_f32 v32, v45, v61, -v38
	s_wait_dscnt 0x0
	v_dual_add_f32 v43, v35, v34 :: v_dual_mul_f32 v34, v48, v29
	v_dual_mul_f32 v45, v48, v31 :: v_dual_fmac_f32 v42, v46, v61
	v_mul_f32_e32 v38, v47, v29
	v_add_f32_e32 v39, v39, v32
	s_delay_alu instid0(VALU_DEP_3) | instskip(SKIP_3) | instid1(VALU_DEP_3)
	v_add_f32_e32 v42, v27, v42
	v_mul_f32_e32 v27, v47, v31
	v_fma_f32 v44, v47, v28, -v34
	v_fmac_f32_e32 v38, v48, v28
	v_fmac_f32_e32 v27, v48, v30
	s_delay_alu instid0(VALU_DEP_3)
	v_add_f32_e32 v0, v0, v44
	v_fma_f32 v44, v47, v30, -v45
	v_add_f32_e32 v36, v36, v33
	ds_load_2addr_b64 v[32:35], v20 offset0:96 offset1:112
	v_dual_add_f32 v38, v41, v38 :: v_dual_mul_f32 v41, v64, v29
	v_mul_f32_e32 v29, v63, v29
	v_dual_add_f32 v37, v37, v44 :: v_dual_mul_f32 v44, v64, v31
	v_mul_f32_e32 v31, v63, v31
	s_delay_alu instid0(VALU_DEP_4) | instskip(NEXT) | instid1(VALU_DEP_4)
	v_fma_f32 v41, v63, v28, -v41
	v_fmac_f32_e32 v29, v64, v28
	v_add_f32_e32 v40, v40, v27
	v_fma_f32 v27, v63, v30, -v44
	v_fmac_f32_e32 v31, v64, v30
	v_add_f32_e32 v41, v43, v41
	s_delay_alu instid0(VALU_DEP_3) | instskip(SKIP_4) | instid1(VALU_DEP_2)
	v_dual_add_f32 v43, v36, v29 :: v_dual_add_f32 v44, v39, v27
	ds_load_2addr_b64 v[27:30], v20 offset0:128 offset1:144
	s_wait_dscnt 0x1
	v_mul_f32_e32 v36, v50, v33
	v_dual_mul_f32 v39, v49, v33 :: v_dual_mul_f32 v48, v66, v35
	v_fma_f32 v36, v49, v32, -v36
	v_mul_f32_e32 v45, v50, v35
	s_delay_alu instid0(VALU_DEP_3) | instskip(NEXT) | instid1(VALU_DEP_3)
	v_fmac_f32_e32 v39, v50, v32
	v_add_f32_e32 v0, v0, v36
	s_delay_alu instid0(VALU_DEP_3) | instskip(SKIP_3) | instid1(VALU_DEP_4)
	v_fma_f32 v45, v49, v34, -v45
	v_add_f32_e32 v42, v42, v31
	v_dual_mul_f32 v31, v49, v35 :: v_dual_mul_f32 v36, v66, v33
	v_dual_add_f32 v46, v38, v39 :: v_dual_mul_f32 v33, v65, v33
	v_add_f32_e32 v45, v37, v45
	s_delay_alu instid0(VALU_DEP_3) | instskip(NEXT) | instid1(VALU_DEP_4)
	v_fmac_f32_e32 v31, v50, v34
	v_fma_f32 v47, v65, v32, -v36
	ds_load_b128 v[36:39], v21 offset:1056
	v_fmac_f32_e32 v33, v66, v32
	s_wait_dscnt 0x1
	v_mul_f32_e32 v32, v52, v28
	v_add_f32_e32 v49, v40, v31
	v_dual_mul_f32 v35, v65, v35 :: v_dual_mul_f32 v50, v51, v28
	s_delay_alu instid0(VALU_DEP_3)
	v_fma_f32 v40, v51, v27, -v32
	v_add_f32_e32 v47, v41, v47
	v_mul_f32_e32 v41, v52, v30
	v_fma_f32 v31, v65, v34, -v48
	v_dual_fmac_f32 v35, v66, v34 :: v_dual_fmac_f32 v50, v52, v27
	v_add_f32_e32 v0, v0, v40
	s_delay_alu instid0(VALU_DEP_4) | instskip(NEXT) | instid1(VALU_DEP_4)
	v_fma_f32 v59, v51, v29, -v41
	v_add_f32_e32 v44, v44, v31
	v_add_f32_e32 v48, v43, v33
	ds_load_2addr_b64 v[31:34], v20 offset0:160 offset1:176
	v_add_f32_e32 v35, v42, v35
	ds_load_b128 v[40:43], v21 offset:1072
	s_wait_dscnt 0x2
	v_dual_mul_f32 v51, v51, v30 :: v_dual_mul_f32 v60, v37, v28
	v_mul_f32_e32 v28, v36, v28
	s_delay_alu instid0(VALU_DEP_2) | instskip(SKIP_1) | instid1(VALU_DEP_3)
	v_dual_add_f32 v46, v46, v50 :: v_dual_fmac_f32 v51, v52, v29
	v_mul_f32_e32 v52, v37, v30
	v_fmac_f32_e32 v28, v37, v27
	v_fma_f32 v50, v36, v27, -v60
	s_delay_alu instid0(VALU_DEP_4) | instskip(SKIP_2) | instid1(VALU_DEP_2)
	v_add_f32_e32 v49, v49, v51
	v_mul_f32_e32 v51, v36, v30
	v_add_f32_e32 v45, v45, v59
	v_fmac_f32_e32 v51, v37, v29
	s_wait_dscnt 0x1
	v_mul_f32_e32 v37, v53, v32
	s_delay_alu instid0(VALU_DEP_1) | instskip(SKIP_4) | instid1(VALU_DEP_4)
	v_fmac_f32_e32 v37, v54, v31
	v_fma_f32 v27, v36, v29, -v52
	v_add_f32_e32 v36, v48, v28
	v_dual_mul_f32 v48, v54, v32 :: v_dual_add_f32 v47, v47, v50
	v_mul_f32_e32 v50, v54, v34
	v_add_f32_e32 v44, v44, v27
	ds_load_2addr_b64 v[27:30], v20 offset0:192 offset1:208
	v_fma_f32 v48, v53, v31, -v48
	v_add_f32_e32 v51, v35, v51
	v_dual_mul_f32 v35, v53, v34 :: v_dual_add_f32 v46, v46, v37
	v_mul_f32_e32 v37, v39, v32
	s_delay_alu instid0(VALU_DEP_4) | instskip(SKIP_4) | instid1(VALU_DEP_4)
	v_add_f32_e32 v0, v0, v48
	v_fma_f32 v48, v53, v33, -v50
	v_mul_f32_e32 v32, v38, v32
	v_fmac_f32_e32 v35, v54, v33
	v_fma_f32 v37, v38, v31, -v37
	v_dual_add_f32 v45, v45, v48 :: v_dual_mul_f32 v48, v39, v34
	s_delay_alu instid0(VALU_DEP_4) | instskip(NEXT) | instid1(VALU_DEP_4)
	v_dual_fmac_f32 v32, v39, v31 :: v_dual_mul_f32 v31, v38, v34
	v_add_f32_e32 v49, v49, v35
	s_delay_alu instid0(VALU_DEP_3) | instskip(NEXT) | instid1(VALU_DEP_3)
	v_fma_f32 v34, v38, v33, -v48
	v_dual_add_f32 v32, v36, v32 :: v_dual_fmac_f32 v31, v39, v33
	s_wait_dscnt 0x0
	s_delay_alu instid0(VALU_DEP_2) | instskip(SKIP_1) | instid1(VALU_DEP_3)
	v_dual_mul_f32 v48, v41, v28 :: v_dual_add_f32 v33, v44, v34
	v_mul_f32_e32 v34, v55, v28
	v_dual_mul_f32 v44, v56, v30 :: v_dual_add_f32 v31, v51, v31
	s_delay_alu instid0(VALU_DEP_2) | instskip(SKIP_1) | instid1(VALU_DEP_3)
	v_fmac_f32_e32 v34, v56, v27
	v_mul_f32_e32 v35, v56, v28
	v_fma_f32 v44, v55, v29, -v44
	v_mul_f32_e32 v28, v40, v28
	s_delay_alu instid0(VALU_DEP_4) | instskip(NEXT) | instid1(VALU_DEP_4)
	v_add_f32_e32 v34, v46, v34
	v_fma_f32 v39, v55, v27, -v35
	v_add_f32_e32 v47, v47, v37
	ds_load_2addr_b64 v[35:38], v20 offset0:224 offset1:240
	v_add_f32_e32 v44, v45, v44
	v_mul_f32_e32 v46, v41, v30
	v_dual_add_f32 v0, v0, v39 :: v_dual_mul_f32 v39, v55, v30
	v_fma_f32 v45, v40, v27, -v48
	v_fmac_f32_e32 v28, v41, v27
	v_mul_f32_e32 v30, v40, v30
	v_fma_f32 v40, v40, v29, -v46
	v_fmac_f32_e32 v39, v56, v29
	s_wait_loadcnt_dscnt 0x0
	s_barrier_signal -1
	v_fmac_f32_e32 v30, v41, v29
	v_add_f32_e32 v40, v33, v40
	v_add_f32_e32 v27, v49, v39
	v_dual_add_f32 v39, v47, v45 :: v_dual_add_f32 v28, v32, v28
	s_barrier_wait -1
	global_inv scope:SCOPE_SE
	v_mul_f32_e32 v29, v57, v36
	v_mul_f32_e32 v33, v58, v38
	s_delay_alu instid0(VALU_DEP_2) | instskip(SKIP_1) | instid1(VALU_DEP_3)
	v_fmac_f32_e32 v29, v58, v35
	v_dual_mul_f32 v32, v58, v36 :: v_dual_add_f32 v41, v31, v30
	v_fma_f32 v31, v57, v37, -v33
	s_delay_alu instid0(VALU_DEP_2) | instskip(NEXT) | instid1(VALU_DEP_2)
	v_fma_f32 v32, v57, v35, -v32
	v_dual_mul_f32 v30, v57, v38 :: v_dual_add_f32 v31, v44, v31
	v_mul_f32_e32 v44, v43, v38
	s_delay_alu instid0(VALU_DEP_3) | instskip(NEXT) | instid1(VALU_DEP_3)
	v_dual_mul_f32 v38, v42, v38 :: v_dual_add_f32 v33, v0, v32
	v_fmac_f32_e32 v30, v58, v37
	s_delay_alu instid0(VALU_DEP_2) | instskip(SKIP_2) | instid1(VALU_DEP_4)
	v_fmac_f32_e32 v38, v43, v37
	v_mul_f32_e32 v0, v43, v36
	v_mul_f32_e32 v36, v42, v36
	v_add_f32_e32 v32, v27, v30
	s_delay_alu instid0(VALU_DEP_4) | instskip(NEXT) | instid1(VALU_DEP_4)
	v_add_f32_e32 v27, v41, v38
	v_fma_f32 v0, v42, v35, -v0
	v_add_f32_e32 v34, v34, v29
	v_fmac_f32_e32 v36, v43, v35
	s_delay_alu instid0(VALU_DEP_3) | instskip(SKIP_1) | instid1(VALU_DEP_3)
	v_add_f32_e32 v29, v39, v0
	v_fma_f32 v0, v42, v37, -v44
	v_add_f32_e32 v30, v28, v36
	s_delay_alu instid0(VALU_DEP_2)
	v_add_f32_e32 v28, v40, v0
	s_wait_alu 0xfffe
	s_cbranch_vccz .LBB538_22
.LBB538_11:                             ;   Parent Loop BB538_8 Depth=1
                                        ; =>  This Inner Loop Header: Depth=2
	s_mov_b32 s30, 0
	s_mov_b32 s37, s34
	s_and_saveexec_b32 s31, s0
	s_cbranch_execnz .LBB538_19
; %bb.12:                               ;   in Loop: Header=BB538_11 Depth=2
	s_or_b32 exec_lo, exec_lo, s31
	s_and_saveexec_b32 s31, s37
	s_delay_alu instid0(SALU_CYCLE_1)
	s_xor_b32 s31, exec_lo, s31
	s_cbranch_execnz .LBB538_20
.LBB538_13:                             ;   in Loop: Header=BB538_11 Depth=2
	s_or_b32 exec_lo, exec_lo, s31
	v_mov_b32_e32 v35, 0
	s_and_saveexec_b32 s31, s30
	s_cbranch_execz .LBB538_15
.LBB538_14:                             ;   in Loop: Header=BB538_11 Depth=2
	v_lshlrev_b64_e32 v[35:36], 3, v[12:13]
	s_delay_alu instid0(VALU_DEP_1) | instskip(SKIP_1) | instid1(VALU_DEP_2)
	v_add_co_u32 v35, vcc_lo, v23, v35
	s_wait_alu 0xfffd
	v_add_co_ci_u32_e64 v36, null, v24, v36, vcc_lo
	flat_load_b64 v[36:37], v[35:36]
	s_wait_loadcnt_dscnt 0x0
	v_xor_b32_e32 v35, 0x80000000, v37
	ds_store_b32 v18, v36
.LBB538_15:                             ;   in Loop: Header=BB538_11 Depth=2
	s_or_b32 exec_lo, exec_lo, s31
	s_wait_alu 0xfffe
	v_add_nc_u32_e32 v0, s12, v16
	ds_store_b32 v18, v35 offset:4
	v_cmp_le_u64_e32 vcc_lo, s[16:17], v[0:1]
	s_or_b32 s30, vcc_lo, s23
	s_delay_alu instid0(SALU_CYCLE_1) | instskip(NEXT) | instid1(SALU_CYCLE_1)
	s_and_saveexec_b32 s31, s30
	s_xor_b32 s30, exec_lo, s31
; %bb.16:                               ;   in Loop: Header=BB538_11 Depth=2
	v_mov_b32_e32 v0, v1
	ds_store_b64 v19, v[0:1]
; %bb.17:                               ;   in Loop: Header=BB538_11 Depth=2
	s_and_not1_saveexec_b32 s30, s30
	s_cbranch_execz .LBB538_10
; %bb.18:                               ;   in Loop: Header=BB538_11 Depth=2
	v_mad_co_u64_u32 v[35:36], null, s20, v0, 0
	s_delay_alu instid0(VALU_DEP_1) | instskip(NEXT) | instid1(VALU_DEP_1)
	v_mad_co_u64_u32 v[36:37], null, s21, v0, v[36:37]
	v_lshlrev_b64_e32 v[35:36], 3, v[35:36]
	s_delay_alu instid0(VALU_DEP_1) | instskip(SKIP_1) | instid1(VALU_DEP_2)
	v_add_co_u32 v35, vcc_lo, v25, v35
	s_wait_alu 0xfffd
	v_add_co_ci_u32_e64 v36, null, v26, v36, vcc_lo
	flat_load_b64 v[35:36], v[35:36]
	s_wait_loadcnt_dscnt 0x0
	ds_store_b64 v19, v[35:36]
	s_branch .LBB538_10
.LBB538_19:                             ;   in Loop: Header=BB538_11 Depth=2
	s_wait_alu 0xfffe
	v_add_nc_u32_e32 v0, s12, v17
	v_mov_b32_e32 v13, v1
	s_and_not1_b32 s37, s34, exec_lo
	s_mov_b32 s30, exec_lo
	s_delay_alu instid0(VALU_DEP_2) | instskip(SKIP_2) | instid1(SALU_CYCLE_1)
	v_cmp_le_u64_e32 vcc_lo, s[16:17], v[0:1]
	v_mov_b32_e32 v12, v0
	s_and_b32 s38, vcc_lo, exec_lo
	s_or_b32 s37, s37, s38
	s_or_b32 exec_lo, exec_lo, s31
	s_and_saveexec_b32 s31, s37
	s_delay_alu instid0(SALU_CYCLE_1)
	s_xor_b32 s31, exec_lo, s31
	s_cbranch_execz .LBB538_13
.LBB538_20:                             ;   in Loop: Header=BB538_11 Depth=2
	s_and_not1_b32 s30, s30, exec_lo
	ds_store_b32 v18, v1
	s_or_b32 exec_lo, exec_lo, s31
	v_mov_b32_e32 v35, 0
	s_and_saveexec_b32 s31, s30
	s_cbranch_execnz .LBB538_14
	s_branch .LBB538_15
.LBB538_21:                             ;   in Loop: Header=BB538_8 Depth=1
	v_dual_mov_b32 v33, v1 :: v_dual_mov_b32 v34, v1
	v_dual_mov_b32 v31, v1 :: v_dual_mov_b32 v32, v1
	;; [unrolled: 1-line block ×4, first 2 shown]
.LBB538_22:                             ;   in Loop: Header=BB538_8 Depth=1
	s_wait_loadcnt 0x0
	s_wait_alu 0xfffe
	v_add_co_u32 v0, vcc_lo, v14, s10
	s_wait_alu 0xfffd
	v_add_co_ci_u32_e64 v23, null, s11, v15, vcc_lo
	s_delay_alu instid0(VALU_DEP_2) | instskip(SKIP_1) | instid1(VALU_DEP_2)
	v_add_co_u32 v24, vcc_lo, v0, v4
	s_wait_alu 0xfffd
	v_add_co_ci_u32_e64 v25, null, v23, v5, vcc_lo
	s_and_saveexec_b32 s12, s26
	s_cbranch_execz .LBB538_27
; %bb.23:                               ;   in Loop: Header=BB538_8 Depth=1
	v_mul_f32_e32 v15, s18, v34
	v_mul_f32_e32 v14, s19, v34
	s_and_b32 vcc_lo, exec_lo, s22
	s_mov_b32 s13, -1
	s_delay_alu instid0(VALU_DEP_2) | instskip(NEXT) | instid1(VALU_DEP_2)
	v_fmac_f32_e32 v15, s19, v33
	v_fma_f32 v14, v33, s18, -v14
	s_wait_alu 0xfffe
	s_cbranch_vccz .LBB538_25
; %bb.24:                               ;   in Loop: Header=BB538_8 Depth=1
	v_add_co_u32 v33, vcc_lo, v24, v8
	s_wait_alu 0xfffd
	v_add_co_ci_u32_e64 v34, null, v25, v9, vcc_lo
	s_mov_b32 s13, 0
	flat_load_b64 v[35:36], v[33:34]
	s_wait_loadcnt_dscnt 0x0
	v_mul_f32_e32 v26, s7, v36
	s_delay_alu instid0(VALU_DEP_1) | instskip(SKIP_1) | instid1(VALU_DEP_1)
	v_fma_f32 v26, v35, s6, -v26
	v_mul_f32_e32 v36, s6, v36
	v_dual_fmac_f32 v36, s7, v35 :: v_dual_add_f32 v35, v14, v26
	s_delay_alu instid0(VALU_DEP_1)
	v_add_f32_e32 v36, v15, v36
	flat_store_b64 v[33:34], v[35:36]
.LBB538_25:                             ;   in Loop: Header=BB538_8 Depth=1
	s_wait_alu 0xfffe
	s_and_not1_b32 vcc_lo, exec_lo, s13
	s_wait_alu 0xfffe
	s_cbranch_vccnz .LBB538_27
; %bb.26:                               ;   in Loop: Header=BB538_8 Depth=1
	v_add_co_u32 v33, vcc_lo, v24, v8
	s_wait_alu 0xfffd
	v_add_co_ci_u32_e64 v34, null, v25, v9, vcc_lo
	flat_store_b64 v[33:34], v[14:15]
.LBB538_27:                             ;   in Loop: Header=BB538_8 Depth=1
	s_wait_alu 0xfffe
	s_or_b32 exec_lo, exec_lo, s12
	s_and_saveexec_b32 s12, s27
	s_cbranch_execz .LBB538_32
; %bb.28:                               ;   in Loop: Header=BB538_8 Depth=1
	v_mul_f32_e32 v15, s18, v32
	v_mul_f32_e32 v14, s19, v32
	s_and_not1_b32 vcc_lo, exec_lo, s22
	s_mov_b32 s13, -1
	s_delay_alu instid0(VALU_DEP_2) | instskip(NEXT) | instid1(VALU_DEP_2)
	v_fmac_f32_e32 v15, s19, v31
	v_fma_f32 v14, v31, s18, -v14
	s_wait_alu 0xfffe
	s_cbranch_vccnz .LBB538_30
; %bb.29:                               ;   in Loop: Header=BB538_8 Depth=1
	v_add_co_u32 v31, vcc_lo, v24, v10
	s_wait_alu 0xfffd
	v_add_co_ci_u32_e64 v32, null, v25, v11, vcc_lo
	s_mov_b32 s13, 0
	flat_load_b64 v[33:34], v[31:32]
	s_wait_loadcnt_dscnt 0x0
	v_mul_f32_e32 v26, s7, v34
	v_mul_f32_e32 v34, s6, v34
	s_delay_alu instid0(VALU_DEP_2) | instskip(NEXT) | instid1(VALU_DEP_1)
	v_fma_f32 v26, v33, s6, -v26
	v_dual_fmac_f32 v34, s7, v33 :: v_dual_add_f32 v33, v14, v26
	s_delay_alu instid0(VALU_DEP_1)
	v_add_f32_e32 v34, v15, v34
	flat_store_b64 v[31:32], v[33:34]
.LBB538_30:                             ;   in Loop: Header=BB538_8 Depth=1
	s_wait_alu 0xfffe
	s_and_not1_b32 vcc_lo, exec_lo, s13
	s_wait_alu 0xfffe
	s_cbranch_vccnz .LBB538_32
; %bb.31:                               ;   in Loop: Header=BB538_8 Depth=1
	v_add_co_u32 v24, vcc_lo, v24, v10
	s_wait_alu 0xfffd
	v_add_co_ci_u32_e64 v25, null, v25, v11, vcc_lo
	flat_store_b64 v[24:25], v[14:15]
.LBB538_32:                             ;   in Loop: Header=BB538_8 Depth=1
	s_wait_alu 0xfffe
	s_or_b32 exec_lo, exec_lo, s12
	v_add_co_u32 v0, vcc_lo, v0, v6
	s_wait_alu 0xfffd
	v_add_co_ci_u32_e64 v23, null, v23, v7, vcc_lo
	s_and_saveexec_b32 s12, s1
	s_cbranch_execz .LBB538_37
; %bb.33:                               ;   in Loop: Header=BB538_8 Depth=1
	v_mul_f32_e32 v15, s18, v30
	v_mul_f32_e32 v14, s19, v30
	s_and_not1_b32 vcc_lo, exec_lo, s22
	s_mov_b32 s13, -1
	s_delay_alu instid0(VALU_DEP_2) | instskip(NEXT) | instid1(VALU_DEP_2)
	v_fmac_f32_e32 v15, s19, v29
	v_fma_f32 v14, v29, s18, -v14
	s_wait_alu 0xfffe
	s_cbranch_vccnz .LBB538_35
; %bb.34:                               ;   in Loop: Header=BB538_8 Depth=1
	v_add_co_u32 v24, vcc_lo, v0, v8
	s_wait_alu 0xfffd
	v_add_co_ci_u32_e64 v25, null, v23, v9, vcc_lo
	s_mov_b32 s13, 0
	flat_load_b64 v[29:30], v[24:25]
	s_wait_loadcnt_dscnt 0x0
	v_mul_f32_e32 v26, s7, v30
	v_mul_f32_e32 v30, s6, v30
	s_delay_alu instid0(VALU_DEP_2) | instskip(NEXT) | instid1(VALU_DEP_1)
	v_fma_f32 v26, v29, s6, -v26
	v_dual_fmac_f32 v30, s7, v29 :: v_dual_add_f32 v29, v14, v26
	s_delay_alu instid0(VALU_DEP_1)
	v_add_f32_e32 v30, v15, v30
	flat_store_b64 v[24:25], v[29:30]
.LBB538_35:                             ;   in Loop: Header=BB538_8 Depth=1
	s_wait_alu 0xfffe
	s_and_not1_b32 vcc_lo, exec_lo, s13
	s_wait_alu 0xfffe
	s_cbranch_vccnz .LBB538_37
; %bb.36:                               ;   in Loop: Header=BB538_8 Depth=1
	v_add_co_u32 v24, vcc_lo, v0, v8
	s_wait_alu 0xfffd
	v_add_co_ci_u32_e64 v25, null, v23, v9, vcc_lo
	flat_store_b64 v[24:25], v[14:15]
.LBB538_37:                             ;   in Loop: Header=BB538_8 Depth=1
	s_wait_alu 0xfffe
	s_or_b32 exec_lo, exec_lo, s12
	s_and_saveexec_b32 s12, s35
	s_cbranch_execz .LBB538_7
; %bb.38:                               ;   in Loop: Header=BB538_8 Depth=1
	v_mul_f32_e32 v15, s18, v27
	v_mul_f32_e32 v14, s19, v27
	s_and_not1_b32 vcc_lo, exec_lo, s22
	s_mov_b32 s13, -1
	s_delay_alu instid0(VALU_DEP_2) | instskip(NEXT) | instid1(VALU_DEP_2)
	v_fmac_f32_e32 v15, s19, v28
	v_fma_f32 v14, v28, s18, -v14
	s_wait_alu 0xfffe
	s_cbranch_vccnz .LBB538_40
; %bb.39:                               ;   in Loop: Header=BB538_8 Depth=1
	v_add_co_u32 v24, vcc_lo, v0, v10
	s_wait_alu 0xfffd
	v_add_co_ci_u32_e64 v25, null, v23, v11, vcc_lo
	s_mov_b32 s13, 0
	flat_load_b64 v[26:27], v[24:25]
	s_wait_loadcnt_dscnt 0x0
	v_mul_f32_e32 v28, s7, v27
	v_mul_f32_e32 v27, s6, v27
	s_delay_alu instid0(VALU_DEP_1) | instskip(NEXT) | instid1(VALU_DEP_3)
	v_fmac_f32_e32 v27, s7, v26
	v_fma_f32 v28, v26, s6, -v28
	s_delay_alu instid0(VALU_DEP_1)
	v_dual_add_f32 v27, v15, v27 :: v_dual_add_f32 v26, v14, v28
	flat_store_b64 v[24:25], v[26:27]
.LBB538_40:                             ;   in Loop: Header=BB538_8 Depth=1
	s_wait_alu 0xfffe
	s_and_not1_b32 vcc_lo, exec_lo, s13
	s_wait_alu 0xfffe
	s_cbranch_vccnz .LBB538_7
; %bb.41:                               ;   in Loop: Header=BB538_8 Depth=1
	v_add_co_u32 v24, vcc_lo, v0, v10
	s_wait_alu 0xfffd
	v_add_co_ci_u32_e64 v25, null, v23, v11, vcc_lo
	flat_store_b64 v[24:25], v[14:15]
	s_branch .LBB538_7
.LBB538_42:
	s_endpgm
	.section	.rodata,"a",@progbits
	.p2align	6, 0x0
	.amdhsa_kernel _ZL29rocblas_internal_gemmt_kernelIlLi16ELi32ELi8ELc67ELc84ELc76ELb1ELb0E19rocblas_complex_numIfES1_PKPKS1_PKPS1_EviT_T9_T10_S9_lSB_S9_lSA_T11_S9_li
		.amdhsa_group_segment_fixed_size 4096
		.amdhsa_private_segment_fixed_size 0
		.amdhsa_kernarg_size 108
		.amdhsa_user_sgpr_count 2
		.amdhsa_user_sgpr_dispatch_ptr 0
		.amdhsa_user_sgpr_queue_ptr 0
		.amdhsa_user_sgpr_kernarg_segment_ptr 1
		.amdhsa_user_sgpr_dispatch_id 0
		.amdhsa_user_sgpr_private_segment_size 0
		.amdhsa_wavefront_size32 1
		.amdhsa_uses_dynamic_stack 0
		.amdhsa_enable_private_segment 0
		.amdhsa_system_sgpr_workgroup_id_x 1
		.amdhsa_system_sgpr_workgroup_id_y 1
		.amdhsa_system_sgpr_workgroup_id_z 1
		.amdhsa_system_sgpr_workgroup_info 0
		.amdhsa_system_vgpr_workitem_id 1
		.amdhsa_next_free_vgpr 72
		.amdhsa_next_free_sgpr 39
		.amdhsa_reserve_vcc 1
		.amdhsa_float_round_mode_32 0
		.amdhsa_float_round_mode_16_64 0
		.amdhsa_float_denorm_mode_32 3
		.amdhsa_float_denorm_mode_16_64 3
		.amdhsa_fp16_overflow 0
		.amdhsa_workgroup_processor_mode 1
		.amdhsa_memory_ordered 1
		.amdhsa_forward_progress 1
		.amdhsa_inst_pref_size 26
		.amdhsa_round_robin_scheduling 0
		.amdhsa_exception_fp_ieee_invalid_op 0
		.amdhsa_exception_fp_denorm_src 0
		.amdhsa_exception_fp_ieee_div_zero 0
		.amdhsa_exception_fp_ieee_overflow 0
		.amdhsa_exception_fp_ieee_underflow 0
		.amdhsa_exception_fp_ieee_inexact 0
		.amdhsa_exception_int_div_zero 0
	.end_amdhsa_kernel
	.section	.text._ZL29rocblas_internal_gemmt_kernelIlLi16ELi32ELi8ELc67ELc84ELc76ELb1ELb0E19rocblas_complex_numIfES1_PKPKS1_PKPS1_EviT_T9_T10_S9_lSB_S9_lSA_T11_S9_li,"axG",@progbits,_ZL29rocblas_internal_gemmt_kernelIlLi16ELi32ELi8ELc67ELc84ELc76ELb1ELb0E19rocblas_complex_numIfES1_PKPKS1_PKPS1_EviT_T9_T10_S9_lSB_S9_lSA_T11_S9_li,comdat
.Lfunc_end538:
	.size	_ZL29rocblas_internal_gemmt_kernelIlLi16ELi32ELi8ELc67ELc84ELc76ELb1ELb0E19rocblas_complex_numIfES1_PKPKS1_PKPS1_EviT_T9_T10_S9_lSB_S9_lSA_T11_S9_li, .Lfunc_end538-_ZL29rocblas_internal_gemmt_kernelIlLi16ELi32ELi8ELc67ELc84ELc76ELb1ELb0E19rocblas_complex_numIfES1_PKPKS1_PKPS1_EviT_T9_T10_S9_lSB_S9_lSA_T11_S9_li
                                        ; -- End function
	.set _ZL29rocblas_internal_gemmt_kernelIlLi16ELi32ELi8ELc67ELc84ELc76ELb1ELb0E19rocblas_complex_numIfES1_PKPKS1_PKPS1_EviT_T9_T10_S9_lSB_S9_lSA_T11_S9_li.num_vgpr, 72
	.set _ZL29rocblas_internal_gemmt_kernelIlLi16ELi32ELi8ELc67ELc84ELc76ELb1ELb0E19rocblas_complex_numIfES1_PKPKS1_PKPS1_EviT_T9_T10_S9_lSB_S9_lSA_T11_S9_li.num_agpr, 0
	.set _ZL29rocblas_internal_gemmt_kernelIlLi16ELi32ELi8ELc67ELc84ELc76ELb1ELb0E19rocblas_complex_numIfES1_PKPKS1_PKPS1_EviT_T9_T10_S9_lSB_S9_lSA_T11_S9_li.numbered_sgpr, 39
	.set _ZL29rocblas_internal_gemmt_kernelIlLi16ELi32ELi8ELc67ELc84ELc76ELb1ELb0E19rocblas_complex_numIfES1_PKPKS1_PKPS1_EviT_T9_T10_S9_lSB_S9_lSA_T11_S9_li.num_named_barrier, 0
	.set _ZL29rocblas_internal_gemmt_kernelIlLi16ELi32ELi8ELc67ELc84ELc76ELb1ELb0E19rocblas_complex_numIfES1_PKPKS1_PKPS1_EviT_T9_T10_S9_lSB_S9_lSA_T11_S9_li.private_seg_size, 0
	.set _ZL29rocblas_internal_gemmt_kernelIlLi16ELi32ELi8ELc67ELc84ELc76ELb1ELb0E19rocblas_complex_numIfES1_PKPKS1_PKPS1_EviT_T9_T10_S9_lSB_S9_lSA_T11_S9_li.uses_vcc, 1
	.set _ZL29rocblas_internal_gemmt_kernelIlLi16ELi32ELi8ELc67ELc84ELc76ELb1ELb0E19rocblas_complex_numIfES1_PKPKS1_PKPS1_EviT_T9_T10_S9_lSB_S9_lSA_T11_S9_li.uses_flat_scratch, 0
	.set _ZL29rocblas_internal_gemmt_kernelIlLi16ELi32ELi8ELc67ELc84ELc76ELb1ELb0E19rocblas_complex_numIfES1_PKPKS1_PKPS1_EviT_T9_T10_S9_lSB_S9_lSA_T11_S9_li.has_dyn_sized_stack, 0
	.set _ZL29rocblas_internal_gemmt_kernelIlLi16ELi32ELi8ELc67ELc84ELc76ELb1ELb0E19rocblas_complex_numIfES1_PKPKS1_PKPS1_EviT_T9_T10_S9_lSB_S9_lSA_T11_S9_li.has_recursion, 0
	.set _ZL29rocblas_internal_gemmt_kernelIlLi16ELi32ELi8ELc67ELc84ELc76ELb1ELb0E19rocblas_complex_numIfES1_PKPKS1_PKPS1_EviT_T9_T10_S9_lSB_S9_lSA_T11_S9_li.has_indirect_call, 0
	.section	.AMDGPU.csdata,"",@progbits
; Kernel info:
; codeLenInByte = 3324
; TotalNumSgprs: 41
; NumVgprs: 72
; ScratchSize: 0
; MemoryBound: 0
; FloatMode: 240
; IeeeMode: 1
; LDSByteSize: 4096 bytes/workgroup (compile time only)
; SGPRBlocks: 0
; VGPRBlocks: 8
; NumSGPRsForWavesPerEU: 41
; NumVGPRsForWavesPerEU: 72
; Occupancy: 16
; WaveLimiterHint : 1
; COMPUTE_PGM_RSRC2:SCRATCH_EN: 0
; COMPUTE_PGM_RSRC2:USER_SGPR: 2
; COMPUTE_PGM_RSRC2:TRAP_HANDLER: 0
; COMPUTE_PGM_RSRC2:TGID_X_EN: 1
; COMPUTE_PGM_RSRC2:TGID_Y_EN: 1
; COMPUTE_PGM_RSRC2:TGID_Z_EN: 1
; COMPUTE_PGM_RSRC2:TIDIG_COMP_CNT: 1
	.section	.text._ZL29rocblas_internal_gemmt_kernelIlLi16ELi32ELi8ELc67ELc67ELc76ELb1ELb1E19rocblas_complex_numIfES1_PKPKS1_PKPS1_EviT_T9_T10_S9_lSB_S9_lSA_T11_S9_li,"axG",@progbits,_ZL29rocblas_internal_gemmt_kernelIlLi16ELi32ELi8ELc67ELc67ELc76ELb1ELb1E19rocblas_complex_numIfES1_PKPKS1_PKPS1_EviT_T9_T10_S9_lSB_S9_lSA_T11_S9_li,comdat
	.globl	_ZL29rocblas_internal_gemmt_kernelIlLi16ELi32ELi8ELc67ELc67ELc76ELb1ELb1E19rocblas_complex_numIfES1_PKPKS1_PKPS1_EviT_T9_T10_S9_lSB_S9_lSA_T11_S9_li ; -- Begin function _ZL29rocblas_internal_gemmt_kernelIlLi16ELi32ELi8ELc67ELc67ELc76ELb1ELb1E19rocblas_complex_numIfES1_PKPKS1_PKPS1_EviT_T9_T10_S9_lSB_S9_lSA_T11_S9_li
	.p2align	8
	.type	_ZL29rocblas_internal_gemmt_kernelIlLi16ELi32ELi8ELc67ELc67ELc76ELb1ELb1E19rocblas_complex_numIfES1_PKPKS1_PKPS1_EviT_T9_T10_S9_lSB_S9_lSA_T11_S9_li,@function
_ZL29rocblas_internal_gemmt_kernelIlLi16ELi32ELi8ELc67ELc67ELc76ELb1ELb1E19rocblas_complex_numIfES1_PKPKS1_PKPS1_EviT_T9_T10_S9_lSB_S9_lSA_T11_S9_li: ; @_ZL29rocblas_internal_gemmt_kernelIlLi16ELi32ELi8ELc67ELc67ELc76ELb1ELb1E19rocblas_complex_numIfES1_PKPKS1_PKPS1_EviT_T9_T10_S9_lSB_S9_lSA_T11_S9_li
; %bb.0:
	s_clause 0x1
	s_load_b64 s[6:7], s[0:1], 0x48
	s_load_b128 s[16:19], s[0:1], 0x8
	s_wait_kmcnt 0x0
	s_cmp_eq_f32 s6, 1.0
	s_cselect_b32 s3, -1, 0
	s_and_b32 s2, s7, 0x7fffffff
	s_delay_alu instid0(SALU_CYCLE_1) | instskip(SKIP_1) | instid1(SALU_CYCLE_1)
	s_cmp_eq_u32 s2, 0
	s_cselect_b32 s2, -1, 0
	s_and_b32 s4, s3, s2
	s_mov_b32 s3, 0
	s_and_not1_b32 vcc_lo, exec_lo, s4
	s_mov_b32 s4, -1
	s_cbranch_vccnz .LBB539_4
; %bb.1:
	s_cmp_lg_u64 s[16:17], 0
	s_cbranch_scc0 .LBB539_3
; %bb.2:
	s_cmp_neq_f32 s18, 0
	s_cselect_b32 s3, -1, 0
	s_cmp_neq_f32 s19, 0
	s_cselect_b32 s4, -1, 0
	s_delay_alu instid0(SALU_CYCLE_1)
	s_or_b32 s3, s3, s4
.LBB539_3:
	s_delay_alu instid0(SALU_CYCLE_1)
	s_mov_b32 s4, s3
.LBB539_4:
	s_delay_alu instid0(SALU_CYCLE_1)
	s_and_b32 vcc_lo, exec_lo, s4
	s_cbranch_vccz .LBB539_42
; %bb.5:
	s_load_b32 s33, s[0:1], 0x68
	s_lshr_b32 s28, ttmp7, 16
	s_wait_kmcnt 0x0
	s_cmp_ge_u32 s28, s33
	s_cbranch_scc1 .LBB539_42
; %bb.6:
	s_clause 0x3
	s_load_b32 s4, s[0:1], 0x0
	s_load_b256 s[8:15], s[0:1], 0x18
	s_load_b128 s[20:23], s[0:1], 0x38
	s_load_b128 s[24:27], s[0:1], 0x50
	v_bfe_u32 v10, v0, 10, 10
	s_lshl_b32 s3, ttmp7, 5
	v_and_b32_e32 v16, 7, v0
	s_and_b32 s3, s3, 0x1fffe0
	s_lshl_b32 s5, ttmp9, 5
	v_add_nc_u32_e32 v11, s3, v10
	s_cmp_neq_f32 s18, 0
	s_load_b64 s[30:31], s[0:1], 0x60
	v_lshl_add_u32 v21, v10, 6, 0x800
	v_cmp_gt_i64_e64 s37, s[16:17], 0
	s_cselect_b32 s34, -1, 0
	s_cmp_neq_f32 s19, 0
	v_add_nc_u32_e32 v15, 16, v11
	s_mov_b32 s29, 0
	s_cselect_b32 s0, -1, 0
	s_ashr_i32 s1, s5, 31
	s_or_b32 s36, s34, s0
	s_wait_kmcnt 0x0
	s_mul_i32 s1, s10, s1
	v_mad_co_u64_u32 v[4:5], null, s26, v11, 0
	v_and_b32_e32 v9, 0x3ff, v0
	s_cmp_neq_f32 s6, 0
	s_delay_alu instid0(VALU_DEP_1) | instskip(NEXT) | instid1(VALU_DEP_1)
	v_lshl_add_u32 v0, v10, 4, v9
	v_and_b32_e32 v1, 31, v0
	v_lshrrev_b32_e32 v17, 5, v0
	v_lshrrev_b32_e32 v0, 3, v0
	s_delay_alu instid0(VALU_DEP_3) | instskip(SKIP_1) | instid1(VALU_DEP_3)
	v_or_b32_e32 v2, s5, v1
	v_lshlrev_b32_e32 v1, 3, v1
	v_add_nc_u32_e32 v14, s3, v0
	s_delay_alu instid0(VALU_DEP_3) | instskip(NEXT) | instid1(VALU_DEP_3)
	v_cmp_gt_i32_e64 s0, s4, v2
	v_lshl_or_b32 v18, v17, 8, v1
	v_mov_b32_e32 v1, 0
	v_lshlrev_b32_e32 v7, 3, v16
	v_cmp_le_i32_e64 s34, s4, v2
	v_mul_lo_u32 v6, s11, v2
	v_mad_co_u64_u32 v[2:3], null, s10, v2, 0
	s_delay_alu instid0(VALU_DEP_4) | instskip(SKIP_3) | instid1(VALU_DEP_1)
	v_lshl_or_b32 v0, v0, 6, v7
	s_cselect_b32 s10, -1, 0
	s_xor_b32 s11, s2, -1
	s_and_b32 s36, s36, s37
	v_dual_mov_b32 v0, v5 :: v_dual_add_nc_u32 v19, 0x800, v0
	s_delay_alu instid0(VALU_DEP_3) | instskip(SKIP_2) | instid1(VALU_DEP_4)
	v_add3_u32 v3, v3, s1, v6
	v_add_nc_u32_e32 v8, s5, v9
	v_lshlrev_b32_e32 v20, 3, v9
	v_mad_co_u64_u32 v[5:6], null, s27, v11, v[0:1]
	v_mad_co_u64_u32 v[6:7], null, s26, v15, 0
	s_delay_alu instid0(VALU_DEP_4)
	v_add_nc_u32_e32 v10, 16, v8
	v_cmp_le_i32_e64 s1, v11, v8
	v_cmp_gt_i32_e64 s2, s4, v8
	v_ashrrev_i32_e32 v9, 31, v8
	v_lshlrev_b64_e32 v[2:3], 3, v[2:3]
	v_cmp_le_i32_e64 s3, v11, v10
	v_mov_b32_e32 v0, v7
	v_ashrrev_i32_e32 v11, 31, v10
	s_and_b32 s26, s1, s2
	v_cmp_le_i32_e64 s1, v15, v8
	v_cmp_le_i32_e64 s5, v15, v10
	v_mad_co_u64_u32 v[12:13], null, s27, v15, v[0:1]
	v_lshlrev_b64_e32 v[4:5], 3, v[4:5]
	v_lshlrev_b64_e32 v[8:9], 3, v[8:9]
	s_and_b32 s1, s1, s2
	s_delay_alu instid0(VALU_DEP_3)
	v_mov_b32_e32 v7, v12
	v_cmp_gt_i32_e32 vcc_lo, s4, v14
	v_cmp_gt_i32_e64 s4, s4, v10
	v_lshlrev_b64_e32 v[10:11], 3, v[10:11]
	v_lshlrev_b32_e32 v22, 3, v14
	v_lshlrev_b64_e32 v[6:7], 3, v[6:7]
                                        ; implicit-def: $vgpr12_vgpr13
	s_and_b32 s27, s3, s4
	s_and_b32 s35, s5, s4
	s_lshl_b64 s[2:3], s[22:23], 3
	s_wait_alu 0xfffe
	s_or_b32 s22, s10, s11
	s_lshl_b64 s[4:5], s[12:13], 3
	s_xor_b32 s23, vcc_lo, -1
	s_lshl_b64 s[10:11], s[30:31], 3
	s_branch .LBB539_8
.LBB539_7:                              ;   in Loop: Header=BB539_8 Depth=1
	s_wait_alu 0xfffe
	s_or_b32 exec_lo, exec_lo, s12
	s_add_co_i32 s28, s28, 0x10000
	s_delay_alu instid0(SALU_CYCLE_1)
	s_cmp_lt_u32 s28, s33
	s_cbranch_scc0 .LBB539_42
.LBB539_8:                              ; =>This Loop Header: Depth=1
                                        ;     Child Loop BB539_11 Depth 2
	s_lshl_b64 s[12:13], s[28:29], 3
	s_and_not1_b32 vcc_lo, exec_lo, s36
	s_wait_alu 0xfffe
	s_add_nc_u64 s[30:31], s[24:25], s[12:13]
	global_load_b64 v[14:15], v1, s[30:31]
	s_cbranch_vccnz .LBB539_21
; %bb.9:                                ;   in Loop: Header=BB539_8 Depth=1
	s_add_nc_u64 s[30:31], s[8:9], s[12:13]
	s_add_nc_u64 s[12:13], s[14:15], s[12:13]
	s_clause 0x1
	global_load_b64 v[23:24], v1, s[30:31]
	global_load_b64 v[25:26], v1, s[12:13]
	v_dual_mov_b32 v27, 0 :: v_dual_mov_b32 v28, 0
	v_dual_mov_b32 v30, 0 :: v_dual_mov_b32 v29, 0
	;; [unrolled: 1-line block ×4, first 2 shown]
	s_mov_b64 s[12:13], 0
	s_wait_loadcnt 0x1
	v_add_co_u32 v0, vcc_lo, v23, s4
	s_wait_alu 0xfffd
	v_add_co_ci_u32_e64 v24, null, s5, v24, vcc_lo
	s_wait_loadcnt 0x0
	v_add_co_u32 v25, vcc_lo, v25, s2
	s_wait_alu 0xfffd
	v_add_co_ci_u32_e64 v26, null, s3, v26, vcc_lo
	v_add_co_u32 v23, vcc_lo, v0, v2
	s_wait_alu 0xfffd
	v_add_co_ci_u32_e64 v24, null, v24, v3, vcc_lo
	;; [unrolled: 3-line block ×3, first 2 shown]
	s_branch .LBB539_11
.LBB539_10:                             ;   in Loop: Header=BB539_11 Depth=2
	s_or_b32 exec_lo, exec_lo, s30
	ds_store_b32 v19, v35 offset:4
	s_wait_dscnt 0x0
	s_barrier_signal -1
	s_barrier_wait -1
	global_inv scope:SCOPE_SE
	ds_load_b128 v[35:38], v21
	ds_load_2addr_b64 v[39:42], v20 offset1:16
	ds_load_b128 v[43:46], v21 offset:1024
	ds_load_b128 v[47:50], v21 offset:16
	;; [unrolled: 1-line block ×4, first 2 shown]
	ds_load_2addr_b64 v[59:62], v20 offset0:32 offset1:48
	ds_load_b128 v[63:66], v21 offset:1040
	s_add_nc_u64 s[12:13], s[12:13], 8
	s_wait_alu 0xfffe
	v_cmp_gt_i64_e64 s30, s[16:17], s[12:13]
	s_and_b32 vcc_lo, exec_lo, s30
	s_wait_dscnt 0x6
	v_dual_mul_f32 v0, v36, v40 :: v_dual_mul_f32 v69, v35, v42
	v_dual_mul_f32 v67, v35, v40 :: v_dual_mul_f32 v68, v36, v42
	s_wait_dscnt 0x5
	v_mul_f32_e32 v71, v44, v42
	s_delay_alu instid0(VALU_DEP_3) | instskip(SKIP_3) | instid1(VALU_DEP_4)
	v_fma_f32 v0, v35, v39, -v0
	v_dual_mul_f32 v42, v43, v42 :: v_dual_fmac_f32 v69, v36, v41
	v_fmac_f32_e32 v67, v36, v39
	v_fma_f32 v35, v35, v41, -v68
	v_add_f32_e32 v0, v33, v0
	v_mul_f32_e32 v70, v44, v40
	s_delay_alu instid0(VALU_DEP_4) | instskip(NEXT) | instid1(VALU_DEP_4)
	v_dual_mul_f32 v40, v43, v40 :: v_dual_add_f32 v33, v34, v67
	v_add_f32_e32 v34, v31, v35
	v_fma_f32 v31, v43, v41, -v71
	s_delay_alu instid0(VALU_DEP_4) | instskip(NEXT) | instid1(VALU_DEP_4)
	v_fma_f32 v36, v43, v39, -v70
	v_fmac_f32_e32 v40, v44, v39
	s_wait_dscnt 0x1
	v_dual_add_f32 v32, v32, v69 :: v_dual_mul_f32 v39, v38, v60
	v_dual_fmac_f32 v42, v44, v41 :: v_dual_mul_f32 v43, v38, v62
	v_add_f32_e32 v35, v29, v36
	v_add_f32_e32 v36, v30, v40
	v_dual_add_f32 v40, v28, v31 :: v_dual_mul_f32 v41, v37, v60
	ds_load_2addr_b64 v[28:31], v20 offset0:64 offset1:80
	v_fma_f32 v39, v37, v59, -v39
	v_add_f32_e32 v27, v27, v42
	v_dual_mul_f32 v42, v37, v62 :: v_dual_fmac_f32 v41, v38, v59
	v_fma_f32 v37, v37, v61, -v43
	s_delay_alu instid0(VALU_DEP_4) | instskip(NEXT) | instid1(VALU_DEP_3)
	v_dual_add_f32 v0, v0, v39 :: v_dual_mul_f32 v39, v46, v60
	v_fmac_f32_e32 v42, v38, v61
	s_delay_alu instid0(VALU_DEP_4)
	v_add_f32_e32 v41, v33, v41
	v_mul_f32_e32 v33, v45, v60
	v_add_f32_e32 v37, v34, v37
	v_fma_f32 v34, v45, v59, -v39
	v_mul_f32_e32 v38, v46, v62
	v_add_f32_e32 v39, v32, v42
	v_dual_mul_f32 v42, v45, v62 :: v_dual_fmac_f32 v33, v46, v59
	s_delay_alu instid0(VALU_DEP_4) | instskip(NEXT) | instid1(VALU_DEP_4)
	v_add_f32_e32 v43, v35, v34
	v_fma_f32 v32, v45, v61, -v38
	s_wait_dscnt 0x0
	v_mul_f32_e32 v34, v48, v29
	v_dual_fmac_f32 v42, v46, v61 :: v_dual_mul_f32 v45, v48, v31
	s_delay_alu instid0(VALU_DEP_3) | instskip(SKIP_1) | instid1(VALU_DEP_4)
	v_add_f32_e32 v40, v40, v32
	v_add_f32_e32 v36, v36, v33
	v_fma_f32 v44, v47, v28, -v34
	s_delay_alu instid0(VALU_DEP_4)
	v_add_f32_e32 v42, v27, v42
	v_mul_f32_e32 v27, v47, v31
	v_mul_f32_e32 v38, v47, v29
	ds_load_2addr_b64 v[32:35], v20 offset0:96 offset1:112
	v_add_f32_e32 v0, v0, v44
	v_fma_f32 v44, v47, v30, -v45
	v_fmac_f32_e32 v27, v48, v30
	v_fmac_f32_e32 v38, v48, v28
	s_delay_alu instid0(VALU_DEP_3) | instskip(NEXT) | instid1(VALU_DEP_2)
	v_dual_add_f32 v37, v37, v44 :: v_dual_mul_f32 v44, v64, v31
	v_dual_add_f32 v38, v41, v38 :: v_dual_mul_f32 v41, v64, v29
	v_mul_f32_e32 v29, v63, v29
	v_mul_f32_e32 v31, v63, v31
	v_add_f32_e32 v45, v39, v27
	v_fma_f32 v27, v63, v30, -v44
	v_fma_f32 v41, v63, v28, -v41
	v_fmac_f32_e32 v29, v64, v28
	v_fmac_f32_e32 v31, v64, v30
	s_delay_alu instid0(VALU_DEP_3) | instskip(SKIP_1) | instid1(VALU_DEP_3)
	v_dual_add_f32 v40, v40, v27 :: v_dual_add_f32 v41, v43, v41
	s_wait_dscnt 0x0
	v_dual_add_f32 v43, v36, v29 :: v_dual_mul_f32 v44, v50, v35
	ds_load_2addr_b64 v[27:30], v20 offset0:128 offset1:144
	v_mul_f32_e32 v36, v50, v33
	v_mul_f32_e32 v48, v66, v35
	v_fma_f32 v44, v49, v34, -v44
	s_delay_alu instid0(VALU_DEP_3) | instskip(NEXT) | instid1(VALU_DEP_1)
	v_fma_f32 v36, v49, v32, -v36
	v_add_f32_e32 v0, v0, v36
	v_mul_f32_e32 v36, v66, v33
	v_dual_mul_f32 v39, v49, v33 :: v_dual_add_f32 v42, v42, v31
	v_mul_f32_e32 v31, v49, v35
	v_mul_f32_e32 v33, v65, v33
	s_delay_alu instid0(VALU_DEP_4) | instskip(NEXT) | instid1(VALU_DEP_2)
	v_fma_f32 v47, v65, v32, -v36
	v_fmac_f32_e32 v33, v66, v32
	v_fmac_f32_e32 v39, v50, v32
	s_wait_dscnt 0x0
	v_dual_mul_f32 v32, v52, v28 :: v_dual_fmac_f32 v31, v50, v34
	s_delay_alu instid0(VALU_DEP_1) | instskip(SKIP_1) | instid1(VALU_DEP_2)
	v_dual_mul_f32 v50, v51, v28 :: v_dual_add_f32 v45, v45, v31
	v_fma_f32 v31, v65, v34, -v48
	v_fmac_f32_e32 v50, v52, v27
	v_add_f32_e32 v48, v43, v33
	v_add_f32_e32 v46, v38, v39
	;; [unrolled: 1-line block ×4, first 2 shown]
	v_fma_f32 v40, v51, v27, -v32
	v_mul_f32_e32 v35, v65, v35
	v_mul_f32_e32 v41, v52, v30
	v_add_f32_e32 v46, v46, v50
	s_delay_alu instid0(VALU_DEP_4) | instskip(NEXT) | instid1(VALU_DEP_4)
	v_add_f32_e32 v0, v0, v40
	v_dual_add_f32 v44, v37, v44 :: v_dual_fmac_f32 v35, v66, v34
	ds_load_b128 v[36:39], v21 offset:1056
	ds_load_2addr_b64 v[31:34], v20 offset0:160 offset1:176
	v_fma_f32 v59, v51, v29, -v41
	v_mul_f32_e32 v51, v51, v30
	v_add_f32_e32 v35, v42, v35
	ds_load_b128 v[40:43], v21 offset:1072
	v_add_f32_e32 v44, v44, v59
	s_wait_dscnt 0x2
	v_dual_fmac_f32 v51, v52, v29 :: v_dual_mul_f32 v52, v37, v30
	v_mul_f32_e32 v60, v37, v28
	v_mul_f32_e32 v28, v36, v28
	s_delay_alu instid0(VALU_DEP_2) | instskip(NEXT) | instid1(VALU_DEP_2)
	v_fma_f32 v50, v36, v27, -v60
	v_fmac_f32_e32 v28, v37, v27
	v_add_f32_e32 v45, v45, v51
	v_mul_f32_e32 v51, v36, v30
	v_fma_f32 v27, v36, v29, -v52
	s_delay_alu instid0(VALU_DEP_4) | instskip(SKIP_1) | instid1(VALU_DEP_3)
	v_dual_add_f32 v47, v47, v50 :: v_dual_add_f32 v36, v48, v28
	s_wait_dscnt 0x1
	v_dual_mul_f32 v48, v54, v32 :: v_dual_fmac_f32 v51, v37, v29
	v_dual_mul_f32 v50, v54, v34 :: v_dual_mul_f32 v37, v53, v32
	s_delay_alu instid0(VALU_DEP_2) | instskip(SKIP_4) | instid1(VALU_DEP_1)
	v_fma_f32 v48, v53, v31, -v48
	v_add_f32_e32 v49, v49, v27
	ds_load_2addr_b64 v[27:30], v20 offset0:192 offset1:208
	v_add_f32_e32 v0, v0, v48
	v_fma_f32 v48, v53, v33, -v50
	v_add_f32_e32 v44, v44, v48
	v_dual_mul_f32 v48, v39, v34 :: v_dual_fmac_f32 v37, v54, v31
	v_add_f32_e32 v51, v35, v51
	s_delay_alu instid0(VALU_DEP_2) | instskip(SKIP_2) | instid1(VALU_DEP_3)
	v_dual_mul_f32 v35, v53, v34 :: v_dual_add_f32 v46, v46, v37
	v_mul_f32_e32 v37, v39, v32
	v_mul_f32_e32 v32, v38, v32
	v_fmac_f32_e32 v35, v54, v33
	s_delay_alu instid0(VALU_DEP_3) | instskip(NEXT) | instid1(VALU_DEP_3)
	v_fma_f32 v37, v38, v31, -v37
	v_dual_fmac_f32 v32, v39, v31 :: v_dual_mul_f32 v31, v38, v34
	v_fma_f32 v34, v38, v33, -v48
	s_wait_dscnt 0x0
	v_dual_add_f32 v45, v45, v35 :: v_dual_mul_f32 v48, v56, v30
	s_delay_alu instid0(VALU_DEP_3) | instskip(NEXT) | instid1(VALU_DEP_3)
	v_dual_add_f32 v32, v36, v32 :: v_dual_fmac_f32 v31, v39, v33
	v_dual_add_f32 v33, v49, v34 :: v_dual_mul_f32 v34, v55, v28
	v_add_f32_e32 v47, v47, v37
	s_delay_alu instid0(VALU_DEP_4) | instskip(NEXT) | instid1(VALU_DEP_3)
	v_fma_f32 v48, v55, v29, -v48
	v_dual_mul_f32 v49, v41, v28 :: v_dual_fmac_f32 v34, v56, v27
	v_mul_f32_e32 v35, v56, v28
	v_mul_f32_e32 v28, v40, v28
	s_delay_alu instid0(VALU_DEP_4)
	v_add_f32_e32 v44, v44, v48
	v_mul_f32_e32 v48, v41, v30
	v_add_f32_e32 v34, v46, v34
	v_fma_f32 v39, v55, v27, -v35
	ds_load_2addr_b64 v[35:38], v20 offset0:224 offset1:240
	v_fmac_f32_e32 v28, v41, v27
	s_wait_loadcnt_dscnt 0x0
	s_barrier_signal -1
	v_dual_add_f32 v0, v0, v39 :: v_dual_mul_f32 v39, v55, v30
	v_dual_add_f32 v31, v51, v31 :: v_dual_mul_f32 v30, v40, v30
	v_fma_f32 v46, v40, v27, -v49
	v_fma_f32 v40, v40, v29, -v48
	s_delay_alu instid0(VALU_DEP_4)
	v_fmac_f32_e32 v39, v56, v29
	v_add_f32_e32 v28, v32, v28
	v_fmac_f32_e32 v30, v41, v29
	s_barrier_wait -1
	v_add_f32_e32 v40, v33, v40
	v_add_f32_e32 v27, v45, v39
	v_add_f32_e32 v39, v47, v46
	global_inv scope:SCOPE_SE
	v_mul_f32_e32 v32, v58, v36
	v_mul_f32_e32 v33, v58, v38
	v_add_f32_e32 v41, v31, v30
	s_delay_alu instid0(VALU_DEP_3) | instskip(SKIP_1) | instid1(VALU_DEP_4)
	v_fma_f32 v32, v57, v35, -v32
	v_mul_f32_e32 v30, v57, v38
	v_fma_f32 v31, v57, v37, -v33
	s_delay_alu instid0(VALU_DEP_3) | instskip(NEXT) | instid1(VALU_DEP_3)
	v_add_f32_e32 v33, v0, v32
	v_dual_mul_f32 v29, v57, v36 :: v_dual_fmac_f32 v30, v58, v37
	s_delay_alu instid0(VALU_DEP_3) | instskip(NEXT) | instid1(VALU_DEP_2)
	v_dual_mul_f32 v0, v43, v36 :: v_dual_add_f32 v31, v44, v31
	v_dual_mul_f32 v44, v43, v38 :: v_dual_fmac_f32 v29, v58, v35
	s_delay_alu instid0(VALU_DEP_3) | instskip(NEXT) | instid1(VALU_DEP_3)
	v_add_f32_e32 v32, v27, v30
	v_fma_f32 v0, v42, v35, -v0
	v_mul_f32_e32 v38, v42, v38
	s_delay_alu instid0(VALU_DEP_2) | instskip(NEXT) | instid1(VALU_DEP_2)
	v_dual_add_f32 v34, v34, v29 :: v_dual_add_f32 v29, v39, v0
	v_fmac_f32_e32 v38, v43, v37
	v_mul_f32_e32 v36, v42, v36
	v_fma_f32 v0, v42, v37, -v44
	s_delay_alu instid0(VALU_DEP_2) | instskip(NEXT) | instid1(VALU_DEP_1)
	v_dual_add_f32 v27, v41, v38 :: v_dual_fmac_f32 v36, v43, v35
	v_add_f32_e32 v30, v28, v36
	s_delay_alu instid0(VALU_DEP_3)
	v_add_f32_e32 v28, v40, v0
	s_wait_alu 0xfffe
	s_cbranch_vccz .LBB539_22
.LBB539_11:                             ;   Parent Loop BB539_8 Depth=1
                                        ; =>  This Inner Loop Header: Depth=2
	s_mov_b32 s30, 0
	s_mov_b32 s37, s34
	s_and_saveexec_b32 s31, s0
	s_cbranch_execnz .LBB539_19
; %bb.12:                               ;   in Loop: Header=BB539_11 Depth=2
	s_or_b32 exec_lo, exec_lo, s31
	s_and_saveexec_b32 s31, s37
	s_delay_alu instid0(SALU_CYCLE_1)
	s_xor_b32 s31, exec_lo, s31
	s_cbranch_execnz .LBB539_20
.LBB539_13:                             ;   in Loop: Header=BB539_11 Depth=2
	s_or_b32 exec_lo, exec_lo, s31
	v_mov_b32_e32 v35, 0
	s_and_saveexec_b32 s31, s30
	s_cbranch_execz .LBB539_15
.LBB539_14:                             ;   in Loop: Header=BB539_11 Depth=2
	v_lshlrev_b64_e32 v[35:36], 3, v[12:13]
	s_delay_alu instid0(VALU_DEP_1) | instskip(SKIP_1) | instid1(VALU_DEP_2)
	v_add_co_u32 v35, vcc_lo, v23, v35
	s_wait_alu 0xfffd
	v_add_co_ci_u32_e64 v36, null, v24, v36, vcc_lo
	flat_load_b64 v[36:37], v[35:36]
	s_wait_loadcnt_dscnt 0x0
	v_xor_b32_e32 v35, 0x80000000, v37
	ds_store_b32 v18, v36
.LBB539_15:                             ;   in Loop: Header=BB539_11 Depth=2
	s_or_b32 exec_lo, exec_lo, s31
	s_wait_alu 0xfffe
	v_add_nc_u32_e32 v0, s12, v16
	ds_store_b32 v18, v35 offset:4
	v_cmp_le_u64_e32 vcc_lo, s[16:17], v[0:1]
	s_or_b32 s30, vcc_lo, s23
	s_delay_alu instid0(SALU_CYCLE_1) | instskip(NEXT) | instid1(SALU_CYCLE_1)
	s_and_saveexec_b32 s31, s30
	s_xor_b32 s30, exec_lo, s31
; %bb.16:                               ;   in Loop: Header=BB539_11 Depth=2
	ds_store_b32 v19, v1
; %bb.17:                               ;   in Loop: Header=BB539_11 Depth=2
	s_or_saveexec_b32 s30, s30
	v_mov_b32_e32 v35, 0
	s_xor_b32 exec_lo, exec_lo, s30
	s_cbranch_execz .LBB539_10
; %bb.18:                               ;   in Loop: Header=BB539_11 Depth=2
	v_mad_co_u64_u32 v[35:36], null, s20, v0, 0
	s_delay_alu instid0(VALU_DEP_1) | instskip(NEXT) | instid1(VALU_DEP_1)
	v_mad_co_u64_u32 v[36:37], null, s21, v0, v[36:37]
	v_lshlrev_b64_e32 v[35:36], 3, v[35:36]
	s_delay_alu instid0(VALU_DEP_1) | instskip(SKIP_1) | instid1(VALU_DEP_2)
	v_add_co_u32 v35, vcc_lo, v25, v35
	s_wait_alu 0xfffd
	v_add_co_ci_u32_e64 v36, null, v26, v36, vcc_lo
	flat_load_b64 v[36:37], v[35:36]
	s_wait_loadcnt_dscnt 0x0
	v_xor_b32_e32 v35, 0x80000000, v37
	ds_store_b32 v19, v36
	s_branch .LBB539_10
.LBB539_19:                             ;   in Loop: Header=BB539_11 Depth=2
	s_wait_alu 0xfffe
	v_add_nc_u32_e32 v0, s12, v17
	v_mov_b32_e32 v13, v1
	s_and_not1_b32 s37, s34, exec_lo
	s_mov_b32 s30, exec_lo
	s_delay_alu instid0(VALU_DEP_2) | instskip(SKIP_2) | instid1(SALU_CYCLE_1)
	v_cmp_le_u64_e32 vcc_lo, s[16:17], v[0:1]
	v_mov_b32_e32 v12, v0
	s_and_b32 s38, vcc_lo, exec_lo
	s_or_b32 s37, s37, s38
	s_or_b32 exec_lo, exec_lo, s31
	s_and_saveexec_b32 s31, s37
	s_delay_alu instid0(SALU_CYCLE_1)
	s_xor_b32 s31, exec_lo, s31
	s_cbranch_execz .LBB539_13
.LBB539_20:                             ;   in Loop: Header=BB539_11 Depth=2
	s_and_not1_b32 s30, s30, exec_lo
	ds_store_b32 v18, v1
	s_or_b32 exec_lo, exec_lo, s31
	v_mov_b32_e32 v35, 0
	s_and_saveexec_b32 s31, s30
	s_cbranch_execnz .LBB539_14
	s_branch .LBB539_15
.LBB539_21:                             ;   in Loop: Header=BB539_8 Depth=1
	v_dual_mov_b32 v33, v1 :: v_dual_mov_b32 v34, v1
	v_dual_mov_b32 v31, v1 :: v_dual_mov_b32 v32, v1
	;; [unrolled: 1-line block ×4, first 2 shown]
.LBB539_22:                             ;   in Loop: Header=BB539_8 Depth=1
	s_wait_loadcnt 0x0
	s_wait_alu 0xfffe
	v_add_co_u32 v0, vcc_lo, v14, s10
	s_wait_alu 0xfffd
	v_add_co_ci_u32_e64 v23, null, s11, v15, vcc_lo
	s_delay_alu instid0(VALU_DEP_2) | instskip(SKIP_1) | instid1(VALU_DEP_2)
	v_add_co_u32 v24, vcc_lo, v0, v4
	s_wait_alu 0xfffd
	v_add_co_ci_u32_e64 v25, null, v23, v5, vcc_lo
	s_and_saveexec_b32 s12, s26
	s_cbranch_execz .LBB539_27
; %bb.23:                               ;   in Loop: Header=BB539_8 Depth=1
	v_mul_f32_e32 v15, s18, v34
	v_mul_f32_e32 v14, s19, v34
	s_and_b32 vcc_lo, exec_lo, s22
	s_mov_b32 s13, -1
	s_delay_alu instid0(VALU_DEP_2) | instskip(NEXT) | instid1(VALU_DEP_2)
	v_fmac_f32_e32 v15, s19, v33
	v_fma_f32 v14, v33, s18, -v14
	s_wait_alu 0xfffe
	s_cbranch_vccz .LBB539_25
; %bb.24:                               ;   in Loop: Header=BB539_8 Depth=1
	v_add_co_u32 v33, vcc_lo, v24, v8
	s_wait_alu 0xfffd
	v_add_co_ci_u32_e64 v34, null, v25, v9, vcc_lo
	s_mov_b32 s13, 0
	flat_load_b64 v[35:36], v[33:34]
	s_wait_loadcnt_dscnt 0x0
	v_mul_f32_e32 v26, s7, v36
	s_delay_alu instid0(VALU_DEP_1) | instskip(SKIP_1) | instid1(VALU_DEP_1)
	v_fma_f32 v26, v35, s6, -v26
	v_mul_f32_e32 v36, s6, v36
	v_dual_fmac_f32 v36, s7, v35 :: v_dual_add_f32 v35, v14, v26
	s_delay_alu instid0(VALU_DEP_1)
	v_add_f32_e32 v36, v15, v36
	flat_store_b64 v[33:34], v[35:36]
.LBB539_25:                             ;   in Loop: Header=BB539_8 Depth=1
	s_wait_alu 0xfffe
	s_and_not1_b32 vcc_lo, exec_lo, s13
	s_wait_alu 0xfffe
	s_cbranch_vccnz .LBB539_27
; %bb.26:                               ;   in Loop: Header=BB539_8 Depth=1
	v_add_co_u32 v33, vcc_lo, v24, v8
	s_wait_alu 0xfffd
	v_add_co_ci_u32_e64 v34, null, v25, v9, vcc_lo
	flat_store_b64 v[33:34], v[14:15]
.LBB539_27:                             ;   in Loop: Header=BB539_8 Depth=1
	s_wait_alu 0xfffe
	s_or_b32 exec_lo, exec_lo, s12
	s_and_saveexec_b32 s12, s27
	s_cbranch_execz .LBB539_32
; %bb.28:                               ;   in Loop: Header=BB539_8 Depth=1
	v_mul_f32_e32 v15, s18, v32
	v_mul_f32_e32 v14, s19, v32
	s_and_not1_b32 vcc_lo, exec_lo, s22
	s_mov_b32 s13, -1
	s_delay_alu instid0(VALU_DEP_2) | instskip(NEXT) | instid1(VALU_DEP_2)
	v_fmac_f32_e32 v15, s19, v31
	v_fma_f32 v14, v31, s18, -v14
	s_wait_alu 0xfffe
	s_cbranch_vccnz .LBB539_30
; %bb.29:                               ;   in Loop: Header=BB539_8 Depth=1
	v_add_co_u32 v31, vcc_lo, v24, v10
	s_wait_alu 0xfffd
	v_add_co_ci_u32_e64 v32, null, v25, v11, vcc_lo
	s_mov_b32 s13, 0
	flat_load_b64 v[33:34], v[31:32]
	s_wait_loadcnt_dscnt 0x0
	v_mul_f32_e32 v26, s7, v34
	v_mul_f32_e32 v34, s6, v34
	s_delay_alu instid0(VALU_DEP_2) | instskip(NEXT) | instid1(VALU_DEP_1)
	v_fma_f32 v26, v33, s6, -v26
	v_dual_fmac_f32 v34, s7, v33 :: v_dual_add_f32 v33, v14, v26
	s_delay_alu instid0(VALU_DEP_1)
	v_add_f32_e32 v34, v15, v34
	flat_store_b64 v[31:32], v[33:34]
.LBB539_30:                             ;   in Loop: Header=BB539_8 Depth=1
	s_wait_alu 0xfffe
	s_and_not1_b32 vcc_lo, exec_lo, s13
	s_wait_alu 0xfffe
	s_cbranch_vccnz .LBB539_32
; %bb.31:                               ;   in Loop: Header=BB539_8 Depth=1
	v_add_co_u32 v24, vcc_lo, v24, v10
	s_wait_alu 0xfffd
	v_add_co_ci_u32_e64 v25, null, v25, v11, vcc_lo
	flat_store_b64 v[24:25], v[14:15]
.LBB539_32:                             ;   in Loop: Header=BB539_8 Depth=1
	s_wait_alu 0xfffe
	s_or_b32 exec_lo, exec_lo, s12
	v_add_co_u32 v0, vcc_lo, v0, v6
	s_wait_alu 0xfffd
	v_add_co_ci_u32_e64 v23, null, v23, v7, vcc_lo
	s_and_saveexec_b32 s12, s1
	s_cbranch_execz .LBB539_37
; %bb.33:                               ;   in Loop: Header=BB539_8 Depth=1
	v_mul_f32_e32 v15, s18, v30
	v_mul_f32_e32 v14, s19, v30
	s_and_not1_b32 vcc_lo, exec_lo, s22
	s_mov_b32 s13, -1
	s_delay_alu instid0(VALU_DEP_2) | instskip(NEXT) | instid1(VALU_DEP_2)
	v_fmac_f32_e32 v15, s19, v29
	v_fma_f32 v14, v29, s18, -v14
	s_wait_alu 0xfffe
	s_cbranch_vccnz .LBB539_35
; %bb.34:                               ;   in Loop: Header=BB539_8 Depth=1
	v_add_co_u32 v24, vcc_lo, v0, v8
	s_wait_alu 0xfffd
	v_add_co_ci_u32_e64 v25, null, v23, v9, vcc_lo
	s_mov_b32 s13, 0
	flat_load_b64 v[29:30], v[24:25]
	s_wait_loadcnt_dscnt 0x0
	v_mul_f32_e32 v26, s7, v30
	v_mul_f32_e32 v30, s6, v30
	s_delay_alu instid0(VALU_DEP_2) | instskip(NEXT) | instid1(VALU_DEP_1)
	v_fma_f32 v26, v29, s6, -v26
	v_dual_fmac_f32 v30, s7, v29 :: v_dual_add_f32 v29, v14, v26
	s_delay_alu instid0(VALU_DEP_1)
	v_add_f32_e32 v30, v15, v30
	flat_store_b64 v[24:25], v[29:30]
.LBB539_35:                             ;   in Loop: Header=BB539_8 Depth=1
	s_wait_alu 0xfffe
	s_and_not1_b32 vcc_lo, exec_lo, s13
	s_wait_alu 0xfffe
	s_cbranch_vccnz .LBB539_37
; %bb.36:                               ;   in Loop: Header=BB539_8 Depth=1
	v_add_co_u32 v24, vcc_lo, v0, v8
	s_wait_alu 0xfffd
	v_add_co_ci_u32_e64 v25, null, v23, v9, vcc_lo
	flat_store_b64 v[24:25], v[14:15]
.LBB539_37:                             ;   in Loop: Header=BB539_8 Depth=1
	s_wait_alu 0xfffe
	s_or_b32 exec_lo, exec_lo, s12
	s_and_saveexec_b32 s12, s35
	s_cbranch_execz .LBB539_7
; %bb.38:                               ;   in Loop: Header=BB539_8 Depth=1
	v_mul_f32_e32 v15, s18, v27
	v_mul_f32_e32 v14, s19, v27
	s_and_not1_b32 vcc_lo, exec_lo, s22
	s_mov_b32 s13, -1
	s_delay_alu instid0(VALU_DEP_2) | instskip(NEXT) | instid1(VALU_DEP_2)
	v_fmac_f32_e32 v15, s19, v28
	v_fma_f32 v14, v28, s18, -v14
	s_wait_alu 0xfffe
	s_cbranch_vccnz .LBB539_40
; %bb.39:                               ;   in Loop: Header=BB539_8 Depth=1
	v_add_co_u32 v24, vcc_lo, v0, v10
	s_wait_alu 0xfffd
	v_add_co_ci_u32_e64 v25, null, v23, v11, vcc_lo
	s_mov_b32 s13, 0
	flat_load_b64 v[26:27], v[24:25]
	s_wait_loadcnt_dscnt 0x0
	v_mul_f32_e32 v28, s7, v27
	v_mul_f32_e32 v27, s6, v27
	s_delay_alu instid0(VALU_DEP_1) | instskip(NEXT) | instid1(VALU_DEP_3)
	v_fmac_f32_e32 v27, s7, v26
	v_fma_f32 v28, v26, s6, -v28
	s_delay_alu instid0(VALU_DEP_1)
	v_dual_add_f32 v27, v15, v27 :: v_dual_add_f32 v26, v14, v28
	flat_store_b64 v[24:25], v[26:27]
.LBB539_40:                             ;   in Loop: Header=BB539_8 Depth=1
	s_wait_alu 0xfffe
	s_and_not1_b32 vcc_lo, exec_lo, s13
	s_wait_alu 0xfffe
	s_cbranch_vccnz .LBB539_7
; %bb.41:                               ;   in Loop: Header=BB539_8 Depth=1
	v_add_co_u32 v24, vcc_lo, v0, v10
	s_wait_alu 0xfffd
	v_add_co_ci_u32_e64 v25, null, v23, v11, vcc_lo
	flat_store_b64 v[24:25], v[14:15]
	s_branch .LBB539_7
.LBB539_42:
	s_endpgm
	.section	.rodata,"a",@progbits
	.p2align	6, 0x0
	.amdhsa_kernel _ZL29rocblas_internal_gemmt_kernelIlLi16ELi32ELi8ELc67ELc67ELc76ELb1ELb1E19rocblas_complex_numIfES1_PKPKS1_PKPS1_EviT_T9_T10_S9_lSB_S9_lSA_T11_S9_li
		.amdhsa_group_segment_fixed_size 4096
		.amdhsa_private_segment_fixed_size 0
		.amdhsa_kernarg_size 108
		.amdhsa_user_sgpr_count 2
		.amdhsa_user_sgpr_dispatch_ptr 0
		.amdhsa_user_sgpr_queue_ptr 0
		.amdhsa_user_sgpr_kernarg_segment_ptr 1
		.amdhsa_user_sgpr_dispatch_id 0
		.amdhsa_user_sgpr_private_segment_size 0
		.amdhsa_wavefront_size32 1
		.amdhsa_uses_dynamic_stack 0
		.amdhsa_enable_private_segment 0
		.amdhsa_system_sgpr_workgroup_id_x 1
		.amdhsa_system_sgpr_workgroup_id_y 1
		.amdhsa_system_sgpr_workgroup_id_z 1
		.amdhsa_system_sgpr_workgroup_info 0
		.amdhsa_system_vgpr_workitem_id 1
		.amdhsa_next_free_vgpr 72
		.amdhsa_next_free_sgpr 39
		.amdhsa_reserve_vcc 1
		.amdhsa_float_round_mode_32 0
		.amdhsa_float_round_mode_16_64 0
		.amdhsa_float_denorm_mode_32 3
		.amdhsa_float_denorm_mode_16_64 3
		.amdhsa_fp16_overflow 0
		.amdhsa_workgroup_processor_mode 1
		.amdhsa_memory_ordered 1
		.amdhsa_forward_progress 1
		.amdhsa_inst_pref_size 27
		.amdhsa_round_robin_scheduling 0
		.amdhsa_exception_fp_ieee_invalid_op 0
		.amdhsa_exception_fp_denorm_src 0
		.amdhsa_exception_fp_ieee_div_zero 0
		.amdhsa_exception_fp_ieee_overflow 0
		.amdhsa_exception_fp_ieee_underflow 0
		.amdhsa_exception_fp_ieee_inexact 0
		.amdhsa_exception_int_div_zero 0
	.end_amdhsa_kernel
	.section	.text._ZL29rocblas_internal_gemmt_kernelIlLi16ELi32ELi8ELc67ELc67ELc76ELb1ELb1E19rocblas_complex_numIfES1_PKPKS1_PKPS1_EviT_T9_T10_S9_lSB_S9_lSA_T11_S9_li,"axG",@progbits,_ZL29rocblas_internal_gemmt_kernelIlLi16ELi32ELi8ELc67ELc67ELc76ELb1ELb1E19rocblas_complex_numIfES1_PKPKS1_PKPS1_EviT_T9_T10_S9_lSB_S9_lSA_T11_S9_li,comdat
.Lfunc_end539:
	.size	_ZL29rocblas_internal_gemmt_kernelIlLi16ELi32ELi8ELc67ELc67ELc76ELb1ELb1E19rocblas_complex_numIfES1_PKPKS1_PKPS1_EviT_T9_T10_S9_lSB_S9_lSA_T11_S9_li, .Lfunc_end539-_ZL29rocblas_internal_gemmt_kernelIlLi16ELi32ELi8ELc67ELc67ELc76ELb1ELb1E19rocblas_complex_numIfES1_PKPKS1_PKPS1_EviT_T9_T10_S9_lSB_S9_lSA_T11_S9_li
                                        ; -- End function
	.set _ZL29rocblas_internal_gemmt_kernelIlLi16ELi32ELi8ELc67ELc67ELc76ELb1ELb1E19rocblas_complex_numIfES1_PKPKS1_PKPS1_EviT_T9_T10_S9_lSB_S9_lSA_T11_S9_li.num_vgpr, 72
	.set _ZL29rocblas_internal_gemmt_kernelIlLi16ELi32ELi8ELc67ELc67ELc76ELb1ELb1E19rocblas_complex_numIfES1_PKPKS1_PKPS1_EviT_T9_T10_S9_lSB_S9_lSA_T11_S9_li.num_agpr, 0
	.set _ZL29rocblas_internal_gemmt_kernelIlLi16ELi32ELi8ELc67ELc67ELc76ELb1ELb1E19rocblas_complex_numIfES1_PKPKS1_PKPS1_EviT_T9_T10_S9_lSB_S9_lSA_T11_S9_li.numbered_sgpr, 39
	.set _ZL29rocblas_internal_gemmt_kernelIlLi16ELi32ELi8ELc67ELc67ELc76ELb1ELb1E19rocblas_complex_numIfES1_PKPKS1_PKPS1_EviT_T9_T10_S9_lSB_S9_lSA_T11_S9_li.num_named_barrier, 0
	.set _ZL29rocblas_internal_gemmt_kernelIlLi16ELi32ELi8ELc67ELc67ELc76ELb1ELb1E19rocblas_complex_numIfES1_PKPKS1_PKPS1_EviT_T9_T10_S9_lSB_S9_lSA_T11_S9_li.private_seg_size, 0
	.set _ZL29rocblas_internal_gemmt_kernelIlLi16ELi32ELi8ELc67ELc67ELc76ELb1ELb1E19rocblas_complex_numIfES1_PKPKS1_PKPS1_EviT_T9_T10_S9_lSB_S9_lSA_T11_S9_li.uses_vcc, 1
	.set _ZL29rocblas_internal_gemmt_kernelIlLi16ELi32ELi8ELc67ELc67ELc76ELb1ELb1E19rocblas_complex_numIfES1_PKPKS1_PKPS1_EviT_T9_T10_S9_lSB_S9_lSA_T11_S9_li.uses_flat_scratch, 0
	.set _ZL29rocblas_internal_gemmt_kernelIlLi16ELi32ELi8ELc67ELc67ELc76ELb1ELb1E19rocblas_complex_numIfES1_PKPKS1_PKPS1_EviT_T9_T10_S9_lSB_S9_lSA_T11_S9_li.has_dyn_sized_stack, 0
	.set _ZL29rocblas_internal_gemmt_kernelIlLi16ELi32ELi8ELc67ELc67ELc76ELb1ELb1E19rocblas_complex_numIfES1_PKPKS1_PKPS1_EviT_T9_T10_S9_lSB_S9_lSA_T11_S9_li.has_recursion, 0
	.set _ZL29rocblas_internal_gemmt_kernelIlLi16ELi32ELi8ELc67ELc67ELc76ELb1ELb1E19rocblas_complex_numIfES1_PKPKS1_PKPS1_EviT_T9_T10_S9_lSB_S9_lSA_T11_S9_li.has_indirect_call, 0
	.section	.AMDGPU.csdata,"",@progbits
; Kernel info:
; codeLenInByte = 3340
; TotalNumSgprs: 41
; NumVgprs: 72
; ScratchSize: 0
; MemoryBound: 0
; FloatMode: 240
; IeeeMode: 1
; LDSByteSize: 4096 bytes/workgroup (compile time only)
; SGPRBlocks: 0
; VGPRBlocks: 8
; NumSGPRsForWavesPerEU: 41
; NumVGPRsForWavesPerEU: 72
; Occupancy: 16
; WaveLimiterHint : 1
; COMPUTE_PGM_RSRC2:SCRATCH_EN: 0
; COMPUTE_PGM_RSRC2:USER_SGPR: 2
; COMPUTE_PGM_RSRC2:TRAP_HANDLER: 0
; COMPUTE_PGM_RSRC2:TGID_X_EN: 1
; COMPUTE_PGM_RSRC2:TGID_Y_EN: 1
; COMPUTE_PGM_RSRC2:TGID_Z_EN: 1
; COMPUTE_PGM_RSRC2:TIDIG_COMP_CNT: 1
	.section	.text._ZL29rocblas_internal_gemmt_kernelIlLi16ELi32ELi8ELc78ELc78ELc85ELb0ELb0E19rocblas_complex_numIdEPKS1_PKS3_PKPS1_EviT_T9_T10_S9_lSB_S9_lSA_T11_S9_li,"axG",@progbits,_ZL29rocblas_internal_gemmt_kernelIlLi16ELi32ELi8ELc78ELc78ELc85ELb0ELb0E19rocblas_complex_numIdEPKS1_PKS3_PKPS1_EviT_T9_T10_S9_lSB_S9_lSA_T11_S9_li,comdat
	.globl	_ZL29rocblas_internal_gemmt_kernelIlLi16ELi32ELi8ELc78ELc78ELc85ELb0ELb0E19rocblas_complex_numIdEPKS1_PKS3_PKPS1_EviT_T9_T10_S9_lSB_S9_lSA_T11_S9_li ; -- Begin function _ZL29rocblas_internal_gemmt_kernelIlLi16ELi32ELi8ELc78ELc78ELc85ELb0ELb0E19rocblas_complex_numIdEPKS1_PKS3_PKPS1_EviT_T9_T10_S9_lSB_S9_lSA_T11_S9_li
	.p2align	8
	.type	_ZL29rocblas_internal_gemmt_kernelIlLi16ELi32ELi8ELc78ELc78ELc85ELb0ELb0E19rocblas_complex_numIdEPKS1_PKS3_PKPS1_EviT_T9_T10_S9_lSB_S9_lSA_T11_S9_li,@function
_ZL29rocblas_internal_gemmt_kernelIlLi16ELi32ELi8ELc78ELc78ELc85ELb0ELb0E19rocblas_complex_numIdEPKS1_PKS3_PKPS1_EviT_T9_T10_S9_lSB_S9_lSA_T11_S9_li: ; @_ZL29rocblas_internal_gemmt_kernelIlLi16ELi32ELi8ELc78ELc78ELc85ELb0ELb0E19rocblas_complex_numIdEPKS1_PKS3_PKPS1_EviT_T9_T10_S9_lSB_S9_lSA_T11_S9_li
; %bb.0:
	s_clause 0x1
	s_load_b256 s[24:31], s[0:1], 0x48
	s_load_b512 s[8:23], s[0:1], 0x8
	s_wait_kmcnt 0x0
	s_load_b128 s[36:39], s[24:25], 0x0
	s_load_b128 s[40:43], s[10:11], 0x0
	s_wait_kmcnt 0x0
	v_cmp_eq_f64_e64 s3, s[36:37], 1.0
	v_cmp_eq_f64_e64 s2, s[38:39], 0
	s_and_b32 s3, s3, s2
	s_delay_alu instid0(SALU_CYCLE_1)
	s_and_not1_b32 vcc_lo, exec_lo, s3
	s_mov_b32 s3, -1
	s_cbranch_vccnz .LBB540_3
; %bb.1:
	s_cmp_lg_u64 s[8:9], 0
	s_cbranch_scc0 .LBB540_41
; %bb.2:
	v_cmp_neq_f64_e64 s3, s[40:41], 0
	v_cmp_neq_f64_e64 s4, s[42:43], 0
	s_or_b32 s3, s3, s4
.LBB540_3:
	s_delay_alu instid0(SALU_CYCLE_1)
	s_and_b32 vcc_lo, exec_lo, s3
	s_cbranch_vccz .LBB540_42
; %bb.4:
	s_load_b32 s24, s[0:1], 0x68
	s_lshr_b32 s6, ttmp7, 16
	s_wait_kmcnt 0x0
	s_cmp_ge_u32 s6, s24
	s_cbranch_scc1 .LBB540_42
; %bb.5:
	v_bfe_u32 v9, v0, 10, 10
	s_load_b32 s5, s[0:1], 0x0
	s_lshl_b32 s1, ttmp7, 5
	v_and_b32_e32 v1, 0x3ff, v0
	s_and_b32 s1, s1, 0x1fffe0
	v_cmp_neq_f64_e64 s3, s[40:41], 0
	v_add_nc_u32_e32 v13, s1, v9
	v_cmp_neq_f64_e64 s4, s[42:43], 0
	v_cmp_neq_f64_e64 s7, s[36:37], 0
	s_lshl_b32 s0, ttmp9, 5
	v_lshlrev_b32_e32 v37, 4, v1
	v_mad_co_u64_u32 v[4:5], null, s28, v13, 0
	v_and_b32_e32 v36, 7, v0
	v_lshl_add_u32 v0, v9, 4, v1
	v_add_nc_u32_e32 v14, 16, v13
	s_wait_alu 0xfffe
	v_add_nc_u32_e32 v6, s0, v1
	v_cmp_gt_i64_e64 s10, s[8:9], 0
	v_lshl_add_u32 v41, v9, 7, 0x1000
	v_lshrrev_b32_e32 v7, 3, v0
	v_mad_co_u64_u32 v[16:17], null, s28, v14, 0
	v_and_b32_e32 v1, 31, v0
	v_lshrrev_b32_e32 v38, 5, v0
	s_delay_alu instid0(VALU_DEP_4)
	v_add_nc_u32_e32 v12, s1, v7
	s_wait_kmcnt 0x0
	v_cmp_gt_i32_e64 s1, s5, v13
                                        ; implicit-def: $vgpr18_vgpr19
	v_or_b32_e32 v10, s0, v1
	v_lshlrev_b32_e32 v11, 4, v1
	v_mad_co_u64_u32 v[2:3], null, s20, v12, 0
	v_dual_mov_b32 v1, v5 :: v_dual_lshlrev_b32 v8, 4, v36
	s_delay_alu instid0(VALU_DEP_3)
	v_lshl_or_b32 v39, v38, 9, v11
	v_ashrrev_i32_e32 v11, 31, v10
	v_cmp_gt_i32_e64 s0, s5, v10
	v_cmp_le_i32_e64 s20, s5, v10
	v_mov_b32_e32 v0, v3
	v_lshl_or_b32 v15, v7, 7, v8
	v_lshlrev_b64_e32 v[10:11], 4, v[10:11]
	s_delay_alu instid0(VALU_DEP_3)
	v_mad_co_u64_u32 v[7:8], null, s21, v12, v[0:1]
	v_mad_co_u64_u32 v[0:1], null, s29, v13, v[1:2]
	v_mov_b32_e32 v1, v17
	s_or_b32 s11, s3, s4
	s_xor_b32 s3, s2, -1
	v_cmp_gt_i32_e32 vcc_lo, s5, v12
	s_delay_alu instid0(VALU_DEP_4) | instskip(SKIP_1) | instid1(VALU_DEP_4)
	v_mov_b32_e32 v3, v7
	s_or_b32 s21, s7, s3
	v_mov_b32_e32 v5, v0
	v_mad_co_u64_u32 v[0:1], null, s29, v14, v[1:2]
	v_cmp_le_i32_e64 s2, v6, v13
	v_add_nc_u32_e32 v8, 16, v6
	v_dual_mov_b32 v1, 0 :: v_dual_add_nc_u32 v40, 0x1000, v15
	v_ashrrev_i32_e32 v7, 31, v6
	s_and_b32 s25, s1, s2
	v_mov_b32_e32 v17, v0
	v_cmp_le_i32_e64 s2, v8, v13
	v_cmp_gt_i32_e64 s3, s5, v14
	v_cmp_le_i32_e64 s4, v6, v14
	v_cmp_le_i32_e64 s5, v8, v14
	v_lshlrev_b64_e32 v[12:13], 4, v[2:3]
	v_lshlrev_b64_e32 v[14:15], 4, v[4:5]
	;; [unrolled: 1-line block ×3, first 2 shown]
	v_ashrrev_i32_e32 v9, 31, v8
	s_and_b32 s1, s1, s2
	s_and_b32 s28, s3, s4
	;; [unrolled: 1-line block ×3, first 2 shown]
	s_mov_b32 s7, 0
	s_and_b32 s33, s11, s10
	s_lshl_b64 s[2:3], s[22:23], 4
	s_lshl_b64 s[4:5], s[16:17], 4
	s_xor_b32 s22, vcc_lo, -1
	s_lshl_b64 s[10:11], s[30:31], 4
	s_branch .LBB540_7
.LBB540_6:                              ;   in Loop: Header=BB540_7 Depth=1
	s_wait_alu 0xfffe
	s_or_b32 exec_lo, exec_lo, s16
	s_add_co_i32 s6, s6, 0x10000
	s_delay_alu instid0(SALU_CYCLE_1)
	s_cmp_lt_u32 s6, s24
	s_cbranch_scc0 .LBB540_42
.LBB540_7:                              ; =>This Loop Header: Depth=1
                                        ;     Child Loop BB540_10 Depth 2
	s_lshl_b64 s[16:17], s[6:7], 3
	v_mov_b32_e32 v32, 0
	s_wait_alu 0xfffe
	s_add_nc_u64 s[30:31], s[26:27], s[16:17]
	v_mov_b32_e32 v33, 0
	global_load_b64 v[4:5], v1, s[30:31]
	s_and_not1_b32 vcc_lo, exec_lo, s33
	s_wait_alu 0xfffe
	s_cbranch_vccnz .LBB540_20
; %bb.8:                                ;   in Loop: Header=BB540_7 Depth=1
	s_add_nc_u64 s[30:31], s[12:13], s[16:17]
	s_add_nc_u64 s[16:17], s[18:19], s[16:17]
	s_clause 0x1
	global_load_b64 v[2:3], v1, s[30:31]
	global_load_b64 v[42:43], v1, s[16:17]
	v_mov_b32_e32 v20, 0
	v_mov_b32_e32 v26, 0
	;; [unrolled: 1-line block ×3, first 2 shown]
	v_dual_mov_b32 v34, 0 :: v_dual_mov_b32 v21, 0
	v_dual_mov_b32 v22, 0 :: v_dual_mov_b32 v27, 0
	v_dual_mov_b32 v24, 0 :: v_dual_mov_b32 v31, 0
	v_dual_mov_b32 v28, 0 :: v_dual_mov_b32 v35, 0
	v_dual_mov_b32 v32, 0 :: v_dual_mov_b32 v23, 0
	v_mov_b32_e32 v25, 0
	v_mov_b32_e32 v29, 0
	;; [unrolled: 1-line block ×3, first 2 shown]
	s_mov_b64 s[16:17], 0
	s_wait_loadcnt 0x1
	v_add_co_u32 v0, vcc_lo, v2, s4
	s_wait_alu 0xfffd
	v_add_co_ci_u32_e64 v2, null, s5, v3, vcc_lo
	s_wait_loadcnt 0x0
	v_add_co_u32 v3, vcc_lo, v42, s2
	s_wait_alu 0xfffd
	v_add_co_ci_u32_e64 v45, null, s3, v43, vcc_lo
	v_add_co_u32 v42, vcc_lo, v0, v10
	s_wait_alu 0xfffd
	v_add_co_ci_u32_e64 v43, null, v2, v11, vcc_lo
	;; [unrolled: 3-line block ×3, first 2 shown]
	s_branch .LBB540_10
.LBB540_9:                              ;   in Loop: Header=BB540_10 Depth=2
	s_or_b32 exec_lo, exec_lo, s23
	s_wait_dscnt 0x0
	s_barrier_signal -1
	s_barrier_wait -1
	global_inv scope:SCOPE_SE
	ds_load_b128 v[46:49], v41
	ds_load_b128 v[50:53], v37
	ds_load_b128 v[54:57], v37 offset:256
	ds_load_b128 v[58:61], v41 offset:2048
	ds_load_b128 v[62:65], v41 offset:16
	ds_load_b128 v[66:69], v41 offset:2064
	ds_load_b128 v[70:73], v37 offset:512
	ds_load_b128 v[74:77], v37 offset:768
	ds_load_b128 v[78:81], v41 offset:32
	ds_load_b128 v[82:85], v37 offset:1024
	ds_load_b128 v[86:89], v37 offset:1280
	ds_load_b128 v[90:93], v41 offset:2080
	s_add_nc_u64 s[16:17], s[16:17], 8
	s_wait_alu 0xfffe
	v_cmp_gt_i64_e64 s23, s[8:9], s[16:17]
	s_and_b32 vcc_lo, exec_lo, s23
	s_wait_dscnt 0xa
	v_mul_f64_e32 v[2:3], v[48:49], v[52:53]
	v_mul_f64_e32 v[94:95], v[46:47], v[52:53]
	s_wait_dscnt 0x9
	v_mul_f64_e32 v[96:97], v[48:49], v[56:57]
	v_mul_f64_e32 v[98:99], v[46:47], v[56:57]
	;; [unrolled: 3-line block ×3, first 2 shown]
	v_mul_f64_e32 v[102:103], v[60:61], v[56:57]
	v_mul_f64_e32 v[56:57], v[58:59], v[56:57]
	s_wait_dscnt 0x5
	v_mul_f64_e32 v[104:105], v[64:65], v[72:73]
	v_mul_f64_e32 v[106:107], v[62:63], v[72:73]
	s_wait_dscnt 0x4
	v_mul_f64_e32 v[108:109], v[64:65], v[76:77]
	v_mul_f64_e32 v[110:111], v[62:63], v[76:77]
	;; [unrolled: 1-line block ×6, first 2 shown]
	s_wait_dscnt 0x2
	v_mul_f64_e32 v[120:121], v[80:81], v[84:85]
	v_mul_f64_e32 v[122:123], v[78:79], v[84:85]
	s_wait_dscnt 0x1
	v_mul_f64_e32 v[124:125], v[80:81], v[88:89]
	v_mul_f64_e32 v[126:127], v[78:79], v[88:89]
	;; [unrolled: 3-line block ×3, first 2 shown]
	v_mul_f64_e32 v[130:131], v[92:93], v[88:89]
	v_mul_f64_e32 v[88:89], v[90:91], v[88:89]
	v_fma_f64 v[2:3], v[46:47], v[50:51], -v[2:3]
	v_fma_f64 v[94:95], v[48:49], v[50:51], v[94:95]
	v_fma_f64 v[96:97], v[46:47], v[54:55], -v[96:97]
	v_fma_f64 v[98:99], v[48:49], v[54:55], v[98:99]
	;; [unrolled: 2-line block ×8, first 2 shown]
	ds_load_b128 v[46:49], v41 offset:48
	ds_load_b128 v[50:53], v37 offset:1536
	;; [unrolled: 1-line block ×4, first 2 shown]
	v_fma_f64 v[120:121], v[78:79], v[82:83], -v[120:121]
	v_fma_f64 v[122:123], v[80:81], v[82:83], v[122:123]
	v_fma_f64 v[78:79], v[78:79], v[86:87], -v[124:125]
	v_fma_f64 v[80:81], v[80:81], v[86:87], v[126:127]
	;; [unrolled: 2-line block ×4, first 2 shown]
	s_wait_dscnt 0x2
	v_mul_f64_e32 v[110:111], v[46:47], v[52:53]
	s_wait_dscnt 0x1
	v_mul_f64_e32 v[112:113], v[48:49], v[56:57]
	v_mul_f64_e32 v[114:115], v[46:47], v[56:57]
	v_add_f64_e32 v[2:3], v[32:33], v[2:3]
	v_add_f64_e32 v[72:73], v[94:95], v[34:35]
	;; [unrolled: 1-line block ×8, first 2 shown]
	v_mul_f64_e32 v[102:103], v[48:49], v[52:53]
	s_wait_dscnt 0x0
	v_mul_f64_e32 v[116:117], v[60:61], v[52:53]
	v_mul_f64_e32 v[52:53], v[58:59], v[52:53]
	;; [unrolled: 1-line block ×4, first 2 shown]
	ds_load_b128 v[20:23], v41 offset:64
	ds_load_b128 v[24:27], v37 offset:2048
	;; [unrolled: 1-line block ×4, first 2 shown]
	s_wait_dscnt 0x1
	v_mul_f64_e32 v[126:127], v[20:21], v[30:31]
	s_wait_dscnt 0x0
	v_mul_f64_e32 v[128:129], v[34:35], v[26:27]
	v_mul_f64_e32 v[130:131], v[34:35], v[30:31]
	v_fma_f64 v[110:111], v[48:49], v[50:51], v[110:111]
	v_fma_f64 v[112:113], v[46:47], v[54:55], -v[112:113]
	v_fma_f64 v[114:115], v[48:49], v[54:55], v[114:115]
	v_add_f64_e32 v[2:3], v[2:3], v[104:105]
	v_add_f64_e32 v[88:89], v[106:107], v[72:73]
	;; [unrolled: 1-line block ×8, first 2 shown]
	v_mul_f64_e32 v[104:105], v[22:23], v[26:27]
	v_mul_f64_e32 v[106:107], v[20:21], v[26:27]
	;; [unrolled: 1-line block ×5, first 2 shown]
	v_fma_f64 v[102:103], v[46:47], v[50:51], -v[102:103]
	v_fma_f64 v[116:117], v[58:59], v[50:51], -v[116:117]
	v_fma_f64 v[132:133], v[60:61], v[50:51], v[52:53]
	v_fma_f64 v[118:119], v[58:59], v[54:55], -v[118:119]
	v_fma_f64 v[134:135], v[60:61], v[54:55], v[56:57]
	ds_load_b128 v[62:65], v41 offset:80
	ds_load_b128 v[66:69], v37 offset:2560
	;; [unrolled: 1-line block ×8, first 2 shown]
	v_add_f64_e32 v[2:3], v[2:3], v[120:121]
	v_add_f64_e32 v[88:89], v[122:123], v[88:89]
	;; [unrolled: 1-line block ×8, first 2 shown]
	s_wait_dscnt 0x6
	v_mul_f64_e32 v[92:93], v[64:65], v[68:69]
	v_mul_f64_e32 v[94:95], v[62:63], v[68:69]
	s_wait_dscnt 0x5
	v_mul_f64_e32 v[96:97], v[64:65], v[72:73]
	v_mul_f64_e32 v[98:99], v[62:63], v[72:73]
	;; [unrolled: 3-line block ×3, first 2 shown]
	v_mul_f64_e32 v[120:121], v[76:77], v[72:73]
	v_mul_f64_e32 v[72:73], v[74:75], v[72:73]
	v_fma_f64 v[104:105], v[20:21], v[24:25], -v[104:105]
	v_fma_f64 v[106:107], v[22:23], v[24:25], v[106:107]
	v_fma_f64 v[108:109], v[20:21], v[28:29], -v[108:109]
	v_fma_f64 v[122:123], v[22:23], v[28:29], v[126:127]
	;; [unrolled: 2-line block ×4, first 2 shown]
	ds_load_b128 v[20:23], v41 offset:112
	ds_load_b128 v[24:27], v37 offset:3584
	ds_load_b128 v[28:31], v37 offset:3840
	ds_load_b128 v[32:35], v41 offset:2160
	s_wait_loadcnt_dscnt 0x0
	s_barrier_signal -1
	s_barrier_wait -1
	global_inv scope:SCOPE_SE
	v_add_f64_e32 v[2:3], v[2:3], v[102:103]
	v_add_f64_e32 v[88:89], v[110:111], v[88:89]
	;; [unrolled: 1-line block ×8, first 2 shown]
	v_mul_f64_e32 v[102:103], v[48:49], v[52:53]
	v_mul_f64_e32 v[110:111], v[46:47], v[52:53]
	;; [unrolled: 1-line block ×8, first 2 shown]
	v_fma_f64 v[92:93], v[62:63], v[66:67], -v[92:93]
	v_fma_f64 v[94:95], v[64:65], v[66:67], v[94:95]
	v_fma_f64 v[62:63], v[62:63], v[70:71], -v[96:97]
	v_fma_f64 v[64:65], v[64:65], v[70:71], v[98:99]
	;; [unrolled: 2-line block ×4, first 2 shown]
	v_mul_f64_e32 v[98:99], v[20:21], v[30:31]
	v_mul_f64_e32 v[100:101], v[34:35], v[26:27]
	v_add_f64_e32 v[2:3], v[2:3], v[104:105]
	v_add_f64_e32 v[72:73], v[106:107], v[88:89]
	;; [unrolled: 1-line block ×8, first 2 shown]
	v_mul_f64_e32 v[86:87], v[22:23], v[26:27]
	v_mul_f64_e32 v[88:89], v[20:21], v[26:27]
	;; [unrolled: 1-line block ×6, first 2 shown]
	v_fma_f64 v[102:103], v[46:47], v[50:51], -v[102:103]
	v_fma_f64 v[106:107], v[48:49], v[50:51], v[110:111]
	v_fma_f64 v[46:47], v[46:47], v[54:55], -v[112:113]
	v_fma_f64 v[48:49], v[48:49], v[54:55], v[114:115]
	;; [unrolled: 2-line block ×4, first 2 shown]
	v_add_f64_e32 v[2:3], v[2:3], v[92:93]
	v_add_f64_e32 v[56:57], v[94:95], v[72:73]
	v_add_f64_e32 v[58:59], v[74:75], v[62:63]
	v_add_f64_e32 v[60:61], v[64:65], v[76:77]
	v_add_f64_e32 v[62:63], v[78:79], v[96:97]
	v_add_f64_e32 v[64:65], v[66:67], v[80:81]
	v_add_f64_e32 v[66:67], v[82:83], v[68:69]
	v_add_f64_e32 v[68:69], v[70:71], v[84:85]
	v_fma_f64 v[70:71], v[20:21], v[24:25], -v[86:87]
	v_fma_f64 v[72:73], v[22:23], v[24:25], v[88:89]
	v_fma_f64 v[20:21], v[20:21], v[28:29], -v[90:91]
	v_fma_f64 v[22:23], v[22:23], v[28:29], v[98:99]
	;; [unrolled: 2-line block ×4, first 2 shown]
	v_add_f64_e32 v[2:3], v[2:3], v[102:103]
	v_add_f64_e32 v[24:25], v[106:107], v[56:57]
	;; [unrolled: 1-line block ×16, first 2 shown]
	s_wait_alu 0xfffe
	s_cbranch_vccz .LBB540_21
.LBB540_10:                             ;   Parent Loop BB540_7 Depth=1
                                        ; =>  This Inner Loop Header: Depth=2
	s_mov_b32 s23, 0
	s_mov_b32 s31, s20
	s_and_saveexec_b32 s30, s0
	s_cbranch_execnz .LBB540_18
; %bb.11:                               ;   in Loop: Header=BB540_10 Depth=2
	s_or_b32 exec_lo, exec_lo, s30
	s_and_saveexec_b32 s30, s31
	s_delay_alu instid0(SALU_CYCLE_1)
	s_xor_b32 s30, exec_lo, s30
	s_cbranch_execnz .LBB540_19
.LBB540_12:                             ;   in Loop: Header=BB540_10 Depth=2
	s_or_b32 exec_lo, exec_lo, s30
	s_and_saveexec_b32 s30, s23
	s_cbranch_execz .LBB540_14
.LBB540_13:                             ;   in Loop: Header=BB540_10 Depth=2
	v_mul_lo_u32 v0, s15, v18
	v_mul_lo_u32 v46, s14, v19
	v_mad_co_u64_u32 v[2:3], null, s14, v18, 0
	s_delay_alu instid0(VALU_DEP_1) | instskip(NEXT) | instid1(VALU_DEP_1)
	v_add3_u32 v3, v3, v46, v0
	v_lshlrev_b64_e32 v[2:3], 4, v[2:3]
	s_delay_alu instid0(VALU_DEP_1) | instskip(SKIP_1) | instid1(VALU_DEP_2)
	v_add_co_u32 v2, vcc_lo, v42, v2
	s_wait_alu 0xfffd
	v_add_co_ci_u32_e64 v3, null, v43, v3, vcc_lo
	flat_load_b128 v[46:49], v[2:3]
	s_wait_loadcnt_dscnt 0x0
	ds_store_2addr_b64 v39, v[46:47], v[48:49] offset1:1
.LBB540_14:                             ;   in Loop: Header=BB540_10 Depth=2
	s_or_b32 exec_lo, exec_lo, s30
	s_wait_alu 0xfffe
	v_add_nc_u32_e32 v0, s16, v36
	s_delay_alu instid0(VALU_DEP_1) | instskip(SKIP_1) | instid1(SALU_CYCLE_1)
	v_cmp_le_u64_e32 vcc_lo, s[8:9], v[0:1]
	s_or_b32 s23, vcc_lo, s22
	s_and_saveexec_b32 s30, s23
	s_delay_alu instid0(SALU_CYCLE_1)
	s_xor_b32 s23, exec_lo, s30
; %bb.15:                               ;   in Loop: Header=BB540_10 Depth=2
	v_dual_mov_b32 v0, v1 :: v_dual_mov_b32 v3, v1
	v_mov_b32_e32 v2, v1
	ds_store_b128 v40, v[0:3]
; %bb.16:                               ;   in Loop: Header=BB540_10 Depth=2
	s_and_not1_saveexec_b32 s23, s23
	s_cbranch_execz .LBB540_9
; %bb.17:                               ;   in Loop: Header=BB540_10 Depth=2
	v_lshlrev_b64_e32 v[2:3], 4, v[0:1]
	s_delay_alu instid0(VALU_DEP_1) | instskip(SKIP_1) | instid1(VALU_DEP_2)
	v_add_co_u32 v2, vcc_lo, v44, v2
	s_wait_alu 0xfffd
	v_add_co_ci_u32_e64 v3, null, v45, v3, vcc_lo
	flat_load_b128 v[46:49], v[2:3]
	s_wait_loadcnt_dscnt 0x0
	ds_store_2addr_b64 v40, v[46:47], v[48:49] offset1:1
	s_branch .LBB540_9
.LBB540_18:                             ;   in Loop: Header=BB540_10 Depth=2
	s_wait_alu 0xfffe
	v_add_nc_u32_e32 v0, s16, v38
	v_mov_b32_e32 v19, v1
	s_and_not1_b32 s31, s20, exec_lo
	s_mov_b32 s23, exec_lo
	s_delay_alu instid0(VALU_DEP_2) | instskip(SKIP_2) | instid1(SALU_CYCLE_1)
	v_cmp_le_u64_e32 vcc_lo, s[8:9], v[0:1]
	v_mov_b32_e32 v18, v0
	s_and_b32 s34, vcc_lo, exec_lo
	s_or_b32 s31, s31, s34
	s_or_b32 exec_lo, exec_lo, s30
	s_and_saveexec_b32 s30, s31
	s_delay_alu instid0(SALU_CYCLE_1)
	s_xor_b32 s30, exec_lo, s30
	s_cbranch_execz .LBB540_12
.LBB540_19:                             ;   in Loop: Header=BB540_10 Depth=2
	v_dual_mov_b32 v0, v1 :: v_dual_mov_b32 v3, v1
	v_mov_b32_e32 v2, v1
	s_and_not1_b32 s23, s23, exec_lo
	ds_store_b128 v39, v[0:3]
	s_or_b32 exec_lo, exec_lo, s30
	s_and_saveexec_b32 s30, s23
	s_cbranch_execnz .LBB540_13
	s_branch .LBB540_14
.LBB540_20:                             ;   in Loop: Header=BB540_7 Depth=1
	v_mov_b32_e32 v34, 0
	v_mov_b32_e32 v30, 0
	v_dual_mov_b32 v26, 0 :: v_dual_mov_b32 v35, 0
	v_dual_mov_b32 v28, 0 :: v_dual_mov_b32 v31, 0
	;; [unrolled: 1-line block ×3, first 2 shown]
	v_mov_b32_e32 v22, 0
	v_dual_mov_b32 v20, 0 :: v_dual_mov_b32 v29, 0
	v_mov_b32_e32 v25, 0
	v_mov_b32_e32 v23, 0
	;; [unrolled: 1-line block ×3, first 2 shown]
.LBB540_21:                             ;   in Loop: Header=BB540_7 Depth=1
	s_wait_loadcnt 0x0
	v_add_co_u32 v0, vcc_lo, v4, s10
	s_wait_alu 0xfffd
	v_add_co_ci_u32_e64 v42, null, s11, v5, vcc_lo
	s_delay_alu instid0(VALU_DEP_2) | instskip(SKIP_1) | instid1(VALU_DEP_2)
	v_add_co_u32 v43, vcc_lo, v0, v14
	s_wait_alu 0xfffd
	v_add_co_ci_u32_e64 v44, null, v42, v15, vcc_lo
	s_and_saveexec_b32 s16, s25
	s_cbranch_execz .LBB540_26
; %bb.22:                               ;   in Loop: Header=BB540_7 Depth=1
	v_mul_f64_e32 v[2:3], s[42:43], v[34:35]
	v_mul_f64_e32 v[4:5], s[40:41], v[34:35]
	s_wait_alu 0xfffe
	s_and_b32 vcc_lo, exec_lo, s21
	s_mov_b32 s17, -1
	s_delay_alu instid0(VALU_DEP_2) | instskip(NEXT) | instid1(VALU_DEP_2)
	v_fma_f64 v[2:3], s[40:41], v[32:33], -v[2:3]
	v_fma_f64 v[4:5], s[42:43], v[32:33], v[4:5]
	s_wait_alu 0xfffe
	s_cbranch_vccz .LBB540_24
; %bb.23:                               ;   in Loop: Header=BB540_7 Depth=1
	v_lshlrev_b64_e32 v[32:33], 4, v[6:7]
	s_mov_b32 s17, 0
	s_delay_alu instid0(VALU_DEP_1) | instskip(SKIP_1) | instid1(VALU_DEP_2)
	v_add_co_u32 v45, vcc_lo, v43, v32
	s_wait_alu 0xfffd
	v_add_co_ci_u32_e64 v46, null, v44, v33, vcc_lo
	flat_load_b128 v[32:35], v[45:46]
	s_wait_loadcnt_dscnt 0x0
	v_mul_f64_e32 v[47:48], s[38:39], v[34:35]
	v_mul_f64_e32 v[34:35], s[36:37], v[34:35]
	s_delay_alu instid0(VALU_DEP_2) | instskip(NEXT) | instid1(VALU_DEP_2)
	v_fma_f64 v[47:48], s[36:37], v[32:33], -v[47:48]
	v_fma_f64 v[34:35], s[38:39], v[32:33], v[34:35]
	s_delay_alu instid0(VALU_DEP_2) | instskip(NEXT) | instid1(VALU_DEP_2)
	v_add_f64_e32 v[32:33], v[2:3], v[47:48]
	v_add_f64_e32 v[34:35], v[4:5], v[34:35]
	flat_store_b128 v[45:46], v[32:35]
.LBB540_24:                             ;   in Loop: Header=BB540_7 Depth=1
	s_wait_alu 0xfffe
	s_and_not1_b32 vcc_lo, exec_lo, s17
	s_wait_alu 0xfffe
	s_cbranch_vccnz .LBB540_26
; %bb.25:                               ;   in Loop: Header=BB540_7 Depth=1
	v_lshlrev_b64_e32 v[32:33], 4, v[6:7]
	s_delay_alu instid0(VALU_DEP_1) | instskip(SKIP_1) | instid1(VALU_DEP_2)
	v_add_co_u32 v32, vcc_lo, v43, v32
	s_wait_alu 0xfffd
	v_add_co_ci_u32_e64 v33, null, v44, v33, vcc_lo
	flat_store_b128 v[32:33], v[2:5]
.LBB540_26:                             ;   in Loop: Header=BB540_7 Depth=1
	s_wait_alu 0xfffe
	s_or_b32 exec_lo, exec_lo, s16
	s_and_saveexec_b32 s16, s1
	s_cbranch_execz .LBB540_31
; %bb.27:                               ;   in Loop: Header=BB540_7 Depth=1
	v_mul_f64_e32 v[2:3], s[42:43], v[30:31]
	v_mul_f64_e32 v[4:5], s[40:41], v[30:31]
	s_and_not1_b32 vcc_lo, exec_lo, s21
	s_mov_b32 s17, -1
	s_delay_alu instid0(VALU_DEP_2) | instskip(NEXT) | instid1(VALU_DEP_2)
	v_fma_f64 v[2:3], s[40:41], v[28:29], -v[2:3]
	v_fma_f64 v[4:5], s[42:43], v[28:29], v[4:5]
	s_wait_alu 0xfffe
	s_cbranch_vccnz .LBB540_29
; %bb.28:                               ;   in Loop: Header=BB540_7 Depth=1
	v_lshlrev_b64_e32 v[28:29], 4, v[8:9]
	s_mov_b32 s17, 0
	s_delay_alu instid0(VALU_DEP_1) | instskip(SKIP_1) | instid1(VALU_DEP_2)
	v_add_co_u32 v32, vcc_lo, v43, v28
	s_wait_alu 0xfffd
	v_add_co_ci_u32_e64 v33, null, v44, v29, vcc_lo
	flat_load_b128 v[28:31], v[32:33]
	s_wait_loadcnt_dscnt 0x0
	v_mul_f64_e32 v[34:35], s[38:39], v[30:31]
	v_mul_f64_e32 v[30:31], s[36:37], v[30:31]
	s_delay_alu instid0(VALU_DEP_2) | instskip(NEXT) | instid1(VALU_DEP_2)
	v_fma_f64 v[34:35], s[36:37], v[28:29], -v[34:35]
	v_fma_f64 v[30:31], s[38:39], v[28:29], v[30:31]
	s_delay_alu instid0(VALU_DEP_2) | instskip(NEXT) | instid1(VALU_DEP_2)
	v_add_f64_e32 v[28:29], v[2:3], v[34:35]
	v_add_f64_e32 v[30:31], v[4:5], v[30:31]
	flat_store_b128 v[32:33], v[28:31]
.LBB540_29:                             ;   in Loop: Header=BB540_7 Depth=1
	s_wait_alu 0xfffe
	s_and_not1_b32 vcc_lo, exec_lo, s17
	s_wait_alu 0xfffe
	s_cbranch_vccnz .LBB540_31
; %bb.30:                               ;   in Loop: Header=BB540_7 Depth=1
	v_lshlrev_b64_e32 v[28:29], 4, v[8:9]
	s_delay_alu instid0(VALU_DEP_1) | instskip(SKIP_1) | instid1(VALU_DEP_2)
	v_add_co_u32 v28, vcc_lo, v43, v28
	s_wait_alu 0xfffd
	v_add_co_ci_u32_e64 v29, null, v44, v29, vcc_lo
	flat_store_b128 v[28:29], v[2:5]
.LBB540_31:                             ;   in Loop: Header=BB540_7 Depth=1
	s_wait_alu 0xfffe
	s_or_b32 exec_lo, exec_lo, s16
	v_add_co_u32 v0, vcc_lo, v0, v16
	s_wait_alu 0xfffd
	v_add_co_ci_u32_e64 v28, null, v42, v17, vcc_lo
	s_and_saveexec_b32 s16, s28
	s_cbranch_execz .LBB540_36
; %bb.32:                               ;   in Loop: Header=BB540_7 Depth=1
	v_mul_f64_e32 v[2:3], s[42:43], v[26:27]
	v_mul_f64_e32 v[4:5], s[40:41], v[26:27]
	s_and_not1_b32 vcc_lo, exec_lo, s21
	s_mov_b32 s17, -1
	s_delay_alu instid0(VALU_DEP_2) | instskip(NEXT) | instid1(VALU_DEP_2)
	v_fma_f64 v[2:3], s[40:41], v[24:25], -v[2:3]
	v_fma_f64 v[4:5], s[42:43], v[24:25], v[4:5]
	v_lshlrev_b64_e32 v[24:25], 4, v[6:7]
	s_wait_alu 0xfffe
	s_cbranch_vccnz .LBB540_34
; %bb.33:                               ;   in Loop: Header=BB540_7 Depth=1
	s_delay_alu instid0(VALU_DEP_1) | instskip(SKIP_1) | instid1(VALU_DEP_2)
	v_add_co_u32 v26, vcc_lo, v0, v24
	s_wait_alu 0xfffd
	v_add_co_ci_u32_e64 v27, null, v28, v25, vcc_lo
	s_mov_b32 s17, 0
	flat_load_b128 v[29:32], v[26:27]
	s_wait_loadcnt_dscnt 0x0
	v_mul_f64_e32 v[33:34], s[38:39], v[31:32]
	v_mul_f64_e32 v[31:32], s[36:37], v[31:32]
	s_delay_alu instid0(VALU_DEP_2) | instskip(NEXT) | instid1(VALU_DEP_2)
	v_fma_f64 v[33:34], s[36:37], v[29:30], -v[33:34]
	v_fma_f64 v[31:32], s[38:39], v[29:30], v[31:32]
	s_delay_alu instid0(VALU_DEP_2) | instskip(NEXT) | instid1(VALU_DEP_2)
	v_add_f64_e32 v[29:30], v[2:3], v[33:34]
	v_add_f64_e32 v[31:32], v[4:5], v[31:32]
	flat_store_b128 v[26:27], v[29:32]
.LBB540_34:                             ;   in Loop: Header=BB540_7 Depth=1
	s_wait_alu 0xfffe
	s_and_not1_b32 vcc_lo, exec_lo, s17
	s_wait_alu 0xfffe
	s_cbranch_vccnz .LBB540_36
; %bb.35:                               ;   in Loop: Header=BB540_7 Depth=1
	v_add_co_u32 v24, vcc_lo, v0, v24
	s_wait_alu 0xfffd
	v_add_co_ci_u32_e64 v25, null, v28, v25, vcc_lo
	flat_store_b128 v[24:25], v[2:5]
.LBB540_36:                             ;   in Loop: Header=BB540_7 Depth=1
	s_wait_alu 0xfffe
	s_or_b32 exec_lo, exec_lo, s16
	s_and_saveexec_b32 s16, s29
	s_cbranch_execz .LBB540_6
; %bb.37:                               ;   in Loop: Header=BB540_7 Depth=1
	v_mul_f64_e32 v[2:3], s[42:43], v[20:21]
	v_mul_f64_e32 v[4:5], s[40:41], v[20:21]
	v_lshlrev_b64_e32 v[20:21], 4, v[8:9]
	s_and_not1_b32 vcc_lo, exec_lo, s21
	s_mov_b32 s17, -1
	s_delay_alu instid0(VALU_DEP_3) | instskip(NEXT) | instid1(VALU_DEP_3)
	v_fma_f64 v[2:3], s[40:41], v[22:23], -v[2:3]
	v_fma_f64 v[4:5], s[42:43], v[22:23], v[4:5]
	s_wait_alu 0xfffe
	s_cbranch_vccnz .LBB540_39
; %bb.38:                               ;   in Loop: Header=BB540_7 Depth=1
	v_add_co_u32 v26, vcc_lo, v0, v20
	s_wait_alu 0xfffd
	v_add_co_ci_u32_e64 v27, null, v28, v21, vcc_lo
	s_mov_b32 s17, 0
	flat_load_b128 v[22:25], v[26:27]
	s_wait_loadcnt_dscnt 0x0
	v_mul_f64_e32 v[29:30], s[38:39], v[24:25]
	v_mul_f64_e32 v[24:25], s[36:37], v[24:25]
	s_delay_alu instid0(VALU_DEP_2) | instskip(NEXT) | instid1(VALU_DEP_2)
	v_fma_f64 v[29:30], s[36:37], v[22:23], -v[29:30]
	v_fma_f64 v[24:25], s[38:39], v[22:23], v[24:25]
	s_delay_alu instid0(VALU_DEP_2) | instskip(NEXT) | instid1(VALU_DEP_2)
	v_add_f64_e32 v[22:23], v[2:3], v[29:30]
	v_add_f64_e32 v[24:25], v[4:5], v[24:25]
	flat_store_b128 v[26:27], v[22:25]
.LBB540_39:                             ;   in Loop: Header=BB540_7 Depth=1
	s_wait_alu 0xfffe
	s_and_not1_b32 vcc_lo, exec_lo, s17
	s_wait_alu 0xfffe
	s_cbranch_vccnz .LBB540_6
; %bb.40:                               ;   in Loop: Header=BB540_7 Depth=1
	v_add_co_u32 v20, vcc_lo, v0, v20
	s_wait_alu 0xfffd
	v_add_co_ci_u32_e64 v21, null, v28, v21, vcc_lo
	flat_store_b128 v[20:21], v[2:5]
	s_branch .LBB540_6
.LBB540_41:
.LBB540_42:
	s_nop 0
	s_sendmsg sendmsg(MSG_DEALLOC_VGPRS)
	s_endpgm
	.section	.rodata,"a",@progbits
	.p2align	6, 0x0
	.amdhsa_kernel _ZL29rocblas_internal_gemmt_kernelIlLi16ELi32ELi8ELc78ELc78ELc85ELb0ELb0E19rocblas_complex_numIdEPKS1_PKS3_PKPS1_EviT_T9_T10_S9_lSB_S9_lSA_T11_S9_li
		.amdhsa_group_segment_fixed_size 8192
		.amdhsa_private_segment_fixed_size 0
		.amdhsa_kernarg_size 108
		.amdhsa_user_sgpr_count 2
		.amdhsa_user_sgpr_dispatch_ptr 0
		.amdhsa_user_sgpr_queue_ptr 0
		.amdhsa_user_sgpr_kernarg_segment_ptr 1
		.amdhsa_user_sgpr_dispatch_id 0
		.amdhsa_user_sgpr_private_segment_size 0
		.amdhsa_wavefront_size32 1
		.amdhsa_uses_dynamic_stack 0
		.amdhsa_enable_private_segment 0
		.amdhsa_system_sgpr_workgroup_id_x 1
		.amdhsa_system_sgpr_workgroup_id_y 1
		.amdhsa_system_sgpr_workgroup_id_z 1
		.amdhsa_system_sgpr_workgroup_info 0
		.amdhsa_system_vgpr_workitem_id 1
		.amdhsa_next_free_vgpr 136
		.amdhsa_next_free_sgpr 44
		.amdhsa_reserve_vcc 1
		.amdhsa_float_round_mode_32 0
		.amdhsa_float_round_mode_16_64 0
		.amdhsa_float_denorm_mode_32 3
		.amdhsa_float_denorm_mode_16_64 3
		.amdhsa_fp16_overflow 0
		.amdhsa_workgroup_processor_mode 1
		.amdhsa_memory_ordered 1
		.amdhsa_forward_progress 1
		.amdhsa_inst_pref_size 29
		.amdhsa_round_robin_scheduling 0
		.amdhsa_exception_fp_ieee_invalid_op 0
		.amdhsa_exception_fp_denorm_src 0
		.amdhsa_exception_fp_ieee_div_zero 0
		.amdhsa_exception_fp_ieee_overflow 0
		.amdhsa_exception_fp_ieee_underflow 0
		.amdhsa_exception_fp_ieee_inexact 0
		.amdhsa_exception_int_div_zero 0
	.end_amdhsa_kernel
	.section	.text._ZL29rocblas_internal_gemmt_kernelIlLi16ELi32ELi8ELc78ELc78ELc85ELb0ELb0E19rocblas_complex_numIdEPKS1_PKS3_PKPS1_EviT_T9_T10_S9_lSB_S9_lSA_T11_S9_li,"axG",@progbits,_ZL29rocblas_internal_gemmt_kernelIlLi16ELi32ELi8ELc78ELc78ELc85ELb0ELb0E19rocblas_complex_numIdEPKS1_PKS3_PKPS1_EviT_T9_T10_S9_lSB_S9_lSA_T11_S9_li,comdat
.Lfunc_end540:
	.size	_ZL29rocblas_internal_gemmt_kernelIlLi16ELi32ELi8ELc78ELc78ELc85ELb0ELb0E19rocblas_complex_numIdEPKS1_PKS3_PKPS1_EviT_T9_T10_S9_lSB_S9_lSA_T11_S9_li, .Lfunc_end540-_ZL29rocblas_internal_gemmt_kernelIlLi16ELi32ELi8ELc78ELc78ELc85ELb0ELb0E19rocblas_complex_numIdEPKS1_PKS3_PKPS1_EviT_T9_T10_S9_lSB_S9_lSA_T11_S9_li
                                        ; -- End function
	.set _ZL29rocblas_internal_gemmt_kernelIlLi16ELi32ELi8ELc78ELc78ELc85ELb0ELb0E19rocblas_complex_numIdEPKS1_PKS3_PKPS1_EviT_T9_T10_S9_lSB_S9_lSA_T11_S9_li.num_vgpr, 136
	.set _ZL29rocblas_internal_gemmt_kernelIlLi16ELi32ELi8ELc78ELc78ELc85ELb0ELb0E19rocblas_complex_numIdEPKS1_PKS3_PKPS1_EviT_T9_T10_S9_lSB_S9_lSA_T11_S9_li.num_agpr, 0
	.set _ZL29rocblas_internal_gemmt_kernelIlLi16ELi32ELi8ELc78ELc78ELc85ELb0ELb0E19rocblas_complex_numIdEPKS1_PKS3_PKPS1_EviT_T9_T10_S9_lSB_S9_lSA_T11_S9_li.numbered_sgpr, 44
	.set _ZL29rocblas_internal_gemmt_kernelIlLi16ELi32ELi8ELc78ELc78ELc85ELb0ELb0E19rocblas_complex_numIdEPKS1_PKS3_PKPS1_EviT_T9_T10_S9_lSB_S9_lSA_T11_S9_li.num_named_barrier, 0
	.set _ZL29rocblas_internal_gemmt_kernelIlLi16ELi32ELi8ELc78ELc78ELc85ELb0ELb0E19rocblas_complex_numIdEPKS1_PKS3_PKPS1_EviT_T9_T10_S9_lSB_S9_lSA_T11_S9_li.private_seg_size, 0
	.set _ZL29rocblas_internal_gemmt_kernelIlLi16ELi32ELi8ELc78ELc78ELc85ELb0ELb0E19rocblas_complex_numIdEPKS1_PKS3_PKPS1_EviT_T9_T10_S9_lSB_S9_lSA_T11_S9_li.uses_vcc, 1
	.set _ZL29rocblas_internal_gemmt_kernelIlLi16ELi32ELi8ELc78ELc78ELc85ELb0ELb0E19rocblas_complex_numIdEPKS1_PKS3_PKPS1_EviT_T9_T10_S9_lSB_S9_lSA_T11_S9_li.uses_flat_scratch, 0
	.set _ZL29rocblas_internal_gemmt_kernelIlLi16ELi32ELi8ELc78ELc78ELc85ELb0ELb0E19rocblas_complex_numIdEPKS1_PKS3_PKPS1_EviT_T9_T10_S9_lSB_S9_lSA_T11_S9_li.has_dyn_sized_stack, 0
	.set _ZL29rocblas_internal_gemmt_kernelIlLi16ELi32ELi8ELc78ELc78ELc85ELb0ELb0E19rocblas_complex_numIdEPKS1_PKS3_PKPS1_EviT_T9_T10_S9_lSB_S9_lSA_T11_S9_li.has_recursion, 0
	.set _ZL29rocblas_internal_gemmt_kernelIlLi16ELi32ELi8ELc78ELc78ELc85ELb0ELb0E19rocblas_complex_numIdEPKS1_PKS3_PKPS1_EviT_T9_T10_S9_lSB_S9_lSA_T11_S9_li.has_indirect_call, 0
	.section	.AMDGPU.csdata,"",@progbits
; Kernel info:
; codeLenInByte = 3592
; TotalNumSgprs: 46
; NumVgprs: 136
; ScratchSize: 0
; MemoryBound: 0
; FloatMode: 240
; IeeeMode: 1
; LDSByteSize: 8192 bytes/workgroup (compile time only)
; SGPRBlocks: 0
; VGPRBlocks: 16
; NumSGPRsForWavesPerEU: 46
; NumVGPRsForWavesPerEU: 136
; Occupancy: 10
; WaveLimiterHint : 1
; COMPUTE_PGM_RSRC2:SCRATCH_EN: 0
; COMPUTE_PGM_RSRC2:USER_SGPR: 2
; COMPUTE_PGM_RSRC2:TRAP_HANDLER: 0
; COMPUTE_PGM_RSRC2:TGID_X_EN: 1
; COMPUTE_PGM_RSRC2:TGID_Y_EN: 1
; COMPUTE_PGM_RSRC2:TGID_Z_EN: 1
; COMPUTE_PGM_RSRC2:TIDIG_COMP_CNT: 1
	.section	.text._ZL29rocblas_internal_gemmt_kernelIlLi16ELi32ELi8ELc78ELc84ELc85ELb0ELb0E19rocblas_complex_numIdEPKS1_PKS3_PKPS1_EviT_T9_T10_S9_lSB_S9_lSA_T11_S9_li,"axG",@progbits,_ZL29rocblas_internal_gemmt_kernelIlLi16ELi32ELi8ELc78ELc84ELc85ELb0ELb0E19rocblas_complex_numIdEPKS1_PKS3_PKPS1_EviT_T9_T10_S9_lSB_S9_lSA_T11_S9_li,comdat
	.globl	_ZL29rocblas_internal_gemmt_kernelIlLi16ELi32ELi8ELc78ELc84ELc85ELb0ELb0E19rocblas_complex_numIdEPKS1_PKS3_PKPS1_EviT_T9_T10_S9_lSB_S9_lSA_T11_S9_li ; -- Begin function _ZL29rocblas_internal_gemmt_kernelIlLi16ELi32ELi8ELc78ELc84ELc85ELb0ELb0E19rocblas_complex_numIdEPKS1_PKS3_PKPS1_EviT_T9_T10_S9_lSB_S9_lSA_T11_S9_li
	.p2align	8
	.type	_ZL29rocblas_internal_gemmt_kernelIlLi16ELi32ELi8ELc78ELc84ELc85ELb0ELb0E19rocblas_complex_numIdEPKS1_PKS3_PKPS1_EviT_T9_T10_S9_lSB_S9_lSA_T11_S9_li,@function
_ZL29rocblas_internal_gemmt_kernelIlLi16ELi32ELi8ELc78ELc84ELc85ELb0ELb0E19rocblas_complex_numIdEPKS1_PKS3_PKPS1_EviT_T9_T10_S9_lSB_S9_lSA_T11_S9_li: ; @_ZL29rocblas_internal_gemmt_kernelIlLi16ELi32ELi8ELc78ELc84ELc85ELb0ELb0E19rocblas_complex_numIdEPKS1_PKS3_PKPS1_EviT_T9_T10_S9_lSB_S9_lSA_T11_S9_li
; %bb.0:
	s_clause 0x1
	s_load_b256 s[24:31], s[0:1], 0x48
	s_load_b512 s[8:23], s[0:1], 0x8
	s_wait_kmcnt 0x0
	s_load_b128 s[36:39], s[24:25], 0x0
	s_load_b128 s[40:43], s[10:11], 0x0
	s_wait_kmcnt 0x0
	v_cmp_eq_f64_e64 s3, s[36:37], 1.0
	v_cmp_eq_f64_e64 s2, s[38:39], 0
	s_and_b32 s3, s3, s2
	s_delay_alu instid0(SALU_CYCLE_1)
	s_and_not1_b32 vcc_lo, exec_lo, s3
	s_mov_b32 s3, -1
	s_cbranch_vccnz .LBB541_3
; %bb.1:
	s_cmp_lg_u64 s[8:9], 0
	s_cbranch_scc0 .LBB541_41
; %bb.2:
	v_cmp_neq_f64_e64 s3, s[40:41], 0
	v_cmp_neq_f64_e64 s4, s[42:43], 0
	s_or_b32 s3, s3, s4
.LBB541_3:
	s_delay_alu instid0(SALU_CYCLE_1)
	s_and_b32 vcc_lo, exec_lo, s3
	s_cbranch_vccz .LBB541_42
; %bb.4:
	s_load_b32 s24, s[0:1], 0x68
	s_lshr_b32 s6, ttmp7, 16
	s_wait_kmcnt 0x0
	s_cmp_ge_u32 s6, s24
	s_cbranch_scc1 .LBB541_42
; %bb.5:
	v_bfe_u32 v9, v0, 10, 10
	s_load_b32 s7, s[0:1], 0x0
	s_lshl_b32 s1, ttmp7, 5
	v_cmp_neq_f64_e64 s3, s[40:41], 0
	v_cmp_neq_f64_e64 s4, s[42:43], 0
	s_and_b32 s1, s1, 0x1fffe0
	v_dual_mov_b32 v1, 0 :: v_dual_and_b32 v2, 0x3ff, v0
	v_add_nc_u32_e32 v12, s1, v9
	v_cmp_neq_f64_e64 s5, s[36:37], 0
	v_and_b32_e32 v34, 7, v0
	s_lshl_b32 s0, ttmp9, 5
	v_lshl_add_u32 v0, v9, 4, v2
	v_add_nc_u32_e32 v13, 16, v12
	s_wait_alu 0xfffe
	v_add_nc_u32_e32 v6, s0, v2
	v_cmp_gt_i64_e64 s10, s[8:9], 0
	v_lshl_add_u32 v39, v9, 7, 0x1000
	v_lshrrev_b32_e32 v36, 5, v0
	v_mad_co_u64_u32 v[14:15], null, s28, v13, 0
	v_lshlrev_b32_e32 v35, 4, v2
	v_mad_co_u64_u32 v[2:3], null, s28, v12, 0
	v_lshlrev_b32_e32 v5, 4, v34
	v_and_b32_e32 v7, 31, v0
	v_lshrrev_b32_e32 v0, 3, v0
	s_delay_alu instid0(VALU_DEP_2) | instskip(NEXT) | instid1(VALU_DEP_2)
	v_or_b32_e32 v4, s0, v7
	v_add_nc_u32_e32 v16, s1, v0
	v_lshlrev_b32_e32 v7, 4, v7
	v_lshl_or_b32 v8, v0, 7, v5
	v_mov_b32_e32 v0, v3
	s_wait_kmcnt 0x0
	v_cmp_gt_i32_e64 s1, s7, v12
	v_ashrrev_i32_e32 v5, 31, v4
	v_lshl_or_b32 v37, v36, 9, v7
	v_add_nc_u32_e32 v38, 0x1000, v8
	v_mad_co_u64_u32 v[7:8], null, s29, v12, v[0:1]
	v_mov_b32_e32 v0, v15
	v_cmp_gt_i32_e32 vcc_lo, s7, v16
	s_or_b32 s11, s3, s4
	s_xor_b32 s3, s2, -1
	v_cmp_gt_i32_e64 s0, s7, v4
	v_mad_co_u64_u32 v[10:11], null, s29, v13, v[0:1]
	v_mov_b32_e32 v3, v7
	s_or_b32 s28, s5, s3
	v_cmp_gt_i32_e64 s3, s7, v13
	v_cmp_le_i32_e64 s25, s7, v4
	v_lshlrev_b32_e32 v40, 4, v16
	s_mov_b32 s7, 0
	v_mov_b32_e32 v15, v10
	v_cmp_le_i32_e64 s2, v6, v12
	v_add_nc_u32_e32 v8, 16, v6
	v_cmp_le_i32_e64 s4, v6, v13
	v_lshlrev_b64_e32 v[10:11], 4, v[4:5]
	v_lshlrev_b64_e32 v[14:15], 4, v[14:15]
	s_and_b32 s33, s1, s2
	v_cmp_le_i32_e64 s2, v8, v12
	v_cmp_le_i32_e64 s5, v8, v13
	v_lshlrev_b64_e32 v[12:13], 4, v[2:3]
	v_ashrrev_i32_e32 v7, 31, v6
	v_ashrrev_i32_e32 v9, 31, v8
	s_and_b32 s1, s1, s2
	s_and_b32 s29, s3, s4
	;; [unrolled: 1-line block ×4, first 2 shown]
	s_lshl_b64 s[2:3], s[22:23], 4
	s_lshl_b64 s[4:5], s[16:17], 4
	s_xor_b32 s22, vcc_lo, -1
	s_lshl_b64 s[10:11], s[30:31], 4
                                        ; implicit-def: $vgpr16_vgpr17
	s_branch .LBB541_7
.LBB541_6:                              ;   in Loop: Header=BB541_7 Depth=1
	s_wait_alu 0xfffe
	s_or_b32 exec_lo, exec_lo, s16
	s_add_co_i32 s6, s6, 0x10000
	s_wait_alu 0xfffe
	s_cmp_lt_u32 s6, s24
	s_cbranch_scc0 .LBB541_42
.LBB541_7:                              ; =>This Loop Header: Depth=1
                                        ;     Child Loop BB541_10 Depth 2
	s_wait_alu 0xfffe
	s_lshl_b64 s[16:17], s[6:7], 3
	v_mov_b32_e32 v30, 0
	s_wait_alu 0xfffe
	s_add_nc_u64 s[30:31], s[26:27], s[16:17]
	v_mov_b32_e32 v31, 0
	global_load_b64 v[4:5], v1, s[30:31]
	s_and_not1_b32 vcc_lo, exec_lo, s35
	s_wait_alu 0xfffe
	s_cbranch_vccnz .LBB541_20
; %bb.8:                                ;   in Loop: Header=BB541_7 Depth=1
	s_add_nc_u64 s[30:31], s[12:13], s[16:17]
	s_add_nc_u64 s[16:17], s[18:19], s[16:17]
	s_clause 0x1
	global_load_b64 v[2:3], v1, s[30:31]
	global_load_b64 v[41:42], v1, s[16:17]
	v_mov_b32_e32 v18, 0
	v_mov_b32_e32 v24, 0
	;; [unrolled: 1-line block ×3, first 2 shown]
	v_dual_mov_b32 v32, 0 :: v_dual_mov_b32 v19, 0
	v_dual_mov_b32 v20, 0 :: v_dual_mov_b32 v25, 0
	;; [unrolled: 1-line block ×5, first 2 shown]
	v_mov_b32_e32 v23, 0
	v_mov_b32_e32 v27, 0
	;; [unrolled: 1-line block ×3, first 2 shown]
	s_mov_b64 s[16:17], 0
	s_wait_loadcnt 0x1
	v_add_co_u32 v0, vcc_lo, v2, s4
	s_wait_alu 0xfffd
	v_add_co_ci_u32_e64 v2, null, s5, v3, vcc_lo
	s_wait_loadcnt 0x0
	v_add_co_u32 v3, vcc_lo, v41, s2
	s_wait_alu 0xfffd
	v_add_co_ci_u32_e64 v44, null, s3, v42, vcc_lo
	v_add_co_u32 v41, vcc_lo, v0, v10
	s_wait_alu 0xfffd
	v_add_co_ci_u32_e64 v42, null, v2, v11, vcc_lo
	;; [unrolled: 3-line block ×3, first 2 shown]
	s_branch .LBB541_10
.LBB541_9:                              ;   in Loop: Header=BB541_10 Depth=2
	s_or_b32 exec_lo, exec_lo, s23
	s_wait_dscnt 0x0
	s_barrier_signal -1
	s_barrier_wait -1
	global_inv scope:SCOPE_SE
	ds_load_b128 v[45:48], v39
	ds_load_b128 v[49:52], v35
	ds_load_b128 v[53:56], v35 offset:256
	ds_load_b128 v[57:60], v39 offset:2048
	;; [unrolled: 1-line block ×10, first 2 shown]
	s_add_nc_u64 s[16:17], s[16:17], 8
	s_wait_alu 0xfffe
	v_cmp_gt_i64_e64 s23, s[8:9], s[16:17]
	s_and_b32 vcc_lo, exec_lo, s23
	s_wait_dscnt 0xa
	v_mul_f64_e32 v[2:3], v[47:48], v[51:52]
	v_mul_f64_e32 v[93:94], v[45:46], v[51:52]
	s_wait_dscnt 0x9
	v_mul_f64_e32 v[95:96], v[47:48], v[55:56]
	v_mul_f64_e32 v[97:98], v[45:46], v[55:56]
	;; [unrolled: 3-line block ×3, first 2 shown]
	v_mul_f64_e32 v[101:102], v[59:60], v[55:56]
	v_mul_f64_e32 v[55:56], v[57:58], v[55:56]
	s_wait_dscnt 0x5
	v_mul_f64_e32 v[103:104], v[63:64], v[71:72]
	v_mul_f64_e32 v[105:106], v[61:62], v[71:72]
	s_wait_dscnt 0x4
	v_mul_f64_e32 v[107:108], v[63:64], v[75:76]
	v_mul_f64_e32 v[109:110], v[61:62], v[75:76]
	;; [unrolled: 1-line block ×6, first 2 shown]
	s_wait_dscnt 0x2
	v_mul_f64_e32 v[119:120], v[79:80], v[83:84]
	v_mul_f64_e32 v[121:122], v[77:78], v[83:84]
	s_wait_dscnt 0x1
	v_mul_f64_e32 v[123:124], v[79:80], v[87:88]
	v_mul_f64_e32 v[125:126], v[77:78], v[87:88]
	;; [unrolled: 3-line block ×3, first 2 shown]
	v_mul_f64_e32 v[129:130], v[91:92], v[87:88]
	v_mul_f64_e32 v[87:88], v[89:90], v[87:88]
	v_fma_f64 v[2:3], v[45:46], v[49:50], -v[2:3]
	v_fma_f64 v[93:94], v[47:48], v[49:50], v[93:94]
	v_fma_f64 v[95:96], v[45:46], v[53:54], -v[95:96]
	v_fma_f64 v[97:98], v[47:48], v[53:54], v[97:98]
	;; [unrolled: 2-line block ×8, first 2 shown]
	ds_load_b128 v[45:48], v39 offset:48
	ds_load_b128 v[49:52], v35 offset:1536
	;; [unrolled: 1-line block ×4, first 2 shown]
	v_fma_f64 v[119:120], v[77:78], v[81:82], -v[119:120]
	v_fma_f64 v[121:122], v[79:80], v[81:82], v[121:122]
	v_fma_f64 v[77:78], v[77:78], v[85:86], -v[123:124]
	v_fma_f64 v[79:80], v[79:80], v[85:86], v[125:126]
	;; [unrolled: 2-line block ×4, first 2 shown]
	s_wait_dscnt 0x2
	v_mul_f64_e32 v[109:110], v[45:46], v[51:52]
	s_wait_dscnt 0x1
	v_mul_f64_e32 v[111:112], v[47:48], v[55:56]
	v_mul_f64_e32 v[113:114], v[45:46], v[55:56]
	v_add_f64_e32 v[2:3], v[30:31], v[2:3]
	v_add_f64_e32 v[71:72], v[93:94], v[32:33]
	;; [unrolled: 1-line block ×8, first 2 shown]
	v_mul_f64_e32 v[101:102], v[47:48], v[51:52]
	s_wait_dscnt 0x0
	v_mul_f64_e32 v[115:116], v[59:60], v[51:52]
	v_mul_f64_e32 v[51:52], v[57:58], v[51:52]
	;; [unrolled: 1-line block ×4, first 2 shown]
	ds_load_b128 v[18:21], v39 offset:64
	ds_load_b128 v[22:25], v35 offset:2048
	;; [unrolled: 1-line block ×4, first 2 shown]
	s_wait_dscnt 0x1
	v_mul_f64_e32 v[125:126], v[18:19], v[28:29]
	s_wait_dscnt 0x0
	v_mul_f64_e32 v[127:128], v[32:33], v[24:25]
	v_mul_f64_e32 v[129:130], v[32:33], v[28:29]
	v_fma_f64 v[109:110], v[47:48], v[49:50], v[109:110]
	v_fma_f64 v[111:112], v[45:46], v[53:54], -v[111:112]
	v_fma_f64 v[113:114], v[47:48], v[53:54], v[113:114]
	v_add_f64_e32 v[2:3], v[2:3], v[103:104]
	v_add_f64_e32 v[87:88], v[105:106], v[71:72]
	;; [unrolled: 1-line block ×8, first 2 shown]
	v_mul_f64_e32 v[103:104], v[20:21], v[24:25]
	v_mul_f64_e32 v[105:106], v[18:19], v[24:25]
	;; [unrolled: 1-line block ×5, first 2 shown]
	v_fma_f64 v[101:102], v[45:46], v[49:50], -v[101:102]
	v_fma_f64 v[115:116], v[57:58], v[49:50], -v[115:116]
	v_fma_f64 v[131:132], v[59:60], v[49:50], v[51:52]
	v_fma_f64 v[117:118], v[57:58], v[53:54], -v[117:118]
	v_fma_f64 v[133:134], v[59:60], v[53:54], v[55:56]
	ds_load_b128 v[61:64], v39 offset:80
	ds_load_b128 v[65:68], v35 offset:2560
	;; [unrolled: 1-line block ×8, first 2 shown]
	v_add_f64_e32 v[2:3], v[2:3], v[119:120]
	v_add_f64_e32 v[87:88], v[121:122], v[87:88]
	v_add_f64_e32 v[77:78], v[89:90], v[77:78]
	v_add_f64_e32 v[79:80], v[79:80], v[91:92]
	v_add_f64_e32 v[89:90], v[93:94], v[123:124]
	v_add_f64_e32 v[81:82], v[81:82], v[95:96]
	v_add_f64_e32 v[83:84], v[97:98], v[83:84]
	v_add_f64_e32 v[85:86], v[85:86], v[99:100]
	s_wait_dscnt 0x6
	v_mul_f64_e32 v[91:92], v[63:64], v[67:68]
	v_mul_f64_e32 v[93:94], v[61:62], v[67:68]
	s_wait_dscnt 0x5
	v_mul_f64_e32 v[95:96], v[63:64], v[71:72]
	v_mul_f64_e32 v[97:98], v[61:62], v[71:72]
	;; [unrolled: 3-line block ×3, first 2 shown]
	v_mul_f64_e32 v[119:120], v[75:76], v[71:72]
	v_mul_f64_e32 v[71:72], v[73:74], v[71:72]
	v_fma_f64 v[103:104], v[18:19], v[22:23], -v[103:104]
	v_fma_f64 v[105:106], v[20:21], v[22:23], v[105:106]
	v_fma_f64 v[107:108], v[18:19], v[26:27], -v[107:108]
	v_fma_f64 v[121:122], v[20:21], v[26:27], v[125:126]
	;; [unrolled: 2-line block ×4, first 2 shown]
	ds_load_b128 v[18:21], v39 offset:112
	ds_load_b128 v[22:25], v35 offset:3584
	;; [unrolled: 1-line block ×4, first 2 shown]
	s_wait_loadcnt_dscnt 0x0
	s_barrier_signal -1
	s_barrier_wait -1
	global_inv scope:SCOPE_SE
	v_add_f64_e32 v[2:3], v[2:3], v[101:102]
	v_add_f64_e32 v[87:88], v[109:110], v[87:88]
	;; [unrolled: 1-line block ×8, first 2 shown]
	v_mul_f64_e32 v[101:102], v[47:48], v[51:52]
	v_mul_f64_e32 v[109:110], v[45:46], v[51:52]
	;; [unrolled: 1-line block ×8, first 2 shown]
	v_fma_f64 v[91:92], v[61:62], v[65:66], -v[91:92]
	v_fma_f64 v[93:94], v[63:64], v[65:66], v[93:94]
	v_fma_f64 v[61:62], v[61:62], v[69:70], -v[95:96]
	v_fma_f64 v[63:64], v[63:64], v[69:70], v[97:98]
	;; [unrolled: 2-line block ×4, first 2 shown]
	v_mul_f64_e32 v[97:98], v[18:19], v[28:29]
	v_mul_f64_e32 v[99:100], v[32:33], v[24:25]
	v_add_f64_e32 v[2:3], v[2:3], v[103:104]
	v_add_f64_e32 v[71:72], v[105:106], v[87:88]
	;; [unrolled: 1-line block ×8, first 2 shown]
	v_mul_f64_e32 v[85:86], v[20:21], v[24:25]
	v_mul_f64_e32 v[87:88], v[18:19], v[24:25]
	;; [unrolled: 1-line block ×6, first 2 shown]
	v_fma_f64 v[101:102], v[45:46], v[49:50], -v[101:102]
	v_fma_f64 v[105:106], v[47:48], v[49:50], v[109:110]
	v_fma_f64 v[45:46], v[45:46], v[53:54], -v[111:112]
	v_fma_f64 v[47:48], v[47:48], v[53:54], v[113:114]
	;; [unrolled: 2-line block ×4, first 2 shown]
	v_add_f64_e32 v[2:3], v[2:3], v[91:92]
	v_add_f64_e32 v[55:56], v[93:94], v[71:72]
	v_add_f64_e32 v[57:58], v[73:74], v[61:62]
	v_add_f64_e32 v[59:60], v[63:64], v[75:76]
	v_add_f64_e32 v[61:62], v[77:78], v[95:96]
	v_add_f64_e32 v[63:64], v[65:66], v[79:80]
	v_add_f64_e32 v[65:66], v[81:82], v[67:68]
	v_add_f64_e32 v[67:68], v[69:70], v[83:84]
	v_fma_f64 v[69:70], v[18:19], v[22:23], -v[85:86]
	v_fma_f64 v[71:72], v[20:21], v[22:23], v[87:88]
	v_fma_f64 v[18:19], v[18:19], v[26:27], -v[89:90]
	v_fma_f64 v[20:21], v[20:21], v[26:27], v[97:98]
	;; [unrolled: 2-line block ×4, first 2 shown]
	v_add_f64_e32 v[2:3], v[2:3], v[101:102]
	v_add_f64_e32 v[22:23], v[105:106], v[55:56]
	;; [unrolled: 1-line block ×16, first 2 shown]
	s_wait_alu 0xfffe
	s_cbranch_vccz .LBB541_21
.LBB541_10:                             ;   Parent Loop BB541_7 Depth=1
                                        ; =>  This Inner Loop Header: Depth=2
	s_mov_b32 s23, 0
	s_mov_b32 s31, s25
	s_and_saveexec_b32 s30, s0
	s_cbranch_execnz .LBB541_18
; %bb.11:                               ;   in Loop: Header=BB541_10 Depth=2
	s_or_b32 exec_lo, exec_lo, s30
	s_and_saveexec_b32 s30, s31
	s_delay_alu instid0(SALU_CYCLE_1)
	s_xor_b32 s30, exec_lo, s30
	s_cbranch_execnz .LBB541_19
.LBB541_12:                             ;   in Loop: Header=BB541_10 Depth=2
	s_or_b32 exec_lo, exec_lo, s30
	s_and_saveexec_b32 s30, s23
	s_cbranch_execz .LBB541_14
.LBB541_13:                             ;   in Loop: Header=BB541_10 Depth=2
	v_mul_lo_u32 v0, s15, v16
	v_mul_lo_u32 v45, s14, v17
	v_mad_co_u64_u32 v[2:3], null, s14, v16, 0
	s_delay_alu instid0(VALU_DEP_1) | instskip(NEXT) | instid1(VALU_DEP_1)
	v_add3_u32 v3, v3, v45, v0
	v_lshlrev_b64_e32 v[2:3], 4, v[2:3]
	s_delay_alu instid0(VALU_DEP_1) | instskip(SKIP_1) | instid1(VALU_DEP_2)
	v_add_co_u32 v2, vcc_lo, v41, v2
	s_wait_alu 0xfffd
	v_add_co_ci_u32_e64 v3, null, v42, v3, vcc_lo
	flat_load_b128 v[45:48], v[2:3]
	s_wait_loadcnt_dscnt 0x0
	ds_store_2addr_b64 v37, v[45:46], v[47:48] offset1:1
.LBB541_14:                             ;   in Loop: Header=BB541_10 Depth=2
	s_or_b32 exec_lo, exec_lo, s30
	s_wait_alu 0xfffe
	v_add_nc_u32_e32 v0, s16, v34
	s_delay_alu instid0(VALU_DEP_1) | instskip(SKIP_1) | instid1(SALU_CYCLE_1)
	v_cmp_le_u64_e32 vcc_lo, s[8:9], v[0:1]
	s_or_b32 s23, vcc_lo, s22
	s_and_saveexec_b32 s30, s23
	s_delay_alu instid0(SALU_CYCLE_1)
	s_xor_b32 s23, exec_lo, s30
; %bb.15:                               ;   in Loop: Header=BB541_10 Depth=2
	v_dual_mov_b32 v0, v1 :: v_dual_mov_b32 v3, v1
	v_mov_b32_e32 v2, v1
	ds_store_b128 v38, v[0:3]
; %bb.16:                               ;   in Loop: Header=BB541_10 Depth=2
	s_and_not1_saveexec_b32 s23, s23
	s_cbranch_execz .LBB541_9
; %bb.17:                               ;   in Loop: Header=BB541_10 Depth=2
	v_mad_co_u64_u32 v[2:3], null, s20, v0, 0
	s_delay_alu instid0(VALU_DEP_1) | instskip(NEXT) | instid1(VALU_DEP_1)
	v_mad_co_u64_u32 v[45:46], null, s21, v0, v[3:4]
	v_mov_b32_e32 v3, v45
	s_delay_alu instid0(VALU_DEP_1) | instskip(NEXT) | instid1(VALU_DEP_1)
	v_lshlrev_b64_e32 v[2:3], 4, v[2:3]
	v_add_co_u32 v2, vcc_lo, v43, v2
	s_wait_alu 0xfffd
	s_delay_alu instid0(VALU_DEP_2)
	v_add_co_ci_u32_e64 v3, null, v44, v3, vcc_lo
	flat_load_b128 v[45:48], v[2:3]
	s_wait_loadcnt_dscnt 0x0
	ds_store_2addr_b64 v38, v[45:46], v[47:48] offset1:1
	s_branch .LBB541_9
.LBB541_18:                             ;   in Loop: Header=BB541_10 Depth=2
	s_wait_alu 0xfffe
	v_add_nc_u32_e32 v0, s16, v36
	v_mov_b32_e32 v17, v1
	s_and_not1_b32 s31, s25, exec_lo
	s_mov_b32 s23, exec_lo
	s_delay_alu instid0(VALU_DEP_2) | instskip(SKIP_2) | instid1(SALU_CYCLE_1)
	v_cmp_le_u64_e32 vcc_lo, s[8:9], v[0:1]
	v_mov_b32_e32 v16, v0
	s_and_b32 s44, vcc_lo, exec_lo
	s_or_b32 s31, s31, s44
	s_or_b32 exec_lo, exec_lo, s30
	s_and_saveexec_b32 s30, s31
	s_delay_alu instid0(SALU_CYCLE_1)
	s_xor_b32 s30, exec_lo, s30
	s_cbranch_execz .LBB541_12
.LBB541_19:                             ;   in Loop: Header=BB541_10 Depth=2
	v_dual_mov_b32 v0, v1 :: v_dual_mov_b32 v3, v1
	v_mov_b32_e32 v2, v1
	s_and_not1_b32 s23, s23, exec_lo
	ds_store_b128 v37, v[0:3]
	s_or_b32 exec_lo, exec_lo, s30
	s_and_saveexec_b32 s30, s23
	s_cbranch_execnz .LBB541_13
	s_branch .LBB541_14
.LBB541_20:                             ;   in Loop: Header=BB541_7 Depth=1
	v_mov_b32_e32 v32, 0
	v_mov_b32_e32 v28, 0
	v_dual_mov_b32 v24, 0 :: v_dual_mov_b32 v33, 0
	v_dual_mov_b32 v26, 0 :: v_dual_mov_b32 v29, 0
	;; [unrolled: 1-line block ×3, first 2 shown]
	v_mov_b32_e32 v20, 0
	v_dual_mov_b32 v18, 0 :: v_dual_mov_b32 v27, 0
	v_mov_b32_e32 v23, 0
	v_mov_b32_e32 v21, 0
	;; [unrolled: 1-line block ×3, first 2 shown]
.LBB541_21:                             ;   in Loop: Header=BB541_7 Depth=1
	s_wait_loadcnt 0x0
	v_add_co_u32 v0, vcc_lo, v4, s10
	s_wait_alu 0xfffd
	v_add_co_ci_u32_e64 v41, null, s11, v5, vcc_lo
	s_delay_alu instid0(VALU_DEP_2) | instskip(SKIP_1) | instid1(VALU_DEP_2)
	v_add_co_u32 v42, vcc_lo, v0, v12
	s_wait_alu 0xfffd
	v_add_co_ci_u32_e64 v43, null, v41, v13, vcc_lo
	s_and_saveexec_b32 s16, s33
	s_cbranch_execz .LBB541_26
; %bb.22:                               ;   in Loop: Header=BB541_7 Depth=1
	v_mul_f64_e32 v[2:3], s[42:43], v[32:33]
	v_mul_f64_e32 v[4:5], s[40:41], v[32:33]
	s_and_b32 vcc_lo, exec_lo, s28
	s_mov_b32 s17, -1
	s_delay_alu instid0(VALU_DEP_2) | instskip(NEXT) | instid1(VALU_DEP_2)
	v_fma_f64 v[2:3], s[40:41], v[30:31], -v[2:3]
	v_fma_f64 v[4:5], s[42:43], v[30:31], v[4:5]
	s_wait_alu 0xfffe
	s_cbranch_vccz .LBB541_24
; %bb.23:                               ;   in Loop: Header=BB541_7 Depth=1
	v_lshlrev_b64_e32 v[30:31], 4, v[6:7]
	s_mov_b32 s17, 0
	s_delay_alu instid0(VALU_DEP_1) | instskip(SKIP_1) | instid1(VALU_DEP_2)
	v_add_co_u32 v44, vcc_lo, v42, v30
	s_wait_alu 0xfffd
	v_add_co_ci_u32_e64 v45, null, v43, v31, vcc_lo
	flat_load_b128 v[30:33], v[44:45]
	s_wait_loadcnt_dscnt 0x0
	v_mul_f64_e32 v[46:47], s[38:39], v[32:33]
	v_mul_f64_e32 v[32:33], s[36:37], v[32:33]
	s_delay_alu instid0(VALU_DEP_2) | instskip(NEXT) | instid1(VALU_DEP_2)
	v_fma_f64 v[46:47], s[36:37], v[30:31], -v[46:47]
	v_fma_f64 v[32:33], s[38:39], v[30:31], v[32:33]
	s_delay_alu instid0(VALU_DEP_2) | instskip(NEXT) | instid1(VALU_DEP_2)
	v_add_f64_e32 v[30:31], v[2:3], v[46:47]
	v_add_f64_e32 v[32:33], v[4:5], v[32:33]
	flat_store_b128 v[44:45], v[30:33]
.LBB541_24:                             ;   in Loop: Header=BB541_7 Depth=1
	s_wait_alu 0xfffe
	s_and_not1_b32 vcc_lo, exec_lo, s17
	s_wait_alu 0xfffe
	s_cbranch_vccnz .LBB541_26
; %bb.25:                               ;   in Loop: Header=BB541_7 Depth=1
	v_lshlrev_b64_e32 v[30:31], 4, v[6:7]
	s_delay_alu instid0(VALU_DEP_1) | instskip(SKIP_1) | instid1(VALU_DEP_2)
	v_add_co_u32 v30, vcc_lo, v42, v30
	s_wait_alu 0xfffd
	v_add_co_ci_u32_e64 v31, null, v43, v31, vcc_lo
	flat_store_b128 v[30:31], v[2:5]
.LBB541_26:                             ;   in Loop: Header=BB541_7 Depth=1
	s_wait_alu 0xfffe
	s_or_b32 exec_lo, exec_lo, s16
	s_and_saveexec_b32 s16, s1
	s_cbranch_execz .LBB541_31
; %bb.27:                               ;   in Loop: Header=BB541_7 Depth=1
	v_mul_f64_e32 v[2:3], s[42:43], v[28:29]
	v_mul_f64_e32 v[4:5], s[40:41], v[28:29]
	s_and_not1_b32 vcc_lo, exec_lo, s28
	s_mov_b32 s17, -1
	s_delay_alu instid0(VALU_DEP_2) | instskip(NEXT) | instid1(VALU_DEP_2)
	v_fma_f64 v[2:3], s[40:41], v[26:27], -v[2:3]
	v_fma_f64 v[4:5], s[42:43], v[26:27], v[4:5]
	s_wait_alu 0xfffe
	s_cbranch_vccnz .LBB541_29
; %bb.28:                               ;   in Loop: Header=BB541_7 Depth=1
	v_lshlrev_b64_e32 v[26:27], 4, v[8:9]
	s_mov_b32 s17, 0
	s_delay_alu instid0(VALU_DEP_1) | instskip(SKIP_1) | instid1(VALU_DEP_2)
	v_add_co_u32 v30, vcc_lo, v42, v26
	s_wait_alu 0xfffd
	v_add_co_ci_u32_e64 v31, null, v43, v27, vcc_lo
	flat_load_b128 v[26:29], v[30:31]
	s_wait_loadcnt_dscnt 0x0
	v_mul_f64_e32 v[32:33], s[38:39], v[28:29]
	v_mul_f64_e32 v[28:29], s[36:37], v[28:29]
	s_delay_alu instid0(VALU_DEP_2) | instskip(NEXT) | instid1(VALU_DEP_2)
	v_fma_f64 v[32:33], s[36:37], v[26:27], -v[32:33]
	v_fma_f64 v[28:29], s[38:39], v[26:27], v[28:29]
	s_delay_alu instid0(VALU_DEP_2) | instskip(NEXT) | instid1(VALU_DEP_2)
	v_add_f64_e32 v[26:27], v[2:3], v[32:33]
	v_add_f64_e32 v[28:29], v[4:5], v[28:29]
	flat_store_b128 v[30:31], v[26:29]
.LBB541_29:                             ;   in Loop: Header=BB541_7 Depth=1
	s_wait_alu 0xfffe
	s_and_not1_b32 vcc_lo, exec_lo, s17
	s_wait_alu 0xfffe
	s_cbranch_vccnz .LBB541_31
; %bb.30:                               ;   in Loop: Header=BB541_7 Depth=1
	v_lshlrev_b64_e32 v[26:27], 4, v[8:9]
	s_delay_alu instid0(VALU_DEP_1) | instskip(SKIP_1) | instid1(VALU_DEP_2)
	v_add_co_u32 v26, vcc_lo, v42, v26
	s_wait_alu 0xfffd
	v_add_co_ci_u32_e64 v27, null, v43, v27, vcc_lo
	flat_store_b128 v[26:27], v[2:5]
.LBB541_31:                             ;   in Loop: Header=BB541_7 Depth=1
	s_wait_alu 0xfffe
	s_or_b32 exec_lo, exec_lo, s16
	v_add_co_u32 v0, vcc_lo, v0, v14
	s_wait_alu 0xfffd
	v_add_co_ci_u32_e64 v26, null, v41, v15, vcc_lo
	s_and_saveexec_b32 s16, s29
	s_cbranch_execz .LBB541_36
; %bb.32:                               ;   in Loop: Header=BB541_7 Depth=1
	v_mul_f64_e32 v[2:3], s[42:43], v[24:25]
	v_mul_f64_e32 v[4:5], s[40:41], v[24:25]
	s_and_not1_b32 vcc_lo, exec_lo, s28
	s_mov_b32 s17, -1
	s_delay_alu instid0(VALU_DEP_2) | instskip(NEXT) | instid1(VALU_DEP_2)
	v_fma_f64 v[2:3], s[40:41], v[22:23], -v[2:3]
	v_fma_f64 v[4:5], s[42:43], v[22:23], v[4:5]
	v_lshlrev_b64_e32 v[22:23], 4, v[6:7]
	s_wait_alu 0xfffe
	s_cbranch_vccnz .LBB541_34
; %bb.33:                               ;   in Loop: Header=BB541_7 Depth=1
	s_delay_alu instid0(VALU_DEP_1) | instskip(SKIP_1) | instid1(VALU_DEP_2)
	v_add_co_u32 v24, vcc_lo, v0, v22
	s_wait_alu 0xfffd
	v_add_co_ci_u32_e64 v25, null, v26, v23, vcc_lo
	s_mov_b32 s17, 0
	flat_load_b128 v[27:30], v[24:25]
	s_wait_loadcnt_dscnt 0x0
	v_mul_f64_e32 v[31:32], s[38:39], v[29:30]
	v_mul_f64_e32 v[29:30], s[36:37], v[29:30]
	s_delay_alu instid0(VALU_DEP_2) | instskip(NEXT) | instid1(VALU_DEP_2)
	v_fma_f64 v[31:32], s[36:37], v[27:28], -v[31:32]
	v_fma_f64 v[29:30], s[38:39], v[27:28], v[29:30]
	s_delay_alu instid0(VALU_DEP_2) | instskip(NEXT) | instid1(VALU_DEP_2)
	v_add_f64_e32 v[27:28], v[2:3], v[31:32]
	v_add_f64_e32 v[29:30], v[4:5], v[29:30]
	flat_store_b128 v[24:25], v[27:30]
.LBB541_34:                             ;   in Loop: Header=BB541_7 Depth=1
	s_wait_alu 0xfffe
	s_and_not1_b32 vcc_lo, exec_lo, s17
	s_wait_alu 0xfffe
	s_cbranch_vccnz .LBB541_36
; %bb.35:                               ;   in Loop: Header=BB541_7 Depth=1
	v_add_co_u32 v22, vcc_lo, v0, v22
	s_wait_alu 0xfffd
	v_add_co_ci_u32_e64 v23, null, v26, v23, vcc_lo
	flat_store_b128 v[22:23], v[2:5]
.LBB541_36:                             ;   in Loop: Header=BB541_7 Depth=1
	s_wait_alu 0xfffe
	s_or_b32 exec_lo, exec_lo, s16
	s_and_saveexec_b32 s16, s34
	s_cbranch_execz .LBB541_6
; %bb.37:                               ;   in Loop: Header=BB541_7 Depth=1
	v_mul_f64_e32 v[2:3], s[42:43], v[18:19]
	v_mul_f64_e32 v[4:5], s[40:41], v[18:19]
	v_lshlrev_b64_e32 v[18:19], 4, v[8:9]
	s_and_not1_b32 vcc_lo, exec_lo, s28
	s_mov_b32 s17, -1
	s_delay_alu instid0(VALU_DEP_3) | instskip(NEXT) | instid1(VALU_DEP_3)
	v_fma_f64 v[2:3], s[40:41], v[20:21], -v[2:3]
	v_fma_f64 v[4:5], s[42:43], v[20:21], v[4:5]
	s_wait_alu 0xfffe
	s_cbranch_vccnz .LBB541_39
; %bb.38:                               ;   in Loop: Header=BB541_7 Depth=1
	v_add_co_u32 v24, vcc_lo, v0, v18
	s_wait_alu 0xfffd
	v_add_co_ci_u32_e64 v25, null, v26, v19, vcc_lo
	s_mov_b32 s17, 0
	flat_load_b128 v[20:23], v[24:25]
	s_wait_loadcnt_dscnt 0x0
	v_mul_f64_e32 v[27:28], s[38:39], v[22:23]
	v_mul_f64_e32 v[22:23], s[36:37], v[22:23]
	s_delay_alu instid0(VALU_DEP_2) | instskip(NEXT) | instid1(VALU_DEP_2)
	v_fma_f64 v[27:28], s[36:37], v[20:21], -v[27:28]
	v_fma_f64 v[22:23], s[38:39], v[20:21], v[22:23]
	s_delay_alu instid0(VALU_DEP_2) | instskip(NEXT) | instid1(VALU_DEP_2)
	v_add_f64_e32 v[20:21], v[2:3], v[27:28]
	v_add_f64_e32 v[22:23], v[4:5], v[22:23]
	flat_store_b128 v[24:25], v[20:23]
.LBB541_39:                             ;   in Loop: Header=BB541_7 Depth=1
	s_wait_alu 0xfffe
	s_and_not1_b32 vcc_lo, exec_lo, s17
	s_wait_alu 0xfffe
	s_cbranch_vccnz .LBB541_6
; %bb.40:                               ;   in Loop: Header=BB541_7 Depth=1
	v_add_co_u32 v18, vcc_lo, v0, v18
	s_wait_alu 0xfffd
	v_add_co_ci_u32_e64 v19, null, v26, v19, vcc_lo
	flat_store_b128 v[18:19], v[2:5]
	s_branch .LBB541_6
.LBB541_41:
.LBB541_42:
	s_nop 0
	s_sendmsg sendmsg(MSG_DEALLOC_VGPRS)
	s_endpgm
	.section	.rodata,"a",@progbits
	.p2align	6, 0x0
	.amdhsa_kernel _ZL29rocblas_internal_gemmt_kernelIlLi16ELi32ELi8ELc78ELc84ELc85ELb0ELb0E19rocblas_complex_numIdEPKS1_PKS3_PKPS1_EviT_T9_T10_S9_lSB_S9_lSA_T11_S9_li
		.amdhsa_group_segment_fixed_size 8192
		.amdhsa_private_segment_fixed_size 0
		.amdhsa_kernarg_size 108
		.amdhsa_user_sgpr_count 2
		.amdhsa_user_sgpr_dispatch_ptr 0
		.amdhsa_user_sgpr_queue_ptr 0
		.amdhsa_user_sgpr_kernarg_segment_ptr 1
		.amdhsa_user_sgpr_dispatch_id 0
		.amdhsa_user_sgpr_private_segment_size 0
		.amdhsa_wavefront_size32 1
		.amdhsa_uses_dynamic_stack 0
		.amdhsa_enable_private_segment 0
		.amdhsa_system_sgpr_workgroup_id_x 1
		.amdhsa_system_sgpr_workgroup_id_y 1
		.amdhsa_system_sgpr_workgroup_id_z 1
		.amdhsa_system_sgpr_workgroup_info 0
		.amdhsa_system_vgpr_workitem_id 1
		.amdhsa_next_free_vgpr 135
		.amdhsa_next_free_sgpr 45
		.amdhsa_reserve_vcc 1
		.amdhsa_float_round_mode_32 0
		.amdhsa_float_round_mode_16_64 0
		.amdhsa_float_denorm_mode_32 3
		.amdhsa_float_denorm_mode_16_64 3
		.amdhsa_fp16_overflow 0
		.amdhsa_workgroup_processor_mode 1
		.amdhsa_memory_ordered 1
		.amdhsa_forward_progress 1
		.amdhsa_inst_pref_size 28
		.amdhsa_round_robin_scheduling 0
		.amdhsa_exception_fp_ieee_invalid_op 0
		.amdhsa_exception_fp_denorm_src 0
		.amdhsa_exception_fp_ieee_div_zero 0
		.amdhsa_exception_fp_ieee_overflow 0
		.amdhsa_exception_fp_ieee_underflow 0
		.amdhsa_exception_fp_ieee_inexact 0
		.amdhsa_exception_int_div_zero 0
	.end_amdhsa_kernel
	.section	.text._ZL29rocblas_internal_gemmt_kernelIlLi16ELi32ELi8ELc78ELc84ELc85ELb0ELb0E19rocblas_complex_numIdEPKS1_PKS3_PKPS1_EviT_T9_T10_S9_lSB_S9_lSA_T11_S9_li,"axG",@progbits,_ZL29rocblas_internal_gemmt_kernelIlLi16ELi32ELi8ELc78ELc84ELc85ELb0ELb0E19rocblas_complex_numIdEPKS1_PKS3_PKPS1_EviT_T9_T10_S9_lSB_S9_lSA_T11_S9_li,comdat
.Lfunc_end541:
	.size	_ZL29rocblas_internal_gemmt_kernelIlLi16ELi32ELi8ELc78ELc84ELc85ELb0ELb0E19rocblas_complex_numIdEPKS1_PKS3_PKPS1_EviT_T9_T10_S9_lSB_S9_lSA_T11_S9_li, .Lfunc_end541-_ZL29rocblas_internal_gemmt_kernelIlLi16ELi32ELi8ELc78ELc84ELc85ELb0ELb0E19rocblas_complex_numIdEPKS1_PKS3_PKPS1_EviT_T9_T10_S9_lSB_S9_lSA_T11_S9_li
                                        ; -- End function
	.set _ZL29rocblas_internal_gemmt_kernelIlLi16ELi32ELi8ELc78ELc84ELc85ELb0ELb0E19rocblas_complex_numIdEPKS1_PKS3_PKPS1_EviT_T9_T10_S9_lSB_S9_lSA_T11_S9_li.num_vgpr, 135
	.set _ZL29rocblas_internal_gemmt_kernelIlLi16ELi32ELi8ELc78ELc84ELc85ELb0ELb0E19rocblas_complex_numIdEPKS1_PKS3_PKPS1_EviT_T9_T10_S9_lSB_S9_lSA_T11_S9_li.num_agpr, 0
	.set _ZL29rocblas_internal_gemmt_kernelIlLi16ELi32ELi8ELc78ELc84ELc85ELb0ELb0E19rocblas_complex_numIdEPKS1_PKS3_PKPS1_EviT_T9_T10_S9_lSB_S9_lSA_T11_S9_li.numbered_sgpr, 45
	.set _ZL29rocblas_internal_gemmt_kernelIlLi16ELi32ELi8ELc78ELc84ELc85ELb0ELb0E19rocblas_complex_numIdEPKS1_PKS3_PKPS1_EviT_T9_T10_S9_lSB_S9_lSA_T11_S9_li.num_named_barrier, 0
	.set _ZL29rocblas_internal_gemmt_kernelIlLi16ELi32ELi8ELc78ELc84ELc85ELb0ELb0E19rocblas_complex_numIdEPKS1_PKS3_PKPS1_EviT_T9_T10_S9_lSB_S9_lSA_T11_S9_li.private_seg_size, 0
	.set _ZL29rocblas_internal_gemmt_kernelIlLi16ELi32ELi8ELc78ELc84ELc85ELb0ELb0E19rocblas_complex_numIdEPKS1_PKS3_PKPS1_EviT_T9_T10_S9_lSB_S9_lSA_T11_S9_li.uses_vcc, 1
	.set _ZL29rocblas_internal_gemmt_kernelIlLi16ELi32ELi8ELc78ELc84ELc85ELb0ELb0E19rocblas_complex_numIdEPKS1_PKS3_PKPS1_EviT_T9_T10_S9_lSB_S9_lSA_T11_S9_li.uses_flat_scratch, 0
	.set _ZL29rocblas_internal_gemmt_kernelIlLi16ELi32ELi8ELc78ELc84ELc85ELb0ELb0E19rocblas_complex_numIdEPKS1_PKS3_PKPS1_EviT_T9_T10_S9_lSB_S9_lSA_T11_S9_li.has_dyn_sized_stack, 0
	.set _ZL29rocblas_internal_gemmt_kernelIlLi16ELi32ELi8ELc78ELc84ELc85ELb0ELb0E19rocblas_complex_numIdEPKS1_PKS3_PKPS1_EviT_T9_T10_S9_lSB_S9_lSA_T11_S9_li.has_recursion, 0
	.set _ZL29rocblas_internal_gemmt_kernelIlLi16ELi32ELi8ELc78ELc84ELc85ELb0ELb0E19rocblas_complex_numIdEPKS1_PKS3_PKPS1_EviT_T9_T10_S9_lSB_S9_lSA_T11_S9_li.has_indirect_call, 0
	.section	.AMDGPU.csdata,"",@progbits
; Kernel info:
; codeLenInByte = 3584
; TotalNumSgprs: 47
; NumVgprs: 135
; ScratchSize: 0
; MemoryBound: 0
; FloatMode: 240
; IeeeMode: 1
; LDSByteSize: 8192 bytes/workgroup (compile time only)
; SGPRBlocks: 0
; VGPRBlocks: 16
; NumSGPRsForWavesPerEU: 47
; NumVGPRsForWavesPerEU: 135
; Occupancy: 10
; WaveLimiterHint : 1
; COMPUTE_PGM_RSRC2:SCRATCH_EN: 0
; COMPUTE_PGM_RSRC2:USER_SGPR: 2
; COMPUTE_PGM_RSRC2:TRAP_HANDLER: 0
; COMPUTE_PGM_RSRC2:TGID_X_EN: 1
; COMPUTE_PGM_RSRC2:TGID_Y_EN: 1
; COMPUTE_PGM_RSRC2:TGID_Z_EN: 1
; COMPUTE_PGM_RSRC2:TIDIG_COMP_CNT: 1
	.section	.text._ZL29rocblas_internal_gemmt_kernelIlLi16ELi32ELi8ELc78ELc67ELc85ELb0ELb1E19rocblas_complex_numIdEPKS1_PKS3_PKPS1_EviT_T9_T10_S9_lSB_S9_lSA_T11_S9_li,"axG",@progbits,_ZL29rocblas_internal_gemmt_kernelIlLi16ELi32ELi8ELc78ELc67ELc85ELb0ELb1E19rocblas_complex_numIdEPKS1_PKS3_PKPS1_EviT_T9_T10_S9_lSB_S9_lSA_T11_S9_li,comdat
	.globl	_ZL29rocblas_internal_gemmt_kernelIlLi16ELi32ELi8ELc78ELc67ELc85ELb0ELb1E19rocblas_complex_numIdEPKS1_PKS3_PKPS1_EviT_T9_T10_S9_lSB_S9_lSA_T11_S9_li ; -- Begin function _ZL29rocblas_internal_gemmt_kernelIlLi16ELi32ELi8ELc78ELc67ELc85ELb0ELb1E19rocblas_complex_numIdEPKS1_PKS3_PKPS1_EviT_T9_T10_S9_lSB_S9_lSA_T11_S9_li
	.p2align	8
	.type	_ZL29rocblas_internal_gemmt_kernelIlLi16ELi32ELi8ELc78ELc67ELc85ELb0ELb1E19rocblas_complex_numIdEPKS1_PKS3_PKPS1_EviT_T9_T10_S9_lSB_S9_lSA_T11_S9_li,@function
_ZL29rocblas_internal_gemmt_kernelIlLi16ELi32ELi8ELc78ELc67ELc85ELb0ELb1E19rocblas_complex_numIdEPKS1_PKS3_PKPS1_EviT_T9_T10_S9_lSB_S9_lSA_T11_S9_li: ; @_ZL29rocblas_internal_gemmt_kernelIlLi16ELi32ELi8ELc78ELc67ELc85ELb0ELb1E19rocblas_complex_numIdEPKS1_PKS3_PKPS1_EviT_T9_T10_S9_lSB_S9_lSA_T11_S9_li
; %bb.0:
	s_clause 0x1
	s_load_b256 s[24:31], s[0:1], 0x48
	s_load_b512 s[8:23], s[0:1], 0x8
	s_wait_kmcnt 0x0
	s_load_b128 s[36:39], s[24:25], 0x0
	s_load_b128 s[40:43], s[10:11], 0x0
	s_wait_kmcnt 0x0
	v_cmp_eq_f64_e64 s3, s[36:37], 1.0
	v_cmp_eq_f64_e64 s2, s[38:39], 0
	s_and_b32 s3, s3, s2
	s_delay_alu instid0(SALU_CYCLE_1)
	s_and_not1_b32 vcc_lo, exec_lo, s3
	s_mov_b32 s3, -1
	s_cbranch_vccnz .LBB542_3
; %bb.1:
	s_cmp_lg_u64 s[8:9], 0
	s_cbranch_scc0 .LBB542_39
; %bb.2:
	v_cmp_neq_f64_e64 s3, s[40:41], 0
	v_cmp_neq_f64_e64 s4, s[42:43], 0
	s_or_b32 s3, s3, s4
.LBB542_3:
	s_delay_alu instid0(SALU_CYCLE_1)
	s_and_b32 vcc_lo, exec_lo, s3
	s_cbranch_vccz .LBB542_40
; %bb.4:
	s_load_b32 s24, s[0:1], 0x68
	s_lshr_b32 s6, ttmp7, 16
	s_wait_kmcnt 0x0
	s_cmp_ge_u32 s6, s24
	s_cbranch_scc1 .LBB542_40
; %bb.5:
	v_bfe_u32 v9, v0, 10, 10
	s_load_b32 s7, s[0:1], 0x0
	s_lshl_b32 s1, ttmp7, 5
	v_cmp_neq_f64_e64 s3, s[40:41], 0
	v_cmp_neq_f64_e64 s4, s[42:43], 0
	s_and_b32 s1, s1, 0x1fffe0
	v_dual_mov_b32 v1, 0 :: v_dual_and_b32 v2, 0x3ff, v0
	v_add_nc_u32_e32 v12, s1, v9
	v_cmp_neq_f64_e64 s5, s[36:37], 0
	v_and_b32_e32 v36, 7, v0
	s_lshl_b32 s0, ttmp9, 5
	v_lshl_add_u32 v0, v9, 4, v2
	v_add_nc_u32_e32 v13, 16, v12
	s_wait_alu 0xfffe
	v_add_nc_u32_e32 v6, s0, v2
	v_cmp_gt_i64_e64 s10, s[8:9], 0
	v_lshl_add_u32 v41, v9, 7, 0x1000
	v_lshrrev_b32_e32 v38, 5, v0
	v_mad_co_u64_u32 v[14:15], null, s28, v13, 0
	v_lshlrev_b32_e32 v37, 4, v2
	v_mad_co_u64_u32 v[2:3], null, s28, v12, 0
	v_lshlrev_b32_e32 v5, 4, v36
	v_and_b32_e32 v7, 31, v0
	v_lshrrev_b32_e32 v0, 3, v0
	s_wait_kmcnt 0x0
	v_cmp_gt_i32_e32 vcc_lo, s7, v12
	s_delay_alu instid0(VALU_DEP_3) | instskip(NEXT) | instid1(VALU_DEP_3)
	v_or_b32_e32 v4, s0, v7
	v_add_nc_u32_e32 v16, s1, v0
	v_lshlrev_b32_e32 v7, 4, v7
	v_lshl_or_b32 v8, v0, 7, v5
	v_mov_b32_e32 v0, v3
	v_ashrrev_i32_e32 v5, 31, v4
	v_cmp_gt_i32_e64 s0, s7, v4
	v_lshl_or_b32 v39, v38, 9, v7
	v_add_nc_u32_e32 v40, 0x1000, v8
	v_mad_co_u64_u32 v[7:8], null, s29, v12, v[0:1]
	v_mov_b32_e32 v0, v15
	v_cmp_le_i32_e64 s25, s7, v4
	s_or_b32 s11, s3, s4
	s_xor_b32 s3, s2, -1
	v_cmp_gt_i32_e64 s1, s7, v16
	v_mad_co_u64_u32 v[10:11], null, s29, v13, v[0:1]
	v_mov_b32_e32 v3, v7
	s_or_b32 s28, s5, s3
	v_cmp_gt_i32_e64 s3, s7, v13
	v_lshlrev_b32_e32 v42, 4, v16
	s_mov_b32 s7, 0
	s_and_b32 s44, s11, s10
	v_mov_b32_e32 v15, v10
	v_cmp_le_i32_e64 s2, v6, v12
	v_add_nc_u32_e32 v8, 16, v6
	v_cmp_le_i32_e64 s4, v6, v13
	v_lshlrev_b64_e32 v[10:11], 4, v[4:5]
	v_lshlrev_b64_e32 v[14:15], 4, v[14:15]
	s_and_b32 s33, vcc_lo, s2
	v_cmp_le_i32_e64 s2, v8, v12
	v_cmp_le_i32_e64 s5, v8, v13
	v_lshlrev_b64_e32 v[12:13], 4, v[2:3]
	v_ashrrev_i32_e32 v7, 31, v6
	v_ashrrev_i32_e32 v9, 31, v8
	s_and_b32 s29, vcc_lo, s2
	s_and_b32 s34, s3, s4
	s_and_b32 s35, s3, s5
	s_lshl_b64 s[2:3], s[22:23], 4
	s_lshl_b64 s[4:5], s[16:17], 4
	;; [unrolled: 1-line block ×3, first 2 shown]
                                        ; implicit-def: $vgpr16_vgpr17
	s_branch .LBB542_7
.LBB542_6:                              ;   in Loop: Header=BB542_7 Depth=1
	s_wait_alu 0xfffe
	s_or_b32 exec_lo, exec_lo, s16
	s_add_co_i32 s6, s6, 0x10000
	s_wait_alu 0xfffe
	s_cmp_lt_u32 s6, s24
	s_cbranch_scc0 .LBB542_40
.LBB542_7:                              ; =>This Loop Header: Depth=1
                                        ;     Child Loop BB542_10 Depth 2
	s_wait_alu 0xfffe
	s_lshl_b64 s[16:17], s[6:7], 3
	v_mov_b32_e32 v32, 0
	s_wait_alu 0xfffe
	s_add_nc_u64 s[22:23], s[26:27], s[16:17]
	v_mov_b32_e32 v33, 0
	global_load_b64 v[18:19], v1, s[22:23]
	s_and_not1_b32 vcc_lo, exec_lo, s44
	s_wait_alu 0xfffe
	s_cbranch_vccnz .LBB542_18
; %bb.8:                                ;   in Loop: Header=BB542_7 Depth=1
	s_add_nc_u64 s[22:23], s[12:13], s[16:17]
	s_add_nc_u64 s[16:17], s[18:19], s[16:17]
	s_clause 0x1
	global_load_b64 v[2:3], v1, s[22:23]
	global_load_b64 v[4:5], v1, s[16:17]
	v_mov_b32_e32 v20, 0
	v_mov_b32_e32 v26, 0
	;; [unrolled: 1-line block ×3, first 2 shown]
	v_dual_mov_b32 v34, 0 :: v_dual_mov_b32 v21, 0
	v_dual_mov_b32 v22, 0 :: v_dual_mov_b32 v27, 0
	;; [unrolled: 1-line block ×5, first 2 shown]
	v_mov_b32_e32 v25, 0
	v_mov_b32_e32 v29, 0
	;; [unrolled: 1-line block ×3, first 2 shown]
	s_mov_b64 s[16:17], 0
	s_wait_loadcnt 0x1
	v_add_co_u32 v0, vcc_lo, v2, s4
	s_wait_alu 0xfffd
	v_add_co_ci_u32_e64 v2, null, s5, v3, vcc_lo
	s_wait_loadcnt 0x0
	v_add_co_u32 v3, vcc_lo, v4, s2
	s_wait_alu 0xfffd
	v_add_co_ci_u32_e64 v4, null, s3, v5, vcc_lo
	v_add_co_u32 v43, vcc_lo, v0, v10
	s_wait_alu 0xfffd
	v_add_co_ci_u32_e64 v44, null, v2, v11, vcc_lo
	;; [unrolled: 3-line block ×3, first 2 shown]
	s_branch .LBB542_10
.LBB542_9:                              ;   in Loop: Header=BB542_10 Depth=2
	s_or_b32 exec_lo, exec_lo, s22
	ds_store_b128 v40, v[2:5]
	s_wait_dscnt 0x0
	s_barrier_signal -1
	s_barrier_wait -1
	global_inv scope:SCOPE_SE
	ds_load_b128 v[2:5], v41
	ds_load_b128 v[47:50], v37
	ds_load_b128 v[51:54], v37 offset:256
	ds_load_b128 v[55:58], v41 offset:2048
	;; [unrolled: 1-line block ×10, first 2 shown]
	s_add_nc_u64 s[16:17], s[16:17], 8
	s_wait_alu 0xfffe
	v_cmp_gt_i64_e64 s22, s[8:9], s[16:17]
	s_and_b32 vcc_lo, exec_lo, s22
	s_wait_dscnt 0xa
	v_mul_f64_e32 v[91:92], v[4:5], v[49:50]
	v_mul_f64_e32 v[93:94], v[2:3], v[49:50]
	s_wait_dscnt 0x9
	v_mul_f64_e32 v[95:96], v[4:5], v[53:54]
	v_mul_f64_e32 v[97:98], v[2:3], v[53:54]
	;; [unrolled: 3-line block ×3, first 2 shown]
	v_mul_f64_e32 v[101:102], v[57:58], v[53:54]
	v_mul_f64_e32 v[53:54], v[55:56], v[53:54]
	s_wait_dscnt 0x5
	v_mul_f64_e32 v[103:104], v[61:62], v[69:70]
	v_mul_f64_e32 v[105:106], v[59:60], v[69:70]
	s_wait_dscnt 0x4
	v_mul_f64_e32 v[107:108], v[61:62], v[73:74]
	v_mul_f64_e32 v[109:110], v[59:60], v[73:74]
	;; [unrolled: 1-line block ×6, first 2 shown]
	s_wait_dscnt 0x2
	v_mul_f64_e32 v[119:120], v[77:78], v[81:82]
	v_mul_f64_e32 v[121:122], v[75:76], v[81:82]
	s_wait_dscnt 0x1
	v_mul_f64_e32 v[123:124], v[77:78], v[85:86]
	v_mul_f64_e32 v[125:126], v[75:76], v[85:86]
	;; [unrolled: 3-line block ×3, first 2 shown]
	v_mul_f64_e32 v[129:130], v[89:90], v[85:86]
	v_mul_f64_e32 v[85:86], v[87:88], v[85:86]
	v_fma_f64 v[91:92], v[2:3], v[47:48], -v[91:92]
	v_fma_f64 v[93:94], v[4:5], v[47:48], v[93:94]
	v_fma_f64 v[95:96], v[2:3], v[51:52], -v[95:96]
	v_fma_f64 v[97:98], v[4:5], v[51:52], v[97:98]
	;; [unrolled: 2-line block ×8, first 2 shown]
	ds_load_b128 v[2:5], v41 offset:48
	ds_load_b128 v[47:50], v37 offset:1536
	;; [unrolled: 1-line block ×4, first 2 shown]
	v_fma_f64 v[119:120], v[75:76], v[79:80], -v[119:120]
	v_fma_f64 v[121:122], v[77:78], v[79:80], v[121:122]
	v_fma_f64 v[75:76], v[75:76], v[83:84], -v[123:124]
	v_fma_f64 v[77:78], v[77:78], v[83:84], v[125:126]
	;; [unrolled: 2-line block ×4, first 2 shown]
	s_wait_dscnt 0x2
	v_mul_f64_e32 v[109:110], v[2:3], v[49:50]
	s_wait_dscnt 0x1
	v_mul_f64_e32 v[111:112], v[4:5], v[53:54]
	v_mul_f64_e32 v[113:114], v[2:3], v[53:54]
	v_add_f64_e32 v[69:70], v[32:33], v[91:92]
	v_add_f64_e32 v[71:72], v[93:94], v[34:35]
	;; [unrolled: 1-line block ×8, first 2 shown]
	v_mul_f64_e32 v[101:102], v[4:5], v[49:50]
	s_wait_dscnt 0x0
	v_mul_f64_e32 v[115:116], v[57:58], v[49:50]
	v_mul_f64_e32 v[49:50], v[55:56], v[49:50]
	v_mul_f64_e32 v[117:118], v[57:58], v[53:54]
	v_mul_f64_e32 v[53:54], v[55:56], v[53:54]
	ds_load_b128 v[20:23], v41 offset:64
	ds_load_b128 v[24:27], v37 offset:2048
	;; [unrolled: 1-line block ×4, first 2 shown]
	s_wait_dscnt 0x1
	v_mul_f64_e32 v[125:126], v[20:21], v[30:31]
	s_wait_dscnt 0x0
	v_mul_f64_e32 v[127:128], v[34:35], v[26:27]
	v_mul_f64_e32 v[129:130], v[34:35], v[30:31]
	v_fma_f64 v[109:110], v[4:5], v[47:48], v[109:110]
	v_fma_f64 v[111:112], v[2:3], v[51:52], -v[111:112]
	v_fma_f64 v[113:114], v[4:5], v[51:52], v[113:114]
	v_add_f64_e32 v[85:86], v[69:70], v[103:104]
	v_add_f64_e32 v[87:88], v[105:106], v[71:72]
	;; [unrolled: 1-line block ×8, first 2 shown]
	v_mul_f64_e32 v[103:104], v[22:23], v[26:27]
	v_mul_f64_e32 v[105:106], v[20:21], v[26:27]
	;; [unrolled: 1-line block ×5, first 2 shown]
	v_fma_f64 v[101:102], v[2:3], v[47:48], -v[101:102]
	v_fma_f64 v[115:116], v[55:56], v[47:48], -v[115:116]
	v_fma_f64 v[131:132], v[57:58], v[47:48], v[49:50]
	v_fma_f64 v[117:118], v[55:56], v[51:52], -v[117:118]
	v_fma_f64 v[133:134], v[57:58], v[51:52], v[53:54]
	ds_load_b128 v[59:62], v41 offset:80
	ds_load_b128 v[63:66], v37 offset:2560
	;; [unrolled: 1-line block ×8, first 2 shown]
	v_add_f64_e32 v[85:86], v[85:86], v[119:120]
	v_add_f64_e32 v[87:88], v[121:122], v[87:88]
	;; [unrolled: 1-line block ×8, first 2 shown]
	s_wait_dscnt 0x6
	v_mul_f64_e32 v[91:92], v[61:62], v[65:66]
	v_mul_f64_e32 v[93:94], v[59:60], v[65:66]
	s_wait_dscnt 0x5
	v_mul_f64_e32 v[95:96], v[61:62], v[69:70]
	v_mul_f64_e32 v[97:98], v[59:60], v[69:70]
	s_wait_dscnt 0x4
	v_mul_f64_e32 v[99:100], v[73:74], v[65:66]
	v_mul_f64_e32 v[65:66], v[71:72], v[65:66]
	v_mul_f64_e32 v[119:120], v[73:74], v[69:70]
	v_mul_f64_e32 v[69:70], v[71:72], v[69:70]
	v_fma_f64 v[103:104], v[20:21], v[24:25], -v[103:104]
	v_fma_f64 v[105:106], v[22:23], v[24:25], v[105:106]
	v_fma_f64 v[107:108], v[20:21], v[28:29], -v[107:108]
	v_fma_f64 v[121:122], v[22:23], v[28:29], v[125:126]
	;; [unrolled: 2-line block ×4, first 2 shown]
	ds_load_b128 v[20:23], v41 offset:112
	ds_load_b128 v[24:27], v37 offset:3584
	;; [unrolled: 1-line block ×4, first 2 shown]
	s_wait_loadcnt_dscnt 0x0
	s_barrier_signal -1
	s_barrier_wait -1
	global_inv scope:SCOPE_SE
	v_add_f64_e32 v[85:86], v[85:86], v[101:102]
	v_add_f64_e32 v[87:88], v[109:110], v[87:88]
	v_add_f64_e32 v[75:76], v[75:76], v[111:112]
	v_add_f64_e32 v[77:78], v[113:114], v[77:78]
	v_add_f64_e32 v[89:90], v[89:90], v[115:116]
	v_add_f64_e32 v[79:80], v[131:132], v[79:80]
	v_add_f64_e32 v[81:82], v[81:82], v[117:118]
	v_add_f64_e32 v[83:84], v[133:134], v[83:84]
	v_mul_f64_e32 v[101:102], v[4:5], v[49:50]
	v_mul_f64_e32 v[109:110], v[2:3], v[49:50]
	v_mul_f64_e32 v[111:112], v[4:5], v[53:54]
	v_mul_f64_e32 v[113:114], v[2:3], v[53:54]
	v_mul_f64_e32 v[115:116], v[57:58], v[49:50]
	v_mul_f64_e32 v[49:50], v[55:56], v[49:50]
	v_mul_f64_e32 v[117:118], v[57:58], v[53:54]
	v_mul_f64_e32 v[53:54], v[55:56], v[53:54]
	v_fma_f64 v[91:92], v[59:60], v[63:64], -v[91:92]
	v_fma_f64 v[93:94], v[61:62], v[63:64], v[93:94]
	v_fma_f64 v[59:60], v[59:60], v[67:68], -v[95:96]
	v_fma_f64 v[61:62], v[61:62], v[67:68], v[97:98]
	;; [unrolled: 2-line block ×4, first 2 shown]
	v_mul_f64_e32 v[97:98], v[20:21], v[30:31]
	v_mul_f64_e32 v[99:100], v[34:35], v[26:27]
	v_add_f64_e32 v[69:70], v[85:86], v[103:104]
	v_add_f64_e32 v[71:72], v[105:106], v[87:88]
	;; [unrolled: 1-line block ×8, first 2 shown]
	v_mul_f64_e32 v[85:86], v[22:23], v[26:27]
	v_mul_f64_e32 v[87:88], v[20:21], v[26:27]
	;; [unrolled: 1-line block ×6, first 2 shown]
	v_fma_f64 v[101:102], v[2:3], v[47:48], -v[101:102]
	v_fma_f64 v[105:106], v[4:5], v[47:48], v[109:110]
	v_fma_f64 v[2:3], v[2:3], v[51:52], -v[111:112]
	v_fma_f64 v[4:5], v[4:5], v[51:52], v[113:114]
	;; [unrolled: 2-line block ×4, first 2 shown]
	v_add_f64_e32 v[53:54], v[69:70], v[91:92]
	v_add_f64_e32 v[55:56], v[93:94], v[71:72]
	;; [unrolled: 1-line block ×8, first 2 shown]
	v_fma_f64 v[69:70], v[20:21], v[24:25], -v[85:86]
	v_fma_f64 v[71:72], v[22:23], v[24:25], v[87:88]
	v_fma_f64 v[20:21], v[20:21], v[28:29], -v[89:90]
	v_fma_f64 v[22:23], v[22:23], v[28:29], v[97:98]
	v_fma_f64 v[73:74], v[32:33], v[24:25], -v[99:100]
	v_fma_f64 v[26:27], v[34:35], v[24:25], v[26:27]
	v_fma_f64 v[75:76], v[32:33], v[28:29], -v[103:104]
	v_fma_f64 v[77:78], v[34:35], v[28:29], v[30:31]
	v_add_f64_e32 v[24:25], v[53:54], v[101:102]
	v_add_f64_e32 v[28:29], v[105:106], v[55:56]
	;; [unrolled: 1-line block ×16, first 2 shown]
	s_wait_alu 0xfffe
	s_cbranch_vccz .LBB542_19
.LBB542_10:                             ;   Parent Loop BB542_7 Depth=1
                                        ; =>  This Inner Loop Header: Depth=2
	s_mov_b32 s22, 0
	s_mov_b32 s30, s25
	s_and_saveexec_b32 s23, s0
	s_cbranch_execnz .LBB542_16
; %bb.11:                               ;   in Loop: Header=BB542_10 Depth=2
	s_or_b32 exec_lo, exec_lo, s23
	s_and_saveexec_b32 s23, s30
	s_delay_alu instid0(SALU_CYCLE_1)
	s_xor_b32 s23, exec_lo, s23
	s_cbranch_execnz .LBB542_17
.LBB542_12:                             ;   in Loop: Header=BB542_10 Depth=2
	s_or_b32 exec_lo, exec_lo, s23
	s_and_saveexec_b32 s23, s22
	s_cbranch_execz .LBB542_14
.LBB542_13:                             ;   in Loop: Header=BB542_10 Depth=2
	v_mul_lo_u32 v0, s15, v16
	v_mul_lo_u32 v4, s14, v17
	v_mad_co_u64_u32 v[2:3], null, s14, v16, 0
	s_delay_alu instid0(VALU_DEP_1) | instskip(NEXT) | instid1(VALU_DEP_1)
	v_add3_u32 v3, v3, v4, v0
	v_lshlrev_b64_e32 v[2:3], 4, v[2:3]
	s_delay_alu instid0(VALU_DEP_1) | instskip(SKIP_1) | instid1(VALU_DEP_2)
	v_add_co_u32 v2, vcc_lo, v43, v2
	s_wait_alu 0xfffd
	v_add_co_ci_u32_e64 v3, null, v44, v3, vcc_lo
	flat_load_b128 v[2:5], v[2:3]
	s_wait_loadcnt_dscnt 0x0
	ds_store_2addr_b64 v39, v[2:3], v[4:5] offset1:1
.LBB542_14:                             ;   in Loop: Header=BB542_10 Depth=2
	s_or_b32 exec_lo, exec_lo, s23
	s_wait_alu 0xfffe
	v_add_nc_u32_e32 v0, s16, v36
	v_mov_b32_e32 v2, 0
	v_dual_mov_b32 v3, 0 :: v_dual_mov_b32 v4, 0
	v_mov_b32_e32 v5, 0
	s_delay_alu instid0(VALU_DEP_4) | instskip(SKIP_1) | instid1(SALU_CYCLE_1)
	v_cmp_gt_u64_e32 vcc_lo, s[8:9], v[0:1]
	s_and_b32 s23, vcc_lo, s1
	s_and_saveexec_b32 s22, s23
	s_cbranch_execz .LBB542_9
; %bb.15:                               ;   in Loop: Header=BB542_10 Depth=2
	v_mad_co_u64_u32 v[2:3], null, s20, v0, 0
	s_delay_alu instid0(VALU_DEP_1) | instskip(NEXT) | instid1(VALU_DEP_1)
	v_mad_co_u64_u32 v[3:4], null, s21, v0, v[3:4]
	v_lshlrev_b64_e32 v[2:3], 4, v[2:3]
	s_delay_alu instid0(VALU_DEP_1) | instskip(SKIP_1) | instid1(VALU_DEP_2)
	v_add_co_u32 v2, vcc_lo, v45, v2
	s_wait_alu 0xfffd
	v_add_co_ci_u32_e64 v3, null, v46, v3, vcc_lo
	flat_load_b128 v[2:5], v[2:3]
	s_wait_loadcnt_dscnt 0x0
	v_xor_b32_e32 v5, 0x80000000, v5
	s_branch .LBB542_9
.LBB542_16:                             ;   in Loop: Header=BB542_10 Depth=2
	s_wait_alu 0xfffe
	v_add_nc_u32_e32 v0, s16, v38
	v_mov_b32_e32 v17, v1
	s_and_not1_b32 s30, s25, exec_lo
	s_mov_b32 s22, exec_lo
	s_delay_alu instid0(VALU_DEP_2) | instskip(SKIP_2) | instid1(SALU_CYCLE_1)
	v_cmp_le_u64_e32 vcc_lo, s[8:9], v[0:1]
	v_mov_b32_e32 v16, v0
	s_and_b32 s31, vcc_lo, exec_lo
	s_or_b32 s30, s30, s31
	s_or_b32 exec_lo, exec_lo, s23
	s_and_saveexec_b32 s23, s30
	s_delay_alu instid0(SALU_CYCLE_1)
	s_xor_b32 s23, exec_lo, s23
	s_cbranch_execz .LBB542_12
.LBB542_17:                             ;   in Loop: Header=BB542_10 Depth=2
	v_dual_mov_b32 v0, v1 :: v_dual_mov_b32 v3, v1
	v_mov_b32_e32 v2, v1
	s_and_not1_b32 s22, s22, exec_lo
	ds_store_b128 v39, v[0:3]
	s_or_b32 exec_lo, exec_lo, s23
	s_and_saveexec_b32 s23, s22
	s_cbranch_execnz .LBB542_13
	s_branch .LBB542_14
.LBB542_18:                             ;   in Loop: Header=BB542_7 Depth=1
	v_mov_b32_e32 v34, 0
	v_mov_b32_e32 v30, 0
	v_dual_mov_b32 v26, 0 :: v_dual_mov_b32 v35, 0
	v_dual_mov_b32 v28, 0 :: v_dual_mov_b32 v31, 0
	;; [unrolled: 1-line block ×3, first 2 shown]
	v_mov_b32_e32 v22, 0
	v_dual_mov_b32 v20, 0 :: v_dual_mov_b32 v29, 0
	v_mov_b32_e32 v25, 0
	v_mov_b32_e32 v23, 0
	;; [unrolled: 1-line block ×3, first 2 shown]
.LBB542_19:                             ;   in Loop: Header=BB542_7 Depth=1
	s_wait_loadcnt 0x0
	v_add_co_u32 v0, vcc_lo, v18, s10
	s_wait_alu 0xfffd
	v_add_co_ci_u32_e64 v18, null, s11, v19, vcc_lo
	s_delay_alu instid0(VALU_DEP_2) | instskip(SKIP_1) | instid1(VALU_DEP_2)
	v_add_co_u32 v19, vcc_lo, v0, v12
	s_wait_alu 0xfffd
	v_add_co_ci_u32_e64 v43, null, v18, v13, vcc_lo
	s_and_saveexec_b32 s16, s33
	s_cbranch_execz .LBB542_24
; %bb.20:                               ;   in Loop: Header=BB542_7 Depth=1
	v_mul_f64_e32 v[2:3], s[42:43], v[34:35]
	v_mul_f64_e32 v[4:5], s[40:41], v[34:35]
	s_and_b32 vcc_lo, exec_lo, s28
	s_mov_b32 s17, -1
	s_delay_alu instid0(VALU_DEP_2) | instskip(NEXT) | instid1(VALU_DEP_2)
	v_fma_f64 v[2:3], s[40:41], v[32:33], -v[2:3]
	v_fma_f64 v[4:5], s[42:43], v[32:33], v[4:5]
	s_wait_alu 0xfffe
	s_cbranch_vccz .LBB542_22
; %bb.21:                               ;   in Loop: Header=BB542_7 Depth=1
	v_lshlrev_b64_e32 v[32:33], 4, v[6:7]
	s_mov_b32 s17, 0
	s_delay_alu instid0(VALU_DEP_1) | instskip(SKIP_1) | instid1(VALU_DEP_2)
	v_add_co_u32 v44, vcc_lo, v19, v32
	s_wait_alu 0xfffd
	v_add_co_ci_u32_e64 v45, null, v43, v33, vcc_lo
	flat_load_b128 v[32:35], v[44:45]
	s_wait_loadcnt_dscnt 0x0
	v_mul_f64_e32 v[46:47], s[38:39], v[34:35]
	v_mul_f64_e32 v[34:35], s[36:37], v[34:35]
	s_delay_alu instid0(VALU_DEP_2) | instskip(NEXT) | instid1(VALU_DEP_2)
	v_fma_f64 v[46:47], s[36:37], v[32:33], -v[46:47]
	v_fma_f64 v[34:35], s[38:39], v[32:33], v[34:35]
	s_delay_alu instid0(VALU_DEP_2) | instskip(NEXT) | instid1(VALU_DEP_2)
	v_add_f64_e32 v[32:33], v[2:3], v[46:47]
	v_add_f64_e32 v[34:35], v[4:5], v[34:35]
	flat_store_b128 v[44:45], v[32:35]
.LBB542_22:                             ;   in Loop: Header=BB542_7 Depth=1
	s_wait_alu 0xfffe
	s_and_not1_b32 vcc_lo, exec_lo, s17
	s_wait_alu 0xfffe
	s_cbranch_vccnz .LBB542_24
; %bb.23:                               ;   in Loop: Header=BB542_7 Depth=1
	v_lshlrev_b64_e32 v[32:33], 4, v[6:7]
	s_delay_alu instid0(VALU_DEP_1) | instskip(SKIP_1) | instid1(VALU_DEP_2)
	v_add_co_u32 v32, vcc_lo, v19, v32
	s_wait_alu 0xfffd
	v_add_co_ci_u32_e64 v33, null, v43, v33, vcc_lo
	flat_store_b128 v[32:33], v[2:5]
.LBB542_24:                             ;   in Loop: Header=BB542_7 Depth=1
	s_wait_alu 0xfffe
	s_or_b32 exec_lo, exec_lo, s16
	s_and_saveexec_b32 s16, s29
	s_cbranch_execz .LBB542_29
; %bb.25:                               ;   in Loop: Header=BB542_7 Depth=1
	v_mul_f64_e32 v[2:3], s[42:43], v[30:31]
	v_mul_f64_e32 v[4:5], s[40:41], v[30:31]
	s_and_not1_b32 vcc_lo, exec_lo, s28
	s_mov_b32 s17, -1
	s_delay_alu instid0(VALU_DEP_2) | instskip(NEXT) | instid1(VALU_DEP_2)
	v_fma_f64 v[2:3], s[40:41], v[28:29], -v[2:3]
	v_fma_f64 v[4:5], s[42:43], v[28:29], v[4:5]
	s_wait_alu 0xfffe
	s_cbranch_vccnz .LBB542_27
; %bb.26:                               ;   in Loop: Header=BB542_7 Depth=1
	v_lshlrev_b64_e32 v[28:29], 4, v[8:9]
	s_mov_b32 s17, 0
	s_delay_alu instid0(VALU_DEP_1) | instskip(SKIP_1) | instid1(VALU_DEP_2)
	v_add_co_u32 v32, vcc_lo, v19, v28
	s_wait_alu 0xfffd
	v_add_co_ci_u32_e64 v33, null, v43, v29, vcc_lo
	flat_load_b128 v[28:31], v[32:33]
	s_wait_loadcnt_dscnt 0x0
	v_mul_f64_e32 v[34:35], s[38:39], v[30:31]
	v_mul_f64_e32 v[30:31], s[36:37], v[30:31]
	s_delay_alu instid0(VALU_DEP_2) | instskip(NEXT) | instid1(VALU_DEP_2)
	v_fma_f64 v[34:35], s[36:37], v[28:29], -v[34:35]
	v_fma_f64 v[30:31], s[38:39], v[28:29], v[30:31]
	s_delay_alu instid0(VALU_DEP_2) | instskip(NEXT) | instid1(VALU_DEP_2)
	v_add_f64_e32 v[28:29], v[2:3], v[34:35]
	v_add_f64_e32 v[30:31], v[4:5], v[30:31]
	flat_store_b128 v[32:33], v[28:31]
.LBB542_27:                             ;   in Loop: Header=BB542_7 Depth=1
	s_wait_alu 0xfffe
	s_and_not1_b32 vcc_lo, exec_lo, s17
	s_wait_alu 0xfffe
	s_cbranch_vccnz .LBB542_29
; %bb.28:                               ;   in Loop: Header=BB542_7 Depth=1
	v_lshlrev_b64_e32 v[28:29], 4, v[8:9]
	s_delay_alu instid0(VALU_DEP_1) | instskip(SKIP_1) | instid1(VALU_DEP_2)
	v_add_co_u32 v28, vcc_lo, v19, v28
	s_wait_alu 0xfffd
	v_add_co_ci_u32_e64 v29, null, v43, v29, vcc_lo
	flat_store_b128 v[28:29], v[2:5]
.LBB542_29:                             ;   in Loop: Header=BB542_7 Depth=1
	s_wait_alu 0xfffe
	s_or_b32 exec_lo, exec_lo, s16
	v_add_co_u32 v0, vcc_lo, v0, v14
	s_wait_alu 0xfffd
	v_add_co_ci_u32_e64 v28, null, v18, v15, vcc_lo
	s_and_saveexec_b32 s16, s34
	s_cbranch_execz .LBB542_34
; %bb.30:                               ;   in Loop: Header=BB542_7 Depth=1
	v_mul_f64_e32 v[2:3], s[42:43], v[26:27]
	v_mul_f64_e32 v[4:5], s[40:41], v[26:27]
	v_lshlrev_b64_e32 v[18:19], 4, v[6:7]
	s_and_not1_b32 vcc_lo, exec_lo, s28
	s_mov_b32 s17, -1
	s_delay_alu instid0(VALU_DEP_3) | instskip(NEXT) | instid1(VALU_DEP_3)
	v_fma_f64 v[2:3], s[40:41], v[24:25], -v[2:3]
	v_fma_f64 v[4:5], s[42:43], v[24:25], v[4:5]
	s_wait_alu 0xfffe
	s_cbranch_vccnz .LBB542_32
; %bb.31:                               ;   in Loop: Header=BB542_7 Depth=1
	v_add_co_u32 v29, vcc_lo, v0, v18
	s_wait_alu 0xfffd
	v_add_co_ci_u32_e64 v30, null, v28, v19, vcc_lo
	s_mov_b32 s17, 0
	flat_load_b128 v[24:27], v[29:30]
	s_wait_loadcnt_dscnt 0x0
	v_mul_f64_e32 v[31:32], s[38:39], v[26:27]
	v_mul_f64_e32 v[26:27], s[36:37], v[26:27]
	s_delay_alu instid0(VALU_DEP_2) | instskip(NEXT) | instid1(VALU_DEP_2)
	v_fma_f64 v[31:32], s[36:37], v[24:25], -v[31:32]
	v_fma_f64 v[26:27], s[38:39], v[24:25], v[26:27]
	s_delay_alu instid0(VALU_DEP_2) | instskip(NEXT) | instid1(VALU_DEP_2)
	v_add_f64_e32 v[24:25], v[2:3], v[31:32]
	v_add_f64_e32 v[26:27], v[4:5], v[26:27]
	flat_store_b128 v[29:30], v[24:27]
.LBB542_32:                             ;   in Loop: Header=BB542_7 Depth=1
	s_wait_alu 0xfffe
	s_and_not1_b32 vcc_lo, exec_lo, s17
	s_wait_alu 0xfffe
	s_cbranch_vccnz .LBB542_34
; %bb.33:                               ;   in Loop: Header=BB542_7 Depth=1
	v_add_co_u32 v18, vcc_lo, v0, v18
	s_wait_alu 0xfffd
	v_add_co_ci_u32_e64 v19, null, v28, v19, vcc_lo
	flat_store_b128 v[18:19], v[2:5]
.LBB542_34:                             ;   in Loop: Header=BB542_7 Depth=1
	s_wait_alu 0xfffe
	s_or_b32 exec_lo, exec_lo, s16
	s_and_saveexec_b32 s16, s35
	s_cbranch_execz .LBB542_6
; %bb.35:                               ;   in Loop: Header=BB542_7 Depth=1
	v_mul_f64_e32 v[2:3], s[42:43], v[20:21]
	v_mul_f64_e32 v[4:5], s[40:41], v[20:21]
	v_lshlrev_b64_e32 v[18:19], 4, v[8:9]
	s_and_not1_b32 vcc_lo, exec_lo, s28
	s_mov_b32 s17, -1
	s_delay_alu instid0(VALU_DEP_3) | instskip(NEXT) | instid1(VALU_DEP_3)
	v_fma_f64 v[2:3], s[40:41], v[22:23], -v[2:3]
	v_fma_f64 v[4:5], s[42:43], v[22:23], v[4:5]
	s_wait_alu 0xfffe
	s_cbranch_vccnz .LBB542_37
; %bb.36:                               ;   in Loop: Header=BB542_7 Depth=1
	v_add_co_u32 v24, vcc_lo, v0, v18
	s_wait_alu 0xfffd
	v_add_co_ci_u32_e64 v25, null, v28, v19, vcc_lo
	s_mov_b32 s17, 0
	flat_load_b128 v[20:23], v[24:25]
	s_wait_loadcnt_dscnt 0x0
	v_mul_f64_e32 v[26:27], s[38:39], v[22:23]
	v_mul_f64_e32 v[22:23], s[36:37], v[22:23]
	s_delay_alu instid0(VALU_DEP_2) | instskip(NEXT) | instid1(VALU_DEP_2)
	v_fma_f64 v[26:27], s[36:37], v[20:21], -v[26:27]
	v_fma_f64 v[22:23], s[38:39], v[20:21], v[22:23]
	s_delay_alu instid0(VALU_DEP_2) | instskip(NEXT) | instid1(VALU_DEP_2)
	v_add_f64_e32 v[20:21], v[2:3], v[26:27]
	v_add_f64_e32 v[22:23], v[4:5], v[22:23]
	flat_store_b128 v[24:25], v[20:23]
.LBB542_37:                             ;   in Loop: Header=BB542_7 Depth=1
	s_wait_alu 0xfffe
	s_and_not1_b32 vcc_lo, exec_lo, s17
	s_wait_alu 0xfffe
	s_cbranch_vccnz .LBB542_6
; %bb.38:                               ;   in Loop: Header=BB542_7 Depth=1
	v_add_co_u32 v18, vcc_lo, v0, v18
	s_wait_alu 0xfffd
	v_add_co_ci_u32_e64 v19, null, v28, v19, vcc_lo
	flat_store_b128 v[18:19], v[2:5]
	s_branch .LBB542_6
.LBB542_39:
.LBB542_40:
	s_nop 0
	s_sendmsg sendmsg(MSG_DEALLOC_VGPRS)
	s_endpgm
	.section	.rodata,"a",@progbits
	.p2align	6, 0x0
	.amdhsa_kernel _ZL29rocblas_internal_gemmt_kernelIlLi16ELi32ELi8ELc78ELc67ELc85ELb0ELb1E19rocblas_complex_numIdEPKS1_PKS3_PKPS1_EviT_T9_T10_S9_lSB_S9_lSA_T11_S9_li
		.amdhsa_group_segment_fixed_size 8192
		.amdhsa_private_segment_fixed_size 0
		.amdhsa_kernarg_size 108
		.amdhsa_user_sgpr_count 2
		.amdhsa_user_sgpr_dispatch_ptr 0
		.amdhsa_user_sgpr_queue_ptr 0
		.amdhsa_user_sgpr_kernarg_segment_ptr 1
		.amdhsa_user_sgpr_dispatch_id 0
		.amdhsa_user_sgpr_private_segment_size 0
		.amdhsa_wavefront_size32 1
		.amdhsa_uses_dynamic_stack 0
		.amdhsa_enable_private_segment 0
		.amdhsa_system_sgpr_workgroup_id_x 1
		.amdhsa_system_sgpr_workgroup_id_y 1
		.amdhsa_system_sgpr_workgroup_id_z 1
		.amdhsa_system_sgpr_workgroup_info 0
		.amdhsa_system_vgpr_workitem_id 1
		.amdhsa_next_free_vgpr 135
		.amdhsa_next_free_sgpr 45
		.amdhsa_reserve_vcc 1
		.amdhsa_float_round_mode_32 0
		.amdhsa_float_round_mode_16_64 0
		.amdhsa_float_denorm_mode_32 3
		.amdhsa_float_denorm_mode_16_64 3
		.amdhsa_fp16_overflow 0
		.amdhsa_workgroup_processor_mode 1
		.amdhsa_memory_ordered 1
		.amdhsa_forward_progress 1
		.amdhsa_inst_pref_size 28
		.amdhsa_round_robin_scheduling 0
		.amdhsa_exception_fp_ieee_invalid_op 0
		.amdhsa_exception_fp_denorm_src 0
		.amdhsa_exception_fp_ieee_div_zero 0
		.amdhsa_exception_fp_ieee_overflow 0
		.amdhsa_exception_fp_ieee_underflow 0
		.amdhsa_exception_fp_ieee_inexact 0
		.amdhsa_exception_int_div_zero 0
	.end_amdhsa_kernel
	.section	.text._ZL29rocblas_internal_gemmt_kernelIlLi16ELi32ELi8ELc78ELc67ELc85ELb0ELb1E19rocblas_complex_numIdEPKS1_PKS3_PKPS1_EviT_T9_T10_S9_lSB_S9_lSA_T11_S9_li,"axG",@progbits,_ZL29rocblas_internal_gemmt_kernelIlLi16ELi32ELi8ELc78ELc67ELc85ELb0ELb1E19rocblas_complex_numIdEPKS1_PKS3_PKPS1_EviT_T9_T10_S9_lSB_S9_lSA_T11_S9_li,comdat
.Lfunc_end542:
	.size	_ZL29rocblas_internal_gemmt_kernelIlLi16ELi32ELi8ELc78ELc67ELc85ELb0ELb1E19rocblas_complex_numIdEPKS1_PKS3_PKPS1_EviT_T9_T10_S9_lSB_S9_lSA_T11_S9_li, .Lfunc_end542-_ZL29rocblas_internal_gemmt_kernelIlLi16ELi32ELi8ELc78ELc67ELc85ELb0ELb1E19rocblas_complex_numIdEPKS1_PKS3_PKPS1_EviT_T9_T10_S9_lSB_S9_lSA_T11_S9_li
                                        ; -- End function
	.set _ZL29rocblas_internal_gemmt_kernelIlLi16ELi32ELi8ELc78ELc67ELc85ELb0ELb1E19rocblas_complex_numIdEPKS1_PKS3_PKPS1_EviT_T9_T10_S9_lSB_S9_lSA_T11_S9_li.num_vgpr, 135
	.set _ZL29rocblas_internal_gemmt_kernelIlLi16ELi32ELi8ELc78ELc67ELc85ELb0ELb1E19rocblas_complex_numIdEPKS1_PKS3_PKPS1_EviT_T9_T10_S9_lSB_S9_lSA_T11_S9_li.num_agpr, 0
	.set _ZL29rocblas_internal_gemmt_kernelIlLi16ELi32ELi8ELc78ELc67ELc85ELb0ELb1E19rocblas_complex_numIdEPKS1_PKS3_PKPS1_EviT_T9_T10_S9_lSB_S9_lSA_T11_S9_li.numbered_sgpr, 45
	.set _ZL29rocblas_internal_gemmt_kernelIlLi16ELi32ELi8ELc78ELc67ELc85ELb0ELb1E19rocblas_complex_numIdEPKS1_PKS3_PKPS1_EviT_T9_T10_S9_lSB_S9_lSA_T11_S9_li.num_named_barrier, 0
	.set _ZL29rocblas_internal_gemmt_kernelIlLi16ELi32ELi8ELc78ELc67ELc85ELb0ELb1E19rocblas_complex_numIdEPKS1_PKS3_PKPS1_EviT_T9_T10_S9_lSB_S9_lSA_T11_S9_li.private_seg_size, 0
	.set _ZL29rocblas_internal_gemmt_kernelIlLi16ELi32ELi8ELc78ELc67ELc85ELb0ELb1E19rocblas_complex_numIdEPKS1_PKS3_PKPS1_EviT_T9_T10_S9_lSB_S9_lSA_T11_S9_li.uses_vcc, 1
	.set _ZL29rocblas_internal_gemmt_kernelIlLi16ELi32ELi8ELc78ELc67ELc85ELb0ELb1E19rocblas_complex_numIdEPKS1_PKS3_PKPS1_EviT_T9_T10_S9_lSB_S9_lSA_T11_S9_li.uses_flat_scratch, 0
	.set _ZL29rocblas_internal_gemmt_kernelIlLi16ELi32ELi8ELc78ELc67ELc85ELb0ELb1E19rocblas_complex_numIdEPKS1_PKS3_PKPS1_EviT_T9_T10_S9_lSB_S9_lSA_T11_S9_li.has_dyn_sized_stack, 0
	.set _ZL29rocblas_internal_gemmt_kernelIlLi16ELi32ELi8ELc78ELc67ELc85ELb0ELb1E19rocblas_complex_numIdEPKS1_PKS3_PKPS1_EviT_T9_T10_S9_lSB_S9_lSA_T11_S9_li.has_recursion, 0
	.set _ZL29rocblas_internal_gemmt_kernelIlLi16ELi32ELi8ELc78ELc67ELc85ELb0ELb1E19rocblas_complex_numIdEPKS1_PKS3_PKPS1_EviT_T9_T10_S9_lSB_S9_lSA_T11_S9_li.has_indirect_call, 0
	.section	.AMDGPU.csdata,"",@progbits
; Kernel info:
; codeLenInByte = 3560
; TotalNumSgprs: 47
; NumVgprs: 135
; ScratchSize: 0
; MemoryBound: 1
; FloatMode: 240
; IeeeMode: 1
; LDSByteSize: 8192 bytes/workgroup (compile time only)
; SGPRBlocks: 0
; VGPRBlocks: 16
; NumSGPRsForWavesPerEU: 47
; NumVGPRsForWavesPerEU: 135
; Occupancy: 10
; WaveLimiterHint : 1
; COMPUTE_PGM_RSRC2:SCRATCH_EN: 0
; COMPUTE_PGM_RSRC2:USER_SGPR: 2
; COMPUTE_PGM_RSRC2:TRAP_HANDLER: 0
; COMPUTE_PGM_RSRC2:TGID_X_EN: 1
; COMPUTE_PGM_RSRC2:TGID_Y_EN: 1
; COMPUTE_PGM_RSRC2:TGID_Z_EN: 1
; COMPUTE_PGM_RSRC2:TIDIG_COMP_CNT: 1
	.section	.text._ZL29rocblas_internal_gemmt_kernelIlLi16ELi32ELi8ELc84ELc78ELc85ELb0ELb0E19rocblas_complex_numIdEPKS1_PKS3_PKPS1_EviT_T9_T10_S9_lSB_S9_lSA_T11_S9_li,"axG",@progbits,_ZL29rocblas_internal_gemmt_kernelIlLi16ELi32ELi8ELc84ELc78ELc85ELb0ELb0E19rocblas_complex_numIdEPKS1_PKS3_PKPS1_EviT_T9_T10_S9_lSB_S9_lSA_T11_S9_li,comdat
	.globl	_ZL29rocblas_internal_gemmt_kernelIlLi16ELi32ELi8ELc84ELc78ELc85ELb0ELb0E19rocblas_complex_numIdEPKS1_PKS3_PKPS1_EviT_T9_T10_S9_lSB_S9_lSA_T11_S9_li ; -- Begin function _ZL29rocblas_internal_gemmt_kernelIlLi16ELi32ELi8ELc84ELc78ELc85ELb0ELb0E19rocblas_complex_numIdEPKS1_PKS3_PKPS1_EviT_T9_T10_S9_lSB_S9_lSA_T11_S9_li
	.p2align	8
	.type	_ZL29rocblas_internal_gemmt_kernelIlLi16ELi32ELi8ELc84ELc78ELc85ELb0ELb0E19rocblas_complex_numIdEPKS1_PKS3_PKPS1_EviT_T9_T10_S9_lSB_S9_lSA_T11_S9_li,@function
_ZL29rocblas_internal_gemmt_kernelIlLi16ELi32ELi8ELc84ELc78ELc85ELb0ELb0E19rocblas_complex_numIdEPKS1_PKS3_PKPS1_EviT_T9_T10_S9_lSB_S9_lSA_T11_S9_li: ; @_ZL29rocblas_internal_gemmt_kernelIlLi16ELi32ELi8ELc84ELc78ELc85ELb0ELb0E19rocblas_complex_numIdEPKS1_PKS3_PKPS1_EviT_T9_T10_S9_lSB_S9_lSA_T11_S9_li
; %bb.0:
	s_clause 0x1
	s_load_b256 s[24:31], s[0:1], 0x48
	s_load_b512 s[8:23], s[0:1], 0x8
	s_wait_kmcnt 0x0
	s_load_b128 s[36:39], s[24:25], 0x0
	s_load_b128 s[40:43], s[10:11], 0x0
	s_wait_kmcnt 0x0
	v_cmp_eq_f64_e64 s3, s[36:37], 1.0
	v_cmp_eq_f64_e64 s2, s[38:39], 0
	s_and_b32 s3, s3, s2
	s_delay_alu instid0(SALU_CYCLE_1)
	s_and_not1_b32 vcc_lo, exec_lo, s3
	s_mov_b32 s3, -1
	s_cbranch_vccnz .LBB543_3
; %bb.1:
	s_cmp_lg_u64 s[8:9], 0
	s_cbranch_scc0 .LBB543_41
; %bb.2:
	v_cmp_neq_f64_e64 s3, s[40:41], 0
	v_cmp_neq_f64_e64 s4, s[42:43], 0
	s_or_b32 s3, s3, s4
.LBB543_3:
	s_delay_alu instid0(SALU_CYCLE_1)
	s_and_b32 vcc_lo, exec_lo, s3
	s_cbranch_vccz .LBB543_42
; %bb.4:
	s_load_b32 s24, s[0:1], 0x68
	s_lshr_b32 s6, ttmp7, 16
	s_wait_kmcnt 0x0
	s_cmp_ge_u32 s6, s24
	s_cbranch_scc1 .LBB543_42
; %bb.5:
	v_bfe_u32 v7, v0, 10, 10
	s_load_b32 s5, s[0:1], 0x0
	s_lshl_b32 s0, ttmp7, 5
	v_and_b32_e32 v6, 0x3ff, v0
	s_and_b32 s0, s0, 0x1fffe0
	v_cmp_neq_f64_e64 s3, s[40:41], 0
	v_add_nc_u32_e32 v12, s0, v7
	v_cmp_neq_f64_e64 s4, s[42:43], 0
	s_lshl_b32 s1, ttmp9, 5
	v_cmp_neq_f64_e64 s7, s[36:37], 0
	s_wait_alu 0xfffe
	s_ashr_i32 s11, s1, 31
	v_add_nc_u32_e32 v14, 16, v12
	v_mad_co_u64_u32 v[4:5], null, s28, v12, 0
	s_mul_i32 s11, s14, s11
	v_cmp_gt_i64_e64 s10, s[8:9], 0
	v_mad_co_u64_u32 v[16:17], null, s28, v14, 0
	v_and_b32_e32 v36, 7, v0
	v_lshl_add_u32 v0, v7, 4, v6
	v_lshl_add_u32 v41, v7, 7, 0x1000
                                        ; implicit-def: $vgpr18_vgpr19
	s_delay_alu instid0(VALU_DEP_2) | instskip(SKIP_2) | instid1(VALU_DEP_3)
	v_lshrrev_b32_e32 v1, 3, v0
	v_and_b32_e32 v10, 31, v0
	v_lshrrev_b32_e32 v37, 5, v0
	v_add_nc_u32_e32 v8, s0, v1
	s_delay_alu instid0(VALU_DEP_3) | instskip(SKIP_1) | instid1(VALU_DEP_3)
	v_or_b32_e32 v13, s1, v10
	v_lshlrev_b32_e32 v15, 4, v10
	v_mad_co_u64_u32 v[2:3], null, s20, v8, 0
	v_lshlrev_b32_e32 v9, 4, v36
	s_delay_alu instid0(VALU_DEP_4)
	v_mad_co_u64_u32 v[10:11], null, s14, v13, 0
	s_wait_kmcnt 0x0
	v_cmp_gt_i32_e64 s0, s5, v13
	v_cmp_le_i32_e64 s20, s5, v13
	v_mov_b32_e32 v0, v3
	v_lshl_or_b32 v9, v1, 7, v9
	v_mul_lo_u32 v3, s15, v13
	s_delay_alu instid0(VALU_DEP_3) | instskip(NEXT) | instid1(VALU_DEP_3)
	v_mad_co_u64_u32 v[0:1], null, s21, v8, v[0:1]
	v_add_nc_u32_e32 v39, 0x1000, v9
	s_delay_alu instid0(VALU_DEP_3) | instskip(SKIP_2) | instid1(VALU_DEP_3)
	v_add3_u32 v11, v11, s11, v3
	s_or_b32 s11, s3, s4
	s_xor_b32 s3, s2, -1
	v_dual_mov_b32 v3, v0 :: v_dual_mov_b32 v0, v5
	v_lshlrev_b32_e32 v40, 4, v6
	v_add_nc_u32_e32 v6, s1, v6
	s_or_b32 s21, s7, s3
	v_cmp_gt_i32_e64 s3, s5, v14
	v_mad_co_u64_u32 v[0:1], null, s29, v12, v[0:1]
	v_mov_b32_e32 v1, v17
	v_cmp_le_i32_e64 s4, v6, v14
	v_lshl_or_b32 v38, v37, 9, v15
	v_lshlrev_b64_e32 v[10:11], 4, v[10:11]
	v_ashrrev_i32_e32 v7, 31, v6
	s_mov_b32 s7, 0
	v_mov_b32_e32 v5, v0
	v_mad_co_u64_u32 v[0:1], null, s29, v14, v[1:2]
	v_cmp_gt_i32_e32 vcc_lo, s5, v8
	v_dual_mov_b32 v1, 0 :: v_dual_add_nc_u32 v8, 16, v6
	s_and_b32 s28, s3, s4
	s_wait_alu 0xfffe
	s_and_b32 s33, s11, s10
	s_lshl_b64 s[10:11], s[30:31], 4
	s_delay_alu instid0(VALU_DEP_3)
	v_mov_b32_e32 v17, v0
	v_cmp_gt_i32_e64 s1, s5, v12
	v_cmp_le_i32_e64 s2, v6, v12
	v_cmp_le_i32_e64 s5, v8, v14
	v_lshlrev_b64_e32 v[14:15], 4, v[4:5]
	v_lshlrev_b64_e32 v[16:17], 4, v[16:17]
	v_ashrrev_i32_e32 v9, 31, v8
	s_and_b32 s25, s1, s2
	v_cmp_le_i32_e64 s2, v8, v12
	v_lshlrev_b64_e32 v[12:13], 4, v[2:3]
	s_and_b32 s29, s3, s5
	s_lshl_b64 s[4:5], s[16:17], 4
	s_xor_b32 s16, vcc_lo, -1
	s_and_b32 s1, s1, s2
	s_lshl_b64 s[2:3], s[22:23], 4
	s_branch .LBB543_7
.LBB543_6:                              ;   in Loop: Header=BB543_7 Depth=1
	s_wait_alu 0xfffe
	s_or_b32 exec_lo, exec_lo, s14
	s_add_co_i32 s6, s6, 0x10000
	s_delay_alu instid0(SALU_CYCLE_1)
	s_cmp_lt_u32 s6, s24
	s_cbranch_scc0 .LBB543_42
.LBB543_7:                              ; =>This Loop Header: Depth=1
                                        ;     Child Loop BB543_10 Depth 2
	s_lshl_b64 s[14:15], s[6:7], 3
	v_mov_b32_e32 v32, 0
	s_wait_alu 0xfffe
	s_add_nc_u64 s[22:23], s[26:27], s[14:15]
	v_mov_b32_e32 v33, 0
	global_load_b64 v[4:5], v1, s[22:23]
	s_and_not1_b32 vcc_lo, exec_lo, s33
	s_wait_alu 0xfffe
	s_cbranch_vccnz .LBB543_20
; %bb.8:                                ;   in Loop: Header=BB543_7 Depth=1
	s_add_nc_u64 s[22:23], s[12:13], s[14:15]
	s_add_nc_u64 s[14:15], s[18:19], s[14:15]
	s_clause 0x1
	global_load_b64 v[2:3], v1, s[22:23]
	global_load_b64 v[42:43], v1, s[14:15]
	v_mov_b32_e32 v20, 0
	v_mov_b32_e32 v26, 0
	;; [unrolled: 1-line block ×3, first 2 shown]
	v_dual_mov_b32 v34, 0 :: v_dual_mov_b32 v21, 0
	v_dual_mov_b32 v22, 0 :: v_dual_mov_b32 v27, 0
	;; [unrolled: 1-line block ×5, first 2 shown]
	v_mov_b32_e32 v25, 0
	v_mov_b32_e32 v29, 0
	;; [unrolled: 1-line block ×3, first 2 shown]
	s_mov_b64 s[14:15], 0
	s_wait_loadcnt 0x1
	v_add_co_u32 v0, vcc_lo, v2, s4
	s_wait_alu 0xfffd
	v_add_co_ci_u32_e64 v2, null, s5, v3, vcc_lo
	s_wait_loadcnt 0x0
	v_add_co_u32 v3, vcc_lo, v42, s2
	s_wait_alu 0xfffd
	v_add_co_ci_u32_e64 v45, null, s3, v43, vcc_lo
	v_add_co_u32 v42, vcc_lo, v0, v10
	s_wait_alu 0xfffd
	v_add_co_ci_u32_e64 v43, null, v2, v11, vcc_lo
	v_add_co_u32 v44, vcc_lo, v3, v12
	s_wait_alu 0xfffd
	v_add_co_ci_u32_e64 v45, null, v45, v13, vcc_lo
	s_branch .LBB543_10
.LBB543_9:                              ;   in Loop: Header=BB543_10 Depth=2
	s_or_b32 exec_lo, exec_lo, s17
	s_wait_dscnt 0x0
	s_barrier_signal -1
	s_barrier_wait -1
	global_inv scope:SCOPE_SE
	ds_load_b128 v[46:49], v41
	ds_load_b128 v[50:53], v40
	ds_load_b128 v[54:57], v40 offset:256
	ds_load_b128 v[58:61], v41 offset:2048
	;; [unrolled: 1-line block ×10, first 2 shown]
	s_add_nc_u64 s[14:15], s[14:15], 8
	s_wait_alu 0xfffe
	v_cmp_gt_i64_e64 s17, s[8:9], s[14:15]
	s_and_b32 vcc_lo, exec_lo, s17
	s_wait_dscnt 0xa
	v_mul_f64_e32 v[2:3], v[48:49], v[52:53]
	v_mul_f64_e32 v[94:95], v[46:47], v[52:53]
	s_wait_dscnt 0x9
	v_mul_f64_e32 v[96:97], v[48:49], v[56:57]
	v_mul_f64_e32 v[98:99], v[46:47], v[56:57]
	;; [unrolled: 3-line block ×3, first 2 shown]
	v_mul_f64_e32 v[102:103], v[60:61], v[56:57]
	v_mul_f64_e32 v[56:57], v[58:59], v[56:57]
	s_wait_dscnt 0x5
	v_mul_f64_e32 v[104:105], v[64:65], v[72:73]
	v_mul_f64_e32 v[106:107], v[62:63], v[72:73]
	s_wait_dscnt 0x4
	v_mul_f64_e32 v[108:109], v[64:65], v[76:77]
	v_mul_f64_e32 v[110:111], v[62:63], v[76:77]
	;; [unrolled: 1-line block ×6, first 2 shown]
	s_wait_dscnt 0x2
	v_mul_f64_e32 v[120:121], v[80:81], v[84:85]
	v_mul_f64_e32 v[122:123], v[78:79], v[84:85]
	s_wait_dscnt 0x1
	v_mul_f64_e32 v[124:125], v[80:81], v[88:89]
	v_mul_f64_e32 v[126:127], v[78:79], v[88:89]
	;; [unrolled: 3-line block ×3, first 2 shown]
	v_mul_f64_e32 v[130:131], v[92:93], v[88:89]
	v_mul_f64_e32 v[88:89], v[90:91], v[88:89]
	v_fma_f64 v[2:3], v[46:47], v[50:51], -v[2:3]
	v_fma_f64 v[94:95], v[48:49], v[50:51], v[94:95]
	v_fma_f64 v[96:97], v[46:47], v[54:55], -v[96:97]
	v_fma_f64 v[98:99], v[48:49], v[54:55], v[98:99]
	v_fma_f64 v[100:101], v[58:59], v[50:51], -v[100:101]
	v_fma_f64 v[116:117], v[60:61], v[50:51], v[52:53]
	v_fma_f64 v[102:103], v[58:59], v[54:55], -v[102:103]
	v_fma_f64 v[118:119], v[60:61], v[54:55], v[56:57]
	v_fma_f64 v[104:105], v[62:63], v[70:71], -v[104:105]
	v_fma_f64 v[106:107], v[64:65], v[70:71], v[106:107]
	v_fma_f64 v[62:63], v[62:63], v[74:75], -v[108:109]
	v_fma_f64 v[64:65], v[64:65], v[74:75], v[110:111]
	v_fma_f64 v[108:109], v[66:67], v[70:71], -v[112:113]
	v_fma_f64 v[70:71], v[68:69], v[70:71], v[72:73]
	v_fma_f64 v[66:67], v[66:67], v[74:75], -v[114:115]
	v_fma_f64 v[68:69], v[68:69], v[74:75], v[76:77]
	ds_load_b128 v[46:49], v41 offset:48
	ds_load_b128 v[50:53], v40 offset:1536
	;; [unrolled: 1-line block ×4, first 2 shown]
	v_fma_f64 v[120:121], v[78:79], v[82:83], -v[120:121]
	v_fma_f64 v[122:123], v[80:81], v[82:83], v[122:123]
	v_fma_f64 v[78:79], v[78:79], v[86:87], -v[124:125]
	v_fma_f64 v[80:81], v[80:81], v[86:87], v[126:127]
	;; [unrolled: 2-line block ×4, first 2 shown]
	s_wait_dscnt 0x2
	v_mul_f64_e32 v[110:111], v[46:47], v[52:53]
	s_wait_dscnt 0x1
	v_mul_f64_e32 v[112:113], v[48:49], v[56:57]
	v_mul_f64_e32 v[114:115], v[46:47], v[56:57]
	v_add_f64_e32 v[2:3], v[32:33], v[2:3]
	v_add_f64_e32 v[72:73], v[94:95], v[34:35]
	;; [unrolled: 1-line block ×8, first 2 shown]
	v_mul_f64_e32 v[102:103], v[48:49], v[52:53]
	s_wait_dscnt 0x0
	v_mul_f64_e32 v[116:117], v[60:61], v[52:53]
	v_mul_f64_e32 v[52:53], v[58:59], v[52:53]
	;; [unrolled: 1-line block ×4, first 2 shown]
	ds_load_b128 v[20:23], v41 offset:64
	ds_load_b128 v[24:27], v40 offset:2048
	;; [unrolled: 1-line block ×4, first 2 shown]
	s_wait_dscnt 0x1
	v_mul_f64_e32 v[126:127], v[20:21], v[30:31]
	s_wait_dscnt 0x0
	v_mul_f64_e32 v[128:129], v[34:35], v[26:27]
	v_mul_f64_e32 v[130:131], v[34:35], v[30:31]
	v_fma_f64 v[110:111], v[48:49], v[50:51], v[110:111]
	v_fma_f64 v[112:113], v[46:47], v[54:55], -v[112:113]
	v_fma_f64 v[114:115], v[48:49], v[54:55], v[114:115]
	v_add_f64_e32 v[2:3], v[2:3], v[104:105]
	v_add_f64_e32 v[88:89], v[106:107], v[72:73]
	;; [unrolled: 1-line block ×8, first 2 shown]
	v_mul_f64_e32 v[104:105], v[22:23], v[26:27]
	v_mul_f64_e32 v[106:107], v[20:21], v[26:27]
	;; [unrolled: 1-line block ×5, first 2 shown]
	v_fma_f64 v[102:103], v[46:47], v[50:51], -v[102:103]
	v_fma_f64 v[116:117], v[58:59], v[50:51], -v[116:117]
	v_fma_f64 v[132:133], v[60:61], v[50:51], v[52:53]
	v_fma_f64 v[118:119], v[58:59], v[54:55], -v[118:119]
	v_fma_f64 v[134:135], v[60:61], v[54:55], v[56:57]
	ds_load_b128 v[62:65], v41 offset:80
	ds_load_b128 v[66:69], v40 offset:2560
	;; [unrolled: 1-line block ×8, first 2 shown]
	v_add_f64_e32 v[2:3], v[2:3], v[120:121]
	v_add_f64_e32 v[88:89], v[122:123], v[88:89]
	v_add_f64_e32 v[78:79], v[90:91], v[78:79]
	v_add_f64_e32 v[80:81], v[80:81], v[92:93]
	v_add_f64_e32 v[90:91], v[94:95], v[124:125]
	v_add_f64_e32 v[82:83], v[82:83], v[96:97]
	v_add_f64_e32 v[84:85], v[98:99], v[84:85]
	v_add_f64_e32 v[86:87], v[86:87], v[100:101]
	s_wait_dscnt 0x6
	v_mul_f64_e32 v[92:93], v[64:65], v[68:69]
	v_mul_f64_e32 v[94:95], v[62:63], v[68:69]
	s_wait_dscnt 0x5
	v_mul_f64_e32 v[96:97], v[64:65], v[72:73]
	v_mul_f64_e32 v[98:99], v[62:63], v[72:73]
	;; [unrolled: 3-line block ×3, first 2 shown]
	v_mul_f64_e32 v[120:121], v[76:77], v[72:73]
	v_mul_f64_e32 v[72:73], v[74:75], v[72:73]
	v_fma_f64 v[104:105], v[20:21], v[24:25], -v[104:105]
	v_fma_f64 v[106:107], v[22:23], v[24:25], v[106:107]
	v_fma_f64 v[108:109], v[20:21], v[28:29], -v[108:109]
	v_fma_f64 v[122:123], v[22:23], v[28:29], v[126:127]
	;; [unrolled: 2-line block ×4, first 2 shown]
	ds_load_b128 v[20:23], v41 offset:112
	ds_load_b128 v[24:27], v40 offset:3584
	;; [unrolled: 1-line block ×4, first 2 shown]
	s_wait_loadcnt_dscnt 0x0
	s_barrier_signal -1
	s_barrier_wait -1
	global_inv scope:SCOPE_SE
	v_add_f64_e32 v[2:3], v[2:3], v[102:103]
	v_add_f64_e32 v[88:89], v[110:111], v[88:89]
	;; [unrolled: 1-line block ×8, first 2 shown]
	v_mul_f64_e32 v[102:103], v[48:49], v[52:53]
	v_mul_f64_e32 v[110:111], v[46:47], v[52:53]
	;; [unrolled: 1-line block ×8, first 2 shown]
	v_fma_f64 v[92:93], v[62:63], v[66:67], -v[92:93]
	v_fma_f64 v[94:95], v[64:65], v[66:67], v[94:95]
	v_fma_f64 v[62:63], v[62:63], v[70:71], -v[96:97]
	v_fma_f64 v[64:65], v[64:65], v[70:71], v[98:99]
	;; [unrolled: 2-line block ×4, first 2 shown]
	v_mul_f64_e32 v[98:99], v[20:21], v[30:31]
	v_mul_f64_e32 v[100:101], v[34:35], v[26:27]
	v_add_f64_e32 v[2:3], v[2:3], v[104:105]
	v_add_f64_e32 v[72:73], v[106:107], v[88:89]
	;; [unrolled: 1-line block ×8, first 2 shown]
	v_mul_f64_e32 v[86:87], v[22:23], v[26:27]
	v_mul_f64_e32 v[88:89], v[20:21], v[26:27]
	;; [unrolled: 1-line block ×6, first 2 shown]
	v_fma_f64 v[102:103], v[46:47], v[50:51], -v[102:103]
	v_fma_f64 v[106:107], v[48:49], v[50:51], v[110:111]
	v_fma_f64 v[46:47], v[46:47], v[54:55], -v[112:113]
	v_fma_f64 v[48:49], v[48:49], v[54:55], v[114:115]
	;; [unrolled: 2-line block ×4, first 2 shown]
	v_add_f64_e32 v[2:3], v[2:3], v[92:93]
	v_add_f64_e32 v[56:57], v[94:95], v[72:73]
	;; [unrolled: 1-line block ×8, first 2 shown]
	v_fma_f64 v[70:71], v[20:21], v[24:25], -v[86:87]
	v_fma_f64 v[72:73], v[22:23], v[24:25], v[88:89]
	v_fma_f64 v[20:21], v[20:21], v[28:29], -v[90:91]
	v_fma_f64 v[22:23], v[22:23], v[28:29], v[98:99]
	;; [unrolled: 2-line block ×4, first 2 shown]
	v_add_f64_e32 v[2:3], v[2:3], v[102:103]
	v_add_f64_e32 v[24:25], v[106:107], v[56:57]
	;; [unrolled: 1-line block ×16, first 2 shown]
	s_wait_alu 0xfffe
	s_cbranch_vccz .LBB543_21
.LBB543_10:                             ;   Parent Loop BB543_7 Depth=1
                                        ; =>  This Inner Loop Header: Depth=2
	s_mov_b32 s17, 0
	s_mov_b32 s23, s20
	s_and_saveexec_b32 s22, s0
	s_cbranch_execnz .LBB543_18
; %bb.11:                               ;   in Loop: Header=BB543_10 Depth=2
	s_or_b32 exec_lo, exec_lo, s22
	s_and_saveexec_b32 s22, s23
	s_delay_alu instid0(SALU_CYCLE_1)
	s_xor_b32 s22, exec_lo, s22
	s_cbranch_execnz .LBB543_19
.LBB543_12:                             ;   in Loop: Header=BB543_10 Depth=2
	s_or_b32 exec_lo, exec_lo, s22
	s_and_saveexec_b32 s22, s17
	s_cbranch_execz .LBB543_14
.LBB543_13:                             ;   in Loop: Header=BB543_10 Depth=2
	v_lshlrev_b64_e32 v[2:3], 4, v[18:19]
	s_delay_alu instid0(VALU_DEP_1) | instskip(SKIP_1) | instid1(VALU_DEP_2)
	v_add_co_u32 v2, vcc_lo, v42, v2
	s_wait_alu 0xfffd
	v_add_co_ci_u32_e64 v3, null, v43, v3, vcc_lo
	flat_load_b128 v[46:49], v[2:3]
	s_wait_loadcnt_dscnt 0x0
	ds_store_2addr_b64 v38, v[46:47], v[48:49] offset1:1
.LBB543_14:                             ;   in Loop: Header=BB543_10 Depth=2
	s_or_b32 exec_lo, exec_lo, s22
	s_wait_alu 0xfffe
	v_add_nc_u32_e32 v0, s14, v36
	s_delay_alu instid0(VALU_DEP_1) | instskip(SKIP_1) | instid1(SALU_CYCLE_1)
	v_cmp_le_u64_e32 vcc_lo, s[8:9], v[0:1]
	s_or_b32 s17, vcc_lo, s16
	s_and_saveexec_b32 s22, s17
	s_delay_alu instid0(SALU_CYCLE_1)
	s_xor_b32 s17, exec_lo, s22
; %bb.15:                               ;   in Loop: Header=BB543_10 Depth=2
	v_dual_mov_b32 v0, v1 :: v_dual_mov_b32 v3, v1
	v_mov_b32_e32 v2, v1
	ds_store_b128 v39, v[0:3]
; %bb.16:                               ;   in Loop: Header=BB543_10 Depth=2
	s_and_not1_saveexec_b32 s17, s17
	s_cbranch_execz .LBB543_9
; %bb.17:                               ;   in Loop: Header=BB543_10 Depth=2
	v_lshlrev_b64_e32 v[2:3], 4, v[0:1]
	s_delay_alu instid0(VALU_DEP_1) | instskip(SKIP_1) | instid1(VALU_DEP_2)
	v_add_co_u32 v2, vcc_lo, v44, v2
	s_wait_alu 0xfffd
	v_add_co_ci_u32_e64 v3, null, v45, v3, vcc_lo
	flat_load_b128 v[46:49], v[2:3]
	s_wait_loadcnt_dscnt 0x0
	ds_store_2addr_b64 v39, v[46:47], v[48:49] offset1:1
	s_branch .LBB543_9
.LBB543_18:                             ;   in Loop: Header=BB543_10 Depth=2
	s_wait_alu 0xfffe
	v_add_nc_u32_e32 v0, s14, v37
	v_mov_b32_e32 v19, v1
	s_and_not1_b32 s23, s20, exec_lo
	s_mov_b32 s17, exec_lo
	s_delay_alu instid0(VALU_DEP_2) | instskip(SKIP_2) | instid1(SALU_CYCLE_1)
	v_cmp_le_u64_e32 vcc_lo, s[8:9], v[0:1]
	v_mov_b32_e32 v18, v0
	s_and_b32 s30, vcc_lo, exec_lo
	s_or_b32 s23, s23, s30
	s_or_b32 exec_lo, exec_lo, s22
	s_and_saveexec_b32 s22, s23
	s_delay_alu instid0(SALU_CYCLE_1)
	s_xor_b32 s22, exec_lo, s22
	s_cbranch_execz .LBB543_12
.LBB543_19:                             ;   in Loop: Header=BB543_10 Depth=2
	v_dual_mov_b32 v0, v1 :: v_dual_mov_b32 v3, v1
	v_mov_b32_e32 v2, v1
	s_and_not1_b32 s17, s17, exec_lo
	ds_store_b128 v38, v[0:3]
	s_or_b32 exec_lo, exec_lo, s22
	s_and_saveexec_b32 s22, s17
	s_cbranch_execnz .LBB543_13
	s_branch .LBB543_14
.LBB543_20:                             ;   in Loop: Header=BB543_7 Depth=1
	v_mov_b32_e32 v34, 0
	v_mov_b32_e32 v30, 0
	v_dual_mov_b32 v26, 0 :: v_dual_mov_b32 v35, 0
	v_dual_mov_b32 v28, 0 :: v_dual_mov_b32 v31, 0
	;; [unrolled: 1-line block ×3, first 2 shown]
	v_mov_b32_e32 v22, 0
	v_dual_mov_b32 v20, 0 :: v_dual_mov_b32 v29, 0
	v_mov_b32_e32 v25, 0
	v_mov_b32_e32 v23, 0
	;; [unrolled: 1-line block ×3, first 2 shown]
.LBB543_21:                             ;   in Loop: Header=BB543_7 Depth=1
	s_wait_loadcnt 0x0
	v_add_co_u32 v0, vcc_lo, v4, s10
	s_wait_alu 0xfffd
	v_add_co_ci_u32_e64 v42, null, s11, v5, vcc_lo
	s_delay_alu instid0(VALU_DEP_2) | instskip(SKIP_1) | instid1(VALU_DEP_2)
	v_add_co_u32 v43, vcc_lo, v0, v14
	s_wait_alu 0xfffd
	v_add_co_ci_u32_e64 v44, null, v42, v15, vcc_lo
	s_and_saveexec_b32 s14, s25
	s_cbranch_execz .LBB543_26
; %bb.22:                               ;   in Loop: Header=BB543_7 Depth=1
	v_mul_f64_e32 v[2:3], s[42:43], v[34:35]
	v_mul_f64_e32 v[4:5], s[40:41], v[34:35]
	s_and_b32 vcc_lo, exec_lo, s21
	s_mov_b32 s15, -1
	s_delay_alu instid0(VALU_DEP_2) | instskip(NEXT) | instid1(VALU_DEP_2)
	v_fma_f64 v[2:3], s[40:41], v[32:33], -v[2:3]
	v_fma_f64 v[4:5], s[42:43], v[32:33], v[4:5]
	s_wait_alu 0xfffe
	s_cbranch_vccz .LBB543_24
; %bb.23:                               ;   in Loop: Header=BB543_7 Depth=1
	v_lshlrev_b64_e32 v[32:33], 4, v[6:7]
	s_mov_b32 s15, 0
	s_delay_alu instid0(VALU_DEP_1) | instskip(SKIP_1) | instid1(VALU_DEP_2)
	v_add_co_u32 v45, vcc_lo, v43, v32
	s_wait_alu 0xfffd
	v_add_co_ci_u32_e64 v46, null, v44, v33, vcc_lo
	flat_load_b128 v[32:35], v[45:46]
	s_wait_loadcnt_dscnt 0x0
	v_mul_f64_e32 v[47:48], s[38:39], v[34:35]
	v_mul_f64_e32 v[34:35], s[36:37], v[34:35]
	s_delay_alu instid0(VALU_DEP_2) | instskip(NEXT) | instid1(VALU_DEP_2)
	v_fma_f64 v[47:48], s[36:37], v[32:33], -v[47:48]
	v_fma_f64 v[34:35], s[38:39], v[32:33], v[34:35]
	s_delay_alu instid0(VALU_DEP_2) | instskip(NEXT) | instid1(VALU_DEP_2)
	v_add_f64_e32 v[32:33], v[2:3], v[47:48]
	v_add_f64_e32 v[34:35], v[4:5], v[34:35]
	flat_store_b128 v[45:46], v[32:35]
.LBB543_24:                             ;   in Loop: Header=BB543_7 Depth=1
	s_wait_alu 0xfffe
	s_and_not1_b32 vcc_lo, exec_lo, s15
	s_wait_alu 0xfffe
	s_cbranch_vccnz .LBB543_26
; %bb.25:                               ;   in Loop: Header=BB543_7 Depth=1
	v_lshlrev_b64_e32 v[32:33], 4, v[6:7]
	s_delay_alu instid0(VALU_DEP_1) | instskip(SKIP_1) | instid1(VALU_DEP_2)
	v_add_co_u32 v32, vcc_lo, v43, v32
	s_wait_alu 0xfffd
	v_add_co_ci_u32_e64 v33, null, v44, v33, vcc_lo
	flat_store_b128 v[32:33], v[2:5]
.LBB543_26:                             ;   in Loop: Header=BB543_7 Depth=1
	s_wait_alu 0xfffe
	s_or_b32 exec_lo, exec_lo, s14
	s_and_saveexec_b32 s14, s1
	s_cbranch_execz .LBB543_31
; %bb.27:                               ;   in Loop: Header=BB543_7 Depth=1
	v_mul_f64_e32 v[2:3], s[42:43], v[30:31]
	v_mul_f64_e32 v[4:5], s[40:41], v[30:31]
	s_and_not1_b32 vcc_lo, exec_lo, s21
	s_mov_b32 s15, -1
	s_delay_alu instid0(VALU_DEP_2) | instskip(NEXT) | instid1(VALU_DEP_2)
	v_fma_f64 v[2:3], s[40:41], v[28:29], -v[2:3]
	v_fma_f64 v[4:5], s[42:43], v[28:29], v[4:5]
	s_wait_alu 0xfffe
	s_cbranch_vccnz .LBB543_29
; %bb.28:                               ;   in Loop: Header=BB543_7 Depth=1
	v_lshlrev_b64_e32 v[28:29], 4, v[8:9]
	s_mov_b32 s15, 0
	s_delay_alu instid0(VALU_DEP_1) | instskip(SKIP_1) | instid1(VALU_DEP_2)
	v_add_co_u32 v32, vcc_lo, v43, v28
	s_wait_alu 0xfffd
	v_add_co_ci_u32_e64 v33, null, v44, v29, vcc_lo
	flat_load_b128 v[28:31], v[32:33]
	s_wait_loadcnt_dscnt 0x0
	v_mul_f64_e32 v[34:35], s[38:39], v[30:31]
	v_mul_f64_e32 v[30:31], s[36:37], v[30:31]
	s_delay_alu instid0(VALU_DEP_2) | instskip(NEXT) | instid1(VALU_DEP_2)
	v_fma_f64 v[34:35], s[36:37], v[28:29], -v[34:35]
	v_fma_f64 v[30:31], s[38:39], v[28:29], v[30:31]
	s_delay_alu instid0(VALU_DEP_2) | instskip(NEXT) | instid1(VALU_DEP_2)
	v_add_f64_e32 v[28:29], v[2:3], v[34:35]
	v_add_f64_e32 v[30:31], v[4:5], v[30:31]
	flat_store_b128 v[32:33], v[28:31]
.LBB543_29:                             ;   in Loop: Header=BB543_7 Depth=1
	s_wait_alu 0xfffe
	s_and_not1_b32 vcc_lo, exec_lo, s15
	s_wait_alu 0xfffe
	s_cbranch_vccnz .LBB543_31
; %bb.30:                               ;   in Loop: Header=BB543_7 Depth=1
	v_lshlrev_b64_e32 v[28:29], 4, v[8:9]
	s_delay_alu instid0(VALU_DEP_1) | instskip(SKIP_1) | instid1(VALU_DEP_2)
	v_add_co_u32 v28, vcc_lo, v43, v28
	s_wait_alu 0xfffd
	v_add_co_ci_u32_e64 v29, null, v44, v29, vcc_lo
	flat_store_b128 v[28:29], v[2:5]
.LBB543_31:                             ;   in Loop: Header=BB543_7 Depth=1
	s_wait_alu 0xfffe
	s_or_b32 exec_lo, exec_lo, s14
	v_add_co_u32 v0, vcc_lo, v0, v16
	s_wait_alu 0xfffd
	v_add_co_ci_u32_e64 v28, null, v42, v17, vcc_lo
	s_and_saveexec_b32 s14, s28
	s_cbranch_execz .LBB543_36
; %bb.32:                               ;   in Loop: Header=BB543_7 Depth=1
	v_mul_f64_e32 v[2:3], s[42:43], v[26:27]
	v_mul_f64_e32 v[4:5], s[40:41], v[26:27]
	s_and_not1_b32 vcc_lo, exec_lo, s21
	s_mov_b32 s15, -1
	s_delay_alu instid0(VALU_DEP_2) | instskip(NEXT) | instid1(VALU_DEP_2)
	v_fma_f64 v[2:3], s[40:41], v[24:25], -v[2:3]
	v_fma_f64 v[4:5], s[42:43], v[24:25], v[4:5]
	v_lshlrev_b64_e32 v[24:25], 4, v[6:7]
	s_wait_alu 0xfffe
	s_cbranch_vccnz .LBB543_34
; %bb.33:                               ;   in Loop: Header=BB543_7 Depth=1
	s_delay_alu instid0(VALU_DEP_1) | instskip(SKIP_1) | instid1(VALU_DEP_2)
	v_add_co_u32 v26, vcc_lo, v0, v24
	s_wait_alu 0xfffd
	v_add_co_ci_u32_e64 v27, null, v28, v25, vcc_lo
	s_mov_b32 s15, 0
	flat_load_b128 v[29:32], v[26:27]
	s_wait_loadcnt_dscnt 0x0
	v_mul_f64_e32 v[33:34], s[38:39], v[31:32]
	v_mul_f64_e32 v[31:32], s[36:37], v[31:32]
	s_delay_alu instid0(VALU_DEP_2) | instskip(NEXT) | instid1(VALU_DEP_2)
	v_fma_f64 v[33:34], s[36:37], v[29:30], -v[33:34]
	v_fma_f64 v[31:32], s[38:39], v[29:30], v[31:32]
	s_delay_alu instid0(VALU_DEP_2) | instskip(NEXT) | instid1(VALU_DEP_2)
	v_add_f64_e32 v[29:30], v[2:3], v[33:34]
	v_add_f64_e32 v[31:32], v[4:5], v[31:32]
	flat_store_b128 v[26:27], v[29:32]
.LBB543_34:                             ;   in Loop: Header=BB543_7 Depth=1
	s_wait_alu 0xfffe
	s_and_not1_b32 vcc_lo, exec_lo, s15
	s_wait_alu 0xfffe
	s_cbranch_vccnz .LBB543_36
; %bb.35:                               ;   in Loop: Header=BB543_7 Depth=1
	v_add_co_u32 v24, vcc_lo, v0, v24
	s_wait_alu 0xfffd
	v_add_co_ci_u32_e64 v25, null, v28, v25, vcc_lo
	flat_store_b128 v[24:25], v[2:5]
.LBB543_36:                             ;   in Loop: Header=BB543_7 Depth=1
	s_wait_alu 0xfffe
	s_or_b32 exec_lo, exec_lo, s14
	s_and_saveexec_b32 s14, s29
	s_cbranch_execz .LBB543_6
; %bb.37:                               ;   in Loop: Header=BB543_7 Depth=1
	v_mul_f64_e32 v[2:3], s[42:43], v[20:21]
	v_mul_f64_e32 v[4:5], s[40:41], v[20:21]
	v_lshlrev_b64_e32 v[20:21], 4, v[8:9]
	s_and_not1_b32 vcc_lo, exec_lo, s21
	s_mov_b32 s15, -1
	s_delay_alu instid0(VALU_DEP_3) | instskip(NEXT) | instid1(VALU_DEP_3)
	v_fma_f64 v[2:3], s[40:41], v[22:23], -v[2:3]
	v_fma_f64 v[4:5], s[42:43], v[22:23], v[4:5]
	s_wait_alu 0xfffe
	s_cbranch_vccnz .LBB543_39
; %bb.38:                               ;   in Loop: Header=BB543_7 Depth=1
	v_add_co_u32 v26, vcc_lo, v0, v20
	s_wait_alu 0xfffd
	v_add_co_ci_u32_e64 v27, null, v28, v21, vcc_lo
	s_mov_b32 s15, 0
	flat_load_b128 v[22:25], v[26:27]
	s_wait_loadcnt_dscnt 0x0
	v_mul_f64_e32 v[29:30], s[38:39], v[24:25]
	v_mul_f64_e32 v[24:25], s[36:37], v[24:25]
	s_delay_alu instid0(VALU_DEP_2) | instskip(NEXT) | instid1(VALU_DEP_2)
	v_fma_f64 v[29:30], s[36:37], v[22:23], -v[29:30]
	v_fma_f64 v[24:25], s[38:39], v[22:23], v[24:25]
	s_delay_alu instid0(VALU_DEP_2) | instskip(NEXT) | instid1(VALU_DEP_2)
	v_add_f64_e32 v[22:23], v[2:3], v[29:30]
	v_add_f64_e32 v[24:25], v[4:5], v[24:25]
	flat_store_b128 v[26:27], v[22:25]
.LBB543_39:                             ;   in Loop: Header=BB543_7 Depth=1
	s_wait_alu 0xfffe
	s_and_not1_b32 vcc_lo, exec_lo, s15
	s_wait_alu 0xfffe
	s_cbranch_vccnz .LBB543_6
; %bb.40:                               ;   in Loop: Header=BB543_7 Depth=1
	v_add_co_u32 v20, vcc_lo, v0, v20
	s_wait_alu 0xfffd
	v_add_co_ci_u32_e64 v21, null, v28, v21, vcc_lo
	flat_store_b128 v[20:21], v[2:5]
	s_branch .LBB543_6
.LBB543_41:
.LBB543_42:
	s_nop 0
	s_sendmsg sendmsg(MSG_DEALLOC_VGPRS)
	s_endpgm
	.section	.rodata,"a",@progbits
	.p2align	6, 0x0
	.amdhsa_kernel _ZL29rocblas_internal_gemmt_kernelIlLi16ELi32ELi8ELc84ELc78ELc85ELb0ELb0E19rocblas_complex_numIdEPKS1_PKS3_PKPS1_EviT_T9_T10_S9_lSB_S9_lSA_T11_S9_li
		.amdhsa_group_segment_fixed_size 8192
		.amdhsa_private_segment_fixed_size 0
		.amdhsa_kernarg_size 108
		.amdhsa_user_sgpr_count 2
		.amdhsa_user_sgpr_dispatch_ptr 0
		.amdhsa_user_sgpr_queue_ptr 0
		.amdhsa_user_sgpr_kernarg_segment_ptr 1
		.amdhsa_user_sgpr_dispatch_id 0
		.amdhsa_user_sgpr_private_segment_size 0
		.amdhsa_wavefront_size32 1
		.amdhsa_uses_dynamic_stack 0
		.amdhsa_enable_private_segment 0
		.amdhsa_system_sgpr_workgroup_id_x 1
		.amdhsa_system_sgpr_workgroup_id_y 1
		.amdhsa_system_sgpr_workgroup_id_z 1
		.amdhsa_system_sgpr_workgroup_info 0
		.amdhsa_system_vgpr_workitem_id 1
		.amdhsa_next_free_vgpr 136
		.amdhsa_next_free_sgpr 44
		.amdhsa_reserve_vcc 1
		.amdhsa_float_round_mode_32 0
		.amdhsa_float_round_mode_16_64 0
		.amdhsa_float_denorm_mode_32 3
		.amdhsa_float_denorm_mode_16_64 3
		.amdhsa_fp16_overflow 0
		.amdhsa_workgroup_processor_mode 1
		.amdhsa_memory_ordered 1
		.amdhsa_forward_progress 1
		.amdhsa_inst_pref_size 29
		.amdhsa_round_robin_scheduling 0
		.amdhsa_exception_fp_ieee_invalid_op 0
		.amdhsa_exception_fp_denorm_src 0
		.amdhsa_exception_fp_ieee_div_zero 0
		.amdhsa_exception_fp_ieee_overflow 0
		.amdhsa_exception_fp_ieee_underflow 0
		.amdhsa_exception_fp_ieee_inexact 0
		.amdhsa_exception_int_div_zero 0
	.end_amdhsa_kernel
	.section	.text._ZL29rocblas_internal_gemmt_kernelIlLi16ELi32ELi8ELc84ELc78ELc85ELb0ELb0E19rocblas_complex_numIdEPKS1_PKS3_PKPS1_EviT_T9_T10_S9_lSB_S9_lSA_T11_S9_li,"axG",@progbits,_ZL29rocblas_internal_gemmt_kernelIlLi16ELi32ELi8ELc84ELc78ELc85ELb0ELb0E19rocblas_complex_numIdEPKS1_PKS3_PKPS1_EviT_T9_T10_S9_lSB_S9_lSA_T11_S9_li,comdat
.Lfunc_end543:
	.size	_ZL29rocblas_internal_gemmt_kernelIlLi16ELi32ELi8ELc84ELc78ELc85ELb0ELb0E19rocblas_complex_numIdEPKS1_PKS3_PKPS1_EviT_T9_T10_S9_lSB_S9_lSA_T11_S9_li, .Lfunc_end543-_ZL29rocblas_internal_gemmt_kernelIlLi16ELi32ELi8ELc84ELc78ELc85ELb0ELb0E19rocblas_complex_numIdEPKS1_PKS3_PKPS1_EviT_T9_T10_S9_lSB_S9_lSA_T11_S9_li
                                        ; -- End function
	.set _ZL29rocblas_internal_gemmt_kernelIlLi16ELi32ELi8ELc84ELc78ELc85ELb0ELb0E19rocblas_complex_numIdEPKS1_PKS3_PKPS1_EviT_T9_T10_S9_lSB_S9_lSA_T11_S9_li.num_vgpr, 136
	.set _ZL29rocblas_internal_gemmt_kernelIlLi16ELi32ELi8ELc84ELc78ELc85ELb0ELb0E19rocblas_complex_numIdEPKS1_PKS3_PKPS1_EviT_T9_T10_S9_lSB_S9_lSA_T11_S9_li.num_agpr, 0
	.set _ZL29rocblas_internal_gemmt_kernelIlLi16ELi32ELi8ELc84ELc78ELc85ELb0ELb0E19rocblas_complex_numIdEPKS1_PKS3_PKPS1_EviT_T9_T10_S9_lSB_S9_lSA_T11_S9_li.numbered_sgpr, 44
	.set _ZL29rocblas_internal_gemmt_kernelIlLi16ELi32ELi8ELc84ELc78ELc85ELb0ELb0E19rocblas_complex_numIdEPKS1_PKS3_PKPS1_EviT_T9_T10_S9_lSB_S9_lSA_T11_S9_li.num_named_barrier, 0
	.set _ZL29rocblas_internal_gemmt_kernelIlLi16ELi32ELi8ELc84ELc78ELc85ELb0ELb0E19rocblas_complex_numIdEPKS1_PKS3_PKPS1_EviT_T9_T10_S9_lSB_S9_lSA_T11_S9_li.private_seg_size, 0
	.set _ZL29rocblas_internal_gemmt_kernelIlLi16ELi32ELi8ELc84ELc78ELc85ELb0ELb0E19rocblas_complex_numIdEPKS1_PKS3_PKPS1_EviT_T9_T10_S9_lSB_S9_lSA_T11_S9_li.uses_vcc, 1
	.set _ZL29rocblas_internal_gemmt_kernelIlLi16ELi32ELi8ELc84ELc78ELc85ELb0ELb0E19rocblas_complex_numIdEPKS1_PKS3_PKPS1_EviT_T9_T10_S9_lSB_S9_lSA_T11_S9_li.uses_flat_scratch, 0
	.set _ZL29rocblas_internal_gemmt_kernelIlLi16ELi32ELi8ELc84ELc78ELc85ELb0ELb0E19rocblas_complex_numIdEPKS1_PKS3_PKPS1_EviT_T9_T10_S9_lSB_S9_lSA_T11_S9_li.has_dyn_sized_stack, 0
	.set _ZL29rocblas_internal_gemmt_kernelIlLi16ELi32ELi8ELc84ELc78ELc85ELb0ELb0E19rocblas_complex_numIdEPKS1_PKS3_PKPS1_EviT_T9_T10_S9_lSB_S9_lSA_T11_S9_li.has_recursion, 0
	.set _ZL29rocblas_internal_gemmt_kernelIlLi16ELi32ELi8ELc84ELc78ELc85ELb0ELb0E19rocblas_complex_numIdEPKS1_PKS3_PKPS1_EviT_T9_T10_S9_lSB_S9_lSA_T11_S9_li.has_indirect_call, 0
	.section	.AMDGPU.csdata,"",@progbits
; Kernel info:
; codeLenInByte = 3592
; TotalNumSgprs: 46
; NumVgprs: 136
; ScratchSize: 0
; MemoryBound: 0
; FloatMode: 240
; IeeeMode: 1
; LDSByteSize: 8192 bytes/workgroup (compile time only)
; SGPRBlocks: 0
; VGPRBlocks: 16
; NumSGPRsForWavesPerEU: 46
; NumVGPRsForWavesPerEU: 136
; Occupancy: 10
; WaveLimiterHint : 1
; COMPUTE_PGM_RSRC2:SCRATCH_EN: 0
; COMPUTE_PGM_RSRC2:USER_SGPR: 2
; COMPUTE_PGM_RSRC2:TRAP_HANDLER: 0
; COMPUTE_PGM_RSRC2:TGID_X_EN: 1
; COMPUTE_PGM_RSRC2:TGID_Y_EN: 1
; COMPUTE_PGM_RSRC2:TGID_Z_EN: 1
; COMPUTE_PGM_RSRC2:TIDIG_COMP_CNT: 1
	.section	.text._ZL29rocblas_internal_gemmt_kernelIlLi16ELi32ELi8ELc84ELc84ELc85ELb0ELb0E19rocblas_complex_numIdEPKS1_PKS3_PKPS1_EviT_T9_T10_S9_lSB_S9_lSA_T11_S9_li,"axG",@progbits,_ZL29rocblas_internal_gemmt_kernelIlLi16ELi32ELi8ELc84ELc84ELc85ELb0ELb0E19rocblas_complex_numIdEPKS1_PKS3_PKPS1_EviT_T9_T10_S9_lSB_S9_lSA_T11_S9_li,comdat
	.globl	_ZL29rocblas_internal_gemmt_kernelIlLi16ELi32ELi8ELc84ELc84ELc85ELb0ELb0E19rocblas_complex_numIdEPKS1_PKS3_PKPS1_EviT_T9_T10_S9_lSB_S9_lSA_T11_S9_li ; -- Begin function _ZL29rocblas_internal_gemmt_kernelIlLi16ELi32ELi8ELc84ELc84ELc85ELb0ELb0E19rocblas_complex_numIdEPKS1_PKS3_PKPS1_EviT_T9_T10_S9_lSB_S9_lSA_T11_S9_li
	.p2align	8
	.type	_ZL29rocblas_internal_gemmt_kernelIlLi16ELi32ELi8ELc84ELc84ELc85ELb0ELb0E19rocblas_complex_numIdEPKS1_PKS3_PKPS1_EviT_T9_T10_S9_lSB_S9_lSA_T11_S9_li,@function
_ZL29rocblas_internal_gemmt_kernelIlLi16ELi32ELi8ELc84ELc84ELc85ELb0ELb0E19rocblas_complex_numIdEPKS1_PKS3_PKPS1_EviT_T9_T10_S9_lSB_S9_lSA_T11_S9_li: ; @_ZL29rocblas_internal_gemmt_kernelIlLi16ELi32ELi8ELc84ELc84ELc85ELb0ELb0E19rocblas_complex_numIdEPKS1_PKS3_PKPS1_EviT_T9_T10_S9_lSB_S9_lSA_T11_S9_li
; %bb.0:
	s_clause 0x1
	s_load_b256 s[24:31], s[0:1], 0x48
	s_load_b512 s[8:23], s[0:1], 0x8
	s_wait_kmcnt 0x0
	s_load_b128 s[36:39], s[24:25], 0x0
	s_load_b128 s[40:43], s[10:11], 0x0
	s_wait_kmcnt 0x0
	v_cmp_eq_f64_e64 s3, s[36:37], 1.0
	v_cmp_eq_f64_e64 s2, s[38:39], 0
	s_and_b32 s3, s3, s2
	s_delay_alu instid0(SALU_CYCLE_1)
	s_and_not1_b32 vcc_lo, exec_lo, s3
	s_mov_b32 s3, -1
	s_cbranch_vccnz .LBB544_3
; %bb.1:
	s_cmp_lg_u64 s[8:9], 0
	s_cbranch_scc0 .LBB544_41
; %bb.2:
	v_cmp_neq_f64_e64 s3, s[40:41], 0
	v_cmp_neq_f64_e64 s4, s[42:43], 0
	s_or_b32 s3, s3, s4
.LBB544_3:
	s_delay_alu instid0(SALU_CYCLE_1)
	s_and_b32 vcc_lo, exec_lo, s3
	s_cbranch_vccz .LBB544_42
; %bb.4:
	s_load_b32 s24, s[0:1], 0x68
	s_lshr_b32 s6, ttmp7, 16
	s_wait_kmcnt 0x0
	s_cmp_ge_u32 s6, s24
	s_cbranch_scc1 .LBB544_42
; %bb.5:
	v_cmp_neq_f64_e64 s3, s[40:41], 0
	v_cmp_neq_f64_e64 s4, s[42:43], 0
	v_dual_mov_b32 v1, 0 :: v_dual_and_b32 v6, 0x3ff, v0
	v_bfe_u32 v9, v0, 10, 10
	s_load_b32 s5, s[0:1], 0x0
	s_lshl_b32 s0, ttmp7, 5
	v_cmp_neq_f64_e64 s7, s[36:37], 0
	s_and_b32 s0, s0, 0x1fffe0
	v_and_b32_e32 v34, 7, v0
	v_lshl_add_u32 v0, v9, 4, v6
	v_add_nc_u32_e32 v12, s0, v9
	s_lshl_b32 s1, ttmp9, 5
	v_cmp_gt_i64_e64 s10, s[8:9], 0
	s_wait_alu 0xfffe
	s_ashr_i32 s11, s1, 31
	v_and_b32_e32 v4, 31, v0
	v_mad_co_u64_u32 v[2:3], null, s28, v12, 0
	v_add_nc_u32_e32 v13, 16, v12
	v_lshlrev_b32_e32 v7, 4, v34
	v_lshrrev_b32_e32 v36, 5, v0
	v_lshrrev_b32_e32 v0, 3, v0
	v_or_b32_e32 v8, s1, v4
	v_mad_co_u64_u32 v[14:15], null, s28, v13, 0
	v_lshlrev_b32_e32 v10, 4, v4
	s_delay_alu instid0(VALU_DEP_4)
	v_add_nc_u32_e32 v16, s0, v0
	v_lshl_or_b32 v7, v0, 7, v7
	v_mov_b32_e32 v0, v3
	v_mul_lo_u32 v11, s15, v8
	v_mad_co_u64_u32 v[4:5], null, s14, v8, 0
	v_lshlrev_b32_e32 v35, 4, v6
	s_wait_kmcnt 0x0
	v_cmp_gt_i32_e64 s0, s5, v8
	v_cmp_le_i32_e64 s25, s5, v8
	v_add_nc_u32_e32 v38, 0x1000, v7
	v_mad_co_u64_u32 v[7:8], null, s29, v12, v[0:1]
	v_mov_b32_e32 v0, v15
	s_mul_i32 s11, s14, s11
	v_lshl_or_b32 v37, v36, 9, v10
	v_add3_u32 v5, v5, s11, v11
	v_add_nc_u32_e32 v6, s1, v6
	v_mad_co_u64_u32 v[10:11], null, s29, v13, v[0:1]
	s_or_b32 s11, s3, s4
	s_xor_b32 s3, s2, -1
	v_cmp_gt_i32_e64 s1, s5, v12
	v_cmp_le_i32_e64 s2, v6, v12
	v_dual_mov_b32 v3, v7 :: v_dual_add_nc_u32 v8, 16, v6
	v_mov_b32_e32 v15, v10
	v_cmp_gt_i32_e32 vcc_lo, s5, v16
	s_or_b32 s28, s7, s3
	s_and_b32 s33, s1, s2
	v_cmp_le_i32_e64 s2, v8, v12
	v_cmp_gt_i32_e64 s3, s5, v13
	v_cmp_le_i32_e64 s4, v6, v13
	v_cmp_le_i32_e64 s5, v8, v13
	v_lshlrev_b64_e32 v[10:11], 4, v[4:5]
	v_lshlrev_b64_e32 v[12:13], 4, v[2:3]
	;; [unrolled: 1-line block ×3, first 2 shown]
	v_lshl_add_u32 v39, v9, 7, 0x1000
	v_ashrrev_i32_e32 v7, 31, v6
	v_ashrrev_i32_e32 v9, 31, v8
	v_lshlrev_b32_e32 v40, 4, v16
	s_and_b32 s1, s1, s2
	s_and_b32 s29, s3, s4
	s_and_b32 s34, s3, s5
	s_mov_b32 s7, 0
	s_wait_alu 0xfffe
	s_and_b32 s35, s11, s10
	s_lshl_b64 s[2:3], s[22:23], 4
	s_lshl_b64 s[4:5], s[16:17], 4
	s_xor_b32 s16, vcc_lo, -1
	s_lshl_b64 s[10:11], s[30:31], 4
                                        ; implicit-def: $vgpr16_vgpr17
	s_branch .LBB544_7
.LBB544_6:                              ;   in Loop: Header=BB544_7 Depth=1
	s_wait_alu 0xfffe
	s_or_b32 exec_lo, exec_lo, s14
	s_add_co_i32 s6, s6, 0x10000
	s_delay_alu instid0(SALU_CYCLE_1)
	s_cmp_lt_u32 s6, s24
	s_cbranch_scc0 .LBB544_42
.LBB544_7:                              ; =>This Loop Header: Depth=1
                                        ;     Child Loop BB544_10 Depth 2
	s_lshl_b64 s[14:15], s[6:7], 3
	v_mov_b32_e32 v30, 0
	s_wait_alu 0xfffe
	s_add_nc_u64 s[22:23], s[26:27], s[14:15]
	v_mov_b32_e32 v31, 0
	global_load_b64 v[4:5], v1, s[22:23]
	s_and_not1_b32 vcc_lo, exec_lo, s35
	s_wait_alu 0xfffe
	s_cbranch_vccnz .LBB544_20
; %bb.8:                                ;   in Loop: Header=BB544_7 Depth=1
	s_add_nc_u64 s[22:23], s[12:13], s[14:15]
	s_add_nc_u64 s[14:15], s[18:19], s[14:15]
	s_clause 0x1
	global_load_b64 v[2:3], v1, s[22:23]
	global_load_b64 v[41:42], v1, s[14:15]
	v_mov_b32_e32 v18, 0
	v_mov_b32_e32 v24, 0
	;; [unrolled: 1-line block ×3, first 2 shown]
	v_dual_mov_b32 v32, 0 :: v_dual_mov_b32 v19, 0
	v_dual_mov_b32 v20, 0 :: v_dual_mov_b32 v25, 0
	;; [unrolled: 1-line block ×5, first 2 shown]
	v_mov_b32_e32 v23, 0
	v_mov_b32_e32 v27, 0
	;; [unrolled: 1-line block ×3, first 2 shown]
	s_mov_b64 s[14:15], 0
	s_wait_loadcnt 0x1
	v_add_co_u32 v0, vcc_lo, v2, s4
	s_wait_alu 0xfffd
	v_add_co_ci_u32_e64 v2, null, s5, v3, vcc_lo
	s_wait_loadcnt 0x0
	v_add_co_u32 v3, vcc_lo, v41, s2
	s_wait_alu 0xfffd
	v_add_co_ci_u32_e64 v44, null, s3, v42, vcc_lo
	v_add_co_u32 v41, vcc_lo, v0, v10
	s_wait_alu 0xfffd
	v_add_co_ci_u32_e64 v42, null, v2, v11, vcc_lo
	;; [unrolled: 3-line block ×3, first 2 shown]
	s_branch .LBB544_10
.LBB544_9:                              ;   in Loop: Header=BB544_10 Depth=2
	s_or_b32 exec_lo, exec_lo, s17
	s_wait_dscnt 0x0
	s_barrier_signal -1
	s_barrier_wait -1
	global_inv scope:SCOPE_SE
	ds_load_b128 v[45:48], v39
	ds_load_b128 v[49:52], v35
	ds_load_b128 v[53:56], v35 offset:256
	ds_load_b128 v[57:60], v39 offset:2048
	;; [unrolled: 1-line block ×10, first 2 shown]
	s_add_nc_u64 s[14:15], s[14:15], 8
	s_wait_alu 0xfffe
	v_cmp_gt_i64_e64 s17, s[8:9], s[14:15]
	s_and_b32 vcc_lo, exec_lo, s17
	s_wait_dscnt 0xa
	v_mul_f64_e32 v[2:3], v[47:48], v[51:52]
	v_mul_f64_e32 v[93:94], v[45:46], v[51:52]
	s_wait_dscnt 0x9
	v_mul_f64_e32 v[95:96], v[47:48], v[55:56]
	v_mul_f64_e32 v[97:98], v[45:46], v[55:56]
	;; [unrolled: 3-line block ×3, first 2 shown]
	v_mul_f64_e32 v[101:102], v[59:60], v[55:56]
	v_mul_f64_e32 v[55:56], v[57:58], v[55:56]
	s_wait_dscnt 0x5
	v_mul_f64_e32 v[103:104], v[63:64], v[71:72]
	v_mul_f64_e32 v[105:106], v[61:62], v[71:72]
	s_wait_dscnt 0x4
	v_mul_f64_e32 v[107:108], v[63:64], v[75:76]
	v_mul_f64_e32 v[109:110], v[61:62], v[75:76]
	;; [unrolled: 1-line block ×6, first 2 shown]
	s_wait_dscnt 0x2
	v_mul_f64_e32 v[119:120], v[79:80], v[83:84]
	v_mul_f64_e32 v[121:122], v[77:78], v[83:84]
	s_wait_dscnt 0x1
	v_mul_f64_e32 v[123:124], v[79:80], v[87:88]
	v_mul_f64_e32 v[125:126], v[77:78], v[87:88]
	;; [unrolled: 3-line block ×3, first 2 shown]
	v_mul_f64_e32 v[129:130], v[91:92], v[87:88]
	v_mul_f64_e32 v[87:88], v[89:90], v[87:88]
	v_fma_f64 v[2:3], v[45:46], v[49:50], -v[2:3]
	v_fma_f64 v[93:94], v[47:48], v[49:50], v[93:94]
	v_fma_f64 v[95:96], v[45:46], v[53:54], -v[95:96]
	v_fma_f64 v[97:98], v[47:48], v[53:54], v[97:98]
	;; [unrolled: 2-line block ×8, first 2 shown]
	ds_load_b128 v[45:48], v39 offset:48
	ds_load_b128 v[49:52], v35 offset:1536
	;; [unrolled: 1-line block ×4, first 2 shown]
	v_fma_f64 v[119:120], v[77:78], v[81:82], -v[119:120]
	v_fma_f64 v[121:122], v[79:80], v[81:82], v[121:122]
	v_fma_f64 v[77:78], v[77:78], v[85:86], -v[123:124]
	v_fma_f64 v[79:80], v[79:80], v[85:86], v[125:126]
	;; [unrolled: 2-line block ×4, first 2 shown]
	s_wait_dscnt 0x2
	v_mul_f64_e32 v[109:110], v[45:46], v[51:52]
	s_wait_dscnt 0x1
	v_mul_f64_e32 v[111:112], v[47:48], v[55:56]
	v_mul_f64_e32 v[113:114], v[45:46], v[55:56]
	v_add_f64_e32 v[2:3], v[30:31], v[2:3]
	v_add_f64_e32 v[71:72], v[93:94], v[32:33]
	;; [unrolled: 1-line block ×8, first 2 shown]
	v_mul_f64_e32 v[101:102], v[47:48], v[51:52]
	s_wait_dscnt 0x0
	v_mul_f64_e32 v[115:116], v[59:60], v[51:52]
	v_mul_f64_e32 v[51:52], v[57:58], v[51:52]
	;; [unrolled: 1-line block ×4, first 2 shown]
	ds_load_b128 v[18:21], v39 offset:64
	ds_load_b128 v[22:25], v35 offset:2048
	;; [unrolled: 1-line block ×4, first 2 shown]
	s_wait_dscnt 0x1
	v_mul_f64_e32 v[125:126], v[18:19], v[28:29]
	s_wait_dscnt 0x0
	v_mul_f64_e32 v[127:128], v[32:33], v[24:25]
	v_mul_f64_e32 v[129:130], v[32:33], v[28:29]
	v_fma_f64 v[109:110], v[47:48], v[49:50], v[109:110]
	v_fma_f64 v[111:112], v[45:46], v[53:54], -v[111:112]
	v_fma_f64 v[113:114], v[47:48], v[53:54], v[113:114]
	v_add_f64_e32 v[2:3], v[2:3], v[103:104]
	v_add_f64_e32 v[87:88], v[105:106], v[71:72]
	;; [unrolled: 1-line block ×8, first 2 shown]
	v_mul_f64_e32 v[103:104], v[20:21], v[24:25]
	v_mul_f64_e32 v[105:106], v[18:19], v[24:25]
	v_mul_f64_e32 v[107:108], v[20:21], v[28:29]
	v_mul_f64_e32 v[24:25], v[30:31], v[24:25]
	v_mul_f64_e32 v[28:29], v[30:31], v[28:29]
	v_fma_f64 v[101:102], v[45:46], v[49:50], -v[101:102]
	v_fma_f64 v[115:116], v[57:58], v[49:50], -v[115:116]
	v_fma_f64 v[131:132], v[59:60], v[49:50], v[51:52]
	v_fma_f64 v[117:118], v[57:58], v[53:54], -v[117:118]
	v_fma_f64 v[133:134], v[59:60], v[53:54], v[55:56]
	ds_load_b128 v[61:64], v39 offset:80
	ds_load_b128 v[65:68], v35 offset:2560
	;; [unrolled: 1-line block ×8, first 2 shown]
	v_add_f64_e32 v[2:3], v[2:3], v[119:120]
	v_add_f64_e32 v[87:88], v[121:122], v[87:88]
	v_add_f64_e32 v[77:78], v[89:90], v[77:78]
	v_add_f64_e32 v[79:80], v[79:80], v[91:92]
	v_add_f64_e32 v[89:90], v[93:94], v[123:124]
	v_add_f64_e32 v[81:82], v[81:82], v[95:96]
	v_add_f64_e32 v[83:84], v[97:98], v[83:84]
	v_add_f64_e32 v[85:86], v[85:86], v[99:100]
	s_wait_dscnt 0x6
	v_mul_f64_e32 v[91:92], v[63:64], v[67:68]
	v_mul_f64_e32 v[93:94], v[61:62], v[67:68]
	s_wait_dscnt 0x5
	v_mul_f64_e32 v[95:96], v[63:64], v[71:72]
	v_mul_f64_e32 v[97:98], v[61:62], v[71:72]
	s_wait_dscnt 0x4
	v_mul_f64_e32 v[99:100], v[75:76], v[67:68]
	v_mul_f64_e32 v[67:68], v[73:74], v[67:68]
	v_mul_f64_e32 v[119:120], v[75:76], v[71:72]
	v_mul_f64_e32 v[71:72], v[73:74], v[71:72]
	v_fma_f64 v[103:104], v[18:19], v[22:23], -v[103:104]
	v_fma_f64 v[105:106], v[20:21], v[22:23], v[105:106]
	v_fma_f64 v[107:108], v[18:19], v[26:27], -v[107:108]
	v_fma_f64 v[121:122], v[20:21], v[26:27], v[125:126]
	;; [unrolled: 2-line block ×4, first 2 shown]
	ds_load_b128 v[18:21], v39 offset:112
	ds_load_b128 v[22:25], v35 offset:3584
	;; [unrolled: 1-line block ×4, first 2 shown]
	s_wait_loadcnt_dscnt 0x0
	s_barrier_signal -1
	s_barrier_wait -1
	global_inv scope:SCOPE_SE
	v_add_f64_e32 v[2:3], v[2:3], v[101:102]
	v_add_f64_e32 v[87:88], v[109:110], v[87:88]
	;; [unrolled: 1-line block ×8, first 2 shown]
	v_mul_f64_e32 v[101:102], v[47:48], v[51:52]
	v_mul_f64_e32 v[109:110], v[45:46], v[51:52]
	v_mul_f64_e32 v[111:112], v[47:48], v[55:56]
	v_mul_f64_e32 v[113:114], v[45:46], v[55:56]
	v_mul_f64_e32 v[115:116], v[59:60], v[51:52]
	v_mul_f64_e32 v[51:52], v[57:58], v[51:52]
	v_mul_f64_e32 v[117:118], v[59:60], v[55:56]
	v_mul_f64_e32 v[55:56], v[57:58], v[55:56]
	v_fma_f64 v[91:92], v[61:62], v[65:66], -v[91:92]
	v_fma_f64 v[93:94], v[63:64], v[65:66], v[93:94]
	v_fma_f64 v[61:62], v[61:62], v[69:70], -v[95:96]
	v_fma_f64 v[63:64], v[63:64], v[69:70], v[97:98]
	;; [unrolled: 2-line block ×4, first 2 shown]
	v_mul_f64_e32 v[97:98], v[18:19], v[28:29]
	v_mul_f64_e32 v[99:100], v[32:33], v[24:25]
	v_add_f64_e32 v[2:3], v[2:3], v[103:104]
	v_add_f64_e32 v[71:72], v[105:106], v[87:88]
	;; [unrolled: 1-line block ×8, first 2 shown]
	v_mul_f64_e32 v[85:86], v[20:21], v[24:25]
	v_mul_f64_e32 v[87:88], v[18:19], v[24:25]
	;; [unrolled: 1-line block ×6, first 2 shown]
	v_fma_f64 v[101:102], v[45:46], v[49:50], -v[101:102]
	v_fma_f64 v[105:106], v[47:48], v[49:50], v[109:110]
	v_fma_f64 v[45:46], v[45:46], v[53:54], -v[111:112]
	v_fma_f64 v[47:48], v[47:48], v[53:54], v[113:114]
	;; [unrolled: 2-line block ×4, first 2 shown]
	v_add_f64_e32 v[2:3], v[2:3], v[91:92]
	v_add_f64_e32 v[55:56], v[93:94], v[71:72]
	;; [unrolled: 1-line block ×8, first 2 shown]
	v_fma_f64 v[69:70], v[18:19], v[22:23], -v[85:86]
	v_fma_f64 v[71:72], v[20:21], v[22:23], v[87:88]
	v_fma_f64 v[18:19], v[18:19], v[26:27], -v[89:90]
	v_fma_f64 v[20:21], v[20:21], v[26:27], v[97:98]
	;; [unrolled: 2-line block ×4, first 2 shown]
	v_add_f64_e32 v[2:3], v[2:3], v[101:102]
	v_add_f64_e32 v[22:23], v[105:106], v[55:56]
	;; [unrolled: 1-line block ×16, first 2 shown]
	s_wait_alu 0xfffe
	s_cbranch_vccz .LBB544_21
.LBB544_10:                             ;   Parent Loop BB544_7 Depth=1
                                        ; =>  This Inner Loop Header: Depth=2
	s_mov_b32 s17, 0
	s_mov_b32 s23, s25
	s_and_saveexec_b32 s22, s0
	s_cbranch_execnz .LBB544_18
; %bb.11:                               ;   in Loop: Header=BB544_10 Depth=2
	s_or_b32 exec_lo, exec_lo, s22
	s_and_saveexec_b32 s22, s23
	s_delay_alu instid0(SALU_CYCLE_1)
	s_xor_b32 s22, exec_lo, s22
	s_cbranch_execnz .LBB544_19
.LBB544_12:                             ;   in Loop: Header=BB544_10 Depth=2
	s_or_b32 exec_lo, exec_lo, s22
	s_and_saveexec_b32 s22, s17
	s_cbranch_execz .LBB544_14
.LBB544_13:                             ;   in Loop: Header=BB544_10 Depth=2
	v_lshlrev_b64_e32 v[2:3], 4, v[16:17]
	s_delay_alu instid0(VALU_DEP_1) | instskip(SKIP_1) | instid1(VALU_DEP_2)
	v_add_co_u32 v2, vcc_lo, v41, v2
	s_wait_alu 0xfffd
	v_add_co_ci_u32_e64 v3, null, v42, v3, vcc_lo
	flat_load_b128 v[45:48], v[2:3]
	s_wait_loadcnt_dscnt 0x0
	ds_store_2addr_b64 v37, v[45:46], v[47:48] offset1:1
.LBB544_14:                             ;   in Loop: Header=BB544_10 Depth=2
	s_or_b32 exec_lo, exec_lo, s22
	s_wait_alu 0xfffe
	v_add_nc_u32_e32 v0, s14, v34
	s_delay_alu instid0(VALU_DEP_1) | instskip(SKIP_1) | instid1(SALU_CYCLE_1)
	v_cmp_le_u64_e32 vcc_lo, s[8:9], v[0:1]
	s_or_b32 s17, vcc_lo, s16
	s_and_saveexec_b32 s22, s17
	s_delay_alu instid0(SALU_CYCLE_1)
	s_xor_b32 s17, exec_lo, s22
; %bb.15:                               ;   in Loop: Header=BB544_10 Depth=2
	v_dual_mov_b32 v0, v1 :: v_dual_mov_b32 v3, v1
	v_mov_b32_e32 v2, v1
	ds_store_b128 v38, v[0:3]
; %bb.16:                               ;   in Loop: Header=BB544_10 Depth=2
	s_and_not1_saveexec_b32 s17, s17
	s_cbranch_execz .LBB544_9
; %bb.17:                               ;   in Loop: Header=BB544_10 Depth=2
	v_mad_co_u64_u32 v[2:3], null, s20, v0, 0
	s_delay_alu instid0(VALU_DEP_1) | instskip(NEXT) | instid1(VALU_DEP_1)
	v_mad_co_u64_u32 v[45:46], null, s21, v0, v[3:4]
	v_mov_b32_e32 v3, v45
	s_delay_alu instid0(VALU_DEP_1) | instskip(NEXT) | instid1(VALU_DEP_1)
	v_lshlrev_b64_e32 v[2:3], 4, v[2:3]
	v_add_co_u32 v2, vcc_lo, v43, v2
	s_wait_alu 0xfffd
	s_delay_alu instid0(VALU_DEP_2)
	v_add_co_ci_u32_e64 v3, null, v44, v3, vcc_lo
	flat_load_b128 v[45:48], v[2:3]
	s_wait_loadcnt_dscnt 0x0
	ds_store_2addr_b64 v38, v[45:46], v[47:48] offset1:1
	s_branch .LBB544_9
.LBB544_18:                             ;   in Loop: Header=BB544_10 Depth=2
	s_wait_alu 0xfffe
	v_add_nc_u32_e32 v0, s14, v36
	v_mov_b32_e32 v17, v1
	s_and_not1_b32 s23, s25, exec_lo
	s_mov_b32 s17, exec_lo
	s_delay_alu instid0(VALU_DEP_2) | instskip(SKIP_2) | instid1(SALU_CYCLE_1)
	v_cmp_le_u64_e32 vcc_lo, s[8:9], v[0:1]
	v_mov_b32_e32 v16, v0
	s_and_b32 s30, vcc_lo, exec_lo
	s_or_b32 s23, s23, s30
	s_or_b32 exec_lo, exec_lo, s22
	s_and_saveexec_b32 s22, s23
	s_delay_alu instid0(SALU_CYCLE_1)
	s_xor_b32 s22, exec_lo, s22
	s_cbranch_execz .LBB544_12
.LBB544_19:                             ;   in Loop: Header=BB544_10 Depth=2
	v_dual_mov_b32 v0, v1 :: v_dual_mov_b32 v3, v1
	v_mov_b32_e32 v2, v1
	s_and_not1_b32 s17, s17, exec_lo
	ds_store_b128 v37, v[0:3]
	s_or_b32 exec_lo, exec_lo, s22
	s_and_saveexec_b32 s22, s17
	s_cbranch_execnz .LBB544_13
	s_branch .LBB544_14
.LBB544_20:                             ;   in Loop: Header=BB544_7 Depth=1
	v_mov_b32_e32 v32, 0
	v_mov_b32_e32 v28, 0
	v_dual_mov_b32 v24, 0 :: v_dual_mov_b32 v33, 0
	v_dual_mov_b32 v26, 0 :: v_dual_mov_b32 v29, 0
	;; [unrolled: 1-line block ×3, first 2 shown]
	v_mov_b32_e32 v20, 0
	v_dual_mov_b32 v18, 0 :: v_dual_mov_b32 v27, 0
	v_mov_b32_e32 v23, 0
	v_mov_b32_e32 v21, 0
	v_mov_b32_e32 v19, 0
.LBB544_21:                             ;   in Loop: Header=BB544_7 Depth=1
	s_wait_loadcnt 0x0
	v_add_co_u32 v0, vcc_lo, v4, s10
	s_wait_alu 0xfffd
	v_add_co_ci_u32_e64 v41, null, s11, v5, vcc_lo
	s_delay_alu instid0(VALU_DEP_2) | instskip(SKIP_1) | instid1(VALU_DEP_2)
	v_add_co_u32 v42, vcc_lo, v0, v12
	s_wait_alu 0xfffd
	v_add_co_ci_u32_e64 v43, null, v41, v13, vcc_lo
	s_and_saveexec_b32 s14, s33
	s_cbranch_execz .LBB544_26
; %bb.22:                               ;   in Loop: Header=BB544_7 Depth=1
	v_mul_f64_e32 v[2:3], s[42:43], v[32:33]
	v_mul_f64_e32 v[4:5], s[40:41], v[32:33]
	s_and_b32 vcc_lo, exec_lo, s28
	s_mov_b32 s15, -1
	s_delay_alu instid0(VALU_DEP_2) | instskip(NEXT) | instid1(VALU_DEP_2)
	v_fma_f64 v[2:3], s[40:41], v[30:31], -v[2:3]
	v_fma_f64 v[4:5], s[42:43], v[30:31], v[4:5]
	s_wait_alu 0xfffe
	s_cbranch_vccz .LBB544_24
; %bb.23:                               ;   in Loop: Header=BB544_7 Depth=1
	v_lshlrev_b64_e32 v[30:31], 4, v[6:7]
	s_mov_b32 s15, 0
	s_delay_alu instid0(VALU_DEP_1) | instskip(SKIP_1) | instid1(VALU_DEP_2)
	v_add_co_u32 v44, vcc_lo, v42, v30
	s_wait_alu 0xfffd
	v_add_co_ci_u32_e64 v45, null, v43, v31, vcc_lo
	flat_load_b128 v[30:33], v[44:45]
	s_wait_loadcnt_dscnt 0x0
	v_mul_f64_e32 v[46:47], s[38:39], v[32:33]
	v_mul_f64_e32 v[32:33], s[36:37], v[32:33]
	s_delay_alu instid0(VALU_DEP_2) | instskip(NEXT) | instid1(VALU_DEP_2)
	v_fma_f64 v[46:47], s[36:37], v[30:31], -v[46:47]
	v_fma_f64 v[32:33], s[38:39], v[30:31], v[32:33]
	s_delay_alu instid0(VALU_DEP_2) | instskip(NEXT) | instid1(VALU_DEP_2)
	v_add_f64_e32 v[30:31], v[2:3], v[46:47]
	v_add_f64_e32 v[32:33], v[4:5], v[32:33]
	flat_store_b128 v[44:45], v[30:33]
.LBB544_24:                             ;   in Loop: Header=BB544_7 Depth=1
	s_wait_alu 0xfffe
	s_and_not1_b32 vcc_lo, exec_lo, s15
	s_wait_alu 0xfffe
	s_cbranch_vccnz .LBB544_26
; %bb.25:                               ;   in Loop: Header=BB544_7 Depth=1
	v_lshlrev_b64_e32 v[30:31], 4, v[6:7]
	s_delay_alu instid0(VALU_DEP_1) | instskip(SKIP_1) | instid1(VALU_DEP_2)
	v_add_co_u32 v30, vcc_lo, v42, v30
	s_wait_alu 0xfffd
	v_add_co_ci_u32_e64 v31, null, v43, v31, vcc_lo
	flat_store_b128 v[30:31], v[2:5]
.LBB544_26:                             ;   in Loop: Header=BB544_7 Depth=1
	s_wait_alu 0xfffe
	s_or_b32 exec_lo, exec_lo, s14
	s_and_saveexec_b32 s14, s1
	s_cbranch_execz .LBB544_31
; %bb.27:                               ;   in Loop: Header=BB544_7 Depth=1
	v_mul_f64_e32 v[2:3], s[42:43], v[28:29]
	v_mul_f64_e32 v[4:5], s[40:41], v[28:29]
	s_and_not1_b32 vcc_lo, exec_lo, s28
	s_mov_b32 s15, -1
	s_delay_alu instid0(VALU_DEP_2) | instskip(NEXT) | instid1(VALU_DEP_2)
	v_fma_f64 v[2:3], s[40:41], v[26:27], -v[2:3]
	v_fma_f64 v[4:5], s[42:43], v[26:27], v[4:5]
	s_wait_alu 0xfffe
	s_cbranch_vccnz .LBB544_29
; %bb.28:                               ;   in Loop: Header=BB544_7 Depth=1
	v_lshlrev_b64_e32 v[26:27], 4, v[8:9]
	s_mov_b32 s15, 0
	s_delay_alu instid0(VALU_DEP_1) | instskip(SKIP_1) | instid1(VALU_DEP_2)
	v_add_co_u32 v30, vcc_lo, v42, v26
	s_wait_alu 0xfffd
	v_add_co_ci_u32_e64 v31, null, v43, v27, vcc_lo
	flat_load_b128 v[26:29], v[30:31]
	s_wait_loadcnt_dscnt 0x0
	v_mul_f64_e32 v[32:33], s[38:39], v[28:29]
	v_mul_f64_e32 v[28:29], s[36:37], v[28:29]
	s_delay_alu instid0(VALU_DEP_2) | instskip(NEXT) | instid1(VALU_DEP_2)
	v_fma_f64 v[32:33], s[36:37], v[26:27], -v[32:33]
	v_fma_f64 v[28:29], s[38:39], v[26:27], v[28:29]
	s_delay_alu instid0(VALU_DEP_2) | instskip(NEXT) | instid1(VALU_DEP_2)
	v_add_f64_e32 v[26:27], v[2:3], v[32:33]
	v_add_f64_e32 v[28:29], v[4:5], v[28:29]
	flat_store_b128 v[30:31], v[26:29]
.LBB544_29:                             ;   in Loop: Header=BB544_7 Depth=1
	s_wait_alu 0xfffe
	s_and_not1_b32 vcc_lo, exec_lo, s15
	s_wait_alu 0xfffe
	s_cbranch_vccnz .LBB544_31
; %bb.30:                               ;   in Loop: Header=BB544_7 Depth=1
	v_lshlrev_b64_e32 v[26:27], 4, v[8:9]
	s_delay_alu instid0(VALU_DEP_1) | instskip(SKIP_1) | instid1(VALU_DEP_2)
	v_add_co_u32 v26, vcc_lo, v42, v26
	s_wait_alu 0xfffd
	v_add_co_ci_u32_e64 v27, null, v43, v27, vcc_lo
	flat_store_b128 v[26:27], v[2:5]
.LBB544_31:                             ;   in Loop: Header=BB544_7 Depth=1
	s_wait_alu 0xfffe
	s_or_b32 exec_lo, exec_lo, s14
	v_add_co_u32 v0, vcc_lo, v0, v14
	s_wait_alu 0xfffd
	v_add_co_ci_u32_e64 v26, null, v41, v15, vcc_lo
	s_and_saveexec_b32 s14, s29
	s_cbranch_execz .LBB544_36
; %bb.32:                               ;   in Loop: Header=BB544_7 Depth=1
	v_mul_f64_e32 v[2:3], s[42:43], v[24:25]
	v_mul_f64_e32 v[4:5], s[40:41], v[24:25]
	s_and_not1_b32 vcc_lo, exec_lo, s28
	s_mov_b32 s15, -1
	s_delay_alu instid0(VALU_DEP_2) | instskip(NEXT) | instid1(VALU_DEP_2)
	v_fma_f64 v[2:3], s[40:41], v[22:23], -v[2:3]
	v_fma_f64 v[4:5], s[42:43], v[22:23], v[4:5]
	v_lshlrev_b64_e32 v[22:23], 4, v[6:7]
	s_wait_alu 0xfffe
	s_cbranch_vccnz .LBB544_34
; %bb.33:                               ;   in Loop: Header=BB544_7 Depth=1
	s_delay_alu instid0(VALU_DEP_1) | instskip(SKIP_1) | instid1(VALU_DEP_2)
	v_add_co_u32 v24, vcc_lo, v0, v22
	s_wait_alu 0xfffd
	v_add_co_ci_u32_e64 v25, null, v26, v23, vcc_lo
	s_mov_b32 s15, 0
	flat_load_b128 v[27:30], v[24:25]
	s_wait_loadcnt_dscnt 0x0
	v_mul_f64_e32 v[31:32], s[38:39], v[29:30]
	v_mul_f64_e32 v[29:30], s[36:37], v[29:30]
	s_delay_alu instid0(VALU_DEP_2) | instskip(NEXT) | instid1(VALU_DEP_2)
	v_fma_f64 v[31:32], s[36:37], v[27:28], -v[31:32]
	v_fma_f64 v[29:30], s[38:39], v[27:28], v[29:30]
	s_delay_alu instid0(VALU_DEP_2) | instskip(NEXT) | instid1(VALU_DEP_2)
	v_add_f64_e32 v[27:28], v[2:3], v[31:32]
	v_add_f64_e32 v[29:30], v[4:5], v[29:30]
	flat_store_b128 v[24:25], v[27:30]
.LBB544_34:                             ;   in Loop: Header=BB544_7 Depth=1
	s_wait_alu 0xfffe
	s_and_not1_b32 vcc_lo, exec_lo, s15
	s_wait_alu 0xfffe
	s_cbranch_vccnz .LBB544_36
; %bb.35:                               ;   in Loop: Header=BB544_7 Depth=1
	v_add_co_u32 v22, vcc_lo, v0, v22
	s_wait_alu 0xfffd
	v_add_co_ci_u32_e64 v23, null, v26, v23, vcc_lo
	flat_store_b128 v[22:23], v[2:5]
.LBB544_36:                             ;   in Loop: Header=BB544_7 Depth=1
	s_wait_alu 0xfffe
	s_or_b32 exec_lo, exec_lo, s14
	s_and_saveexec_b32 s14, s34
	s_cbranch_execz .LBB544_6
; %bb.37:                               ;   in Loop: Header=BB544_7 Depth=1
	v_mul_f64_e32 v[2:3], s[42:43], v[18:19]
	v_mul_f64_e32 v[4:5], s[40:41], v[18:19]
	v_lshlrev_b64_e32 v[18:19], 4, v[8:9]
	s_and_not1_b32 vcc_lo, exec_lo, s28
	s_mov_b32 s15, -1
	s_delay_alu instid0(VALU_DEP_3) | instskip(NEXT) | instid1(VALU_DEP_3)
	v_fma_f64 v[2:3], s[40:41], v[20:21], -v[2:3]
	v_fma_f64 v[4:5], s[42:43], v[20:21], v[4:5]
	s_wait_alu 0xfffe
	s_cbranch_vccnz .LBB544_39
; %bb.38:                               ;   in Loop: Header=BB544_7 Depth=1
	v_add_co_u32 v24, vcc_lo, v0, v18
	s_wait_alu 0xfffd
	v_add_co_ci_u32_e64 v25, null, v26, v19, vcc_lo
	s_mov_b32 s15, 0
	flat_load_b128 v[20:23], v[24:25]
	s_wait_loadcnt_dscnt 0x0
	v_mul_f64_e32 v[27:28], s[38:39], v[22:23]
	v_mul_f64_e32 v[22:23], s[36:37], v[22:23]
	s_delay_alu instid0(VALU_DEP_2) | instskip(NEXT) | instid1(VALU_DEP_2)
	v_fma_f64 v[27:28], s[36:37], v[20:21], -v[27:28]
	v_fma_f64 v[22:23], s[38:39], v[20:21], v[22:23]
	s_delay_alu instid0(VALU_DEP_2) | instskip(NEXT) | instid1(VALU_DEP_2)
	v_add_f64_e32 v[20:21], v[2:3], v[27:28]
	v_add_f64_e32 v[22:23], v[4:5], v[22:23]
	flat_store_b128 v[24:25], v[20:23]
.LBB544_39:                             ;   in Loop: Header=BB544_7 Depth=1
	s_wait_alu 0xfffe
	s_and_not1_b32 vcc_lo, exec_lo, s15
	s_wait_alu 0xfffe
	s_cbranch_vccnz .LBB544_6
; %bb.40:                               ;   in Loop: Header=BB544_7 Depth=1
	v_add_co_u32 v18, vcc_lo, v0, v18
	s_wait_alu 0xfffd
	v_add_co_ci_u32_e64 v19, null, v26, v19, vcc_lo
	flat_store_b128 v[18:19], v[2:5]
	s_branch .LBB544_6
.LBB544_41:
.LBB544_42:
	s_nop 0
	s_sendmsg sendmsg(MSG_DEALLOC_VGPRS)
	s_endpgm
	.section	.rodata,"a",@progbits
	.p2align	6, 0x0
	.amdhsa_kernel _ZL29rocblas_internal_gemmt_kernelIlLi16ELi32ELi8ELc84ELc84ELc85ELb0ELb0E19rocblas_complex_numIdEPKS1_PKS3_PKPS1_EviT_T9_T10_S9_lSB_S9_lSA_T11_S9_li
		.amdhsa_group_segment_fixed_size 8192
		.amdhsa_private_segment_fixed_size 0
		.amdhsa_kernarg_size 108
		.amdhsa_user_sgpr_count 2
		.amdhsa_user_sgpr_dispatch_ptr 0
		.amdhsa_user_sgpr_queue_ptr 0
		.amdhsa_user_sgpr_kernarg_segment_ptr 1
		.amdhsa_user_sgpr_dispatch_id 0
		.amdhsa_user_sgpr_private_segment_size 0
		.amdhsa_wavefront_size32 1
		.amdhsa_uses_dynamic_stack 0
		.amdhsa_enable_private_segment 0
		.amdhsa_system_sgpr_workgroup_id_x 1
		.amdhsa_system_sgpr_workgroup_id_y 1
		.amdhsa_system_sgpr_workgroup_id_z 1
		.amdhsa_system_sgpr_workgroup_info 0
		.amdhsa_system_vgpr_workitem_id 1
		.amdhsa_next_free_vgpr 135
		.amdhsa_next_free_sgpr 44
		.amdhsa_reserve_vcc 1
		.amdhsa_float_round_mode_32 0
		.amdhsa_float_round_mode_16_64 0
		.amdhsa_float_denorm_mode_32 3
		.amdhsa_float_denorm_mode_16_64 3
		.amdhsa_fp16_overflow 0
		.amdhsa_workgroup_processor_mode 1
		.amdhsa_memory_ordered 1
		.amdhsa_forward_progress 1
		.amdhsa_inst_pref_size 28
		.amdhsa_round_robin_scheduling 0
		.amdhsa_exception_fp_ieee_invalid_op 0
		.amdhsa_exception_fp_denorm_src 0
		.amdhsa_exception_fp_ieee_div_zero 0
		.amdhsa_exception_fp_ieee_overflow 0
		.amdhsa_exception_fp_ieee_underflow 0
		.amdhsa_exception_fp_ieee_inexact 0
		.amdhsa_exception_int_div_zero 0
	.end_amdhsa_kernel
	.section	.text._ZL29rocblas_internal_gemmt_kernelIlLi16ELi32ELi8ELc84ELc84ELc85ELb0ELb0E19rocblas_complex_numIdEPKS1_PKS3_PKPS1_EviT_T9_T10_S9_lSB_S9_lSA_T11_S9_li,"axG",@progbits,_ZL29rocblas_internal_gemmt_kernelIlLi16ELi32ELi8ELc84ELc84ELc85ELb0ELb0E19rocblas_complex_numIdEPKS1_PKS3_PKPS1_EviT_T9_T10_S9_lSB_S9_lSA_T11_S9_li,comdat
.Lfunc_end544:
	.size	_ZL29rocblas_internal_gemmt_kernelIlLi16ELi32ELi8ELc84ELc84ELc85ELb0ELb0E19rocblas_complex_numIdEPKS1_PKS3_PKPS1_EviT_T9_T10_S9_lSB_S9_lSA_T11_S9_li, .Lfunc_end544-_ZL29rocblas_internal_gemmt_kernelIlLi16ELi32ELi8ELc84ELc84ELc85ELb0ELb0E19rocblas_complex_numIdEPKS1_PKS3_PKPS1_EviT_T9_T10_S9_lSB_S9_lSA_T11_S9_li
                                        ; -- End function
	.set _ZL29rocblas_internal_gemmt_kernelIlLi16ELi32ELi8ELc84ELc84ELc85ELb0ELb0E19rocblas_complex_numIdEPKS1_PKS3_PKPS1_EviT_T9_T10_S9_lSB_S9_lSA_T11_S9_li.num_vgpr, 135
	.set _ZL29rocblas_internal_gemmt_kernelIlLi16ELi32ELi8ELc84ELc84ELc85ELb0ELb0E19rocblas_complex_numIdEPKS1_PKS3_PKPS1_EviT_T9_T10_S9_lSB_S9_lSA_T11_S9_li.num_agpr, 0
	.set _ZL29rocblas_internal_gemmt_kernelIlLi16ELi32ELi8ELc84ELc84ELc85ELb0ELb0E19rocblas_complex_numIdEPKS1_PKS3_PKPS1_EviT_T9_T10_S9_lSB_S9_lSA_T11_S9_li.numbered_sgpr, 44
	.set _ZL29rocblas_internal_gemmt_kernelIlLi16ELi32ELi8ELc84ELc84ELc85ELb0ELb0E19rocblas_complex_numIdEPKS1_PKS3_PKPS1_EviT_T9_T10_S9_lSB_S9_lSA_T11_S9_li.num_named_barrier, 0
	.set _ZL29rocblas_internal_gemmt_kernelIlLi16ELi32ELi8ELc84ELc84ELc85ELb0ELb0E19rocblas_complex_numIdEPKS1_PKS3_PKPS1_EviT_T9_T10_S9_lSB_S9_lSA_T11_S9_li.private_seg_size, 0
	.set _ZL29rocblas_internal_gemmt_kernelIlLi16ELi32ELi8ELc84ELc84ELc85ELb0ELb0E19rocblas_complex_numIdEPKS1_PKS3_PKPS1_EviT_T9_T10_S9_lSB_S9_lSA_T11_S9_li.uses_vcc, 1
	.set _ZL29rocblas_internal_gemmt_kernelIlLi16ELi32ELi8ELc84ELc84ELc85ELb0ELb0E19rocblas_complex_numIdEPKS1_PKS3_PKPS1_EviT_T9_T10_S9_lSB_S9_lSA_T11_S9_li.uses_flat_scratch, 0
	.set _ZL29rocblas_internal_gemmt_kernelIlLi16ELi32ELi8ELc84ELc84ELc85ELb0ELb0E19rocblas_complex_numIdEPKS1_PKS3_PKPS1_EviT_T9_T10_S9_lSB_S9_lSA_T11_S9_li.has_dyn_sized_stack, 0
	.set _ZL29rocblas_internal_gemmt_kernelIlLi16ELi32ELi8ELc84ELc84ELc85ELb0ELb0E19rocblas_complex_numIdEPKS1_PKS3_PKPS1_EviT_T9_T10_S9_lSB_S9_lSA_T11_S9_li.has_recursion, 0
	.set _ZL29rocblas_internal_gemmt_kernelIlLi16ELi32ELi8ELc84ELc84ELc85ELb0ELb0E19rocblas_complex_numIdEPKS1_PKS3_PKPS1_EviT_T9_T10_S9_lSB_S9_lSA_T11_S9_li.has_indirect_call, 0
	.section	.AMDGPU.csdata,"",@progbits
; Kernel info:
; codeLenInByte = 3576
; TotalNumSgprs: 46
; NumVgprs: 135
; ScratchSize: 0
; MemoryBound: 0
; FloatMode: 240
; IeeeMode: 1
; LDSByteSize: 8192 bytes/workgroup (compile time only)
; SGPRBlocks: 0
; VGPRBlocks: 16
; NumSGPRsForWavesPerEU: 46
; NumVGPRsForWavesPerEU: 135
; Occupancy: 10
; WaveLimiterHint : 1
; COMPUTE_PGM_RSRC2:SCRATCH_EN: 0
; COMPUTE_PGM_RSRC2:USER_SGPR: 2
; COMPUTE_PGM_RSRC2:TRAP_HANDLER: 0
; COMPUTE_PGM_RSRC2:TGID_X_EN: 1
; COMPUTE_PGM_RSRC2:TGID_Y_EN: 1
; COMPUTE_PGM_RSRC2:TGID_Z_EN: 1
; COMPUTE_PGM_RSRC2:TIDIG_COMP_CNT: 1
	.section	.text._ZL29rocblas_internal_gemmt_kernelIlLi16ELi32ELi8ELc84ELc67ELc85ELb0ELb1E19rocblas_complex_numIdEPKS1_PKS3_PKPS1_EviT_T9_T10_S9_lSB_S9_lSA_T11_S9_li,"axG",@progbits,_ZL29rocblas_internal_gemmt_kernelIlLi16ELi32ELi8ELc84ELc67ELc85ELb0ELb1E19rocblas_complex_numIdEPKS1_PKS3_PKPS1_EviT_T9_T10_S9_lSB_S9_lSA_T11_S9_li,comdat
	.globl	_ZL29rocblas_internal_gemmt_kernelIlLi16ELi32ELi8ELc84ELc67ELc85ELb0ELb1E19rocblas_complex_numIdEPKS1_PKS3_PKPS1_EviT_T9_T10_S9_lSB_S9_lSA_T11_S9_li ; -- Begin function _ZL29rocblas_internal_gemmt_kernelIlLi16ELi32ELi8ELc84ELc67ELc85ELb0ELb1E19rocblas_complex_numIdEPKS1_PKS3_PKPS1_EviT_T9_T10_S9_lSB_S9_lSA_T11_S9_li
	.p2align	8
	.type	_ZL29rocblas_internal_gemmt_kernelIlLi16ELi32ELi8ELc84ELc67ELc85ELb0ELb1E19rocblas_complex_numIdEPKS1_PKS3_PKPS1_EviT_T9_T10_S9_lSB_S9_lSA_T11_S9_li,@function
_ZL29rocblas_internal_gemmt_kernelIlLi16ELi32ELi8ELc84ELc67ELc85ELb0ELb1E19rocblas_complex_numIdEPKS1_PKS3_PKPS1_EviT_T9_T10_S9_lSB_S9_lSA_T11_S9_li: ; @_ZL29rocblas_internal_gemmt_kernelIlLi16ELi32ELi8ELc84ELc67ELc85ELb0ELb1E19rocblas_complex_numIdEPKS1_PKS3_PKPS1_EviT_T9_T10_S9_lSB_S9_lSA_T11_S9_li
; %bb.0:
	s_clause 0x1
	s_load_b256 s[24:31], s[0:1], 0x48
	s_load_b512 s[8:23], s[0:1], 0x8
	s_wait_kmcnt 0x0
	s_load_b128 s[36:39], s[24:25], 0x0
	s_load_b128 s[40:43], s[10:11], 0x0
	s_wait_kmcnt 0x0
	v_cmp_eq_f64_e64 s3, s[36:37], 1.0
	v_cmp_eq_f64_e64 s2, s[38:39], 0
	s_and_b32 s3, s3, s2
	s_delay_alu instid0(SALU_CYCLE_1)
	s_and_not1_b32 vcc_lo, exec_lo, s3
	s_mov_b32 s3, -1
	s_cbranch_vccnz .LBB545_3
; %bb.1:
	s_cmp_lg_u64 s[8:9], 0
	s_cbranch_scc0 .LBB545_39
; %bb.2:
	v_cmp_neq_f64_e64 s3, s[40:41], 0
	v_cmp_neq_f64_e64 s4, s[42:43], 0
	s_or_b32 s3, s3, s4
.LBB545_3:
	s_delay_alu instid0(SALU_CYCLE_1)
	s_and_b32 vcc_lo, exec_lo, s3
	s_cbranch_vccz .LBB545_40
; %bb.4:
	s_load_b32 s24, s[0:1], 0x68
	s_lshr_b32 s6, ttmp7, 16
	s_wait_kmcnt 0x0
	s_cmp_ge_u32 s6, s24
	s_cbranch_scc1 .LBB545_40
; %bb.5:
	v_cmp_neq_f64_e64 s3, s[40:41], 0
	v_cmp_neq_f64_e64 s4, s[42:43], 0
	v_dual_mov_b32 v1, 0 :: v_dual_and_b32 v6, 0x3ff, v0
	v_bfe_u32 v9, v0, 10, 10
	s_load_b32 s5, s[0:1], 0x0
	s_lshl_b32 s0, ttmp7, 5
	v_cmp_neq_f64_e64 s11, s[36:37], 0
	s_and_b32 s0, s0, 0x1fffe0
	v_and_b32_e32 v36, 7, v0
	v_lshl_add_u32 v0, v9, 4, v6
	v_add_nc_u32_e32 v12, s0, v9
	s_lshl_b32 s7, ttmp9, 5
	v_cmp_gt_i64_e64 s10, s[8:9], 0
	s_ashr_i32 s1, s7, 31
	v_and_b32_e32 v4, 31, v0
	v_mad_co_u64_u32 v[2:3], null, s28, v12, 0
	v_add_nc_u32_e32 v13, 16, v12
	v_lshlrev_b32_e32 v7, 4, v36
	v_lshrrev_b32_e32 v38, 5, v0
	v_lshrrev_b32_e32 v0, 3, v0
	v_or_b32_e32 v8, s7, v4
	v_mad_co_u64_u32 v[14:15], null, s28, v13, 0
	v_lshlrev_b32_e32 v10, 4, v4
	s_delay_alu instid0(VALU_DEP_4)
	v_add_nc_u32_e32 v16, s0, v0
	v_lshl_or_b32 v7, v0, 7, v7
	v_mov_b32_e32 v0, v3
	v_mul_lo_u32 v11, s15, v8
	v_mad_co_u64_u32 v[4:5], null, s14, v8, 0
	v_lshlrev_b32_e32 v37, 4, v6
	s_wait_kmcnt 0x0
	v_cmp_gt_i32_e64 s0, s5, v8
	v_cmp_le_i32_e64 s25, s5, v8
	v_add_nc_u32_e32 v40, 0x1000, v7
	v_mad_co_u64_u32 v[7:8], null, s29, v12, v[0:1]
	v_mov_b32_e32 v0, v15
	s_wait_alu 0xfffe
	s_mul_i32 s33, s14, s1
	v_lshl_or_b32 v39, v38, 9, v10
	v_add3_u32 v5, v5, s33, v11
	v_add_nc_u32_e32 v6, s7, v6
	v_mad_co_u64_u32 v[10:11], null, s29, v13, v[0:1]
	s_or_b32 s14, s3, s4
	s_xor_b32 s3, s2, -1
	v_cmp_gt_i32_e32 vcc_lo, s5, v12
	v_cmp_le_i32_e64 s2, v6, v12
	v_dual_mov_b32 v3, v7 :: v_dual_add_nc_u32 v8, 16, v6
	v_mov_b32_e32 v15, v10
	v_cmp_gt_i32_e64 s1, s5, v16
	s_or_b32 s28, s11, s3
	s_and_b32 s33, vcc_lo, s2
	v_cmp_le_i32_e64 s2, v8, v12
	v_cmp_gt_i32_e64 s3, s5, v13
	v_cmp_le_i32_e64 s4, v6, v13
	v_cmp_le_i32_e64 s5, v8, v13
	v_lshlrev_b64_e32 v[10:11], 4, v[4:5]
	v_lshlrev_b64_e32 v[12:13], 4, v[2:3]
	;; [unrolled: 1-line block ×3, first 2 shown]
	v_lshl_add_u32 v41, v9, 7, 0x1000
	v_ashrrev_i32_e32 v7, 31, v6
	v_ashrrev_i32_e32 v9, 31, v8
	v_lshlrev_b32_e32 v42, 4, v16
	s_and_b32 s29, vcc_lo, s2
	s_and_b32 s34, s3, s4
	s_and_b32 s35, s3, s5
	s_mov_b32 s7, 0
	s_wait_alu 0xfffe
	s_and_b32 s44, s14, s10
	s_lshl_b64 s[2:3], s[22:23], 4
	s_lshl_b64 s[4:5], s[16:17], 4
	;; [unrolled: 1-line block ×3, first 2 shown]
                                        ; implicit-def: $vgpr16_vgpr17
	s_branch .LBB545_7
.LBB545_6:                              ;   in Loop: Header=BB545_7 Depth=1
	s_wait_alu 0xfffe
	s_or_b32 exec_lo, exec_lo, s14
	s_add_co_i32 s6, s6, 0x10000
	s_wait_alu 0xfffe
	s_cmp_lt_u32 s6, s24
	s_cbranch_scc0 .LBB545_40
.LBB545_7:                              ; =>This Loop Header: Depth=1
                                        ;     Child Loop BB545_10 Depth 2
	s_lshl_b64 s[14:15], s[6:7], 3
	v_mov_b32_e32 v32, 0
	s_wait_alu 0xfffe
	s_add_nc_u64 s[16:17], s[26:27], s[14:15]
	v_mov_b32_e32 v33, 0
	global_load_b64 v[18:19], v1, s[16:17]
	s_and_not1_b32 vcc_lo, exec_lo, s44
	s_wait_alu 0xfffe
	s_cbranch_vccnz .LBB545_18
; %bb.8:                                ;   in Loop: Header=BB545_7 Depth=1
	s_add_nc_u64 s[16:17], s[12:13], s[14:15]
	s_add_nc_u64 s[14:15], s[18:19], s[14:15]
	s_clause 0x1
	global_load_b64 v[2:3], v1, s[16:17]
	global_load_b64 v[4:5], v1, s[14:15]
	v_mov_b32_e32 v20, 0
	v_mov_b32_e32 v26, 0
	;; [unrolled: 1-line block ×3, first 2 shown]
	v_dual_mov_b32 v34, 0 :: v_dual_mov_b32 v21, 0
	v_dual_mov_b32 v22, 0 :: v_dual_mov_b32 v27, 0
	;; [unrolled: 1-line block ×5, first 2 shown]
	v_mov_b32_e32 v25, 0
	v_mov_b32_e32 v29, 0
	;; [unrolled: 1-line block ×3, first 2 shown]
	s_mov_b64 s[14:15], 0
	s_wait_loadcnt 0x1
	v_add_co_u32 v0, vcc_lo, v2, s4
	s_wait_alu 0xfffd
	v_add_co_ci_u32_e64 v2, null, s5, v3, vcc_lo
	s_wait_loadcnt 0x0
	v_add_co_u32 v3, vcc_lo, v4, s2
	s_wait_alu 0xfffd
	v_add_co_ci_u32_e64 v4, null, s3, v5, vcc_lo
	v_add_co_u32 v43, vcc_lo, v0, v10
	s_wait_alu 0xfffd
	v_add_co_ci_u32_e64 v44, null, v2, v11, vcc_lo
	;; [unrolled: 3-line block ×3, first 2 shown]
	s_branch .LBB545_10
.LBB545_9:                              ;   in Loop: Header=BB545_10 Depth=2
	s_or_b32 exec_lo, exec_lo, s16
	ds_store_b128 v40, v[2:5]
	s_wait_dscnt 0x0
	s_barrier_signal -1
	s_barrier_wait -1
	global_inv scope:SCOPE_SE
	ds_load_b128 v[2:5], v41
	ds_load_b128 v[47:50], v37
	ds_load_b128 v[51:54], v37 offset:256
	ds_load_b128 v[55:58], v41 offset:2048
	;; [unrolled: 1-line block ×10, first 2 shown]
	s_add_nc_u64 s[14:15], s[14:15], 8
	s_wait_alu 0xfffe
	v_cmp_gt_i64_e64 s16, s[8:9], s[14:15]
	s_and_b32 vcc_lo, exec_lo, s16
	s_wait_dscnt 0xa
	v_mul_f64_e32 v[91:92], v[4:5], v[49:50]
	v_mul_f64_e32 v[93:94], v[2:3], v[49:50]
	s_wait_dscnt 0x9
	v_mul_f64_e32 v[95:96], v[4:5], v[53:54]
	v_mul_f64_e32 v[97:98], v[2:3], v[53:54]
	;; [unrolled: 3-line block ×3, first 2 shown]
	v_mul_f64_e32 v[101:102], v[57:58], v[53:54]
	v_mul_f64_e32 v[53:54], v[55:56], v[53:54]
	s_wait_dscnt 0x5
	v_mul_f64_e32 v[103:104], v[61:62], v[69:70]
	v_mul_f64_e32 v[105:106], v[59:60], v[69:70]
	s_wait_dscnt 0x4
	v_mul_f64_e32 v[107:108], v[61:62], v[73:74]
	v_mul_f64_e32 v[109:110], v[59:60], v[73:74]
	;; [unrolled: 1-line block ×6, first 2 shown]
	s_wait_dscnt 0x2
	v_mul_f64_e32 v[119:120], v[77:78], v[81:82]
	v_mul_f64_e32 v[121:122], v[75:76], v[81:82]
	s_wait_dscnt 0x1
	v_mul_f64_e32 v[123:124], v[77:78], v[85:86]
	v_mul_f64_e32 v[125:126], v[75:76], v[85:86]
	;; [unrolled: 3-line block ×3, first 2 shown]
	v_mul_f64_e32 v[129:130], v[89:90], v[85:86]
	v_mul_f64_e32 v[85:86], v[87:88], v[85:86]
	v_fma_f64 v[91:92], v[2:3], v[47:48], -v[91:92]
	v_fma_f64 v[93:94], v[4:5], v[47:48], v[93:94]
	v_fma_f64 v[95:96], v[2:3], v[51:52], -v[95:96]
	v_fma_f64 v[97:98], v[4:5], v[51:52], v[97:98]
	;; [unrolled: 2-line block ×8, first 2 shown]
	ds_load_b128 v[2:5], v41 offset:48
	ds_load_b128 v[47:50], v37 offset:1536
	;; [unrolled: 1-line block ×4, first 2 shown]
	v_fma_f64 v[119:120], v[75:76], v[79:80], -v[119:120]
	v_fma_f64 v[121:122], v[77:78], v[79:80], v[121:122]
	v_fma_f64 v[75:76], v[75:76], v[83:84], -v[123:124]
	v_fma_f64 v[77:78], v[77:78], v[83:84], v[125:126]
	;; [unrolled: 2-line block ×4, first 2 shown]
	s_wait_dscnt 0x2
	v_mul_f64_e32 v[109:110], v[2:3], v[49:50]
	s_wait_dscnt 0x1
	v_mul_f64_e32 v[111:112], v[4:5], v[53:54]
	v_mul_f64_e32 v[113:114], v[2:3], v[53:54]
	v_add_f64_e32 v[69:70], v[32:33], v[91:92]
	v_add_f64_e32 v[71:72], v[93:94], v[34:35]
	;; [unrolled: 1-line block ×8, first 2 shown]
	v_mul_f64_e32 v[101:102], v[4:5], v[49:50]
	s_wait_dscnt 0x0
	v_mul_f64_e32 v[115:116], v[57:58], v[49:50]
	v_mul_f64_e32 v[49:50], v[55:56], v[49:50]
	;; [unrolled: 1-line block ×4, first 2 shown]
	ds_load_b128 v[20:23], v41 offset:64
	ds_load_b128 v[24:27], v37 offset:2048
	;; [unrolled: 1-line block ×4, first 2 shown]
	s_wait_dscnt 0x1
	v_mul_f64_e32 v[125:126], v[20:21], v[30:31]
	s_wait_dscnt 0x0
	v_mul_f64_e32 v[127:128], v[34:35], v[26:27]
	v_mul_f64_e32 v[129:130], v[34:35], v[30:31]
	v_fma_f64 v[109:110], v[4:5], v[47:48], v[109:110]
	v_fma_f64 v[111:112], v[2:3], v[51:52], -v[111:112]
	v_fma_f64 v[113:114], v[4:5], v[51:52], v[113:114]
	v_add_f64_e32 v[85:86], v[69:70], v[103:104]
	v_add_f64_e32 v[87:88], v[105:106], v[71:72]
	;; [unrolled: 1-line block ×8, first 2 shown]
	v_mul_f64_e32 v[103:104], v[22:23], v[26:27]
	v_mul_f64_e32 v[105:106], v[20:21], v[26:27]
	;; [unrolled: 1-line block ×5, first 2 shown]
	v_fma_f64 v[101:102], v[2:3], v[47:48], -v[101:102]
	v_fma_f64 v[115:116], v[55:56], v[47:48], -v[115:116]
	v_fma_f64 v[131:132], v[57:58], v[47:48], v[49:50]
	v_fma_f64 v[117:118], v[55:56], v[51:52], -v[117:118]
	v_fma_f64 v[133:134], v[57:58], v[51:52], v[53:54]
	ds_load_b128 v[59:62], v41 offset:80
	ds_load_b128 v[63:66], v37 offset:2560
	;; [unrolled: 1-line block ×8, first 2 shown]
	v_add_f64_e32 v[85:86], v[85:86], v[119:120]
	v_add_f64_e32 v[87:88], v[121:122], v[87:88]
	;; [unrolled: 1-line block ×8, first 2 shown]
	s_wait_dscnt 0x6
	v_mul_f64_e32 v[91:92], v[61:62], v[65:66]
	v_mul_f64_e32 v[93:94], v[59:60], v[65:66]
	s_wait_dscnt 0x5
	v_mul_f64_e32 v[95:96], v[61:62], v[69:70]
	v_mul_f64_e32 v[97:98], v[59:60], v[69:70]
	;; [unrolled: 3-line block ×3, first 2 shown]
	v_mul_f64_e32 v[119:120], v[73:74], v[69:70]
	v_mul_f64_e32 v[69:70], v[71:72], v[69:70]
	v_fma_f64 v[103:104], v[20:21], v[24:25], -v[103:104]
	v_fma_f64 v[105:106], v[22:23], v[24:25], v[105:106]
	v_fma_f64 v[107:108], v[20:21], v[28:29], -v[107:108]
	v_fma_f64 v[121:122], v[22:23], v[28:29], v[125:126]
	;; [unrolled: 2-line block ×4, first 2 shown]
	ds_load_b128 v[20:23], v41 offset:112
	ds_load_b128 v[24:27], v37 offset:3584
	;; [unrolled: 1-line block ×4, first 2 shown]
	s_wait_loadcnt_dscnt 0x0
	s_barrier_signal -1
	s_barrier_wait -1
	global_inv scope:SCOPE_SE
	v_add_f64_e32 v[85:86], v[85:86], v[101:102]
	v_add_f64_e32 v[87:88], v[109:110], v[87:88]
	;; [unrolled: 1-line block ×8, first 2 shown]
	v_mul_f64_e32 v[101:102], v[4:5], v[49:50]
	v_mul_f64_e32 v[109:110], v[2:3], v[49:50]
	;; [unrolled: 1-line block ×8, first 2 shown]
	v_fma_f64 v[91:92], v[59:60], v[63:64], -v[91:92]
	v_fma_f64 v[93:94], v[61:62], v[63:64], v[93:94]
	v_fma_f64 v[59:60], v[59:60], v[67:68], -v[95:96]
	v_fma_f64 v[61:62], v[61:62], v[67:68], v[97:98]
	;; [unrolled: 2-line block ×4, first 2 shown]
	v_mul_f64_e32 v[97:98], v[20:21], v[30:31]
	v_mul_f64_e32 v[99:100], v[34:35], v[26:27]
	v_add_f64_e32 v[69:70], v[85:86], v[103:104]
	v_add_f64_e32 v[71:72], v[105:106], v[87:88]
	;; [unrolled: 1-line block ×8, first 2 shown]
	v_mul_f64_e32 v[85:86], v[22:23], v[26:27]
	v_mul_f64_e32 v[87:88], v[20:21], v[26:27]
	;; [unrolled: 1-line block ×6, first 2 shown]
	v_fma_f64 v[101:102], v[2:3], v[47:48], -v[101:102]
	v_fma_f64 v[105:106], v[4:5], v[47:48], v[109:110]
	v_fma_f64 v[2:3], v[2:3], v[51:52], -v[111:112]
	v_fma_f64 v[4:5], v[4:5], v[51:52], v[113:114]
	;; [unrolled: 2-line block ×4, first 2 shown]
	v_add_f64_e32 v[53:54], v[69:70], v[91:92]
	v_add_f64_e32 v[55:56], v[93:94], v[71:72]
	v_add_f64_e32 v[57:58], v[73:74], v[59:60]
	v_add_f64_e32 v[59:60], v[61:62], v[75:76]
	v_add_f64_e32 v[61:62], v[77:78], v[95:96]
	v_add_f64_e32 v[63:64], v[63:64], v[79:80]
	v_add_f64_e32 v[65:66], v[81:82], v[65:66]
	v_add_f64_e32 v[67:68], v[67:68], v[83:84]
	v_fma_f64 v[69:70], v[20:21], v[24:25], -v[85:86]
	v_fma_f64 v[71:72], v[22:23], v[24:25], v[87:88]
	v_fma_f64 v[20:21], v[20:21], v[28:29], -v[89:90]
	v_fma_f64 v[22:23], v[22:23], v[28:29], v[97:98]
	;; [unrolled: 2-line block ×4, first 2 shown]
	v_add_f64_e32 v[24:25], v[53:54], v[101:102]
	v_add_f64_e32 v[28:29], v[105:106], v[55:56]
	;; [unrolled: 1-line block ×16, first 2 shown]
	s_wait_alu 0xfffe
	s_cbranch_vccz .LBB545_19
.LBB545_10:                             ;   Parent Loop BB545_7 Depth=1
                                        ; =>  This Inner Loop Header: Depth=2
	s_mov_b32 s16, 0
	s_mov_b32 s22, s25
	s_and_saveexec_b32 s17, s0
	s_cbranch_execnz .LBB545_16
; %bb.11:                               ;   in Loop: Header=BB545_10 Depth=2
	s_or_b32 exec_lo, exec_lo, s17
	s_and_saveexec_b32 s17, s22
	s_delay_alu instid0(SALU_CYCLE_1)
	s_xor_b32 s17, exec_lo, s17
	s_cbranch_execnz .LBB545_17
.LBB545_12:                             ;   in Loop: Header=BB545_10 Depth=2
	s_or_b32 exec_lo, exec_lo, s17
	s_and_saveexec_b32 s17, s16
	s_cbranch_execz .LBB545_14
.LBB545_13:                             ;   in Loop: Header=BB545_10 Depth=2
	v_lshlrev_b64_e32 v[2:3], 4, v[16:17]
	s_delay_alu instid0(VALU_DEP_1) | instskip(SKIP_1) | instid1(VALU_DEP_2)
	v_add_co_u32 v2, vcc_lo, v43, v2
	s_wait_alu 0xfffd
	v_add_co_ci_u32_e64 v3, null, v44, v3, vcc_lo
	flat_load_b128 v[2:5], v[2:3]
	s_wait_loadcnt_dscnt 0x0
	ds_store_2addr_b64 v39, v[2:3], v[4:5] offset1:1
.LBB545_14:                             ;   in Loop: Header=BB545_10 Depth=2
	s_or_b32 exec_lo, exec_lo, s17
	s_wait_alu 0xfffe
	v_add_nc_u32_e32 v0, s14, v36
	v_mov_b32_e32 v2, 0
	v_dual_mov_b32 v3, 0 :: v_dual_mov_b32 v4, 0
	v_mov_b32_e32 v5, 0
	s_delay_alu instid0(VALU_DEP_4) | instskip(SKIP_1) | instid1(SALU_CYCLE_1)
	v_cmp_gt_u64_e32 vcc_lo, s[8:9], v[0:1]
	s_and_b32 s17, vcc_lo, s1
	s_and_saveexec_b32 s16, s17
	s_cbranch_execz .LBB545_9
; %bb.15:                               ;   in Loop: Header=BB545_10 Depth=2
	v_mad_co_u64_u32 v[2:3], null, s20, v0, 0
	s_delay_alu instid0(VALU_DEP_1) | instskip(NEXT) | instid1(VALU_DEP_1)
	v_mad_co_u64_u32 v[3:4], null, s21, v0, v[3:4]
	v_lshlrev_b64_e32 v[2:3], 4, v[2:3]
	s_delay_alu instid0(VALU_DEP_1) | instskip(SKIP_1) | instid1(VALU_DEP_2)
	v_add_co_u32 v2, vcc_lo, v45, v2
	s_wait_alu 0xfffd
	v_add_co_ci_u32_e64 v3, null, v46, v3, vcc_lo
	flat_load_b128 v[2:5], v[2:3]
	s_wait_loadcnt_dscnt 0x0
	v_xor_b32_e32 v5, 0x80000000, v5
	s_branch .LBB545_9
.LBB545_16:                             ;   in Loop: Header=BB545_10 Depth=2
	s_wait_alu 0xfffe
	v_add_nc_u32_e32 v0, s14, v38
	v_mov_b32_e32 v17, v1
	s_and_not1_b32 s22, s25, exec_lo
	s_mov_b32 s16, exec_lo
	s_delay_alu instid0(VALU_DEP_2) | instskip(SKIP_2) | instid1(SALU_CYCLE_1)
	v_cmp_le_u64_e32 vcc_lo, s[8:9], v[0:1]
	v_mov_b32_e32 v16, v0
	s_and_b32 s23, vcc_lo, exec_lo
	s_or_b32 s22, s22, s23
	s_or_b32 exec_lo, exec_lo, s17
	s_and_saveexec_b32 s17, s22
	s_delay_alu instid0(SALU_CYCLE_1)
	s_xor_b32 s17, exec_lo, s17
	s_cbranch_execz .LBB545_12
.LBB545_17:                             ;   in Loop: Header=BB545_10 Depth=2
	v_dual_mov_b32 v0, v1 :: v_dual_mov_b32 v3, v1
	v_mov_b32_e32 v2, v1
	s_and_not1_b32 s16, s16, exec_lo
	ds_store_b128 v39, v[0:3]
	s_or_b32 exec_lo, exec_lo, s17
	s_and_saveexec_b32 s17, s16
	s_cbranch_execnz .LBB545_13
	s_branch .LBB545_14
.LBB545_18:                             ;   in Loop: Header=BB545_7 Depth=1
	v_mov_b32_e32 v34, 0
	v_mov_b32_e32 v30, 0
	v_dual_mov_b32 v26, 0 :: v_dual_mov_b32 v35, 0
	v_dual_mov_b32 v28, 0 :: v_dual_mov_b32 v31, 0
	;; [unrolled: 1-line block ×3, first 2 shown]
	v_mov_b32_e32 v22, 0
	v_dual_mov_b32 v20, 0 :: v_dual_mov_b32 v29, 0
	v_mov_b32_e32 v25, 0
	v_mov_b32_e32 v23, 0
	;; [unrolled: 1-line block ×3, first 2 shown]
.LBB545_19:                             ;   in Loop: Header=BB545_7 Depth=1
	s_wait_loadcnt 0x0
	v_add_co_u32 v0, vcc_lo, v18, s10
	s_wait_alu 0xfffd
	v_add_co_ci_u32_e64 v18, null, s11, v19, vcc_lo
	s_delay_alu instid0(VALU_DEP_2) | instskip(SKIP_1) | instid1(VALU_DEP_2)
	v_add_co_u32 v19, vcc_lo, v0, v12
	s_wait_alu 0xfffd
	v_add_co_ci_u32_e64 v43, null, v18, v13, vcc_lo
	s_and_saveexec_b32 s14, s33
	s_cbranch_execz .LBB545_24
; %bb.20:                               ;   in Loop: Header=BB545_7 Depth=1
	v_mul_f64_e32 v[2:3], s[42:43], v[34:35]
	v_mul_f64_e32 v[4:5], s[40:41], v[34:35]
	s_and_b32 vcc_lo, exec_lo, s28
	s_mov_b32 s15, -1
	s_delay_alu instid0(VALU_DEP_2) | instskip(NEXT) | instid1(VALU_DEP_2)
	v_fma_f64 v[2:3], s[40:41], v[32:33], -v[2:3]
	v_fma_f64 v[4:5], s[42:43], v[32:33], v[4:5]
	s_wait_alu 0xfffe
	s_cbranch_vccz .LBB545_22
; %bb.21:                               ;   in Loop: Header=BB545_7 Depth=1
	v_lshlrev_b64_e32 v[32:33], 4, v[6:7]
	s_mov_b32 s15, 0
	s_delay_alu instid0(VALU_DEP_1) | instskip(SKIP_1) | instid1(VALU_DEP_2)
	v_add_co_u32 v44, vcc_lo, v19, v32
	s_wait_alu 0xfffd
	v_add_co_ci_u32_e64 v45, null, v43, v33, vcc_lo
	flat_load_b128 v[32:35], v[44:45]
	s_wait_loadcnt_dscnt 0x0
	v_mul_f64_e32 v[46:47], s[38:39], v[34:35]
	v_mul_f64_e32 v[34:35], s[36:37], v[34:35]
	s_delay_alu instid0(VALU_DEP_2) | instskip(NEXT) | instid1(VALU_DEP_2)
	v_fma_f64 v[46:47], s[36:37], v[32:33], -v[46:47]
	v_fma_f64 v[34:35], s[38:39], v[32:33], v[34:35]
	s_delay_alu instid0(VALU_DEP_2) | instskip(NEXT) | instid1(VALU_DEP_2)
	v_add_f64_e32 v[32:33], v[2:3], v[46:47]
	v_add_f64_e32 v[34:35], v[4:5], v[34:35]
	flat_store_b128 v[44:45], v[32:35]
.LBB545_22:                             ;   in Loop: Header=BB545_7 Depth=1
	s_wait_alu 0xfffe
	s_and_not1_b32 vcc_lo, exec_lo, s15
	s_wait_alu 0xfffe
	s_cbranch_vccnz .LBB545_24
; %bb.23:                               ;   in Loop: Header=BB545_7 Depth=1
	v_lshlrev_b64_e32 v[32:33], 4, v[6:7]
	s_delay_alu instid0(VALU_DEP_1) | instskip(SKIP_1) | instid1(VALU_DEP_2)
	v_add_co_u32 v32, vcc_lo, v19, v32
	s_wait_alu 0xfffd
	v_add_co_ci_u32_e64 v33, null, v43, v33, vcc_lo
	flat_store_b128 v[32:33], v[2:5]
.LBB545_24:                             ;   in Loop: Header=BB545_7 Depth=1
	s_wait_alu 0xfffe
	s_or_b32 exec_lo, exec_lo, s14
	s_and_saveexec_b32 s14, s29
	s_cbranch_execz .LBB545_29
; %bb.25:                               ;   in Loop: Header=BB545_7 Depth=1
	v_mul_f64_e32 v[2:3], s[42:43], v[30:31]
	v_mul_f64_e32 v[4:5], s[40:41], v[30:31]
	s_and_not1_b32 vcc_lo, exec_lo, s28
	s_mov_b32 s15, -1
	s_delay_alu instid0(VALU_DEP_2) | instskip(NEXT) | instid1(VALU_DEP_2)
	v_fma_f64 v[2:3], s[40:41], v[28:29], -v[2:3]
	v_fma_f64 v[4:5], s[42:43], v[28:29], v[4:5]
	s_wait_alu 0xfffe
	s_cbranch_vccnz .LBB545_27
; %bb.26:                               ;   in Loop: Header=BB545_7 Depth=1
	v_lshlrev_b64_e32 v[28:29], 4, v[8:9]
	s_mov_b32 s15, 0
	s_delay_alu instid0(VALU_DEP_1) | instskip(SKIP_1) | instid1(VALU_DEP_2)
	v_add_co_u32 v32, vcc_lo, v19, v28
	s_wait_alu 0xfffd
	v_add_co_ci_u32_e64 v33, null, v43, v29, vcc_lo
	flat_load_b128 v[28:31], v[32:33]
	s_wait_loadcnt_dscnt 0x0
	v_mul_f64_e32 v[34:35], s[38:39], v[30:31]
	v_mul_f64_e32 v[30:31], s[36:37], v[30:31]
	s_delay_alu instid0(VALU_DEP_2) | instskip(NEXT) | instid1(VALU_DEP_2)
	v_fma_f64 v[34:35], s[36:37], v[28:29], -v[34:35]
	v_fma_f64 v[30:31], s[38:39], v[28:29], v[30:31]
	s_delay_alu instid0(VALU_DEP_2) | instskip(NEXT) | instid1(VALU_DEP_2)
	v_add_f64_e32 v[28:29], v[2:3], v[34:35]
	v_add_f64_e32 v[30:31], v[4:5], v[30:31]
	flat_store_b128 v[32:33], v[28:31]
.LBB545_27:                             ;   in Loop: Header=BB545_7 Depth=1
	s_wait_alu 0xfffe
	s_and_not1_b32 vcc_lo, exec_lo, s15
	s_wait_alu 0xfffe
	s_cbranch_vccnz .LBB545_29
; %bb.28:                               ;   in Loop: Header=BB545_7 Depth=1
	v_lshlrev_b64_e32 v[28:29], 4, v[8:9]
	s_delay_alu instid0(VALU_DEP_1) | instskip(SKIP_1) | instid1(VALU_DEP_2)
	v_add_co_u32 v28, vcc_lo, v19, v28
	s_wait_alu 0xfffd
	v_add_co_ci_u32_e64 v29, null, v43, v29, vcc_lo
	flat_store_b128 v[28:29], v[2:5]
.LBB545_29:                             ;   in Loop: Header=BB545_7 Depth=1
	s_wait_alu 0xfffe
	s_or_b32 exec_lo, exec_lo, s14
	v_add_co_u32 v0, vcc_lo, v0, v14
	s_wait_alu 0xfffd
	v_add_co_ci_u32_e64 v28, null, v18, v15, vcc_lo
	s_and_saveexec_b32 s14, s34
	s_cbranch_execz .LBB545_34
; %bb.30:                               ;   in Loop: Header=BB545_7 Depth=1
	v_mul_f64_e32 v[2:3], s[42:43], v[26:27]
	v_mul_f64_e32 v[4:5], s[40:41], v[26:27]
	v_lshlrev_b64_e32 v[18:19], 4, v[6:7]
	s_and_not1_b32 vcc_lo, exec_lo, s28
	s_mov_b32 s15, -1
	s_delay_alu instid0(VALU_DEP_3) | instskip(NEXT) | instid1(VALU_DEP_3)
	v_fma_f64 v[2:3], s[40:41], v[24:25], -v[2:3]
	v_fma_f64 v[4:5], s[42:43], v[24:25], v[4:5]
	s_wait_alu 0xfffe
	s_cbranch_vccnz .LBB545_32
; %bb.31:                               ;   in Loop: Header=BB545_7 Depth=1
	v_add_co_u32 v29, vcc_lo, v0, v18
	s_wait_alu 0xfffd
	v_add_co_ci_u32_e64 v30, null, v28, v19, vcc_lo
	s_mov_b32 s15, 0
	flat_load_b128 v[24:27], v[29:30]
	s_wait_loadcnt_dscnt 0x0
	v_mul_f64_e32 v[31:32], s[38:39], v[26:27]
	v_mul_f64_e32 v[26:27], s[36:37], v[26:27]
	s_delay_alu instid0(VALU_DEP_2) | instskip(NEXT) | instid1(VALU_DEP_2)
	v_fma_f64 v[31:32], s[36:37], v[24:25], -v[31:32]
	v_fma_f64 v[26:27], s[38:39], v[24:25], v[26:27]
	s_delay_alu instid0(VALU_DEP_2) | instskip(NEXT) | instid1(VALU_DEP_2)
	v_add_f64_e32 v[24:25], v[2:3], v[31:32]
	v_add_f64_e32 v[26:27], v[4:5], v[26:27]
	flat_store_b128 v[29:30], v[24:27]
.LBB545_32:                             ;   in Loop: Header=BB545_7 Depth=1
	s_wait_alu 0xfffe
	s_and_not1_b32 vcc_lo, exec_lo, s15
	s_wait_alu 0xfffe
	s_cbranch_vccnz .LBB545_34
; %bb.33:                               ;   in Loop: Header=BB545_7 Depth=1
	v_add_co_u32 v18, vcc_lo, v0, v18
	s_wait_alu 0xfffd
	v_add_co_ci_u32_e64 v19, null, v28, v19, vcc_lo
	flat_store_b128 v[18:19], v[2:5]
.LBB545_34:                             ;   in Loop: Header=BB545_7 Depth=1
	s_wait_alu 0xfffe
	s_or_b32 exec_lo, exec_lo, s14
	s_and_saveexec_b32 s14, s35
	s_cbranch_execz .LBB545_6
; %bb.35:                               ;   in Loop: Header=BB545_7 Depth=1
	v_mul_f64_e32 v[2:3], s[42:43], v[20:21]
	v_mul_f64_e32 v[4:5], s[40:41], v[20:21]
	v_lshlrev_b64_e32 v[18:19], 4, v[8:9]
	s_and_not1_b32 vcc_lo, exec_lo, s28
	s_mov_b32 s15, -1
	s_delay_alu instid0(VALU_DEP_3) | instskip(NEXT) | instid1(VALU_DEP_3)
	v_fma_f64 v[2:3], s[40:41], v[22:23], -v[2:3]
	v_fma_f64 v[4:5], s[42:43], v[22:23], v[4:5]
	s_wait_alu 0xfffe
	s_cbranch_vccnz .LBB545_37
; %bb.36:                               ;   in Loop: Header=BB545_7 Depth=1
	v_add_co_u32 v24, vcc_lo, v0, v18
	s_wait_alu 0xfffd
	v_add_co_ci_u32_e64 v25, null, v28, v19, vcc_lo
	s_mov_b32 s15, 0
	flat_load_b128 v[20:23], v[24:25]
	s_wait_loadcnt_dscnt 0x0
	v_mul_f64_e32 v[26:27], s[38:39], v[22:23]
	v_mul_f64_e32 v[22:23], s[36:37], v[22:23]
	s_delay_alu instid0(VALU_DEP_2) | instskip(NEXT) | instid1(VALU_DEP_2)
	v_fma_f64 v[26:27], s[36:37], v[20:21], -v[26:27]
	v_fma_f64 v[22:23], s[38:39], v[20:21], v[22:23]
	s_delay_alu instid0(VALU_DEP_2) | instskip(NEXT) | instid1(VALU_DEP_2)
	v_add_f64_e32 v[20:21], v[2:3], v[26:27]
	v_add_f64_e32 v[22:23], v[4:5], v[22:23]
	flat_store_b128 v[24:25], v[20:23]
.LBB545_37:                             ;   in Loop: Header=BB545_7 Depth=1
	s_wait_alu 0xfffe
	s_and_not1_b32 vcc_lo, exec_lo, s15
	s_wait_alu 0xfffe
	s_cbranch_vccnz .LBB545_6
; %bb.38:                               ;   in Loop: Header=BB545_7 Depth=1
	v_add_co_u32 v18, vcc_lo, v0, v18
	s_wait_alu 0xfffd
	v_add_co_ci_u32_e64 v19, null, v28, v19, vcc_lo
	flat_store_b128 v[18:19], v[2:5]
	s_branch .LBB545_6
.LBB545_39:
.LBB545_40:
	s_nop 0
	s_sendmsg sendmsg(MSG_DEALLOC_VGPRS)
	s_endpgm
	.section	.rodata,"a",@progbits
	.p2align	6, 0x0
	.amdhsa_kernel _ZL29rocblas_internal_gemmt_kernelIlLi16ELi32ELi8ELc84ELc67ELc85ELb0ELb1E19rocblas_complex_numIdEPKS1_PKS3_PKPS1_EviT_T9_T10_S9_lSB_S9_lSA_T11_S9_li
		.amdhsa_group_segment_fixed_size 8192
		.amdhsa_private_segment_fixed_size 0
		.amdhsa_kernarg_size 108
		.amdhsa_user_sgpr_count 2
		.amdhsa_user_sgpr_dispatch_ptr 0
		.amdhsa_user_sgpr_queue_ptr 0
		.amdhsa_user_sgpr_kernarg_segment_ptr 1
		.amdhsa_user_sgpr_dispatch_id 0
		.amdhsa_user_sgpr_private_segment_size 0
		.amdhsa_wavefront_size32 1
		.amdhsa_uses_dynamic_stack 0
		.amdhsa_enable_private_segment 0
		.amdhsa_system_sgpr_workgroup_id_x 1
		.amdhsa_system_sgpr_workgroup_id_y 1
		.amdhsa_system_sgpr_workgroup_id_z 1
		.amdhsa_system_sgpr_workgroup_info 0
		.amdhsa_system_vgpr_workitem_id 1
		.amdhsa_next_free_vgpr 135
		.amdhsa_next_free_sgpr 45
		.amdhsa_reserve_vcc 1
		.amdhsa_float_round_mode_32 0
		.amdhsa_float_round_mode_16_64 0
		.amdhsa_float_denorm_mode_32 3
		.amdhsa_float_denorm_mode_16_64 3
		.amdhsa_fp16_overflow 0
		.amdhsa_workgroup_processor_mode 1
		.amdhsa_memory_ordered 1
		.amdhsa_forward_progress 1
		.amdhsa_inst_pref_size 28
		.amdhsa_round_robin_scheduling 0
		.amdhsa_exception_fp_ieee_invalid_op 0
		.amdhsa_exception_fp_denorm_src 0
		.amdhsa_exception_fp_ieee_div_zero 0
		.amdhsa_exception_fp_ieee_overflow 0
		.amdhsa_exception_fp_ieee_underflow 0
		.amdhsa_exception_fp_ieee_inexact 0
		.amdhsa_exception_int_div_zero 0
	.end_amdhsa_kernel
	.section	.text._ZL29rocblas_internal_gemmt_kernelIlLi16ELi32ELi8ELc84ELc67ELc85ELb0ELb1E19rocblas_complex_numIdEPKS1_PKS3_PKPS1_EviT_T9_T10_S9_lSB_S9_lSA_T11_S9_li,"axG",@progbits,_ZL29rocblas_internal_gemmt_kernelIlLi16ELi32ELi8ELc84ELc67ELc85ELb0ELb1E19rocblas_complex_numIdEPKS1_PKS3_PKPS1_EviT_T9_T10_S9_lSB_S9_lSA_T11_S9_li,comdat
.Lfunc_end545:
	.size	_ZL29rocblas_internal_gemmt_kernelIlLi16ELi32ELi8ELc84ELc67ELc85ELb0ELb1E19rocblas_complex_numIdEPKS1_PKS3_PKPS1_EviT_T9_T10_S9_lSB_S9_lSA_T11_S9_li, .Lfunc_end545-_ZL29rocblas_internal_gemmt_kernelIlLi16ELi32ELi8ELc84ELc67ELc85ELb0ELb1E19rocblas_complex_numIdEPKS1_PKS3_PKPS1_EviT_T9_T10_S9_lSB_S9_lSA_T11_S9_li
                                        ; -- End function
	.set _ZL29rocblas_internal_gemmt_kernelIlLi16ELi32ELi8ELc84ELc67ELc85ELb0ELb1E19rocblas_complex_numIdEPKS1_PKS3_PKPS1_EviT_T9_T10_S9_lSB_S9_lSA_T11_S9_li.num_vgpr, 135
	.set _ZL29rocblas_internal_gemmt_kernelIlLi16ELi32ELi8ELc84ELc67ELc85ELb0ELb1E19rocblas_complex_numIdEPKS1_PKS3_PKPS1_EviT_T9_T10_S9_lSB_S9_lSA_T11_S9_li.num_agpr, 0
	.set _ZL29rocblas_internal_gemmt_kernelIlLi16ELi32ELi8ELc84ELc67ELc85ELb0ELb1E19rocblas_complex_numIdEPKS1_PKS3_PKPS1_EviT_T9_T10_S9_lSB_S9_lSA_T11_S9_li.numbered_sgpr, 45
	.set _ZL29rocblas_internal_gemmt_kernelIlLi16ELi32ELi8ELc84ELc67ELc85ELb0ELb1E19rocblas_complex_numIdEPKS1_PKS3_PKPS1_EviT_T9_T10_S9_lSB_S9_lSA_T11_S9_li.num_named_barrier, 0
	.set _ZL29rocblas_internal_gemmt_kernelIlLi16ELi32ELi8ELc84ELc67ELc85ELb0ELb1E19rocblas_complex_numIdEPKS1_PKS3_PKPS1_EviT_T9_T10_S9_lSB_S9_lSA_T11_S9_li.private_seg_size, 0
	.set _ZL29rocblas_internal_gemmt_kernelIlLi16ELi32ELi8ELc84ELc67ELc85ELb0ELb1E19rocblas_complex_numIdEPKS1_PKS3_PKPS1_EviT_T9_T10_S9_lSB_S9_lSA_T11_S9_li.uses_vcc, 1
	.set _ZL29rocblas_internal_gemmt_kernelIlLi16ELi32ELi8ELc84ELc67ELc85ELb0ELb1E19rocblas_complex_numIdEPKS1_PKS3_PKPS1_EviT_T9_T10_S9_lSB_S9_lSA_T11_S9_li.uses_flat_scratch, 0
	.set _ZL29rocblas_internal_gemmt_kernelIlLi16ELi32ELi8ELc84ELc67ELc85ELb0ELb1E19rocblas_complex_numIdEPKS1_PKS3_PKPS1_EviT_T9_T10_S9_lSB_S9_lSA_T11_S9_li.has_dyn_sized_stack, 0
	.set _ZL29rocblas_internal_gemmt_kernelIlLi16ELi32ELi8ELc84ELc67ELc85ELb0ELb1E19rocblas_complex_numIdEPKS1_PKS3_PKPS1_EviT_T9_T10_S9_lSB_S9_lSA_T11_S9_li.has_recursion, 0
	.set _ZL29rocblas_internal_gemmt_kernelIlLi16ELi32ELi8ELc84ELc67ELc85ELb0ELb1E19rocblas_complex_numIdEPKS1_PKS3_PKPS1_EviT_T9_T10_S9_lSB_S9_lSA_T11_S9_li.has_indirect_call, 0
	.section	.AMDGPU.csdata,"",@progbits
; Kernel info:
; codeLenInByte = 3552
; TotalNumSgprs: 47
; NumVgprs: 135
; ScratchSize: 0
; MemoryBound: 1
; FloatMode: 240
; IeeeMode: 1
; LDSByteSize: 8192 bytes/workgroup (compile time only)
; SGPRBlocks: 0
; VGPRBlocks: 16
; NumSGPRsForWavesPerEU: 47
; NumVGPRsForWavesPerEU: 135
; Occupancy: 10
; WaveLimiterHint : 1
; COMPUTE_PGM_RSRC2:SCRATCH_EN: 0
; COMPUTE_PGM_RSRC2:USER_SGPR: 2
; COMPUTE_PGM_RSRC2:TRAP_HANDLER: 0
; COMPUTE_PGM_RSRC2:TGID_X_EN: 1
; COMPUTE_PGM_RSRC2:TGID_Y_EN: 1
; COMPUTE_PGM_RSRC2:TGID_Z_EN: 1
; COMPUTE_PGM_RSRC2:TIDIG_COMP_CNT: 1
	.section	.text._ZL29rocblas_internal_gemmt_kernelIlLi16ELi32ELi8ELc67ELc78ELc85ELb1ELb0E19rocblas_complex_numIdEPKS1_PKS3_PKPS1_EviT_T9_T10_S9_lSB_S9_lSA_T11_S9_li,"axG",@progbits,_ZL29rocblas_internal_gemmt_kernelIlLi16ELi32ELi8ELc67ELc78ELc85ELb1ELb0E19rocblas_complex_numIdEPKS1_PKS3_PKPS1_EviT_T9_T10_S9_lSB_S9_lSA_T11_S9_li,comdat
	.globl	_ZL29rocblas_internal_gemmt_kernelIlLi16ELi32ELi8ELc67ELc78ELc85ELb1ELb0E19rocblas_complex_numIdEPKS1_PKS3_PKPS1_EviT_T9_T10_S9_lSB_S9_lSA_T11_S9_li ; -- Begin function _ZL29rocblas_internal_gemmt_kernelIlLi16ELi32ELi8ELc67ELc78ELc85ELb1ELb0E19rocblas_complex_numIdEPKS1_PKS3_PKPS1_EviT_T9_T10_S9_lSB_S9_lSA_T11_S9_li
	.p2align	8
	.type	_ZL29rocblas_internal_gemmt_kernelIlLi16ELi32ELi8ELc67ELc78ELc85ELb1ELb0E19rocblas_complex_numIdEPKS1_PKS3_PKPS1_EviT_T9_T10_S9_lSB_S9_lSA_T11_S9_li,@function
_ZL29rocblas_internal_gemmt_kernelIlLi16ELi32ELi8ELc67ELc78ELc85ELb1ELb0E19rocblas_complex_numIdEPKS1_PKS3_PKPS1_EviT_T9_T10_S9_lSB_S9_lSA_T11_S9_li: ; @_ZL29rocblas_internal_gemmt_kernelIlLi16ELi32ELi8ELc67ELc78ELc85ELb1ELb0E19rocblas_complex_numIdEPKS1_PKS3_PKPS1_EviT_T9_T10_S9_lSB_S9_lSA_T11_S9_li
; %bb.0:
	s_clause 0x1
	s_load_b256 s[24:31], s[0:1], 0x48
	s_load_b512 s[8:23], s[0:1], 0x8
	s_wait_kmcnt 0x0
	s_load_b128 s[36:39], s[24:25], 0x0
	s_load_b128 s[40:43], s[10:11], 0x0
	s_wait_kmcnt 0x0
	v_cmp_eq_f64_e64 s3, s[36:37], 1.0
	v_cmp_eq_f64_e64 s2, s[38:39], 0
	s_and_b32 s3, s3, s2
	s_delay_alu instid0(SALU_CYCLE_1)
	s_and_not1_b32 vcc_lo, exec_lo, s3
	s_mov_b32 s3, -1
	s_cbranch_vccnz .LBB546_3
; %bb.1:
	s_cmp_lg_u64 s[8:9], 0
	s_cbranch_scc0 .LBB546_38
; %bb.2:
	v_cmp_neq_f64_e64 s3, s[40:41], 0
	v_cmp_neq_f64_e64 s4, s[42:43], 0
	s_or_b32 s3, s3, s4
.LBB546_3:
	s_delay_alu instid0(SALU_CYCLE_1)
	s_and_b32 vcc_lo, exec_lo, s3
	s_cbranch_vccz .LBB546_39
; %bb.4:
	s_load_b32 s24, s[0:1], 0x68
	s_lshr_b32 s6, ttmp7, 16
	s_wait_kmcnt 0x0
	s_cmp_ge_u32 s6, s24
	s_cbranch_scc1 .LBB546_39
; %bb.5:
	v_bfe_u32 v7, v0, 10, 10
	s_load_b32 s5, s[0:1], 0x0
	s_lshl_b32 s0, ttmp7, 5
	v_and_b32_e32 v6, 0x3ff, v0
	s_and_b32 s0, s0, 0x1fffe0
	v_cmp_neq_f64_e64 s3, s[40:41], 0
	v_add_nc_u32_e32 v12, s0, v7
	v_cmp_neq_f64_e64 s4, s[42:43], 0
	s_lshl_b32 s1, ttmp9, 5
	v_cmp_neq_f64_e64 s7, s[36:37], 0
	s_wait_alu 0xfffe
	s_ashr_i32 s11, s1, 31
	v_add_nc_u32_e32 v15, 16, v12
	v_mad_co_u64_u32 v[4:5], null, s28, v12, 0
	s_mul_i32 s11, s14, s11
	v_cmp_gt_i64_e64 s10, s[8:9], 0
	v_mad_co_u64_u32 v[16:17], null, s28, v15, 0
	v_and_b32_e32 v36, 7, v0
	v_lshl_add_u32 v0, v7, 4, v6
	v_lshl_add_u32 v41, v7, 7, 0x1000
	s_delay_alu instid0(VALU_DEP_2) | instskip(SKIP_2) | instid1(VALU_DEP_3)
	v_lshrrev_b32_e32 v1, 3, v0
	v_and_b32_e32 v10, 31, v0
	v_lshrrev_b32_e32 v38, 5, v0
	v_add_nc_u32_e32 v8, s0, v1
	s_delay_alu instid0(VALU_DEP_3) | instskip(SKIP_1) | instid1(VALU_DEP_3)
	v_or_b32_e32 v13, s1, v10
	v_lshlrev_b32_e32 v14, 4, v10
	v_mad_co_u64_u32 v[2:3], null, s20, v8, 0
	v_lshlrev_b32_e32 v9, 4, v36
	s_delay_alu instid0(VALU_DEP_4)
	v_mad_co_u64_u32 v[10:11], null, s14, v13, 0
	s_wait_kmcnt 0x0
	v_cmp_gt_i32_e64 s0, s5, v13
	v_lshl_or_b32 v39, v38, 9, v14
	v_mov_b32_e32 v0, v3
	v_lshl_or_b32 v9, v1, 7, v9
	v_mul_lo_u32 v3, s15, v13
	s_delay_alu instid0(VALU_DEP_3) | instskip(NEXT) | instid1(VALU_DEP_3)
	v_mad_co_u64_u32 v[0:1], null, s21, v8, v[0:1]
	v_add_nc_u32_e32 v40, 0x1000, v9
	s_delay_alu instid0(VALU_DEP_3) | instskip(SKIP_2) | instid1(VALU_DEP_3)
	v_add3_u32 v11, v11, s11, v3
	s_or_b32 s11, s3, s4
	s_xor_b32 s3, s2, -1
	v_mov_b32_e32 v3, v0
	v_dual_mov_b32 v0, v5 :: v_dual_lshlrev_b32 v37, 4, v6
	v_add_nc_u32_e32 v6, s1, v6
	s_or_b32 s20, s7, s3
	v_cmp_gt_i32_e64 s3, s5, v15
	v_lshlrev_b64_e32 v[10:11], 4, v[10:11]
	v_mad_co_u64_u32 v[0:1], null, s29, v12, v[0:1]
	v_mov_b32_e32 v1, v17
	v_cmp_le_i32_e64 s4, v6, v15
	v_ashrrev_i32_e32 v7, 31, v6
	s_mov_b32 s7, 0
	v_mov_b32_e32 v5, v0
	v_mad_co_u64_u32 v[0:1], null, s29, v15, v[1:2]
	v_cmp_gt_i32_e32 vcc_lo, s5, v8
	v_dual_mov_b32 v1, 0 :: v_dual_add_nc_u32 v8, 16, v6
	s_and_b32 s25, s3, s4
	s_wait_alu 0xfffe
	s_and_b32 s29, s11, s10
	s_lshl_b64 s[10:11], s[30:31], 4
	s_delay_alu instid0(VALU_DEP_3)
	v_mov_b32_e32 v17, v0
	v_cmp_gt_i32_e64 s1, s5, v12
	v_cmp_le_i32_e64 s2, v6, v12
	v_cmp_le_i32_e64 s5, v8, v15
	v_lshlrev_b64_e32 v[14:15], 4, v[4:5]
	v_lshlrev_b64_e32 v[16:17], 4, v[16:17]
	v_ashrrev_i32_e32 v9, 31, v8
	s_and_b32 s21, s1, s2
	v_cmp_le_i32_e64 s2, v8, v12
	v_lshlrev_b64_e32 v[12:13], 4, v[2:3]
	s_and_b32 s28, s3, s5
	s_lshl_b64 s[4:5], s[16:17], 4
	s_xor_b32 s16, vcc_lo, -1
	s_and_b32 s1, s1, s2
	s_lshl_b64 s[2:3], s[22:23], 4
	s_branch .LBB546_7
.LBB546_6:                              ;   in Loop: Header=BB546_7 Depth=1
	s_wait_alu 0xfffe
	s_or_b32 exec_lo, exec_lo, s14
	s_add_co_i32 s6, s6, 0x10000
	s_delay_alu instid0(SALU_CYCLE_1)
	s_cmp_lt_u32 s6, s24
	s_cbranch_scc0 .LBB546_39
.LBB546_7:                              ; =>This Loop Header: Depth=1
                                        ;     Child Loop BB546_10 Depth 2
	s_lshl_b64 s[14:15], s[6:7], 3
	v_mov_b32_e32 v32, 0
	s_wait_alu 0xfffe
	s_add_nc_u64 s[22:23], s[26:27], s[14:15]
	v_mov_b32_e32 v28, 0
	global_load_b64 v[18:19], v1, s[22:23]
	v_mov_b32_e32 v24, 0
	v_dual_mov_b32 v22, 0 :: v_dual_mov_b32 v33, 0
	v_dual_mov_b32 v34, 0 :: v_dual_mov_b32 v29, 0
	;; [unrolled: 1-line block ×5, first 2 shown]
	v_mov_b32_e32 v31, 0
	v_mov_b32_e32 v27, 0
	;; [unrolled: 1-line block ×3, first 2 shown]
	s_and_not1_b32 vcc_lo, exec_lo, s29
	s_wait_alu 0xfffe
	s_cbranch_vccnz .LBB546_18
; %bb.8:                                ;   in Loop: Header=BB546_7 Depth=1
	s_add_nc_u64 s[22:23], s[12:13], s[14:15]
	s_add_nc_u64 s[14:15], s[18:19], s[14:15]
	s_clause 0x1
	global_load_b64 v[2:3], v1, s[22:23]
	global_load_b64 v[4:5], v1, s[14:15]
	v_mov_b32_e32 v20, 0
	v_mov_b32_e32 v26, 0
	;; [unrolled: 1-line block ×3, first 2 shown]
	v_dual_mov_b32 v34, 0 :: v_dual_mov_b32 v21, 0
	v_dual_mov_b32 v22, 0 :: v_dual_mov_b32 v27, 0
	;; [unrolled: 1-line block ×5, first 2 shown]
	v_mov_b32_e32 v25, 0
	v_mov_b32_e32 v29, 0
	;; [unrolled: 1-line block ×3, first 2 shown]
	s_mov_b64 s[14:15], 0
	s_wait_loadcnt 0x1
	v_add_co_u32 v0, vcc_lo, v2, s4
	s_wait_alu 0xfffd
	v_add_co_ci_u32_e64 v2, null, s5, v3, vcc_lo
	s_wait_loadcnt 0x0
	v_add_co_u32 v3, vcc_lo, v4, s2
	s_wait_alu 0xfffd
	v_add_co_ci_u32_e64 v4, null, s3, v5, vcc_lo
	v_add_co_u32 v42, vcc_lo, v0, v10
	s_wait_alu 0xfffd
	v_add_co_ci_u32_e64 v43, null, v2, v11, vcc_lo
	;; [unrolled: 3-line block ×3, first 2 shown]
	s_branch .LBB546_10
.LBB546_9:                              ;   in Loop: Header=BB546_10 Depth=2
	s_or_b32 exec_lo, exec_lo, s17
	s_wait_dscnt 0x0
	s_barrier_signal -1
	s_barrier_wait -1
	global_inv scope:SCOPE_SE
	ds_load_b128 v[2:5], v41
	ds_load_b128 v[46:49], v37
	ds_load_b128 v[50:53], v37 offset:256
	ds_load_b128 v[54:57], v41 offset:2048
	ds_load_b128 v[58:61], v41 offset:16
	ds_load_b128 v[62:65], v41 offset:2064
	ds_load_b128 v[66:69], v37 offset:512
	ds_load_b128 v[70:73], v37 offset:768
	ds_load_b128 v[74:77], v41 offset:32
	ds_load_b128 v[78:81], v37 offset:1024
	ds_load_b128 v[82:85], v37 offset:1280
	ds_load_b128 v[86:89], v41 offset:2080
	s_add_nc_u64 s[14:15], s[14:15], 8
	s_wait_alu 0xfffe
	v_cmp_gt_i64_e64 s17, s[8:9], s[14:15]
	s_and_b32 vcc_lo, exec_lo, s17
	s_wait_dscnt 0xa
	v_mul_f64_e32 v[90:91], v[4:5], v[48:49]
	v_mul_f64_e32 v[92:93], v[2:3], v[48:49]
	s_wait_dscnt 0x9
	v_mul_f64_e32 v[94:95], v[4:5], v[52:53]
	v_mul_f64_e32 v[96:97], v[2:3], v[52:53]
	;; [unrolled: 3-line block ×3, first 2 shown]
	v_mul_f64_e32 v[100:101], v[56:57], v[52:53]
	v_mul_f64_e32 v[52:53], v[54:55], v[52:53]
	s_wait_dscnt 0x5
	v_mul_f64_e32 v[102:103], v[60:61], v[68:69]
	v_mul_f64_e32 v[104:105], v[58:59], v[68:69]
	s_wait_dscnt 0x4
	v_mul_f64_e32 v[106:107], v[60:61], v[72:73]
	v_mul_f64_e32 v[108:109], v[58:59], v[72:73]
	v_mul_f64_e32 v[110:111], v[64:65], v[68:69]
	v_mul_f64_e32 v[68:69], v[62:63], v[68:69]
	v_mul_f64_e32 v[112:113], v[64:65], v[72:73]
	v_mul_f64_e32 v[72:73], v[62:63], v[72:73]
	s_wait_dscnt 0x2
	v_mul_f64_e32 v[118:119], v[76:77], v[80:81]
	v_mul_f64_e32 v[120:121], v[74:75], v[80:81]
	s_wait_dscnt 0x1
	v_mul_f64_e32 v[122:123], v[76:77], v[84:85]
	v_mul_f64_e32 v[124:125], v[74:75], v[84:85]
	;; [unrolled: 3-line block ×3, first 2 shown]
	v_mul_f64_e32 v[128:129], v[88:89], v[84:85]
	v_mul_f64_e32 v[84:85], v[86:87], v[84:85]
	v_fma_f64 v[90:91], v[2:3], v[46:47], -v[90:91]
	v_fma_f64 v[92:93], v[4:5], v[46:47], v[92:93]
	v_fma_f64 v[94:95], v[2:3], v[50:51], -v[94:95]
	v_fma_f64 v[96:97], v[4:5], v[50:51], v[96:97]
	v_fma_f64 v[98:99], v[54:55], v[46:47], -v[98:99]
	v_fma_f64 v[114:115], v[56:57], v[46:47], v[48:49]
	v_fma_f64 v[100:101], v[54:55], v[50:51], -v[100:101]
	v_fma_f64 v[116:117], v[56:57], v[50:51], v[52:53]
	v_fma_f64 v[102:103], v[58:59], v[66:67], -v[102:103]
	v_fma_f64 v[104:105], v[60:61], v[66:67], v[104:105]
	v_fma_f64 v[58:59], v[58:59], v[70:71], -v[106:107]
	v_fma_f64 v[60:61], v[60:61], v[70:71], v[108:109]
	v_fma_f64 v[106:107], v[62:63], v[66:67], -v[110:111]
	v_fma_f64 v[66:67], v[64:65], v[66:67], v[68:69]
	v_fma_f64 v[62:63], v[62:63], v[70:71], -v[112:113]
	v_fma_f64 v[64:65], v[64:65], v[70:71], v[72:73]
	ds_load_b128 v[2:5], v41 offset:48
	ds_load_b128 v[46:49], v37 offset:1536
	;; [unrolled: 1-line block ×4, first 2 shown]
	v_fma_f64 v[118:119], v[74:75], v[78:79], -v[118:119]
	v_fma_f64 v[120:121], v[76:77], v[78:79], v[120:121]
	v_fma_f64 v[74:75], v[74:75], v[82:83], -v[122:123]
	v_fma_f64 v[76:77], v[76:77], v[82:83], v[124:125]
	;; [unrolled: 2-line block ×4, first 2 shown]
	s_wait_dscnt 0x2
	v_mul_f64_e32 v[108:109], v[2:3], v[48:49]
	s_wait_dscnt 0x1
	v_mul_f64_e32 v[110:111], v[4:5], v[52:53]
	v_mul_f64_e32 v[112:113], v[2:3], v[52:53]
	v_add_f64_e32 v[68:69], v[32:33], v[90:91]
	v_add_f64_e32 v[70:71], v[92:93], v[34:35]
	;; [unrolled: 1-line block ×8, first 2 shown]
	v_mul_f64_e32 v[100:101], v[4:5], v[48:49]
	s_wait_dscnt 0x0
	v_mul_f64_e32 v[114:115], v[56:57], v[48:49]
	v_mul_f64_e32 v[48:49], v[54:55], v[48:49]
	v_mul_f64_e32 v[116:117], v[56:57], v[52:53]
	v_mul_f64_e32 v[52:53], v[54:55], v[52:53]
	ds_load_b128 v[20:23], v41 offset:64
	ds_load_b128 v[24:27], v37 offset:2048
	;; [unrolled: 1-line block ×4, first 2 shown]
	s_wait_dscnt 0x1
	v_mul_f64_e32 v[124:125], v[20:21], v[30:31]
	s_wait_dscnt 0x0
	v_mul_f64_e32 v[126:127], v[34:35], v[26:27]
	v_mul_f64_e32 v[128:129], v[34:35], v[30:31]
	v_fma_f64 v[108:109], v[4:5], v[46:47], v[108:109]
	v_fma_f64 v[110:111], v[2:3], v[50:51], -v[110:111]
	v_fma_f64 v[112:113], v[4:5], v[50:51], v[112:113]
	v_add_f64_e32 v[84:85], v[68:69], v[102:103]
	v_add_f64_e32 v[86:87], v[104:105], v[70:71]
	;; [unrolled: 1-line block ×8, first 2 shown]
	v_mul_f64_e32 v[102:103], v[22:23], v[26:27]
	v_mul_f64_e32 v[104:105], v[20:21], v[26:27]
	;; [unrolled: 1-line block ×5, first 2 shown]
	v_fma_f64 v[100:101], v[2:3], v[46:47], -v[100:101]
	v_fma_f64 v[114:115], v[54:55], v[46:47], -v[114:115]
	v_fma_f64 v[130:131], v[56:57], v[46:47], v[48:49]
	v_fma_f64 v[116:117], v[54:55], v[50:51], -v[116:117]
	v_fma_f64 v[132:133], v[56:57], v[50:51], v[52:53]
	ds_load_b128 v[58:61], v41 offset:80
	ds_load_b128 v[62:65], v37 offset:2560
	;; [unrolled: 1-line block ×8, first 2 shown]
	v_add_f64_e32 v[84:85], v[84:85], v[118:119]
	v_add_f64_e32 v[86:87], v[120:121], v[86:87]
	;; [unrolled: 1-line block ×8, first 2 shown]
	s_wait_dscnt 0x6
	v_mul_f64_e32 v[90:91], v[60:61], v[64:65]
	v_mul_f64_e32 v[92:93], v[58:59], v[64:65]
	s_wait_dscnt 0x5
	v_mul_f64_e32 v[94:95], v[60:61], v[68:69]
	v_mul_f64_e32 v[96:97], v[58:59], v[68:69]
	;; [unrolled: 3-line block ×3, first 2 shown]
	v_mul_f64_e32 v[118:119], v[72:73], v[68:69]
	v_mul_f64_e32 v[68:69], v[70:71], v[68:69]
	v_fma_f64 v[102:103], v[20:21], v[24:25], -v[102:103]
	v_fma_f64 v[104:105], v[22:23], v[24:25], v[104:105]
	v_fma_f64 v[106:107], v[20:21], v[28:29], -v[106:107]
	v_fma_f64 v[120:121], v[22:23], v[28:29], v[124:125]
	;; [unrolled: 2-line block ×4, first 2 shown]
	ds_load_b128 v[20:23], v41 offset:112
	ds_load_b128 v[24:27], v37 offset:3584
	ds_load_b128 v[28:31], v37 offset:3840
	ds_load_b128 v[32:35], v41 offset:2160
	s_wait_loadcnt_dscnt 0x0
	s_barrier_signal -1
	s_barrier_wait -1
	global_inv scope:SCOPE_SE
	v_add_f64_e32 v[84:85], v[84:85], v[100:101]
	v_add_f64_e32 v[86:87], v[108:109], v[86:87]
	;; [unrolled: 1-line block ×8, first 2 shown]
	v_mul_f64_e32 v[100:101], v[4:5], v[48:49]
	v_mul_f64_e32 v[108:109], v[2:3], v[48:49]
	;; [unrolled: 1-line block ×8, first 2 shown]
	v_fma_f64 v[90:91], v[58:59], v[62:63], -v[90:91]
	v_fma_f64 v[92:93], v[60:61], v[62:63], v[92:93]
	v_fma_f64 v[58:59], v[58:59], v[66:67], -v[94:95]
	v_fma_f64 v[60:61], v[60:61], v[66:67], v[96:97]
	;; [unrolled: 2-line block ×4, first 2 shown]
	v_mul_f64_e32 v[96:97], v[20:21], v[30:31]
	v_mul_f64_e32 v[98:99], v[34:35], v[26:27]
	v_add_f64_e32 v[68:69], v[84:85], v[102:103]
	v_add_f64_e32 v[70:71], v[104:105], v[86:87]
	;; [unrolled: 1-line block ×8, first 2 shown]
	v_mul_f64_e32 v[84:85], v[22:23], v[26:27]
	v_mul_f64_e32 v[86:87], v[20:21], v[26:27]
	;; [unrolled: 1-line block ×6, first 2 shown]
	v_fma_f64 v[100:101], v[2:3], v[46:47], -v[100:101]
	v_fma_f64 v[104:105], v[4:5], v[46:47], v[108:109]
	v_fma_f64 v[2:3], v[2:3], v[50:51], -v[110:111]
	v_fma_f64 v[4:5], v[4:5], v[50:51], v[112:113]
	;; [unrolled: 2-line block ×4, first 2 shown]
	v_add_f64_e32 v[52:53], v[68:69], v[90:91]
	v_add_f64_e32 v[54:55], v[92:93], v[70:71]
	;; [unrolled: 1-line block ×8, first 2 shown]
	v_fma_f64 v[68:69], v[20:21], v[24:25], -v[84:85]
	v_fma_f64 v[70:71], v[22:23], v[24:25], v[86:87]
	v_fma_f64 v[20:21], v[20:21], v[28:29], -v[88:89]
	v_fma_f64 v[22:23], v[22:23], v[28:29], v[96:97]
	;; [unrolled: 2-line block ×4, first 2 shown]
	v_add_f64_e32 v[24:25], v[52:53], v[100:101]
	v_add_f64_e32 v[28:29], v[104:105], v[54:55]
	;; [unrolled: 1-line block ×16, first 2 shown]
	s_wait_alu 0xfffe
	s_cbranch_vccz .LBB546_18
.LBB546_10:                             ;   Parent Loop BB546_7 Depth=1
                                        ; =>  This Inner Loop Header: Depth=2
	v_mov_b32_e32 v2, 0
	v_dual_mov_b32 v3, 0 :: v_dual_mov_b32 v4, 0
	v_mov_b32_e32 v5, 0
	s_and_saveexec_b32 s17, s0
	s_cbranch_execz .LBB546_14
; %bb.11:                               ;   in Loop: Header=BB546_10 Depth=2
	v_mov_b32_e32 v4, 0
	v_mov_b32_e32 v2, 0
	s_wait_alu 0xfffe
	v_dual_mov_b32 v5, 0 :: v_dual_add_nc_u32 v0, s14, v38
	v_mov_b32_e32 v3, 0
	s_mov_b32 s22, exec_lo
	s_delay_alu instid0(VALU_DEP_2)
	v_cmpx_gt_u64_e64 s[8:9], v[0:1]
	s_cbranch_execz .LBB546_13
; %bb.12:                               ;   in Loop: Header=BB546_10 Depth=2
	v_lshlrev_b64_e32 v[2:3], 4, v[0:1]
	s_delay_alu instid0(VALU_DEP_1) | instskip(SKIP_1) | instid1(VALU_DEP_2)
	v_add_co_u32 v2, vcc_lo, v42, v2
	s_wait_alu 0xfffd
	v_add_co_ci_u32_e64 v3, null, v43, v3, vcc_lo
	flat_load_b128 v[2:5], v[2:3]
	s_wait_loadcnt_dscnt 0x0
	v_xor_b32_e32 v5, 0x80000000, v5
.LBB546_13:                             ;   in Loop: Header=BB546_10 Depth=2
	s_or_b32 exec_lo, exec_lo, s22
.LBB546_14:                             ;   in Loop: Header=BB546_10 Depth=2
	s_delay_alu instid0(SALU_CYCLE_1)
	s_or_b32 exec_lo, exec_lo, s17
	s_wait_alu 0xfffe
	v_add_nc_u32_e32 v0, s14, v36
	ds_store_b128 v39, v[2:5]
	v_cmp_le_u64_e32 vcc_lo, s[8:9], v[0:1]
	s_or_b32 s17, vcc_lo, s16
	s_delay_alu instid0(SALU_CYCLE_1) | instskip(NEXT) | instid1(SALU_CYCLE_1)
	s_and_saveexec_b32 s22, s17
	s_xor_b32 s17, exec_lo, s22
; %bb.15:                               ;   in Loop: Header=BB546_10 Depth=2
	v_dual_mov_b32 v0, v1 :: v_dual_mov_b32 v3, v1
	v_mov_b32_e32 v2, v1
	ds_store_b128 v40, v[0:3]
; %bb.16:                               ;   in Loop: Header=BB546_10 Depth=2
	s_and_not1_saveexec_b32 s17, s17
	s_cbranch_execz .LBB546_9
; %bb.17:                               ;   in Loop: Header=BB546_10 Depth=2
	v_lshlrev_b64_e32 v[2:3], 4, v[0:1]
	s_delay_alu instid0(VALU_DEP_1) | instskip(SKIP_1) | instid1(VALU_DEP_2)
	v_add_co_u32 v2, vcc_lo, v44, v2
	s_wait_alu 0xfffd
	v_add_co_ci_u32_e64 v3, null, v45, v3, vcc_lo
	flat_load_b128 v[2:5], v[2:3]
	s_wait_loadcnt_dscnt 0x0
	ds_store_2addr_b64 v40, v[2:3], v[4:5] offset1:1
	s_branch .LBB546_9
.LBB546_18:                             ;   in Loop: Header=BB546_7 Depth=1
	s_wait_loadcnt 0x0
	v_add_co_u32 v0, vcc_lo, v18, s10
	s_wait_alu 0xfffd
	v_add_co_ci_u32_e64 v18, null, s11, v19, vcc_lo
	s_delay_alu instid0(VALU_DEP_2) | instskip(SKIP_1) | instid1(VALU_DEP_2)
	v_add_co_u32 v19, vcc_lo, v0, v14
	s_wait_alu 0xfffd
	v_add_co_ci_u32_e64 v42, null, v18, v15, vcc_lo
	s_and_saveexec_b32 s14, s21
	s_cbranch_execz .LBB546_23
; %bb.19:                               ;   in Loop: Header=BB546_7 Depth=1
	v_mul_f64_e32 v[2:3], s[42:43], v[34:35]
	v_mul_f64_e32 v[4:5], s[40:41], v[34:35]
	s_and_b32 vcc_lo, exec_lo, s20
	s_mov_b32 s15, -1
	s_delay_alu instid0(VALU_DEP_2) | instskip(NEXT) | instid1(VALU_DEP_2)
	v_fma_f64 v[2:3], s[40:41], v[32:33], -v[2:3]
	v_fma_f64 v[4:5], s[42:43], v[32:33], v[4:5]
	s_wait_alu 0xfffe
	s_cbranch_vccz .LBB546_21
; %bb.20:                               ;   in Loop: Header=BB546_7 Depth=1
	v_lshlrev_b64_e32 v[32:33], 4, v[6:7]
	s_mov_b32 s15, 0
	s_delay_alu instid0(VALU_DEP_1) | instskip(SKIP_1) | instid1(VALU_DEP_2)
	v_add_co_u32 v43, vcc_lo, v19, v32
	s_wait_alu 0xfffd
	v_add_co_ci_u32_e64 v44, null, v42, v33, vcc_lo
	flat_load_b128 v[32:35], v[43:44]
	s_wait_loadcnt_dscnt 0x0
	v_mul_f64_e32 v[45:46], s[38:39], v[34:35]
	v_mul_f64_e32 v[34:35], s[36:37], v[34:35]
	s_delay_alu instid0(VALU_DEP_2) | instskip(NEXT) | instid1(VALU_DEP_2)
	v_fma_f64 v[45:46], s[36:37], v[32:33], -v[45:46]
	v_fma_f64 v[34:35], s[38:39], v[32:33], v[34:35]
	s_delay_alu instid0(VALU_DEP_2) | instskip(NEXT) | instid1(VALU_DEP_2)
	v_add_f64_e32 v[32:33], v[2:3], v[45:46]
	v_add_f64_e32 v[34:35], v[4:5], v[34:35]
	flat_store_b128 v[43:44], v[32:35]
.LBB546_21:                             ;   in Loop: Header=BB546_7 Depth=1
	s_wait_alu 0xfffe
	s_and_not1_b32 vcc_lo, exec_lo, s15
	s_wait_alu 0xfffe
	s_cbranch_vccnz .LBB546_23
; %bb.22:                               ;   in Loop: Header=BB546_7 Depth=1
	v_lshlrev_b64_e32 v[32:33], 4, v[6:7]
	s_delay_alu instid0(VALU_DEP_1) | instskip(SKIP_1) | instid1(VALU_DEP_2)
	v_add_co_u32 v32, vcc_lo, v19, v32
	s_wait_alu 0xfffd
	v_add_co_ci_u32_e64 v33, null, v42, v33, vcc_lo
	flat_store_b128 v[32:33], v[2:5]
.LBB546_23:                             ;   in Loop: Header=BB546_7 Depth=1
	s_wait_alu 0xfffe
	s_or_b32 exec_lo, exec_lo, s14
	s_and_saveexec_b32 s14, s1
	s_cbranch_execz .LBB546_28
; %bb.24:                               ;   in Loop: Header=BB546_7 Depth=1
	v_mul_f64_e32 v[2:3], s[42:43], v[30:31]
	v_mul_f64_e32 v[4:5], s[40:41], v[30:31]
	s_and_not1_b32 vcc_lo, exec_lo, s20
	s_mov_b32 s15, -1
	s_delay_alu instid0(VALU_DEP_2) | instskip(NEXT) | instid1(VALU_DEP_2)
	v_fma_f64 v[2:3], s[40:41], v[28:29], -v[2:3]
	v_fma_f64 v[4:5], s[42:43], v[28:29], v[4:5]
	s_wait_alu 0xfffe
	s_cbranch_vccnz .LBB546_26
; %bb.25:                               ;   in Loop: Header=BB546_7 Depth=1
	v_lshlrev_b64_e32 v[28:29], 4, v[8:9]
	s_mov_b32 s15, 0
	s_delay_alu instid0(VALU_DEP_1) | instskip(SKIP_1) | instid1(VALU_DEP_2)
	v_add_co_u32 v32, vcc_lo, v19, v28
	s_wait_alu 0xfffd
	v_add_co_ci_u32_e64 v33, null, v42, v29, vcc_lo
	flat_load_b128 v[28:31], v[32:33]
	s_wait_loadcnt_dscnt 0x0
	v_mul_f64_e32 v[34:35], s[38:39], v[30:31]
	v_mul_f64_e32 v[30:31], s[36:37], v[30:31]
	s_delay_alu instid0(VALU_DEP_2) | instskip(NEXT) | instid1(VALU_DEP_2)
	v_fma_f64 v[34:35], s[36:37], v[28:29], -v[34:35]
	v_fma_f64 v[30:31], s[38:39], v[28:29], v[30:31]
	s_delay_alu instid0(VALU_DEP_2) | instskip(NEXT) | instid1(VALU_DEP_2)
	v_add_f64_e32 v[28:29], v[2:3], v[34:35]
	v_add_f64_e32 v[30:31], v[4:5], v[30:31]
	flat_store_b128 v[32:33], v[28:31]
.LBB546_26:                             ;   in Loop: Header=BB546_7 Depth=1
	s_wait_alu 0xfffe
	s_and_not1_b32 vcc_lo, exec_lo, s15
	s_wait_alu 0xfffe
	s_cbranch_vccnz .LBB546_28
; %bb.27:                               ;   in Loop: Header=BB546_7 Depth=1
	v_lshlrev_b64_e32 v[28:29], 4, v[8:9]
	s_delay_alu instid0(VALU_DEP_1) | instskip(SKIP_1) | instid1(VALU_DEP_2)
	v_add_co_u32 v28, vcc_lo, v19, v28
	s_wait_alu 0xfffd
	v_add_co_ci_u32_e64 v29, null, v42, v29, vcc_lo
	flat_store_b128 v[28:29], v[2:5]
.LBB546_28:                             ;   in Loop: Header=BB546_7 Depth=1
	s_wait_alu 0xfffe
	s_or_b32 exec_lo, exec_lo, s14
	v_add_co_u32 v0, vcc_lo, v0, v16
	s_wait_alu 0xfffd
	v_add_co_ci_u32_e64 v28, null, v18, v17, vcc_lo
	s_and_saveexec_b32 s14, s25
	s_cbranch_execz .LBB546_33
; %bb.29:                               ;   in Loop: Header=BB546_7 Depth=1
	v_mul_f64_e32 v[2:3], s[42:43], v[26:27]
	v_mul_f64_e32 v[4:5], s[40:41], v[26:27]
	v_lshlrev_b64_e32 v[18:19], 4, v[6:7]
	s_and_not1_b32 vcc_lo, exec_lo, s20
	s_mov_b32 s15, -1
	s_delay_alu instid0(VALU_DEP_3) | instskip(NEXT) | instid1(VALU_DEP_3)
	v_fma_f64 v[2:3], s[40:41], v[24:25], -v[2:3]
	v_fma_f64 v[4:5], s[42:43], v[24:25], v[4:5]
	s_wait_alu 0xfffe
	s_cbranch_vccnz .LBB546_31
; %bb.30:                               ;   in Loop: Header=BB546_7 Depth=1
	v_add_co_u32 v29, vcc_lo, v0, v18
	s_wait_alu 0xfffd
	v_add_co_ci_u32_e64 v30, null, v28, v19, vcc_lo
	s_mov_b32 s15, 0
	flat_load_b128 v[24:27], v[29:30]
	s_wait_loadcnt_dscnt 0x0
	v_mul_f64_e32 v[31:32], s[38:39], v[26:27]
	v_mul_f64_e32 v[26:27], s[36:37], v[26:27]
	s_delay_alu instid0(VALU_DEP_2) | instskip(NEXT) | instid1(VALU_DEP_2)
	v_fma_f64 v[31:32], s[36:37], v[24:25], -v[31:32]
	v_fma_f64 v[26:27], s[38:39], v[24:25], v[26:27]
	s_delay_alu instid0(VALU_DEP_2) | instskip(NEXT) | instid1(VALU_DEP_2)
	v_add_f64_e32 v[24:25], v[2:3], v[31:32]
	v_add_f64_e32 v[26:27], v[4:5], v[26:27]
	flat_store_b128 v[29:30], v[24:27]
.LBB546_31:                             ;   in Loop: Header=BB546_7 Depth=1
	s_wait_alu 0xfffe
	s_and_not1_b32 vcc_lo, exec_lo, s15
	s_wait_alu 0xfffe
	s_cbranch_vccnz .LBB546_33
; %bb.32:                               ;   in Loop: Header=BB546_7 Depth=1
	v_add_co_u32 v18, vcc_lo, v0, v18
	s_wait_alu 0xfffd
	v_add_co_ci_u32_e64 v19, null, v28, v19, vcc_lo
	flat_store_b128 v[18:19], v[2:5]
.LBB546_33:                             ;   in Loop: Header=BB546_7 Depth=1
	s_wait_alu 0xfffe
	s_or_b32 exec_lo, exec_lo, s14
	s_and_saveexec_b32 s14, s28
	s_cbranch_execz .LBB546_6
; %bb.34:                               ;   in Loop: Header=BB546_7 Depth=1
	v_mul_f64_e32 v[2:3], s[42:43], v[20:21]
	v_mul_f64_e32 v[4:5], s[40:41], v[20:21]
	v_lshlrev_b64_e32 v[18:19], 4, v[8:9]
	s_and_not1_b32 vcc_lo, exec_lo, s20
	s_mov_b32 s15, -1
	s_delay_alu instid0(VALU_DEP_3) | instskip(NEXT) | instid1(VALU_DEP_3)
	v_fma_f64 v[2:3], s[40:41], v[22:23], -v[2:3]
	v_fma_f64 v[4:5], s[42:43], v[22:23], v[4:5]
	s_wait_alu 0xfffe
	s_cbranch_vccnz .LBB546_36
; %bb.35:                               ;   in Loop: Header=BB546_7 Depth=1
	v_add_co_u32 v24, vcc_lo, v0, v18
	s_wait_alu 0xfffd
	v_add_co_ci_u32_e64 v25, null, v28, v19, vcc_lo
	s_mov_b32 s15, 0
	flat_load_b128 v[20:23], v[24:25]
	s_wait_loadcnt_dscnt 0x0
	v_mul_f64_e32 v[26:27], s[38:39], v[22:23]
	v_mul_f64_e32 v[22:23], s[36:37], v[22:23]
	s_delay_alu instid0(VALU_DEP_2) | instskip(NEXT) | instid1(VALU_DEP_2)
	v_fma_f64 v[26:27], s[36:37], v[20:21], -v[26:27]
	v_fma_f64 v[22:23], s[38:39], v[20:21], v[22:23]
	s_delay_alu instid0(VALU_DEP_2) | instskip(NEXT) | instid1(VALU_DEP_2)
	v_add_f64_e32 v[20:21], v[2:3], v[26:27]
	v_add_f64_e32 v[22:23], v[4:5], v[22:23]
	flat_store_b128 v[24:25], v[20:23]
.LBB546_36:                             ;   in Loop: Header=BB546_7 Depth=1
	s_wait_alu 0xfffe
	s_and_not1_b32 vcc_lo, exec_lo, s15
	s_wait_alu 0xfffe
	s_cbranch_vccnz .LBB546_6
; %bb.37:                               ;   in Loop: Header=BB546_7 Depth=1
	v_add_co_u32 v18, vcc_lo, v0, v18
	s_wait_alu 0xfffd
	v_add_co_ci_u32_e64 v19, null, v28, v19, vcc_lo
	flat_store_b128 v[18:19], v[2:5]
	s_branch .LBB546_6
.LBB546_38:
.LBB546_39:
	s_nop 0
	s_sendmsg sendmsg(MSG_DEALLOC_VGPRS)
	s_endpgm
	.section	.rodata,"a",@progbits
	.p2align	6, 0x0
	.amdhsa_kernel _ZL29rocblas_internal_gemmt_kernelIlLi16ELi32ELi8ELc67ELc78ELc85ELb1ELb0E19rocblas_complex_numIdEPKS1_PKS3_PKPS1_EviT_T9_T10_S9_lSB_S9_lSA_T11_S9_li
		.amdhsa_group_segment_fixed_size 8192
		.amdhsa_private_segment_fixed_size 0
		.amdhsa_kernarg_size 108
		.amdhsa_user_sgpr_count 2
		.amdhsa_user_sgpr_dispatch_ptr 0
		.amdhsa_user_sgpr_queue_ptr 0
		.amdhsa_user_sgpr_kernarg_segment_ptr 1
		.amdhsa_user_sgpr_dispatch_id 0
		.amdhsa_user_sgpr_private_segment_size 0
		.amdhsa_wavefront_size32 1
		.amdhsa_uses_dynamic_stack 0
		.amdhsa_enable_private_segment 0
		.amdhsa_system_sgpr_workgroup_id_x 1
		.amdhsa_system_sgpr_workgroup_id_y 1
		.amdhsa_system_sgpr_workgroup_id_z 1
		.amdhsa_system_sgpr_workgroup_info 0
		.amdhsa_system_vgpr_workitem_id 1
		.amdhsa_next_free_vgpr 134
		.amdhsa_next_free_sgpr 44
		.amdhsa_reserve_vcc 1
		.amdhsa_float_round_mode_32 0
		.amdhsa_float_round_mode_16_64 0
		.amdhsa_float_denorm_mode_32 3
		.amdhsa_float_denorm_mode_16_64 3
		.amdhsa_fp16_overflow 0
		.amdhsa_workgroup_processor_mode 1
		.amdhsa_memory_ordered 1
		.amdhsa_forward_progress 1
		.amdhsa_inst_pref_size 28
		.amdhsa_round_robin_scheduling 0
		.amdhsa_exception_fp_ieee_invalid_op 0
		.amdhsa_exception_fp_denorm_src 0
		.amdhsa_exception_fp_ieee_div_zero 0
		.amdhsa_exception_fp_ieee_overflow 0
		.amdhsa_exception_fp_ieee_underflow 0
		.amdhsa_exception_fp_ieee_inexact 0
		.amdhsa_exception_int_div_zero 0
	.end_amdhsa_kernel
	.section	.text._ZL29rocblas_internal_gemmt_kernelIlLi16ELi32ELi8ELc67ELc78ELc85ELb1ELb0E19rocblas_complex_numIdEPKS1_PKS3_PKPS1_EviT_T9_T10_S9_lSB_S9_lSA_T11_S9_li,"axG",@progbits,_ZL29rocblas_internal_gemmt_kernelIlLi16ELi32ELi8ELc67ELc78ELc85ELb1ELb0E19rocblas_complex_numIdEPKS1_PKS3_PKPS1_EviT_T9_T10_S9_lSB_S9_lSA_T11_S9_li,comdat
.Lfunc_end546:
	.size	_ZL29rocblas_internal_gemmt_kernelIlLi16ELi32ELi8ELc67ELc78ELc85ELb1ELb0E19rocblas_complex_numIdEPKS1_PKS3_PKPS1_EviT_T9_T10_S9_lSB_S9_lSA_T11_S9_li, .Lfunc_end546-_ZL29rocblas_internal_gemmt_kernelIlLi16ELi32ELi8ELc67ELc78ELc85ELb1ELb0E19rocblas_complex_numIdEPKS1_PKS3_PKPS1_EviT_T9_T10_S9_lSB_S9_lSA_T11_S9_li
                                        ; -- End function
	.set _ZL29rocblas_internal_gemmt_kernelIlLi16ELi32ELi8ELc67ELc78ELc85ELb1ELb0E19rocblas_complex_numIdEPKS1_PKS3_PKPS1_EviT_T9_T10_S9_lSB_S9_lSA_T11_S9_li.num_vgpr, 134
	.set _ZL29rocblas_internal_gemmt_kernelIlLi16ELi32ELi8ELc67ELc78ELc85ELb1ELb0E19rocblas_complex_numIdEPKS1_PKS3_PKPS1_EviT_T9_T10_S9_lSB_S9_lSA_T11_S9_li.num_agpr, 0
	.set _ZL29rocblas_internal_gemmt_kernelIlLi16ELi32ELi8ELc67ELc78ELc85ELb1ELb0E19rocblas_complex_numIdEPKS1_PKS3_PKPS1_EviT_T9_T10_S9_lSB_S9_lSA_T11_S9_li.numbered_sgpr, 44
	.set _ZL29rocblas_internal_gemmt_kernelIlLi16ELi32ELi8ELc67ELc78ELc85ELb1ELb0E19rocblas_complex_numIdEPKS1_PKS3_PKPS1_EviT_T9_T10_S9_lSB_S9_lSA_T11_S9_li.num_named_barrier, 0
	.set _ZL29rocblas_internal_gemmt_kernelIlLi16ELi32ELi8ELc67ELc78ELc85ELb1ELb0E19rocblas_complex_numIdEPKS1_PKS3_PKPS1_EviT_T9_T10_S9_lSB_S9_lSA_T11_S9_li.private_seg_size, 0
	.set _ZL29rocblas_internal_gemmt_kernelIlLi16ELi32ELi8ELc67ELc78ELc85ELb1ELb0E19rocblas_complex_numIdEPKS1_PKS3_PKPS1_EviT_T9_T10_S9_lSB_S9_lSA_T11_S9_li.uses_vcc, 1
	.set _ZL29rocblas_internal_gemmt_kernelIlLi16ELi32ELi8ELc67ELc78ELc85ELb1ELb0E19rocblas_complex_numIdEPKS1_PKS3_PKPS1_EviT_T9_T10_S9_lSB_S9_lSA_T11_S9_li.uses_flat_scratch, 0
	.set _ZL29rocblas_internal_gemmt_kernelIlLi16ELi32ELi8ELc67ELc78ELc85ELb1ELb0E19rocblas_complex_numIdEPKS1_PKS3_PKPS1_EviT_T9_T10_S9_lSB_S9_lSA_T11_S9_li.has_dyn_sized_stack, 0
	.set _ZL29rocblas_internal_gemmt_kernelIlLi16ELi32ELi8ELc67ELc78ELc85ELb1ELb0E19rocblas_complex_numIdEPKS1_PKS3_PKPS1_EviT_T9_T10_S9_lSB_S9_lSA_T11_S9_li.has_recursion, 0
	.set _ZL29rocblas_internal_gemmt_kernelIlLi16ELi32ELi8ELc67ELc78ELc85ELb1ELb0E19rocblas_complex_numIdEPKS1_PKS3_PKPS1_EviT_T9_T10_S9_lSB_S9_lSA_T11_S9_li.has_indirect_call, 0
	.section	.AMDGPU.csdata,"",@progbits
; Kernel info:
; codeLenInByte = 3512
; TotalNumSgprs: 46
; NumVgprs: 134
; ScratchSize: 0
; MemoryBound: 1
; FloatMode: 240
; IeeeMode: 1
; LDSByteSize: 8192 bytes/workgroup (compile time only)
; SGPRBlocks: 0
; VGPRBlocks: 16
; NumSGPRsForWavesPerEU: 46
; NumVGPRsForWavesPerEU: 134
; Occupancy: 10
; WaveLimiterHint : 1
; COMPUTE_PGM_RSRC2:SCRATCH_EN: 0
; COMPUTE_PGM_RSRC2:USER_SGPR: 2
; COMPUTE_PGM_RSRC2:TRAP_HANDLER: 0
; COMPUTE_PGM_RSRC2:TGID_X_EN: 1
; COMPUTE_PGM_RSRC2:TGID_Y_EN: 1
; COMPUTE_PGM_RSRC2:TGID_Z_EN: 1
; COMPUTE_PGM_RSRC2:TIDIG_COMP_CNT: 1
	.section	.text._ZL29rocblas_internal_gemmt_kernelIlLi16ELi32ELi8ELc67ELc84ELc85ELb1ELb0E19rocblas_complex_numIdEPKS1_PKS3_PKPS1_EviT_T9_T10_S9_lSB_S9_lSA_T11_S9_li,"axG",@progbits,_ZL29rocblas_internal_gemmt_kernelIlLi16ELi32ELi8ELc67ELc84ELc85ELb1ELb0E19rocblas_complex_numIdEPKS1_PKS3_PKPS1_EviT_T9_T10_S9_lSB_S9_lSA_T11_S9_li,comdat
	.globl	_ZL29rocblas_internal_gemmt_kernelIlLi16ELi32ELi8ELc67ELc84ELc85ELb1ELb0E19rocblas_complex_numIdEPKS1_PKS3_PKPS1_EviT_T9_T10_S9_lSB_S9_lSA_T11_S9_li ; -- Begin function _ZL29rocblas_internal_gemmt_kernelIlLi16ELi32ELi8ELc67ELc84ELc85ELb1ELb0E19rocblas_complex_numIdEPKS1_PKS3_PKPS1_EviT_T9_T10_S9_lSB_S9_lSA_T11_S9_li
	.p2align	8
	.type	_ZL29rocblas_internal_gemmt_kernelIlLi16ELi32ELi8ELc67ELc84ELc85ELb1ELb0E19rocblas_complex_numIdEPKS1_PKS3_PKPS1_EviT_T9_T10_S9_lSB_S9_lSA_T11_S9_li,@function
_ZL29rocblas_internal_gemmt_kernelIlLi16ELi32ELi8ELc67ELc84ELc85ELb1ELb0E19rocblas_complex_numIdEPKS1_PKS3_PKPS1_EviT_T9_T10_S9_lSB_S9_lSA_T11_S9_li: ; @_ZL29rocblas_internal_gemmt_kernelIlLi16ELi32ELi8ELc67ELc84ELc85ELb1ELb0E19rocblas_complex_numIdEPKS1_PKS3_PKPS1_EviT_T9_T10_S9_lSB_S9_lSA_T11_S9_li
; %bb.0:
	s_clause 0x1
	s_load_b256 s[24:31], s[0:1], 0x48
	s_load_b512 s[8:23], s[0:1], 0x8
	s_wait_kmcnt 0x0
	s_load_b128 s[36:39], s[24:25], 0x0
	s_load_b128 s[40:43], s[10:11], 0x0
	s_wait_kmcnt 0x0
	v_cmp_eq_f64_e64 s3, s[36:37], 1.0
	v_cmp_eq_f64_e64 s2, s[38:39], 0
	s_and_b32 s3, s3, s2
	s_delay_alu instid0(SALU_CYCLE_1)
	s_and_not1_b32 vcc_lo, exec_lo, s3
	s_mov_b32 s3, -1
	s_cbranch_vccnz .LBB547_3
; %bb.1:
	s_cmp_lg_u64 s[8:9], 0
	s_cbranch_scc0 .LBB547_38
; %bb.2:
	v_cmp_neq_f64_e64 s3, s[40:41], 0
	v_cmp_neq_f64_e64 s4, s[42:43], 0
	s_or_b32 s3, s3, s4
.LBB547_3:
	s_delay_alu instid0(SALU_CYCLE_1)
	s_and_b32 vcc_lo, exec_lo, s3
	s_cbranch_vccz .LBB547_39
; %bb.4:
	s_load_b32 s24, s[0:1], 0x68
	s_lshr_b32 s6, ttmp7, 16
	s_wait_kmcnt 0x0
	s_cmp_ge_u32 s6, s24
	s_cbranch_scc1 .LBB547_39
; %bb.5:
	v_bfe_u32 v9, v0, 10, 10
	s_load_b32 s5, s[0:1], 0x0
	s_lshl_b32 s1, ttmp7, 5
	v_cmp_neq_f64_e64 s3, s[40:41], 0
	v_cmp_neq_f64_e64 s4, s[42:43], 0
	s_and_b32 s1, s1, 0x1fffe0
	v_dual_mov_b32 v1, 0 :: v_dual_and_b32 v2, 0x3ff, v0
	v_add_nc_u32_e32 v12, s1, v9
	v_cmp_neq_f64_e64 s7, s[36:37], 0
	v_and_b32_e32 v34, 7, v0
	s_delay_alu instid0(VALU_DEP_4)
	v_lshl_add_u32 v0, v9, 4, v2
	s_lshl_b32 s0, ttmp9, 5
	v_add_nc_u32_e32 v13, 16, v12
	s_wait_alu 0xfffe
	v_add_nc_u32_e32 v6, s0, v2
	s_ashr_i32 s11, s0, 31
	v_and_b32_e32 v4, 31, v0
	v_lshrrev_b32_e32 v36, 5, v0
	v_mad_co_u64_u32 v[14:15], null, s28, v13, 0
	v_lshlrev_b32_e32 v35, 4, v2
	v_mad_co_u64_u32 v[2:3], null, s28, v12, 0
	v_lshlrev_b32_e32 v7, 4, v34
	v_lshrrev_b32_e32 v0, 3, v0
	v_or_b32_e32 v8, s0, v4
	v_lshlrev_b32_e32 v10, 4, v4
	s_mul_i32 s11, s14, s11
	v_cmp_gt_i64_e64 s10, s[8:9], 0
	v_add_nc_u32_e32 v16, s1, v0
	v_lshl_or_b32 v7, v0, 7, v7
	v_mov_b32_e32 v0, v3
	v_mul_lo_u32 v11, s15, v8
	v_mad_co_u64_u32 v[4:5], null, s14, v8, 0
	s_wait_kmcnt 0x0
	v_cmp_gt_i32_e64 s0, s5, v8
	v_add_nc_u32_e32 v38, 0x1000, v7
	v_mad_co_u64_u32 v[7:8], null, s29, v12, v[0:1]
	v_mov_b32_e32 v0, v15
	v_lshl_or_b32 v37, v36, 9, v10
	v_add3_u32 v5, v5, s11, v11
	s_or_b32 s11, s3, s4
	s_xor_b32 s3, s2, -1
	v_mad_co_u64_u32 v[10:11], null, s29, v13, v[0:1]
	v_cmp_gt_i32_e64 s1, s5, v12
	v_cmp_le_i32_e64 s2, v6, v12
	v_dual_mov_b32 v3, v7 :: v_dual_add_nc_u32 v8, 16, v6
	v_cmp_gt_i32_e32 vcc_lo, s5, v16
	s_or_b32 s25, s7, s3
	v_mov_b32_e32 v15, v10
	s_and_b32 s28, s1, s2
	v_cmp_le_i32_e64 s2, v8, v12
	v_cmp_gt_i32_e64 s3, s5, v13
	v_cmp_le_i32_e64 s4, v6, v13
	v_cmp_le_i32_e64 s5, v8, v13
	v_lshlrev_b64_e32 v[10:11], 4, v[4:5]
	v_lshlrev_b64_e32 v[12:13], 4, v[2:3]
	;; [unrolled: 1-line block ×3, first 2 shown]
	v_lshl_add_u32 v39, v9, 7, 0x1000
	v_ashrrev_i32_e32 v7, 31, v6
	v_ashrrev_i32_e32 v9, 31, v8
	v_lshlrev_b32_e32 v40, 4, v16
	s_and_b32 s1, s1, s2
	s_and_b32 s29, s3, s4
	;; [unrolled: 1-line block ×3, first 2 shown]
	s_mov_b32 s7, 0
	s_wait_alu 0xfffe
	s_and_b32 s34, s11, s10
	s_lshl_b64 s[2:3], s[22:23], 4
	s_lshl_b64 s[4:5], s[16:17], 4
	s_xor_b32 s16, vcc_lo, -1
	s_lshl_b64 s[10:11], s[30:31], 4
	s_branch .LBB547_7
.LBB547_6:                              ;   in Loop: Header=BB547_7 Depth=1
	s_wait_alu 0xfffe
	s_or_b32 exec_lo, exec_lo, s14
	s_add_co_i32 s6, s6, 0x10000
	s_delay_alu instid0(SALU_CYCLE_1)
	s_cmp_lt_u32 s6, s24
	s_cbranch_scc0 .LBB547_39
.LBB547_7:                              ; =>This Loop Header: Depth=1
                                        ;     Child Loop BB547_10 Depth 2
	s_lshl_b64 s[14:15], s[6:7], 3
	v_mov_b32_e32 v30, 0
	s_wait_alu 0xfffe
	s_add_nc_u64 s[22:23], s[26:27], s[14:15]
	v_mov_b32_e32 v26, 0
	global_load_b64 v[16:17], v1, s[22:23]
	v_mov_b32_e32 v22, 0
	v_dual_mov_b32 v20, 0 :: v_dual_mov_b32 v31, 0
	v_dual_mov_b32 v32, 0 :: v_dual_mov_b32 v27, 0
	;; [unrolled: 1-line block ×5, first 2 shown]
	v_mov_b32_e32 v29, 0
	v_mov_b32_e32 v25, 0
	;; [unrolled: 1-line block ×3, first 2 shown]
	s_and_not1_b32 vcc_lo, exec_lo, s34
	s_wait_alu 0xfffe
	s_cbranch_vccnz .LBB547_18
; %bb.8:                                ;   in Loop: Header=BB547_7 Depth=1
	s_add_nc_u64 s[22:23], s[12:13], s[14:15]
	s_add_nc_u64 s[14:15], s[18:19], s[14:15]
	s_clause 0x1
	global_load_b64 v[2:3], v1, s[22:23]
	global_load_b64 v[4:5], v1, s[14:15]
	v_mov_b32_e32 v18, 0
	v_mov_b32_e32 v24, 0
	;; [unrolled: 1-line block ×3, first 2 shown]
	v_dual_mov_b32 v32, 0 :: v_dual_mov_b32 v19, 0
	v_dual_mov_b32 v20, 0 :: v_dual_mov_b32 v25, 0
	;; [unrolled: 1-line block ×5, first 2 shown]
	v_mov_b32_e32 v23, 0
	v_mov_b32_e32 v27, 0
	;; [unrolled: 1-line block ×3, first 2 shown]
	s_mov_b64 s[14:15], 0
	s_wait_loadcnt 0x1
	v_add_co_u32 v0, vcc_lo, v2, s4
	s_wait_alu 0xfffd
	v_add_co_ci_u32_e64 v2, null, s5, v3, vcc_lo
	s_wait_loadcnt 0x0
	v_add_co_u32 v3, vcc_lo, v4, s2
	s_wait_alu 0xfffd
	v_add_co_ci_u32_e64 v4, null, s3, v5, vcc_lo
	v_add_co_u32 v41, vcc_lo, v0, v10
	s_wait_alu 0xfffd
	v_add_co_ci_u32_e64 v42, null, v2, v11, vcc_lo
	v_add_co_u32 v43, vcc_lo, v3, v40
	s_wait_alu 0xfffd
	v_add_co_ci_u32_e64 v44, null, 0, v4, vcc_lo
	s_branch .LBB547_10
.LBB547_9:                              ;   in Loop: Header=BB547_10 Depth=2
	s_or_b32 exec_lo, exec_lo, s17
	s_wait_dscnt 0x0
	s_barrier_signal -1
	s_barrier_wait -1
	global_inv scope:SCOPE_SE
	ds_load_b128 v[2:5], v39
	ds_load_b128 v[45:48], v35
	ds_load_b128 v[49:52], v35 offset:256
	ds_load_b128 v[53:56], v39 offset:2048
	;; [unrolled: 1-line block ×10, first 2 shown]
	s_add_nc_u64 s[14:15], s[14:15], 8
	s_wait_alu 0xfffe
	v_cmp_gt_i64_e64 s17, s[8:9], s[14:15]
	s_and_b32 vcc_lo, exec_lo, s17
	s_wait_dscnt 0xa
	v_mul_f64_e32 v[89:90], v[4:5], v[47:48]
	v_mul_f64_e32 v[91:92], v[2:3], v[47:48]
	s_wait_dscnt 0x9
	v_mul_f64_e32 v[93:94], v[4:5], v[51:52]
	v_mul_f64_e32 v[95:96], v[2:3], v[51:52]
	;; [unrolled: 3-line block ×3, first 2 shown]
	v_mul_f64_e32 v[99:100], v[55:56], v[51:52]
	v_mul_f64_e32 v[51:52], v[53:54], v[51:52]
	s_wait_dscnt 0x5
	v_mul_f64_e32 v[101:102], v[59:60], v[67:68]
	v_mul_f64_e32 v[103:104], v[57:58], v[67:68]
	s_wait_dscnt 0x4
	v_mul_f64_e32 v[105:106], v[59:60], v[71:72]
	v_mul_f64_e32 v[107:108], v[57:58], v[71:72]
	v_mul_f64_e32 v[109:110], v[63:64], v[67:68]
	v_mul_f64_e32 v[67:68], v[61:62], v[67:68]
	v_mul_f64_e32 v[111:112], v[63:64], v[71:72]
	v_mul_f64_e32 v[71:72], v[61:62], v[71:72]
	s_wait_dscnt 0x2
	v_mul_f64_e32 v[117:118], v[75:76], v[79:80]
	v_mul_f64_e32 v[119:120], v[73:74], v[79:80]
	s_wait_dscnt 0x1
	v_mul_f64_e32 v[121:122], v[75:76], v[83:84]
	v_mul_f64_e32 v[123:124], v[73:74], v[83:84]
	;; [unrolled: 3-line block ×3, first 2 shown]
	v_mul_f64_e32 v[127:128], v[87:88], v[83:84]
	v_mul_f64_e32 v[83:84], v[85:86], v[83:84]
	v_fma_f64 v[89:90], v[2:3], v[45:46], -v[89:90]
	v_fma_f64 v[91:92], v[4:5], v[45:46], v[91:92]
	v_fma_f64 v[93:94], v[2:3], v[49:50], -v[93:94]
	v_fma_f64 v[95:96], v[4:5], v[49:50], v[95:96]
	;; [unrolled: 2-line block ×8, first 2 shown]
	ds_load_b128 v[2:5], v39 offset:48
	ds_load_b128 v[45:48], v35 offset:1536
	;; [unrolled: 1-line block ×4, first 2 shown]
	v_fma_f64 v[117:118], v[73:74], v[77:78], -v[117:118]
	v_fma_f64 v[119:120], v[75:76], v[77:78], v[119:120]
	v_fma_f64 v[73:74], v[73:74], v[81:82], -v[121:122]
	v_fma_f64 v[75:76], v[75:76], v[81:82], v[123:124]
	;; [unrolled: 2-line block ×4, first 2 shown]
	s_wait_dscnt 0x2
	v_mul_f64_e32 v[107:108], v[2:3], v[47:48]
	s_wait_dscnt 0x1
	v_mul_f64_e32 v[109:110], v[4:5], v[51:52]
	v_mul_f64_e32 v[111:112], v[2:3], v[51:52]
	v_add_f64_e32 v[67:68], v[30:31], v[89:90]
	v_add_f64_e32 v[69:70], v[91:92], v[32:33]
	;; [unrolled: 1-line block ×8, first 2 shown]
	v_mul_f64_e32 v[99:100], v[4:5], v[47:48]
	s_wait_dscnt 0x0
	v_mul_f64_e32 v[113:114], v[55:56], v[47:48]
	v_mul_f64_e32 v[47:48], v[53:54], v[47:48]
	;; [unrolled: 1-line block ×4, first 2 shown]
	ds_load_b128 v[18:21], v39 offset:64
	ds_load_b128 v[22:25], v35 offset:2048
	;; [unrolled: 1-line block ×4, first 2 shown]
	s_wait_dscnt 0x1
	v_mul_f64_e32 v[123:124], v[18:19], v[28:29]
	s_wait_dscnt 0x0
	v_mul_f64_e32 v[125:126], v[32:33], v[24:25]
	v_mul_f64_e32 v[127:128], v[32:33], v[28:29]
	v_fma_f64 v[107:108], v[4:5], v[45:46], v[107:108]
	v_fma_f64 v[109:110], v[2:3], v[49:50], -v[109:110]
	v_fma_f64 v[111:112], v[4:5], v[49:50], v[111:112]
	v_add_f64_e32 v[83:84], v[67:68], v[101:102]
	v_add_f64_e32 v[85:86], v[103:104], v[69:70]
	;; [unrolled: 1-line block ×8, first 2 shown]
	v_mul_f64_e32 v[101:102], v[20:21], v[24:25]
	v_mul_f64_e32 v[103:104], v[18:19], v[24:25]
	;; [unrolled: 1-line block ×5, first 2 shown]
	v_fma_f64 v[99:100], v[2:3], v[45:46], -v[99:100]
	v_fma_f64 v[113:114], v[53:54], v[45:46], -v[113:114]
	v_fma_f64 v[129:130], v[55:56], v[45:46], v[47:48]
	v_fma_f64 v[115:116], v[53:54], v[49:50], -v[115:116]
	v_fma_f64 v[131:132], v[55:56], v[49:50], v[51:52]
	ds_load_b128 v[57:60], v39 offset:80
	ds_load_b128 v[61:64], v35 offset:2560
	;; [unrolled: 1-line block ×8, first 2 shown]
	v_add_f64_e32 v[83:84], v[83:84], v[117:118]
	v_add_f64_e32 v[85:86], v[119:120], v[85:86]
	;; [unrolled: 1-line block ×8, first 2 shown]
	s_wait_dscnt 0x6
	v_mul_f64_e32 v[89:90], v[59:60], v[63:64]
	v_mul_f64_e32 v[91:92], v[57:58], v[63:64]
	s_wait_dscnt 0x5
	v_mul_f64_e32 v[93:94], v[59:60], v[67:68]
	v_mul_f64_e32 v[95:96], v[57:58], v[67:68]
	;; [unrolled: 3-line block ×3, first 2 shown]
	v_mul_f64_e32 v[117:118], v[71:72], v[67:68]
	v_mul_f64_e32 v[67:68], v[69:70], v[67:68]
	v_fma_f64 v[101:102], v[18:19], v[22:23], -v[101:102]
	v_fma_f64 v[103:104], v[20:21], v[22:23], v[103:104]
	v_fma_f64 v[105:106], v[18:19], v[26:27], -v[105:106]
	v_fma_f64 v[119:120], v[20:21], v[26:27], v[123:124]
	;; [unrolled: 2-line block ×4, first 2 shown]
	ds_load_b128 v[18:21], v39 offset:112
	ds_load_b128 v[22:25], v35 offset:3584
	;; [unrolled: 1-line block ×4, first 2 shown]
	s_wait_loadcnt_dscnt 0x0
	s_barrier_signal -1
	s_barrier_wait -1
	global_inv scope:SCOPE_SE
	v_add_f64_e32 v[83:84], v[83:84], v[99:100]
	v_add_f64_e32 v[85:86], v[107:108], v[85:86]
	;; [unrolled: 1-line block ×8, first 2 shown]
	v_mul_f64_e32 v[99:100], v[4:5], v[47:48]
	v_mul_f64_e32 v[107:108], v[2:3], v[47:48]
	v_mul_f64_e32 v[109:110], v[4:5], v[51:52]
	v_mul_f64_e32 v[111:112], v[2:3], v[51:52]
	v_mul_f64_e32 v[113:114], v[55:56], v[47:48]
	v_mul_f64_e32 v[47:48], v[53:54], v[47:48]
	v_mul_f64_e32 v[115:116], v[55:56], v[51:52]
	v_mul_f64_e32 v[51:52], v[53:54], v[51:52]
	v_fma_f64 v[89:90], v[57:58], v[61:62], -v[89:90]
	v_fma_f64 v[91:92], v[59:60], v[61:62], v[91:92]
	v_fma_f64 v[57:58], v[57:58], v[65:66], -v[93:94]
	v_fma_f64 v[59:60], v[59:60], v[65:66], v[95:96]
	;; [unrolled: 2-line block ×4, first 2 shown]
	v_mul_f64_e32 v[95:96], v[18:19], v[28:29]
	v_mul_f64_e32 v[97:98], v[32:33], v[24:25]
	v_add_f64_e32 v[67:68], v[83:84], v[101:102]
	v_add_f64_e32 v[69:70], v[103:104], v[85:86]
	v_add_f64_e32 v[71:72], v[73:74], v[105:106]
	v_add_f64_e32 v[73:74], v[119:120], v[75:76]
	v_add_f64_e32 v[75:76], v[87:88], v[121:122]
	v_add_f64_e32 v[77:78], v[123:124], v[77:78]
	v_add_f64_e32 v[79:80], v[79:80], v[125:126]
	v_add_f64_e32 v[81:82], v[127:128], v[81:82]
	v_mul_f64_e32 v[83:84], v[20:21], v[24:25]
	v_mul_f64_e32 v[85:86], v[18:19], v[24:25]
	;; [unrolled: 1-line block ×6, first 2 shown]
	v_fma_f64 v[99:100], v[2:3], v[45:46], -v[99:100]
	v_fma_f64 v[103:104], v[4:5], v[45:46], v[107:108]
	v_fma_f64 v[2:3], v[2:3], v[49:50], -v[109:110]
	v_fma_f64 v[4:5], v[4:5], v[49:50], v[111:112]
	;; [unrolled: 2-line block ×4, first 2 shown]
	v_add_f64_e32 v[51:52], v[67:68], v[89:90]
	v_add_f64_e32 v[53:54], v[91:92], v[69:70]
	;; [unrolled: 1-line block ×8, first 2 shown]
	v_fma_f64 v[67:68], v[18:19], v[22:23], -v[83:84]
	v_fma_f64 v[69:70], v[20:21], v[22:23], v[85:86]
	v_fma_f64 v[18:19], v[18:19], v[26:27], -v[87:88]
	v_fma_f64 v[20:21], v[20:21], v[26:27], v[95:96]
	v_fma_f64 v[71:72], v[30:31], v[22:23], -v[97:98]
	v_fma_f64 v[24:25], v[32:33], v[22:23], v[24:25]
	v_fma_f64 v[73:74], v[30:31], v[26:27], -v[101:102]
	v_fma_f64 v[75:76], v[32:33], v[26:27], v[28:29]
	v_add_f64_e32 v[22:23], v[51:52], v[99:100]
	v_add_f64_e32 v[26:27], v[103:104], v[53:54]
	;; [unrolled: 1-line block ×16, first 2 shown]
	s_wait_alu 0xfffe
	s_cbranch_vccz .LBB547_18
.LBB547_10:                             ;   Parent Loop BB547_7 Depth=1
                                        ; =>  This Inner Loop Header: Depth=2
	v_mov_b32_e32 v2, 0
	v_dual_mov_b32 v3, 0 :: v_dual_mov_b32 v4, 0
	v_mov_b32_e32 v5, 0
	s_and_saveexec_b32 s17, s0
	s_cbranch_execz .LBB547_14
; %bb.11:                               ;   in Loop: Header=BB547_10 Depth=2
	v_mov_b32_e32 v4, 0
	v_mov_b32_e32 v2, 0
	s_wait_alu 0xfffe
	v_dual_mov_b32 v5, 0 :: v_dual_add_nc_u32 v0, s14, v36
	v_mov_b32_e32 v3, 0
	s_mov_b32 s22, exec_lo
	s_delay_alu instid0(VALU_DEP_2)
	v_cmpx_gt_u64_e64 s[8:9], v[0:1]
	s_cbranch_execz .LBB547_13
; %bb.12:                               ;   in Loop: Header=BB547_10 Depth=2
	v_lshlrev_b64_e32 v[2:3], 4, v[0:1]
	s_delay_alu instid0(VALU_DEP_1) | instskip(SKIP_1) | instid1(VALU_DEP_2)
	v_add_co_u32 v2, vcc_lo, v41, v2
	s_wait_alu 0xfffd
	v_add_co_ci_u32_e64 v3, null, v42, v3, vcc_lo
	flat_load_b128 v[2:5], v[2:3]
	s_wait_loadcnt_dscnt 0x0
	v_xor_b32_e32 v5, 0x80000000, v5
.LBB547_13:                             ;   in Loop: Header=BB547_10 Depth=2
	s_or_b32 exec_lo, exec_lo, s22
.LBB547_14:                             ;   in Loop: Header=BB547_10 Depth=2
	s_delay_alu instid0(SALU_CYCLE_1)
	s_or_b32 exec_lo, exec_lo, s17
	s_wait_alu 0xfffe
	v_add_nc_u32_e32 v0, s14, v34
	ds_store_b128 v37, v[2:5]
	v_cmp_le_u64_e32 vcc_lo, s[8:9], v[0:1]
	s_or_b32 s17, vcc_lo, s16
	s_delay_alu instid0(SALU_CYCLE_1) | instskip(NEXT) | instid1(SALU_CYCLE_1)
	s_and_saveexec_b32 s22, s17
	s_xor_b32 s17, exec_lo, s22
; %bb.15:                               ;   in Loop: Header=BB547_10 Depth=2
	v_dual_mov_b32 v0, v1 :: v_dual_mov_b32 v3, v1
	v_mov_b32_e32 v2, v1
	ds_store_b128 v38, v[0:3]
; %bb.16:                               ;   in Loop: Header=BB547_10 Depth=2
	s_and_not1_saveexec_b32 s17, s17
	s_cbranch_execz .LBB547_9
; %bb.17:                               ;   in Loop: Header=BB547_10 Depth=2
	v_mad_co_u64_u32 v[2:3], null, s20, v0, 0
	s_delay_alu instid0(VALU_DEP_1) | instskip(NEXT) | instid1(VALU_DEP_1)
	v_mad_co_u64_u32 v[3:4], null, s21, v0, v[3:4]
	v_lshlrev_b64_e32 v[2:3], 4, v[2:3]
	s_delay_alu instid0(VALU_DEP_1) | instskip(SKIP_1) | instid1(VALU_DEP_2)
	v_add_co_u32 v2, vcc_lo, v43, v2
	s_wait_alu 0xfffd
	v_add_co_ci_u32_e64 v3, null, v44, v3, vcc_lo
	flat_load_b128 v[2:5], v[2:3]
	s_wait_loadcnt_dscnt 0x0
	ds_store_2addr_b64 v38, v[2:3], v[4:5] offset1:1
	s_branch .LBB547_9
.LBB547_18:                             ;   in Loop: Header=BB547_7 Depth=1
	s_wait_loadcnt 0x0
	v_add_co_u32 v0, vcc_lo, v16, s10
	s_wait_alu 0xfffd
	v_add_co_ci_u32_e64 v16, null, s11, v17, vcc_lo
	s_delay_alu instid0(VALU_DEP_2) | instskip(SKIP_1) | instid1(VALU_DEP_2)
	v_add_co_u32 v17, vcc_lo, v0, v12
	s_wait_alu 0xfffd
	v_add_co_ci_u32_e64 v41, null, v16, v13, vcc_lo
	s_and_saveexec_b32 s14, s28
	s_cbranch_execz .LBB547_23
; %bb.19:                               ;   in Loop: Header=BB547_7 Depth=1
	v_mul_f64_e32 v[2:3], s[42:43], v[32:33]
	v_mul_f64_e32 v[4:5], s[40:41], v[32:33]
	s_and_b32 vcc_lo, exec_lo, s25
	s_mov_b32 s15, -1
	s_delay_alu instid0(VALU_DEP_2) | instskip(NEXT) | instid1(VALU_DEP_2)
	v_fma_f64 v[2:3], s[40:41], v[30:31], -v[2:3]
	v_fma_f64 v[4:5], s[42:43], v[30:31], v[4:5]
	s_wait_alu 0xfffe
	s_cbranch_vccz .LBB547_21
; %bb.20:                               ;   in Loop: Header=BB547_7 Depth=1
	v_lshlrev_b64_e32 v[30:31], 4, v[6:7]
	s_mov_b32 s15, 0
	s_delay_alu instid0(VALU_DEP_1) | instskip(SKIP_1) | instid1(VALU_DEP_2)
	v_add_co_u32 v42, vcc_lo, v17, v30
	s_wait_alu 0xfffd
	v_add_co_ci_u32_e64 v43, null, v41, v31, vcc_lo
	flat_load_b128 v[30:33], v[42:43]
	s_wait_loadcnt_dscnt 0x0
	v_mul_f64_e32 v[44:45], s[38:39], v[32:33]
	v_mul_f64_e32 v[32:33], s[36:37], v[32:33]
	s_delay_alu instid0(VALU_DEP_2) | instskip(NEXT) | instid1(VALU_DEP_2)
	v_fma_f64 v[44:45], s[36:37], v[30:31], -v[44:45]
	v_fma_f64 v[32:33], s[38:39], v[30:31], v[32:33]
	s_delay_alu instid0(VALU_DEP_2) | instskip(NEXT) | instid1(VALU_DEP_2)
	v_add_f64_e32 v[30:31], v[2:3], v[44:45]
	v_add_f64_e32 v[32:33], v[4:5], v[32:33]
	flat_store_b128 v[42:43], v[30:33]
.LBB547_21:                             ;   in Loop: Header=BB547_7 Depth=1
	s_wait_alu 0xfffe
	s_and_not1_b32 vcc_lo, exec_lo, s15
	s_wait_alu 0xfffe
	s_cbranch_vccnz .LBB547_23
; %bb.22:                               ;   in Loop: Header=BB547_7 Depth=1
	v_lshlrev_b64_e32 v[30:31], 4, v[6:7]
	s_delay_alu instid0(VALU_DEP_1) | instskip(SKIP_1) | instid1(VALU_DEP_2)
	v_add_co_u32 v30, vcc_lo, v17, v30
	s_wait_alu 0xfffd
	v_add_co_ci_u32_e64 v31, null, v41, v31, vcc_lo
	flat_store_b128 v[30:31], v[2:5]
.LBB547_23:                             ;   in Loop: Header=BB547_7 Depth=1
	s_wait_alu 0xfffe
	s_or_b32 exec_lo, exec_lo, s14
	s_and_saveexec_b32 s14, s1
	s_cbranch_execz .LBB547_28
; %bb.24:                               ;   in Loop: Header=BB547_7 Depth=1
	v_mul_f64_e32 v[2:3], s[42:43], v[28:29]
	v_mul_f64_e32 v[4:5], s[40:41], v[28:29]
	s_and_not1_b32 vcc_lo, exec_lo, s25
	s_mov_b32 s15, -1
	s_delay_alu instid0(VALU_DEP_2) | instskip(NEXT) | instid1(VALU_DEP_2)
	v_fma_f64 v[2:3], s[40:41], v[26:27], -v[2:3]
	v_fma_f64 v[4:5], s[42:43], v[26:27], v[4:5]
	s_wait_alu 0xfffe
	s_cbranch_vccnz .LBB547_26
; %bb.25:                               ;   in Loop: Header=BB547_7 Depth=1
	v_lshlrev_b64_e32 v[26:27], 4, v[8:9]
	s_mov_b32 s15, 0
	s_delay_alu instid0(VALU_DEP_1) | instskip(SKIP_1) | instid1(VALU_DEP_2)
	v_add_co_u32 v30, vcc_lo, v17, v26
	s_wait_alu 0xfffd
	v_add_co_ci_u32_e64 v31, null, v41, v27, vcc_lo
	flat_load_b128 v[26:29], v[30:31]
	s_wait_loadcnt_dscnt 0x0
	v_mul_f64_e32 v[32:33], s[38:39], v[28:29]
	v_mul_f64_e32 v[28:29], s[36:37], v[28:29]
	s_delay_alu instid0(VALU_DEP_2) | instskip(NEXT) | instid1(VALU_DEP_2)
	v_fma_f64 v[32:33], s[36:37], v[26:27], -v[32:33]
	v_fma_f64 v[28:29], s[38:39], v[26:27], v[28:29]
	s_delay_alu instid0(VALU_DEP_2) | instskip(NEXT) | instid1(VALU_DEP_2)
	v_add_f64_e32 v[26:27], v[2:3], v[32:33]
	v_add_f64_e32 v[28:29], v[4:5], v[28:29]
	flat_store_b128 v[30:31], v[26:29]
.LBB547_26:                             ;   in Loop: Header=BB547_7 Depth=1
	s_wait_alu 0xfffe
	s_and_not1_b32 vcc_lo, exec_lo, s15
	s_wait_alu 0xfffe
	s_cbranch_vccnz .LBB547_28
; %bb.27:                               ;   in Loop: Header=BB547_7 Depth=1
	v_lshlrev_b64_e32 v[26:27], 4, v[8:9]
	s_delay_alu instid0(VALU_DEP_1) | instskip(SKIP_1) | instid1(VALU_DEP_2)
	v_add_co_u32 v26, vcc_lo, v17, v26
	s_wait_alu 0xfffd
	v_add_co_ci_u32_e64 v27, null, v41, v27, vcc_lo
	flat_store_b128 v[26:27], v[2:5]
.LBB547_28:                             ;   in Loop: Header=BB547_7 Depth=1
	s_wait_alu 0xfffe
	s_or_b32 exec_lo, exec_lo, s14
	v_add_co_u32 v0, vcc_lo, v0, v14
	s_wait_alu 0xfffd
	v_add_co_ci_u32_e64 v26, null, v16, v15, vcc_lo
	s_and_saveexec_b32 s14, s29
	s_cbranch_execz .LBB547_33
; %bb.29:                               ;   in Loop: Header=BB547_7 Depth=1
	v_mul_f64_e32 v[2:3], s[42:43], v[24:25]
	v_mul_f64_e32 v[4:5], s[40:41], v[24:25]
	v_lshlrev_b64_e32 v[16:17], 4, v[6:7]
	s_and_not1_b32 vcc_lo, exec_lo, s25
	s_mov_b32 s15, -1
	s_delay_alu instid0(VALU_DEP_3) | instskip(NEXT) | instid1(VALU_DEP_3)
	v_fma_f64 v[2:3], s[40:41], v[22:23], -v[2:3]
	v_fma_f64 v[4:5], s[42:43], v[22:23], v[4:5]
	s_wait_alu 0xfffe
	s_cbranch_vccnz .LBB547_31
; %bb.30:                               ;   in Loop: Header=BB547_7 Depth=1
	v_add_co_u32 v27, vcc_lo, v0, v16
	s_wait_alu 0xfffd
	v_add_co_ci_u32_e64 v28, null, v26, v17, vcc_lo
	s_mov_b32 s15, 0
	flat_load_b128 v[22:25], v[27:28]
	s_wait_loadcnt_dscnt 0x0
	v_mul_f64_e32 v[29:30], s[38:39], v[24:25]
	v_mul_f64_e32 v[24:25], s[36:37], v[24:25]
	s_delay_alu instid0(VALU_DEP_2) | instskip(NEXT) | instid1(VALU_DEP_2)
	v_fma_f64 v[29:30], s[36:37], v[22:23], -v[29:30]
	v_fma_f64 v[24:25], s[38:39], v[22:23], v[24:25]
	s_delay_alu instid0(VALU_DEP_2) | instskip(NEXT) | instid1(VALU_DEP_2)
	v_add_f64_e32 v[22:23], v[2:3], v[29:30]
	v_add_f64_e32 v[24:25], v[4:5], v[24:25]
	flat_store_b128 v[27:28], v[22:25]
.LBB547_31:                             ;   in Loop: Header=BB547_7 Depth=1
	s_wait_alu 0xfffe
	s_and_not1_b32 vcc_lo, exec_lo, s15
	s_wait_alu 0xfffe
	s_cbranch_vccnz .LBB547_33
; %bb.32:                               ;   in Loop: Header=BB547_7 Depth=1
	v_add_co_u32 v16, vcc_lo, v0, v16
	s_wait_alu 0xfffd
	v_add_co_ci_u32_e64 v17, null, v26, v17, vcc_lo
	flat_store_b128 v[16:17], v[2:5]
.LBB547_33:                             ;   in Loop: Header=BB547_7 Depth=1
	s_wait_alu 0xfffe
	s_or_b32 exec_lo, exec_lo, s14
	s_and_saveexec_b32 s14, s33
	s_cbranch_execz .LBB547_6
; %bb.34:                               ;   in Loop: Header=BB547_7 Depth=1
	v_mul_f64_e32 v[2:3], s[42:43], v[18:19]
	v_mul_f64_e32 v[4:5], s[40:41], v[18:19]
	v_lshlrev_b64_e32 v[16:17], 4, v[8:9]
	s_and_not1_b32 vcc_lo, exec_lo, s25
	s_mov_b32 s15, -1
	s_delay_alu instid0(VALU_DEP_3) | instskip(NEXT) | instid1(VALU_DEP_3)
	v_fma_f64 v[2:3], s[40:41], v[20:21], -v[2:3]
	v_fma_f64 v[4:5], s[42:43], v[20:21], v[4:5]
	s_wait_alu 0xfffe
	s_cbranch_vccnz .LBB547_36
; %bb.35:                               ;   in Loop: Header=BB547_7 Depth=1
	v_add_co_u32 v22, vcc_lo, v0, v16
	s_wait_alu 0xfffd
	v_add_co_ci_u32_e64 v23, null, v26, v17, vcc_lo
	s_mov_b32 s15, 0
	flat_load_b128 v[18:21], v[22:23]
	s_wait_loadcnt_dscnt 0x0
	v_mul_f64_e32 v[24:25], s[38:39], v[20:21]
	v_mul_f64_e32 v[20:21], s[36:37], v[20:21]
	s_delay_alu instid0(VALU_DEP_2) | instskip(NEXT) | instid1(VALU_DEP_2)
	v_fma_f64 v[24:25], s[36:37], v[18:19], -v[24:25]
	v_fma_f64 v[20:21], s[38:39], v[18:19], v[20:21]
	s_delay_alu instid0(VALU_DEP_2) | instskip(NEXT) | instid1(VALU_DEP_2)
	v_add_f64_e32 v[18:19], v[2:3], v[24:25]
	v_add_f64_e32 v[20:21], v[4:5], v[20:21]
	flat_store_b128 v[22:23], v[18:21]
.LBB547_36:                             ;   in Loop: Header=BB547_7 Depth=1
	s_wait_alu 0xfffe
	s_and_not1_b32 vcc_lo, exec_lo, s15
	s_wait_alu 0xfffe
	s_cbranch_vccnz .LBB547_6
; %bb.37:                               ;   in Loop: Header=BB547_7 Depth=1
	v_add_co_u32 v16, vcc_lo, v0, v16
	s_wait_alu 0xfffd
	v_add_co_ci_u32_e64 v17, null, v26, v17, vcc_lo
	flat_store_b128 v[16:17], v[2:5]
	s_branch .LBB547_6
.LBB547_38:
.LBB547_39:
	s_nop 0
	s_sendmsg sendmsg(MSG_DEALLOC_VGPRS)
	s_endpgm
	.section	.rodata,"a",@progbits
	.p2align	6, 0x0
	.amdhsa_kernel _ZL29rocblas_internal_gemmt_kernelIlLi16ELi32ELi8ELc67ELc84ELc85ELb1ELb0E19rocblas_complex_numIdEPKS1_PKS3_PKPS1_EviT_T9_T10_S9_lSB_S9_lSA_T11_S9_li
		.amdhsa_group_segment_fixed_size 8192
		.amdhsa_private_segment_fixed_size 0
		.amdhsa_kernarg_size 108
		.amdhsa_user_sgpr_count 2
		.amdhsa_user_sgpr_dispatch_ptr 0
		.amdhsa_user_sgpr_queue_ptr 0
		.amdhsa_user_sgpr_kernarg_segment_ptr 1
		.amdhsa_user_sgpr_dispatch_id 0
		.amdhsa_user_sgpr_private_segment_size 0
		.amdhsa_wavefront_size32 1
		.amdhsa_uses_dynamic_stack 0
		.amdhsa_enable_private_segment 0
		.amdhsa_system_sgpr_workgroup_id_x 1
		.amdhsa_system_sgpr_workgroup_id_y 1
		.amdhsa_system_sgpr_workgroup_id_z 1
		.amdhsa_system_sgpr_workgroup_info 0
		.amdhsa_system_vgpr_workitem_id 1
		.amdhsa_next_free_vgpr 133
		.amdhsa_next_free_sgpr 44
		.amdhsa_reserve_vcc 1
		.amdhsa_float_round_mode_32 0
		.amdhsa_float_round_mode_16_64 0
		.amdhsa_float_denorm_mode_32 3
		.amdhsa_float_denorm_mode_16_64 3
		.amdhsa_fp16_overflow 0
		.amdhsa_workgroup_processor_mode 1
		.amdhsa_memory_ordered 1
		.amdhsa_forward_progress 1
		.amdhsa_inst_pref_size 28
		.amdhsa_round_robin_scheduling 0
		.amdhsa_exception_fp_ieee_invalid_op 0
		.amdhsa_exception_fp_denorm_src 0
		.amdhsa_exception_fp_ieee_div_zero 0
		.amdhsa_exception_fp_ieee_overflow 0
		.amdhsa_exception_fp_ieee_underflow 0
		.amdhsa_exception_fp_ieee_inexact 0
		.amdhsa_exception_int_div_zero 0
	.end_amdhsa_kernel
	.section	.text._ZL29rocblas_internal_gemmt_kernelIlLi16ELi32ELi8ELc67ELc84ELc85ELb1ELb0E19rocblas_complex_numIdEPKS1_PKS3_PKPS1_EviT_T9_T10_S9_lSB_S9_lSA_T11_S9_li,"axG",@progbits,_ZL29rocblas_internal_gemmt_kernelIlLi16ELi32ELi8ELc67ELc84ELc85ELb1ELb0E19rocblas_complex_numIdEPKS1_PKS3_PKPS1_EviT_T9_T10_S9_lSB_S9_lSA_T11_S9_li,comdat
.Lfunc_end547:
	.size	_ZL29rocblas_internal_gemmt_kernelIlLi16ELi32ELi8ELc67ELc84ELc85ELb1ELb0E19rocblas_complex_numIdEPKS1_PKS3_PKPS1_EviT_T9_T10_S9_lSB_S9_lSA_T11_S9_li, .Lfunc_end547-_ZL29rocblas_internal_gemmt_kernelIlLi16ELi32ELi8ELc67ELc84ELc85ELb1ELb0E19rocblas_complex_numIdEPKS1_PKS3_PKPS1_EviT_T9_T10_S9_lSB_S9_lSA_T11_S9_li
                                        ; -- End function
	.set _ZL29rocblas_internal_gemmt_kernelIlLi16ELi32ELi8ELc67ELc84ELc85ELb1ELb0E19rocblas_complex_numIdEPKS1_PKS3_PKPS1_EviT_T9_T10_S9_lSB_S9_lSA_T11_S9_li.num_vgpr, 133
	.set _ZL29rocblas_internal_gemmt_kernelIlLi16ELi32ELi8ELc67ELc84ELc85ELb1ELb0E19rocblas_complex_numIdEPKS1_PKS3_PKPS1_EviT_T9_T10_S9_lSB_S9_lSA_T11_S9_li.num_agpr, 0
	.set _ZL29rocblas_internal_gemmt_kernelIlLi16ELi32ELi8ELc67ELc84ELc85ELb1ELb0E19rocblas_complex_numIdEPKS1_PKS3_PKPS1_EviT_T9_T10_S9_lSB_S9_lSA_T11_S9_li.numbered_sgpr, 44
	.set _ZL29rocblas_internal_gemmt_kernelIlLi16ELi32ELi8ELc67ELc84ELc85ELb1ELb0E19rocblas_complex_numIdEPKS1_PKS3_PKPS1_EviT_T9_T10_S9_lSB_S9_lSA_T11_S9_li.num_named_barrier, 0
	.set _ZL29rocblas_internal_gemmt_kernelIlLi16ELi32ELi8ELc67ELc84ELc85ELb1ELb0E19rocblas_complex_numIdEPKS1_PKS3_PKPS1_EviT_T9_T10_S9_lSB_S9_lSA_T11_S9_li.private_seg_size, 0
	.set _ZL29rocblas_internal_gemmt_kernelIlLi16ELi32ELi8ELc67ELc84ELc85ELb1ELb0E19rocblas_complex_numIdEPKS1_PKS3_PKPS1_EviT_T9_T10_S9_lSB_S9_lSA_T11_S9_li.uses_vcc, 1
	.set _ZL29rocblas_internal_gemmt_kernelIlLi16ELi32ELi8ELc67ELc84ELc85ELb1ELb0E19rocblas_complex_numIdEPKS1_PKS3_PKPS1_EviT_T9_T10_S9_lSB_S9_lSA_T11_S9_li.uses_flat_scratch, 0
	.set _ZL29rocblas_internal_gemmt_kernelIlLi16ELi32ELi8ELc67ELc84ELc85ELb1ELb0E19rocblas_complex_numIdEPKS1_PKS3_PKPS1_EviT_T9_T10_S9_lSB_S9_lSA_T11_S9_li.has_dyn_sized_stack, 0
	.set _ZL29rocblas_internal_gemmt_kernelIlLi16ELi32ELi8ELc67ELc84ELc85ELb1ELb0E19rocblas_complex_numIdEPKS1_PKS3_PKPS1_EviT_T9_T10_S9_lSB_S9_lSA_T11_S9_li.has_recursion, 0
	.set _ZL29rocblas_internal_gemmt_kernelIlLi16ELi32ELi8ELc67ELc84ELc85ELb1ELb0E19rocblas_complex_numIdEPKS1_PKS3_PKPS1_EviT_T9_T10_S9_lSB_S9_lSA_T11_S9_li.has_indirect_call, 0
	.section	.AMDGPU.csdata,"",@progbits
; Kernel info:
; codeLenInByte = 3488
; TotalNumSgprs: 46
; NumVgprs: 133
; ScratchSize: 0
; MemoryBound: 1
; FloatMode: 240
; IeeeMode: 1
; LDSByteSize: 8192 bytes/workgroup (compile time only)
; SGPRBlocks: 0
; VGPRBlocks: 16
; NumSGPRsForWavesPerEU: 46
; NumVGPRsForWavesPerEU: 133
; Occupancy: 10
; WaveLimiterHint : 1
; COMPUTE_PGM_RSRC2:SCRATCH_EN: 0
; COMPUTE_PGM_RSRC2:USER_SGPR: 2
; COMPUTE_PGM_RSRC2:TRAP_HANDLER: 0
; COMPUTE_PGM_RSRC2:TGID_X_EN: 1
; COMPUTE_PGM_RSRC2:TGID_Y_EN: 1
; COMPUTE_PGM_RSRC2:TGID_Z_EN: 1
; COMPUTE_PGM_RSRC2:TIDIG_COMP_CNT: 1
	.section	.text._ZL29rocblas_internal_gemmt_kernelIlLi16ELi32ELi8ELc67ELc67ELc85ELb1ELb1E19rocblas_complex_numIdEPKS1_PKS3_PKPS1_EviT_T9_T10_S9_lSB_S9_lSA_T11_S9_li,"axG",@progbits,_ZL29rocblas_internal_gemmt_kernelIlLi16ELi32ELi8ELc67ELc67ELc85ELb1ELb1E19rocblas_complex_numIdEPKS1_PKS3_PKPS1_EviT_T9_T10_S9_lSB_S9_lSA_T11_S9_li,comdat
	.globl	_ZL29rocblas_internal_gemmt_kernelIlLi16ELi32ELi8ELc67ELc67ELc85ELb1ELb1E19rocblas_complex_numIdEPKS1_PKS3_PKPS1_EviT_T9_T10_S9_lSB_S9_lSA_T11_S9_li ; -- Begin function _ZL29rocblas_internal_gemmt_kernelIlLi16ELi32ELi8ELc67ELc67ELc85ELb1ELb1E19rocblas_complex_numIdEPKS1_PKS3_PKPS1_EviT_T9_T10_S9_lSB_S9_lSA_T11_S9_li
	.p2align	8
	.type	_ZL29rocblas_internal_gemmt_kernelIlLi16ELi32ELi8ELc67ELc67ELc85ELb1ELb1E19rocblas_complex_numIdEPKS1_PKS3_PKPS1_EviT_T9_T10_S9_lSB_S9_lSA_T11_S9_li,@function
_ZL29rocblas_internal_gemmt_kernelIlLi16ELi32ELi8ELc67ELc67ELc85ELb1ELb1E19rocblas_complex_numIdEPKS1_PKS3_PKPS1_EviT_T9_T10_S9_lSB_S9_lSA_T11_S9_li: ; @_ZL29rocblas_internal_gemmt_kernelIlLi16ELi32ELi8ELc67ELc67ELc85ELb1ELb1E19rocblas_complex_numIdEPKS1_PKS3_PKPS1_EviT_T9_T10_S9_lSB_S9_lSA_T11_S9_li
; %bb.0:
	s_clause 0x1
	s_load_b256 s[24:31], s[0:1], 0x48
	s_load_b512 s[8:23], s[0:1], 0x8
	s_wait_kmcnt 0x0
	s_load_b128 s[36:39], s[24:25], 0x0
	s_load_b128 s[40:43], s[10:11], 0x0
	s_wait_kmcnt 0x0
	v_cmp_eq_f64_e64 s3, s[36:37], 1.0
	v_cmp_eq_f64_e64 s2, s[38:39], 0
	s_and_b32 s3, s3, s2
	s_delay_alu instid0(SALU_CYCLE_1)
	s_and_not1_b32 vcc_lo, exec_lo, s3
	s_mov_b32 s3, -1
	s_cbranch_vccnz .LBB548_3
; %bb.1:
	s_cmp_lg_u64 s[8:9], 0
	s_cbranch_scc0 .LBB548_36
; %bb.2:
	v_cmp_neq_f64_e64 s3, s[40:41], 0
	v_cmp_neq_f64_e64 s4, s[42:43], 0
	s_or_b32 s3, s3, s4
.LBB548_3:
	s_delay_alu instid0(SALU_CYCLE_1)
	s_and_b32 vcc_lo, exec_lo, s3
	s_cbranch_vccz .LBB548_37
; %bb.4:
	s_load_b32 s24, s[0:1], 0x68
	s_lshr_b32 s6, ttmp7, 16
	s_wait_kmcnt 0x0
	s_cmp_ge_u32 s6, s24
	s_cbranch_scc1 .LBB548_37
; %bb.5:
	v_and_b32_e32 v1, 0x3ff, v0
	v_bfe_u32 v8, v0, 10, 10
	v_dual_mov_b32 v9, 0 :: v_dual_and_b32 v38, 7, v0
	s_load_b32 s5, s[0:1], 0x0
	s_lshl_b32 s1, ttmp7, 5
	s_delay_alu instid0(VALU_DEP_2)
	v_lshl_add_u32 v0, v8, 4, v1
	v_cmp_neq_f64_e64 s3, s[40:41], 0
	v_cmp_neq_f64_e64 s4, s[42:43], 0
	s_lshl_b32 s0, ttmp9, 5
	s_and_b32 s1, s1, 0x1fffe0
	v_and_b32_e32 v2, 31, v0
	v_add_nc_u32_e32 v11, s1, v8
	v_cmp_neq_f64_e64 s7, s[36:37], 0
	v_lshlrev_b32_e32 v39, 4, v1
	v_add_nc_u32_e32 v10, s0, v1
	v_or_b32_e32 v6, s0, v2
	v_lshrrev_b32_e32 v40, 5, v0
	v_lshrrev_b32_e32 v5, 3, v0
	v_mad_co_u64_u32 v[0:1], null, s28, v11, 0
	v_lshlrev_b32_e32 v7, 4, v2
	v_mad_co_u64_u32 v[2:3], null, s14, v6, 0
	s_ashr_i32 s11, s0, 31
	v_mul_lo_u32 v12, s15, v6
	s_wait_kmcnt 0x0
	v_cmp_gt_i32_e64 s0, s5, v6
	v_lshl_or_b32 v41, v40, 9, v7
	v_add_nc_u32_e32 v13, 16, v11
	v_add_nc_u32_e32 v20, s1, v5
	v_mad_co_u64_u32 v[6:7], null, s29, v11, v[1:2]
	v_lshlrev_b32_e32 v4, 4, v38
	s_mul_i32 s11, s14, s11
	v_cmp_gt_i32_e32 vcc_lo, s5, v11
	v_add3_u32 v3, v3, s11, v12
	v_add_nc_u32_e32 v12, 16, v10
	v_cmp_gt_i64_e64 s10, s[8:9], 0
	v_mov_b32_e32 v1, v6
	v_lshl_or_b32 v4, v5, 7, v4
	v_cmp_gt_i32_e64 s1, s5, v20
	v_lshlrev_b64_e32 v[14:15], 4, v[2:3]
	v_lshl_add_u32 v43, v8, 7, 0x1000
	v_lshlrev_b64_e32 v[16:17], 4, v[0:1]
	v_add_nc_u32_e32 v42, 0x1000, v4
	v_mad_co_u64_u32 v[4:5], null, s28, v13, 0
	s_or_b32 s11, s3, s4
	s_xor_b32 s3, s2, -1
	v_cmp_le_i32_e64 s2, v10, v11
	v_cmp_le_i32_e64 s4, v10, v13
	s_or_b32 s25, s7, s3
	v_cmp_gt_i32_e64 s3, s5, v13
	v_mad_co_u64_u32 v[5:6], null, s29, v13, v[5:6]
	s_and_b32 s28, vcc_lo, s2
	v_cmp_le_i32_e64 s2, v12, v11
	v_cmp_le_i32_e64 s5, v12, v13
	v_ashrrev_i32_e32 v11, 31, v10
	v_ashrrev_i32_e32 v13, 31, v12
	v_lshlrev_b32_e32 v44, 4, v20
	v_lshlrev_b64_e32 v[18:19], 4, v[4:5]
	s_and_b32 s29, vcc_lo, s2
	s_and_b32 s33, s3, s4
	s_and_b32 s34, s3, s5
	s_mov_b32 s7, 0
	s_wait_alu 0xfffe
	s_and_b32 s35, s11, s10
	s_lshl_b64 s[2:3], s[22:23], 4
	s_lshl_b64 s[4:5], s[16:17], 4
	;; [unrolled: 1-line block ×3, first 2 shown]
	s_branch .LBB548_7
.LBB548_6:                              ;   in Loop: Header=BB548_7 Depth=1
	s_wait_alu 0xfffe
	s_or_b32 exec_lo, exec_lo, s14
	s_add_co_i32 s6, s6, 0x10000
	s_delay_alu instid0(SALU_CYCLE_1)
	s_cmp_lt_u32 s6, s24
	s_cbranch_scc0 .LBB548_37
.LBB548_7:                              ; =>This Loop Header: Depth=1
                                        ;     Child Loop BB548_10 Depth 2
	s_lshl_b64 s[14:15], s[6:7], 3
	v_mov_b32_e32 v34, 0
	s_wait_alu 0xfffe
	s_add_nc_u64 s[16:17], s[26:27], s[14:15]
	v_mov_b32_e32 v30, 0
	global_load_b64 v[20:21], v9, s[16:17]
	v_mov_b32_e32 v26, 0
	v_dual_mov_b32 v24, 0 :: v_dual_mov_b32 v35, 0
	v_dual_mov_b32 v36, 0 :: v_dual_mov_b32 v31, 0
	;; [unrolled: 1-line block ×5, first 2 shown]
	v_mov_b32_e32 v33, 0
	v_mov_b32_e32 v29, 0
	v_mov_b32_e32 v23, 0
	s_and_not1_b32 vcc_lo, exec_lo, s35
	s_wait_alu 0xfffe
	s_cbranch_vccnz .LBB548_16
; %bb.8:                                ;   in Loop: Header=BB548_7 Depth=1
	s_add_nc_u64 s[16:17], s[12:13], s[14:15]
	s_add_nc_u64 s[14:15], s[18:19], s[14:15]
	s_clause 0x1
	global_load_b64 v[0:1], v9, s[16:17]
	global_load_b64 v[2:3], v9, s[14:15]
	v_mov_b32_e32 v22, 0
	v_mov_b32_e32 v28, 0
	;; [unrolled: 1-line block ×3, first 2 shown]
	v_dual_mov_b32 v36, 0 :: v_dual_mov_b32 v23, 0
	v_dual_mov_b32 v24, 0 :: v_dual_mov_b32 v29, 0
	;; [unrolled: 1-line block ×5, first 2 shown]
	v_mov_b32_e32 v27, 0
	v_mov_b32_e32 v31, 0
	;; [unrolled: 1-line block ×3, first 2 shown]
	s_mov_b64 s[14:15], 0
	s_wait_loadcnt 0x1
	v_add_co_u32 v0, vcc_lo, v0, s4
	s_wait_alu 0xfffd
	v_add_co_ci_u32_e64 v1, null, s5, v1, vcc_lo
	s_wait_loadcnt 0x0
	v_add_co_u32 v2, vcc_lo, v2, s2
	s_wait_alu 0xfffd
	v_add_co_ci_u32_e64 v3, null, s3, v3, vcc_lo
	v_add_co_u32 v45, vcc_lo, v0, v14
	s_wait_alu 0xfffd
	v_add_co_ci_u32_e64 v46, null, v1, v15, vcc_lo
	;; [unrolled: 3-line block ×3, first 2 shown]
	s_branch .LBB548_10
.LBB548_9:                              ;   in Loop: Header=BB548_10 Depth=2
	s_or_b32 exec_lo, exec_lo, s16
	ds_store_b128 v42, v[4:7]
	s_wait_dscnt 0x0
	s_barrier_signal -1
	s_barrier_wait -1
	global_inv scope:SCOPE_SE
	ds_load_b128 v[0:3], v43
	ds_load_b128 v[4:7], v39
	ds_load_b128 v[49:52], v39 offset:256
	ds_load_b128 v[53:56], v43 offset:2048
	;; [unrolled: 1-line block ×10, first 2 shown]
	s_add_nc_u64 s[14:15], s[14:15], 8
	s_wait_alu 0xfffe
	v_cmp_gt_i64_e64 s16, s[8:9], s[14:15]
	s_and_b32 vcc_lo, exec_lo, s16
	s_wait_dscnt 0xa
	v_mul_f64_e32 v[89:90], v[2:3], v[6:7]
	v_mul_f64_e32 v[91:92], v[0:1], v[6:7]
	s_wait_dscnt 0x9
	v_mul_f64_e32 v[93:94], v[2:3], v[51:52]
	v_mul_f64_e32 v[95:96], v[0:1], v[51:52]
	;; [unrolled: 3-line block ×3, first 2 shown]
	v_mul_f64_e32 v[99:100], v[55:56], v[51:52]
	v_mul_f64_e32 v[51:52], v[53:54], v[51:52]
	s_wait_dscnt 0x5
	v_mul_f64_e32 v[101:102], v[59:60], v[67:68]
	v_mul_f64_e32 v[103:104], v[57:58], v[67:68]
	s_wait_dscnt 0x4
	v_mul_f64_e32 v[105:106], v[59:60], v[71:72]
	v_mul_f64_e32 v[107:108], v[57:58], v[71:72]
	;; [unrolled: 1-line block ×6, first 2 shown]
	s_wait_dscnt 0x2
	v_mul_f64_e32 v[117:118], v[75:76], v[79:80]
	v_mul_f64_e32 v[119:120], v[73:74], v[79:80]
	s_wait_dscnt 0x1
	v_mul_f64_e32 v[121:122], v[75:76], v[83:84]
	v_mul_f64_e32 v[123:124], v[73:74], v[83:84]
	;; [unrolled: 3-line block ×3, first 2 shown]
	v_mul_f64_e32 v[127:128], v[87:88], v[83:84]
	v_mul_f64_e32 v[83:84], v[85:86], v[83:84]
	v_fma_f64 v[89:90], v[0:1], v[4:5], -v[89:90]
	v_fma_f64 v[91:92], v[2:3], v[4:5], v[91:92]
	v_fma_f64 v[93:94], v[0:1], v[49:50], -v[93:94]
	v_fma_f64 v[95:96], v[2:3], v[49:50], v[95:96]
	;; [unrolled: 2-line block ×8, first 2 shown]
	ds_load_b128 v[0:3], v43 offset:48
	ds_load_b128 v[4:7], v39 offset:1536
	;; [unrolled: 1-line block ×4, first 2 shown]
	v_fma_f64 v[117:118], v[73:74], v[77:78], -v[117:118]
	v_fma_f64 v[119:120], v[75:76], v[77:78], v[119:120]
	v_fma_f64 v[73:74], v[73:74], v[81:82], -v[121:122]
	v_fma_f64 v[75:76], v[75:76], v[81:82], v[123:124]
	;; [unrolled: 2-line block ×4, first 2 shown]
	s_wait_dscnt 0x2
	v_mul_f64_e32 v[107:108], v[0:1], v[6:7]
	s_wait_dscnt 0x1
	v_mul_f64_e32 v[109:110], v[2:3], v[51:52]
	v_mul_f64_e32 v[111:112], v[0:1], v[51:52]
	v_add_f64_e32 v[67:68], v[34:35], v[89:90]
	v_add_f64_e32 v[69:70], v[91:92], v[36:37]
	v_add_f64_e32 v[71:72], v[30:31], v[93:94]
	v_add_f64_e32 v[89:90], v[95:96], v[32:33]
	v_add_f64_e32 v[91:92], v[26:27], v[97:98]
	v_add_f64_e32 v[93:94], v[113:114], v[28:29]
	v_add_f64_e32 v[95:96], v[24:25], v[99:100]
	v_add_f64_e32 v[97:98], v[115:116], v[22:23]
	v_mul_f64_e32 v[99:100], v[2:3], v[6:7]
	s_wait_dscnt 0x0
	v_mul_f64_e32 v[113:114], v[55:56], v[6:7]
	v_mul_f64_e32 v[6:7], v[53:54], v[6:7]
	;; [unrolled: 1-line block ×4, first 2 shown]
	ds_load_b128 v[22:25], v43 offset:64
	ds_load_b128 v[26:29], v39 offset:2048
	;; [unrolled: 1-line block ×4, first 2 shown]
	s_wait_dscnt 0x1
	v_mul_f64_e32 v[123:124], v[22:23], v[32:33]
	s_wait_dscnt 0x0
	v_mul_f64_e32 v[125:126], v[36:37], v[28:29]
	v_mul_f64_e32 v[127:128], v[36:37], v[32:33]
	v_fma_f64 v[107:108], v[2:3], v[4:5], v[107:108]
	v_fma_f64 v[109:110], v[0:1], v[49:50], -v[109:110]
	v_fma_f64 v[111:112], v[2:3], v[49:50], v[111:112]
	v_add_f64_e32 v[83:84], v[67:68], v[101:102]
	v_add_f64_e32 v[85:86], v[103:104], v[69:70]
	;; [unrolled: 1-line block ×8, first 2 shown]
	v_mul_f64_e32 v[101:102], v[24:25], v[28:29]
	v_mul_f64_e32 v[103:104], v[22:23], v[28:29]
	;; [unrolled: 1-line block ×5, first 2 shown]
	v_fma_f64 v[99:100], v[0:1], v[4:5], -v[99:100]
	v_fma_f64 v[113:114], v[53:54], v[4:5], -v[113:114]
	v_fma_f64 v[129:130], v[55:56], v[4:5], v[6:7]
	v_fma_f64 v[115:116], v[53:54], v[49:50], -v[115:116]
	v_fma_f64 v[131:132], v[55:56], v[49:50], v[51:52]
	ds_load_b128 v[57:60], v43 offset:80
	ds_load_b128 v[61:64], v39 offset:2560
	;; [unrolled: 1-line block ×8, first 2 shown]
	v_add_f64_e32 v[83:84], v[83:84], v[117:118]
	v_add_f64_e32 v[85:86], v[119:120], v[85:86]
	;; [unrolled: 1-line block ×8, first 2 shown]
	s_wait_dscnt 0x6
	v_mul_f64_e32 v[89:90], v[59:60], v[63:64]
	v_mul_f64_e32 v[91:92], v[57:58], v[63:64]
	s_wait_dscnt 0x5
	v_mul_f64_e32 v[93:94], v[59:60], v[67:68]
	v_mul_f64_e32 v[95:96], v[57:58], v[67:68]
	;; [unrolled: 3-line block ×3, first 2 shown]
	v_mul_f64_e32 v[117:118], v[71:72], v[67:68]
	v_mul_f64_e32 v[67:68], v[69:70], v[67:68]
	v_fma_f64 v[101:102], v[22:23], v[26:27], -v[101:102]
	v_fma_f64 v[103:104], v[24:25], v[26:27], v[103:104]
	v_fma_f64 v[105:106], v[22:23], v[30:31], -v[105:106]
	v_fma_f64 v[119:120], v[24:25], v[30:31], v[123:124]
	;; [unrolled: 2-line block ×4, first 2 shown]
	ds_load_b128 v[22:25], v43 offset:112
	ds_load_b128 v[26:29], v39 offset:3584
	ds_load_b128 v[30:33], v39 offset:3840
	ds_load_b128 v[34:37], v43 offset:2160
	s_wait_loadcnt_dscnt 0x0
	s_barrier_signal -1
	s_barrier_wait -1
	global_inv scope:SCOPE_SE
	v_add_f64_e32 v[83:84], v[83:84], v[99:100]
	v_add_f64_e32 v[85:86], v[107:108], v[85:86]
	;; [unrolled: 1-line block ×8, first 2 shown]
	v_mul_f64_e32 v[99:100], v[2:3], v[6:7]
	v_mul_f64_e32 v[107:108], v[0:1], v[6:7]
	v_mul_f64_e32 v[109:110], v[2:3], v[51:52]
	v_mul_f64_e32 v[111:112], v[0:1], v[51:52]
	v_mul_f64_e32 v[113:114], v[55:56], v[6:7]
	v_mul_f64_e32 v[6:7], v[53:54], v[6:7]
	v_mul_f64_e32 v[115:116], v[55:56], v[51:52]
	v_mul_f64_e32 v[51:52], v[53:54], v[51:52]
	v_fma_f64 v[89:90], v[57:58], v[61:62], -v[89:90]
	v_fma_f64 v[91:92], v[59:60], v[61:62], v[91:92]
	v_fma_f64 v[57:58], v[57:58], v[65:66], -v[93:94]
	v_fma_f64 v[59:60], v[59:60], v[65:66], v[95:96]
	;; [unrolled: 2-line block ×4, first 2 shown]
	v_mul_f64_e32 v[95:96], v[22:23], v[32:33]
	v_mul_f64_e32 v[97:98], v[36:37], v[28:29]
	v_add_f64_e32 v[67:68], v[83:84], v[101:102]
	v_add_f64_e32 v[69:70], v[103:104], v[85:86]
	;; [unrolled: 1-line block ×8, first 2 shown]
	v_mul_f64_e32 v[83:84], v[24:25], v[28:29]
	v_mul_f64_e32 v[85:86], v[22:23], v[28:29]
	;; [unrolled: 1-line block ×6, first 2 shown]
	v_fma_f64 v[99:100], v[0:1], v[4:5], -v[99:100]
	v_fma_f64 v[103:104], v[2:3], v[4:5], v[107:108]
	v_fma_f64 v[0:1], v[0:1], v[49:50], -v[109:110]
	v_fma_f64 v[2:3], v[2:3], v[49:50], v[111:112]
	;; [unrolled: 2-line block ×4, first 2 shown]
	v_add_f64_e32 v[51:52], v[67:68], v[89:90]
	v_add_f64_e32 v[53:54], v[91:92], v[69:70]
	;; [unrolled: 1-line block ×8, first 2 shown]
	v_fma_f64 v[67:68], v[22:23], v[26:27], -v[83:84]
	v_fma_f64 v[69:70], v[24:25], v[26:27], v[85:86]
	v_fma_f64 v[22:23], v[22:23], v[30:31], -v[87:88]
	v_fma_f64 v[24:25], v[24:25], v[30:31], v[95:96]
	;; [unrolled: 2-line block ×4, first 2 shown]
	v_add_f64_e32 v[26:27], v[51:52], v[99:100]
	v_add_f64_e32 v[30:31], v[103:104], v[53:54]
	;; [unrolled: 1-line block ×16, first 2 shown]
	s_wait_alu 0xfffe
	s_cbranch_vccz .LBB548_16
.LBB548_10:                             ;   Parent Loop BB548_7 Depth=1
                                        ; =>  This Inner Loop Header: Depth=2
	v_mov_b32_e32 v0, 0
	v_dual_mov_b32 v1, 0 :: v_dual_mov_b32 v2, 0
	v_mov_b32_e32 v3, 0
	s_and_saveexec_b32 s16, s0
	s_cbranch_execz .LBB548_14
; %bb.11:                               ;   in Loop: Header=BB548_10 Depth=2
	v_mov_b32_e32 v2, 0
	v_mov_b32_e32 v0, 0
	s_wait_alu 0xfffe
	v_dual_mov_b32 v3, 0 :: v_dual_add_nc_u32 v8, s14, v40
	v_mov_b32_e32 v1, 0
	s_mov_b32 s17, exec_lo
	s_delay_alu instid0(VALU_DEP_2)
	v_cmpx_gt_u64_e64 s[8:9], v[8:9]
	s_cbranch_execz .LBB548_13
; %bb.12:                               ;   in Loop: Header=BB548_10 Depth=2
	v_lshlrev_b64_e32 v[0:1], 4, v[8:9]
	s_delay_alu instid0(VALU_DEP_1) | instskip(SKIP_1) | instid1(VALU_DEP_2)
	v_add_co_u32 v0, vcc_lo, v45, v0
	s_wait_alu 0xfffd
	v_add_co_ci_u32_e64 v1, null, v46, v1, vcc_lo
	flat_load_b128 v[0:3], v[0:1]
	s_wait_loadcnt_dscnt 0x0
	v_xor_b32_e32 v3, 0x80000000, v3
.LBB548_13:                             ;   in Loop: Header=BB548_10 Depth=2
	s_or_b32 exec_lo, exec_lo, s17
.LBB548_14:                             ;   in Loop: Header=BB548_10 Depth=2
	s_delay_alu instid0(SALU_CYCLE_1)
	s_or_b32 exec_lo, exec_lo, s16
	s_wait_alu 0xfffe
	v_add_nc_u32_e32 v8, s14, v38
	v_mov_b32_e32 v4, 0
	v_dual_mov_b32 v5, 0 :: v_dual_mov_b32 v6, 0
	v_mov_b32_e32 v7, 0
	s_delay_alu instid0(VALU_DEP_4) | instskip(SKIP_2) | instid1(SALU_CYCLE_1)
	v_cmp_gt_u64_e32 vcc_lo, s[8:9], v[8:9]
	ds_store_b128 v41, v[0:3]
	s_and_b32 s17, vcc_lo, s1
	s_and_saveexec_b32 s16, s17
	s_cbranch_execz .LBB548_9
; %bb.15:                               ;   in Loop: Header=BB548_10 Depth=2
	v_mad_co_u64_u32 v[0:1], null, s20, v8, 0
	s_delay_alu instid0(VALU_DEP_1) | instskip(NEXT) | instid1(VALU_DEP_1)
	v_mad_co_u64_u32 v[1:2], null, s21, v8, v[1:2]
	v_lshlrev_b64_e32 v[0:1], 4, v[0:1]
	s_delay_alu instid0(VALU_DEP_1) | instskip(SKIP_1) | instid1(VALU_DEP_2)
	v_add_co_u32 v0, vcc_lo, v47, v0
	s_wait_alu 0xfffd
	v_add_co_ci_u32_e64 v1, null, v48, v1, vcc_lo
	flat_load_b128 v[4:7], v[0:1]
	s_wait_loadcnt_dscnt 0x0
	v_xor_b32_e32 v7, 0x80000000, v7
	s_branch .LBB548_9
.LBB548_16:                             ;   in Loop: Header=BB548_7 Depth=1
	s_wait_loadcnt 0x0
	v_add_co_u32 v4, vcc_lo, v20, s10
	s_wait_alu 0xfffd
	v_add_co_ci_u32_e64 v5, null, s11, v21, vcc_lo
	s_delay_alu instid0(VALU_DEP_2) | instskip(SKIP_1) | instid1(VALU_DEP_2)
	v_add_co_u32 v6, vcc_lo, v4, v16
	s_wait_alu 0xfffd
	v_add_co_ci_u32_e64 v7, null, v5, v17, vcc_lo
	s_and_saveexec_b32 s14, s28
	s_cbranch_execz .LBB548_21
; %bb.17:                               ;   in Loop: Header=BB548_7 Depth=1
	v_mul_f64_e32 v[0:1], s[42:43], v[36:37]
	v_mul_f64_e32 v[2:3], s[40:41], v[36:37]
	s_and_b32 vcc_lo, exec_lo, s25
	s_mov_b32 s15, -1
	s_delay_alu instid0(VALU_DEP_2) | instskip(NEXT) | instid1(VALU_DEP_2)
	v_fma_f64 v[0:1], s[40:41], v[34:35], -v[0:1]
	v_fma_f64 v[2:3], s[42:43], v[34:35], v[2:3]
	s_wait_alu 0xfffe
	s_cbranch_vccz .LBB548_19
; %bb.18:                               ;   in Loop: Header=BB548_7 Depth=1
	v_lshlrev_b64_e32 v[20:21], 4, v[10:11]
	s_mov_b32 s15, 0
	s_delay_alu instid0(VALU_DEP_1) | instskip(SKIP_1) | instid1(VALU_DEP_2)
	v_add_co_u32 v20, vcc_lo, v6, v20
	s_wait_alu 0xfffd
	v_add_co_ci_u32_e64 v21, null, v7, v21, vcc_lo
	flat_load_b128 v[34:37], v[20:21]
	s_wait_loadcnt_dscnt 0x0
	v_mul_f64_e32 v[45:46], s[38:39], v[36:37]
	v_mul_f64_e32 v[36:37], s[36:37], v[36:37]
	s_delay_alu instid0(VALU_DEP_2) | instskip(NEXT) | instid1(VALU_DEP_2)
	v_fma_f64 v[45:46], s[36:37], v[34:35], -v[45:46]
	v_fma_f64 v[36:37], s[38:39], v[34:35], v[36:37]
	s_delay_alu instid0(VALU_DEP_2) | instskip(NEXT) | instid1(VALU_DEP_2)
	v_add_f64_e32 v[34:35], v[0:1], v[45:46]
	v_add_f64_e32 v[36:37], v[2:3], v[36:37]
	flat_store_b128 v[20:21], v[34:37]
.LBB548_19:                             ;   in Loop: Header=BB548_7 Depth=1
	s_wait_alu 0xfffe
	s_and_not1_b32 vcc_lo, exec_lo, s15
	s_wait_alu 0xfffe
	s_cbranch_vccnz .LBB548_21
; %bb.20:                               ;   in Loop: Header=BB548_7 Depth=1
	v_lshlrev_b64_e32 v[20:21], 4, v[10:11]
	s_delay_alu instid0(VALU_DEP_1) | instskip(SKIP_1) | instid1(VALU_DEP_2)
	v_add_co_u32 v20, vcc_lo, v6, v20
	s_wait_alu 0xfffd
	v_add_co_ci_u32_e64 v21, null, v7, v21, vcc_lo
	flat_store_b128 v[20:21], v[0:3]
.LBB548_21:                             ;   in Loop: Header=BB548_7 Depth=1
	s_wait_alu 0xfffe
	s_or_b32 exec_lo, exec_lo, s14
	s_and_saveexec_b32 s14, s29
	s_cbranch_execz .LBB548_26
; %bb.22:                               ;   in Loop: Header=BB548_7 Depth=1
	v_mul_f64_e32 v[0:1], s[42:43], v[32:33]
	v_mul_f64_e32 v[2:3], s[40:41], v[32:33]
	s_and_not1_b32 vcc_lo, exec_lo, s25
	s_mov_b32 s15, -1
	s_delay_alu instid0(VALU_DEP_2) | instskip(NEXT) | instid1(VALU_DEP_2)
	v_fma_f64 v[0:1], s[40:41], v[30:31], -v[0:1]
	v_fma_f64 v[2:3], s[42:43], v[30:31], v[2:3]
	s_wait_alu 0xfffe
	s_cbranch_vccnz .LBB548_24
; %bb.23:                               ;   in Loop: Header=BB548_7 Depth=1
	v_lshlrev_b64_e32 v[20:21], 4, v[12:13]
	s_mov_b32 s15, 0
	s_delay_alu instid0(VALU_DEP_1) | instskip(SKIP_1) | instid1(VALU_DEP_2)
	v_add_co_u32 v20, vcc_lo, v6, v20
	s_wait_alu 0xfffd
	v_add_co_ci_u32_e64 v21, null, v7, v21, vcc_lo
	flat_load_b128 v[30:33], v[20:21]
	s_wait_loadcnt_dscnt 0x0
	v_mul_f64_e32 v[34:35], s[38:39], v[32:33]
	v_mul_f64_e32 v[32:33], s[36:37], v[32:33]
	s_delay_alu instid0(VALU_DEP_2) | instskip(NEXT) | instid1(VALU_DEP_2)
	v_fma_f64 v[34:35], s[36:37], v[30:31], -v[34:35]
	v_fma_f64 v[32:33], s[38:39], v[30:31], v[32:33]
	s_delay_alu instid0(VALU_DEP_2) | instskip(NEXT) | instid1(VALU_DEP_2)
	v_add_f64_e32 v[30:31], v[0:1], v[34:35]
	v_add_f64_e32 v[32:33], v[2:3], v[32:33]
	flat_store_b128 v[20:21], v[30:33]
.LBB548_24:                             ;   in Loop: Header=BB548_7 Depth=1
	s_wait_alu 0xfffe
	s_and_not1_b32 vcc_lo, exec_lo, s15
	s_wait_alu 0xfffe
	s_cbranch_vccnz .LBB548_26
; %bb.25:                               ;   in Loop: Header=BB548_7 Depth=1
	v_lshlrev_b64_e32 v[20:21], 4, v[12:13]
	s_delay_alu instid0(VALU_DEP_1) | instskip(SKIP_1) | instid1(VALU_DEP_2)
	v_add_co_u32 v6, vcc_lo, v6, v20
	s_wait_alu 0xfffd
	v_add_co_ci_u32_e64 v7, null, v7, v21, vcc_lo
	flat_store_b128 v[6:7], v[0:3]
.LBB548_26:                             ;   in Loop: Header=BB548_7 Depth=1
	s_wait_alu 0xfffe
	s_or_b32 exec_lo, exec_lo, s14
	v_add_co_u32 v6, vcc_lo, v4, v18
	s_wait_alu 0xfffd
	v_add_co_ci_u32_e64 v7, null, v5, v19, vcc_lo
	s_and_saveexec_b32 s14, s33
	s_cbranch_execz .LBB548_31
; %bb.27:                               ;   in Loop: Header=BB548_7 Depth=1
	v_mul_f64_e32 v[0:1], s[42:43], v[28:29]
	v_mul_f64_e32 v[2:3], s[40:41], v[28:29]
	v_lshlrev_b64_e32 v[4:5], 4, v[10:11]
	s_and_not1_b32 vcc_lo, exec_lo, s25
	s_mov_b32 s15, -1
	s_delay_alu instid0(VALU_DEP_3) | instskip(NEXT) | instid1(VALU_DEP_3)
	v_fma_f64 v[0:1], s[40:41], v[26:27], -v[0:1]
	v_fma_f64 v[2:3], s[42:43], v[26:27], v[2:3]
	s_wait_alu 0xfffe
	s_cbranch_vccnz .LBB548_29
; %bb.28:                               ;   in Loop: Header=BB548_7 Depth=1
	v_add_co_u32 v20, vcc_lo, v6, v4
	s_wait_alu 0xfffd
	v_add_co_ci_u32_e64 v21, null, v7, v5, vcc_lo
	s_mov_b32 s15, 0
	flat_load_b128 v[26:29], v[20:21]
	s_wait_loadcnt_dscnt 0x0
	v_mul_f64_e32 v[30:31], s[38:39], v[28:29]
	v_mul_f64_e32 v[28:29], s[36:37], v[28:29]
	s_delay_alu instid0(VALU_DEP_2) | instskip(NEXT) | instid1(VALU_DEP_2)
	v_fma_f64 v[30:31], s[36:37], v[26:27], -v[30:31]
	v_fma_f64 v[28:29], s[38:39], v[26:27], v[28:29]
	s_delay_alu instid0(VALU_DEP_2) | instskip(NEXT) | instid1(VALU_DEP_2)
	v_add_f64_e32 v[26:27], v[0:1], v[30:31]
	v_add_f64_e32 v[28:29], v[2:3], v[28:29]
	flat_store_b128 v[20:21], v[26:29]
.LBB548_29:                             ;   in Loop: Header=BB548_7 Depth=1
	s_wait_alu 0xfffe
	s_and_not1_b32 vcc_lo, exec_lo, s15
	s_wait_alu 0xfffe
	s_cbranch_vccnz .LBB548_31
; %bb.30:                               ;   in Loop: Header=BB548_7 Depth=1
	v_add_co_u32 v4, vcc_lo, v6, v4
	s_wait_alu 0xfffd
	v_add_co_ci_u32_e64 v5, null, v7, v5, vcc_lo
	flat_store_b128 v[4:5], v[0:3]
.LBB548_31:                             ;   in Loop: Header=BB548_7 Depth=1
	s_wait_alu 0xfffe
	s_or_b32 exec_lo, exec_lo, s14
	s_and_saveexec_b32 s14, s34
	s_cbranch_execz .LBB548_6
; %bb.32:                               ;   in Loop: Header=BB548_7 Depth=1
	v_mul_f64_e32 v[0:1], s[42:43], v[22:23]
	v_mul_f64_e32 v[2:3], s[40:41], v[22:23]
	v_lshlrev_b64_e32 v[4:5], 4, v[12:13]
	s_and_not1_b32 vcc_lo, exec_lo, s25
	s_mov_b32 s15, -1
	s_delay_alu instid0(VALU_DEP_3) | instskip(NEXT) | instid1(VALU_DEP_3)
	v_fma_f64 v[0:1], s[40:41], v[24:25], -v[0:1]
	v_fma_f64 v[2:3], s[42:43], v[24:25], v[2:3]
	s_wait_alu 0xfffe
	s_cbranch_vccnz .LBB548_34
; %bb.33:                               ;   in Loop: Header=BB548_7 Depth=1
	v_add_co_u32 v24, vcc_lo, v6, v4
	s_wait_alu 0xfffd
	v_add_co_ci_u32_e64 v25, null, v7, v5, vcc_lo
	s_mov_b32 s15, 0
	flat_load_b128 v[20:23], v[24:25]
	s_wait_loadcnt_dscnt 0x0
	v_mul_f64_e32 v[26:27], s[38:39], v[22:23]
	v_mul_f64_e32 v[22:23], s[36:37], v[22:23]
	s_delay_alu instid0(VALU_DEP_2) | instskip(NEXT) | instid1(VALU_DEP_2)
	v_fma_f64 v[26:27], s[36:37], v[20:21], -v[26:27]
	v_fma_f64 v[22:23], s[38:39], v[20:21], v[22:23]
	s_delay_alu instid0(VALU_DEP_2) | instskip(NEXT) | instid1(VALU_DEP_2)
	v_add_f64_e32 v[20:21], v[0:1], v[26:27]
	v_add_f64_e32 v[22:23], v[2:3], v[22:23]
	flat_store_b128 v[24:25], v[20:23]
.LBB548_34:                             ;   in Loop: Header=BB548_7 Depth=1
	s_wait_alu 0xfffe
	s_and_not1_b32 vcc_lo, exec_lo, s15
	s_wait_alu 0xfffe
	s_cbranch_vccnz .LBB548_6
; %bb.35:                               ;   in Loop: Header=BB548_7 Depth=1
	v_add_co_u32 v4, vcc_lo, v6, v4
	s_wait_alu 0xfffd
	v_add_co_ci_u32_e64 v5, null, v7, v5, vcc_lo
	flat_store_b128 v[4:5], v[0:3]
	s_branch .LBB548_6
.LBB548_36:
.LBB548_37:
	s_nop 0
	s_sendmsg sendmsg(MSG_DEALLOC_VGPRS)
	s_endpgm
	.section	.rodata,"a",@progbits
	.p2align	6, 0x0
	.amdhsa_kernel _ZL29rocblas_internal_gemmt_kernelIlLi16ELi32ELi8ELc67ELc67ELc85ELb1ELb1E19rocblas_complex_numIdEPKS1_PKS3_PKPS1_EviT_T9_T10_S9_lSB_S9_lSA_T11_S9_li
		.amdhsa_group_segment_fixed_size 8192
		.amdhsa_private_segment_fixed_size 0
		.amdhsa_kernarg_size 108
		.amdhsa_user_sgpr_count 2
		.amdhsa_user_sgpr_dispatch_ptr 0
		.amdhsa_user_sgpr_queue_ptr 0
		.amdhsa_user_sgpr_kernarg_segment_ptr 1
		.amdhsa_user_sgpr_dispatch_id 0
		.amdhsa_user_sgpr_private_segment_size 0
		.amdhsa_wavefront_size32 1
		.amdhsa_uses_dynamic_stack 0
		.amdhsa_enable_private_segment 0
		.amdhsa_system_sgpr_workgroup_id_x 1
		.amdhsa_system_sgpr_workgroup_id_y 1
		.amdhsa_system_sgpr_workgroup_id_z 1
		.amdhsa_system_sgpr_workgroup_info 0
		.amdhsa_system_vgpr_workitem_id 1
		.amdhsa_next_free_vgpr 133
		.amdhsa_next_free_sgpr 44
		.amdhsa_reserve_vcc 1
		.amdhsa_float_round_mode_32 0
		.amdhsa_float_round_mode_16_64 0
		.amdhsa_float_denorm_mode_32 3
		.amdhsa_float_denorm_mode_16_64 3
		.amdhsa_fp16_overflow 0
		.amdhsa_workgroup_processor_mode 1
		.amdhsa_memory_ordered 1
		.amdhsa_forward_progress 1
		.amdhsa_inst_pref_size 28
		.amdhsa_round_robin_scheduling 0
		.amdhsa_exception_fp_ieee_invalid_op 0
		.amdhsa_exception_fp_denorm_src 0
		.amdhsa_exception_fp_ieee_div_zero 0
		.amdhsa_exception_fp_ieee_overflow 0
		.amdhsa_exception_fp_ieee_underflow 0
		.amdhsa_exception_fp_ieee_inexact 0
		.amdhsa_exception_int_div_zero 0
	.end_amdhsa_kernel
	.section	.text._ZL29rocblas_internal_gemmt_kernelIlLi16ELi32ELi8ELc67ELc67ELc85ELb1ELb1E19rocblas_complex_numIdEPKS1_PKS3_PKPS1_EviT_T9_T10_S9_lSB_S9_lSA_T11_S9_li,"axG",@progbits,_ZL29rocblas_internal_gemmt_kernelIlLi16ELi32ELi8ELc67ELc67ELc85ELb1ELb1E19rocblas_complex_numIdEPKS1_PKS3_PKPS1_EviT_T9_T10_S9_lSB_S9_lSA_T11_S9_li,comdat
.Lfunc_end548:
	.size	_ZL29rocblas_internal_gemmt_kernelIlLi16ELi32ELi8ELc67ELc67ELc85ELb1ELb1E19rocblas_complex_numIdEPKS1_PKS3_PKPS1_EviT_T9_T10_S9_lSB_S9_lSA_T11_S9_li, .Lfunc_end548-_ZL29rocblas_internal_gemmt_kernelIlLi16ELi32ELi8ELc67ELc67ELc85ELb1ELb1E19rocblas_complex_numIdEPKS1_PKS3_PKPS1_EviT_T9_T10_S9_lSB_S9_lSA_T11_S9_li
                                        ; -- End function
	.set _ZL29rocblas_internal_gemmt_kernelIlLi16ELi32ELi8ELc67ELc67ELc85ELb1ELb1E19rocblas_complex_numIdEPKS1_PKS3_PKPS1_EviT_T9_T10_S9_lSB_S9_lSA_T11_S9_li.num_vgpr, 133
	.set _ZL29rocblas_internal_gemmt_kernelIlLi16ELi32ELi8ELc67ELc67ELc85ELb1ELb1E19rocblas_complex_numIdEPKS1_PKS3_PKPS1_EviT_T9_T10_S9_lSB_S9_lSA_T11_S9_li.num_agpr, 0
	.set _ZL29rocblas_internal_gemmt_kernelIlLi16ELi32ELi8ELc67ELc67ELc85ELb1ELb1E19rocblas_complex_numIdEPKS1_PKS3_PKPS1_EviT_T9_T10_S9_lSB_S9_lSA_T11_S9_li.numbered_sgpr, 44
	.set _ZL29rocblas_internal_gemmt_kernelIlLi16ELi32ELi8ELc67ELc67ELc85ELb1ELb1E19rocblas_complex_numIdEPKS1_PKS3_PKPS1_EviT_T9_T10_S9_lSB_S9_lSA_T11_S9_li.num_named_barrier, 0
	.set _ZL29rocblas_internal_gemmt_kernelIlLi16ELi32ELi8ELc67ELc67ELc85ELb1ELb1E19rocblas_complex_numIdEPKS1_PKS3_PKPS1_EviT_T9_T10_S9_lSB_S9_lSA_T11_S9_li.private_seg_size, 0
	.set _ZL29rocblas_internal_gemmt_kernelIlLi16ELi32ELi8ELc67ELc67ELc85ELb1ELb1E19rocblas_complex_numIdEPKS1_PKS3_PKPS1_EviT_T9_T10_S9_lSB_S9_lSA_T11_S9_li.uses_vcc, 1
	.set _ZL29rocblas_internal_gemmt_kernelIlLi16ELi32ELi8ELc67ELc67ELc85ELb1ELb1E19rocblas_complex_numIdEPKS1_PKS3_PKPS1_EviT_T9_T10_S9_lSB_S9_lSA_T11_S9_li.uses_flat_scratch, 0
	.set _ZL29rocblas_internal_gemmt_kernelIlLi16ELi32ELi8ELc67ELc67ELc85ELb1ELb1E19rocblas_complex_numIdEPKS1_PKS3_PKPS1_EviT_T9_T10_S9_lSB_S9_lSA_T11_S9_li.has_dyn_sized_stack, 0
	.set _ZL29rocblas_internal_gemmt_kernelIlLi16ELi32ELi8ELc67ELc67ELc85ELb1ELb1E19rocblas_complex_numIdEPKS1_PKS3_PKPS1_EviT_T9_T10_S9_lSB_S9_lSA_T11_S9_li.has_recursion, 0
	.set _ZL29rocblas_internal_gemmt_kernelIlLi16ELi32ELi8ELc67ELc67ELc85ELb1ELb1E19rocblas_complex_numIdEPKS1_PKS3_PKPS1_EviT_T9_T10_S9_lSB_S9_lSA_T11_S9_li.has_indirect_call, 0
	.section	.AMDGPU.csdata,"",@progbits
; Kernel info:
; codeLenInByte = 3464
; TotalNumSgprs: 46
; NumVgprs: 133
; ScratchSize: 0
; MemoryBound: 1
; FloatMode: 240
; IeeeMode: 1
; LDSByteSize: 8192 bytes/workgroup (compile time only)
; SGPRBlocks: 0
; VGPRBlocks: 16
; NumSGPRsForWavesPerEU: 46
; NumVGPRsForWavesPerEU: 133
; Occupancy: 10
; WaveLimiterHint : 1
; COMPUTE_PGM_RSRC2:SCRATCH_EN: 0
; COMPUTE_PGM_RSRC2:USER_SGPR: 2
; COMPUTE_PGM_RSRC2:TRAP_HANDLER: 0
; COMPUTE_PGM_RSRC2:TGID_X_EN: 1
; COMPUTE_PGM_RSRC2:TGID_Y_EN: 1
; COMPUTE_PGM_RSRC2:TGID_Z_EN: 1
; COMPUTE_PGM_RSRC2:TIDIG_COMP_CNT: 1
	.section	.text._ZL29rocblas_internal_gemmt_kernelIlLi16ELi32ELi8ELc78ELc78ELc76ELb0ELb0E19rocblas_complex_numIdEPKS1_PKS3_PKPS1_EviT_T9_T10_S9_lSB_S9_lSA_T11_S9_li,"axG",@progbits,_ZL29rocblas_internal_gemmt_kernelIlLi16ELi32ELi8ELc78ELc78ELc76ELb0ELb0E19rocblas_complex_numIdEPKS1_PKS3_PKPS1_EviT_T9_T10_S9_lSB_S9_lSA_T11_S9_li,comdat
	.globl	_ZL29rocblas_internal_gemmt_kernelIlLi16ELi32ELi8ELc78ELc78ELc76ELb0ELb0E19rocblas_complex_numIdEPKS1_PKS3_PKPS1_EviT_T9_T10_S9_lSB_S9_lSA_T11_S9_li ; -- Begin function _ZL29rocblas_internal_gemmt_kernelIlLi16ELi32ELi8ELc78ELc78ELc76ELb0ELb0E19rocblas_complex_numIdEPKS1_PKS3_PKPS1_EviT_T9_T10_S9_lSB_S9_lSA_T11_S9_li
	.p2align	8
	.type	_ZL29rocblas_internal_gemmt_kernelIlLi16ELi32ELi8ELc78ELc78ELc76ELb0ELb0E19rocblas_complex_numIdEPKS1_PKS3_PKPS1_EviT_T9_T10_S9_lSB_S9_lSA_T11_S9_li,@function
_ZL29rocblas_internal_gemmt_kernelIlLi16ELi32ELi8ELc78ELc78ELc76ELb0ELb0E19rocblas_complex_numIdEPKS1_PKS3_PKPS1_EviT_T9_T10_S9_lSB_S9_lSA_T11_S9_li: ; @_ZL29rocblas_internal_gemmt_kernelIlLi16ELi32ELi8ELc78ELc78ELc76ELb0ELb0E19rocblas_complex_numIdEPKS1_PKS3_PKPS1_EviT_T9_T10_S9_lSB_S9_lSA_T11_S9_li
; %bb.0:
	s_clause 0x1
	s_load_b256 s[24:31], s[0:1], 0x48
	s_load_b512 s[8:23], s[0:1], 0x8
	s_wait_kmcnt 0x0
	s_load_b128 s[36:39], s[24:25], 0x0
	s_load_b128 s[40:43], s[10:11], 0x0
	s_wait_kmcnt 0x0
	v_cmp_eq_f64_e64 s3, s[36:37], 1.0
	v_cmp_eq_f64_e64 s2, s[38:39], 0
	s_and_b32 s3, s3, s2
	s_delay_alu instid0(SALU_CYCLE_1)
	s_and_not1_b32 vcc_lo, exec_lo, s3
	s_mov_b32 s3, -1
	s_cbranch_vccnz .LBB549_3
; %bb.1:
	s_cmp_lg_u64 s[8:9], 0
	s_cbranch_scc0 .LBB549_41
; %bb.2:
	v_cmp_neq_f64_e64 s3, s[40:41], 0
	v_cmp_neq_f64_e64 s4, s[42:43], 0
	s_or_b32 s3, s3, s4
.LBB549_3:
	s_delay_alu instid0(SALU_CYCLE_1)
	s_and_b32 vcc_lo, exec_lo, s3
	s_cbranch_vccz .LBB549_42
; %bb.4:
	s_load_b32 s24, s[0:1], 0x68
	s_lshr_b32 s6, ttmp7, 16
	s_wait_kmcnt 0x0
	s_cmp_ge_u32 s6, s24
	s_cbranch_scc1 .LBB549_42
; %bb.5:
	v_and_b32_e32 v7, 0x3ff, v0
	v_bfe_u32 v8, v0, 10, 10
	s_load_b32 s5, s[0:1], 0x0
	s_lshl_b32 s0, ttmp7, 5
	v_cmp_neq_f64_e64 s7, s[36:37], 0
	s_and_b32 s0, s0, 0x1fffe0
	v_lshl_add_u32 v1, v8, 4, v7
	v_add_nc_u32_e32 v12, s0, v8
	v_cmp_neq_f64_e64 s3, s[40:41], 0
	v_cmp_neq_f64_e64 s4, s[42:43], 0
	s_lshl_b32 s1, ttmp9, 5
	v_lshrrev_b32_e32 v37, 5, v1
	v_mad_co_u64_u32 v[4:5], null, s28, v12, 0
	v_and_b32_e32 v36, 7, v0
	v_lshrrev_b32_e32 v0, 3, v1
	v_add_nc_u32_e32 v13, 16, v12
	v_and_b32_e32 v1, 31, v1
	v_lshl_add_u32 v41, v8, 7, 0x1000
	v_cmp_gt_i64_e64 s10, s[8:9], 0
                                        ; implicit-def: $vgpr18_vgpr19
	s_delay_alu instid0(VALU_DEP_4)
	v_mad_co_u64_u32 v[16:17], null, s28, v13, 0
	v_add_nc_u32_e32 v9, s0, v0
	s_wait_alu 0xfffe
	v_or_b32_e32 v10, s1, v1
	v_lshlrev_b32_e32 v11, 4, v1
	v_dual_mov_b32 v1, v5 :: v_dual_lshlrev_b32 v6, 4, v36
	v_mad_co_u64_u32 v[2:3], null, s20, v9, 0
	s_delay_alu instid0(VALU_DEP_3) | instskip(SKIP_1) | instid1(VALU_DEP_4)
	v_lshl_or_b32 v38, v37, 9, v11
	v_ashrrev_i32_e32 v11, 31, v10
	v_lshl_or_b32 v14, v0, 7, v6
	s_wait_kmcnt 0x0
	v_cmp_gt_i32_e64 s0, s5, v10
	v_cmp_le_i32_e64 s20, s5, v10
	s_delay_alu instid0(VALU_DEP_3) | instskip(SKIP_2) | instid1(VALU_DEP_3)
	v_dual_mov_b32 v0, v3 :: v_dual_add_nc_u32 v39, 0x1000, v14
	v_lshlrev_b64_e32 v[10:11], 4, v[10:11]
	v_lshlrev_b32_e32 v40, 4, v7
	v_mad_co_u64_u32 v[5:6], null, s21, v9, v[0:1]
	v_mad_co_u64_u32 v[0:1], null, s29, v12, v[1:2]
	s_or_b32 s11, s3, s4
	v_mov_b32_e32 v3, v5
	s_and_b32 s33, s11, s10
	v_dual_mov_b32 v5, v0 :: v_dual_mov_b32 v0, v17
	v_cmp_gt_i32_e32 vcc_lo, s5, v9
	s_lshl_b64 s[10:11], s[30:31], 4
	s_delay_alu instid0(VALU_DEP_2) | instskip(NEXT) | instid1(VALU_DEP_3)
	v_lshlrev_b64_e32 v[14:15], 4, v[4:5]
	v_mad_co_u64_u32 v[0:1], null, s29, v13, v[0:1]
	v_add_nc_u32_e32 v6, s1, v7
	s_xor_b32 s1, s2, -1
	v_mov_b32_e32 v1, 0
	s_wait_alu 0xfffe
	s_or_b32 s21, s7, s1
	s_mov_b32 s7, 0
	s_delay_alu instid0(VALU_DEP_3) | instskip(SKIP_3) | instid1(VALU_DEP_4)
	v_dual_mov_b32 v17, v0 :: v_dual_add_nc_u32 v8, 16, v6
	v_cmp_le_i32_e64 s1, v12, v6
	v_cmp_gt_i32_e64 s2, s5, v6
	v_ashrrev_i32_e32 v7, 31, v6
	v_lshlrev_b64_e32 v[16:17], 4, v[16:17]
	v_cmp_le_i32_e64 s3, v12, v8
	v_cmp_gt_i32_e64 s4, s5, v8
	s_and_b32 s25, s1, s2
	v_cmp_le_i32_e64 s1, v13, v6
	v_cmp_le_i32_e64 s5, v13, v8
	v_lshlrev_b64_e32 v[12:13], 4, v[2:3]
	v_ashrrev_i32_e32 v9, 31, v8
	s_and_b32 s28, s3, s4
	s_and_b32 s1, s1, s2
	;; [unrolled: 1-line block ×3, first 2 shown]
	s_lshl_b64 s[2:3], s[22:23], 4
	s_lshl_b64 s[4:5], s[16:17], 4
	s_xor_b32 s22, vcc_lo, -1
	s_branch .LBB549_7
.LBB549_6:                              ;   in Loop: Header=BB549_7 Depth=1
	s_wait_alu 0xfffe
	s_or_b32 exec_lo, exec_lo, s16
	s_add_co_i32 s6, s6, 0x10000
	s_delay_alu instid0(SALU_CYCLE_1)
	s_cmp_lt_u32 s6, s24
	s_cbranch_scc0 .LBB549_42
.LBB549_7:                              ; =>This Loop Header: Depth=1
                                        ;     Child Loop BB549_10 Depth 2
	s_lshl_b64 s[16:17], s[6:7], 3
	v_mov_b32_e32 v32, 0
	s_wait_alu 0xfffe
	s_add_nc_u64 s[30:31], s[26:27], s[16:17]
	v_mov_b32_e32 v33, 0
	global_load_b64 v[4:5], v1, s[30:31]
	s_and_not1_b32 vcc_lo, exec_lo, s33
	s_wait_alu 0xfffe
	s_cbranch_vccnz .LBB549_20
; %bb.8:                                ;   in Loop: Header=BB549_7 Depth=1
	s_add_nc_u64 s[30:31], s[12:13], s[16:17]
	s_add_nc_u64 s[16:17], s[18:19], s[16:17]
	s_clause 0x1
	global_load_b64 v[2:3], v1, s[30:31]
	global_load_b64 v[42:43], v1, s[16:17]
	v_mov_b32_e32 v20, 0
	v_mov_b32_e32 v26, 0
	;; [unrolled: 1-line block ×3, first 2 shown]
	v_dual_mov_b32 v34, 0 :: v_dual_mov_b32 v21, 0
	v_dual_mov_b32 v22, 0 :: v_dual_mov_b32 v27, 0
	;; [unrolled: 1-line block ×5, first 2 shown]
	v_mov_b32_e32 v25, 0
	v_mov_b32_e32 v29, 0
	;; [unrolled: 1-line block ×3, first 2 shown]
	s_mov_b64 s[16:17], 0
	s_wait_loadcnt 0x1
	v_add_co_u32 v0, vcc_lo, v2, s4
	s_wait_alu 0xfffd
	v_add_co_ci_u32_e64 v2, null, s5, v3, vcc_lo
	s_wait_loadcnt 0x0
	v_add_co_u32 v3, vcc_lo, v42, s2
	s_wait_alu 0xfffd
	v_add_co_ci_u32_e64 v45, null, s3, v43, vcc_lo
	v_add_co_u32 v42, vcc_lo, v0, v10
	s_wait_alu 0xfffd
	v_add_co_ci_u32_e64 v43, null, v2, v11, vcc_lo
	;; [unrolled: 3-line block ×3, first 2 shown]
	s_branch .LBB549_10
.LBB549_9:                              ;   in Loop: Header=BB549_10 Depth=2
	s_or_b32 exec_lo, exec_lo, s23
	s_wait_dscnt 0x0
	s_barrier_signal -1
	s_barrier_wait -1
	global_inv scope:SCOPE_SE
	ds_load_b128 v[46:49], v41
	ds_load_b128 v[50:53], v40
	ds_load_b128 v[54:57], v40 offset:256
	ds_load_b128 v[58:61], v41 offset:2048
	;; [unrolled: 1-line block ×10, first 2 shown]
	s_add_nc_u64 s[16:17], s[16:17], 8
	s_wait_alu 0xfffe
	v_cmp_gt_i64_e64 s23, s[8:9], s[16:17]
	s_and_b32 vcc_lo, exec_lo, s23
	s_wait_dscnt 0xa
	v_mul_f64_e32 v[2:3], v[48:49], v[52:53]
	v_mul_f64_e32 v[94:95], v[46:47], v[52:53]
	s_wait_dscnt 0x9
	v_mul_f64_e32 v[96:97], v[48:49], v[56:57]
	v_mul_f64_e32 v[98:99], v[46:47], v[56:57]
	;; [unrolled: 3-line block ×3, first 2 shown]
	v_mul_f64_e32 v[102:103], v[60:61], v[56:57]
	v_mul_f64_e32 v[56:57], v[58:59], v[56:57]
	s_wait_dscnt 0x5
	v_mul_f64_e32 v[104:105], v[64:65], v[72:73]
	v_mul_f64_e32 v[106:107], v[62:63], v[72:73]
	s_wait_dscnt 0x4
	v_mul_f64_e32 v[108:109], v[64:65], v[76:77]
	v_mul_f64_e32 v[110:111], v[62:63], v[76:77]
	;; [unrolled: 1-line block ×6, first 2 shown]
	s_wait_dscnt 0x2
	v_mul_f64_e32 v[120:121], v[80:81], v[84:85]
	v_mul_f64_e32 v[122:123], v[78:79], v[84:85]
	s_wait_dscnt 0x1
	v_mul_f64_e32 v[124:125], v[80:81], v[88:89]
	v_mul_f64_e32 v[126:127], v[78:79], v[88:89]
	;; [unrolled: 3-line block ×3, first 2 shown]
	v_mul_f64_e32 v[130:131], v[92:93], v[88:89]
	v_mul_f64_e32 v[88:89], v[90:91], v[88:89]
	v_fma_f64 v[2:3], v[46:47], v[50:51], -v[2:3]
	v_fma_f64 v[94:95], v[48:49], v[50:51], v[94:95]
	v_fma_f64 v[96:97], v[46:47], v[54:55], -v[96:97]
	v_fma_f64 v[98:99], v[48:49], v[54:55], v[98:99]
	;; [unrolled: 2-line block ×8, first 2 shown]
	ds_load_b128 v[46:49], v41 offset:48
	ds_load_b128 v[50:53], v40 offset:1536
	;; [unrolled: 1-line block ×4, first 2 shown]
	v_fma_f64 v[120:121], v[78:79], v[82:83], -v[120:121]
	v_fma_f64 v[122:123], v[80:81], v[82:83], v[122:123]
	v_fma_f64 v[78:79], v[78:79], v[86:87], -v[124:125]
	v_fma_f64 v[80:81], v[80:81], v[86:87], v[126:127]
	;; [unrolled: 2-line block ×4, first 2 shown]
	s_wait_dscnt 0x2
	v_mul_f64_e32 v[110:111], v[46:47], v[52:53]
	s_wait_dscnt 0x1
	v_mul_f64_e32 v[112:113], v[48:49], v[56:57]
	v_mul_f64_e32 v[114:115], v[46:47], v[56:57]
	v_add_f64_e32 v[2:3], v[32:33], v[2:3]
	v_add_f64_e32 v[72:73], v[94:95], v[34:35]
	;; [unrolled: 1-line block ×8, first 2 shown]
	v_mul_f64_e32 v[102:103], v[48:49], v[52:53]
	s_wait_dscnt 0x0
	v_mul_f64_e32 v[116:117], v[60:61], v[52:53]
	v_mul_f64_e32 v[52:53], v[58:59], v[52:53]
	;; [unrolled: 1-line block ×4, first 2 shown]
	ds_load_b128 v[20:23], v41 offset:64
	ds_load_b128 v[24:27], v40 offset:2048
	;; [unrolled: 1-line block ×4, first 2 shown]
	s_wait_dscnt 0x1
	v_mul_f64_e32 v[126:127], v[20:21], v[30:31]
	s_wait_dscnt 0x0
	v_mul_f64_e32 v[128:129], v[34:35], v[26:27]
	v_mul_f64_e32 v[130:131], v[34:35], v[30:31]
	v_fma_f64 v[110:111], v[48:49], v[50:51], v[110:111]
	v_fma_f64 v[112:113], v[46:47], v[54:55], -v[112:113]
	v_fma_f64 v[114:115], v[48:49], v[54:55], v[114:115]
	v_add_f64_e32 v[2:3], v[2:3], v[104:105]
	v_add_f64_e32 v[88:89], v[106:107], v[72:73]
	;; [unrolled: 1-line block ×8, first 2 shown]
	v_mul_f64_e32 v[104:105], v[22:23], v[26:27]
	v_mul_f64_e32 v[106:107], v[20:21], v[26:27]
	;; [unrolled: 1-line block ×5, first 2 shown]
	v_fma_f64 v[102:103], v[46:47], v[50:51], -v[102:103]
	v_fma_f64 v[116:117], v[58:59], v[50:51], -v[116:117]
	v_fma_f64 v[132:133], v[60:61], v[50:51], v[52:53]
	v_fma_f64 v[118:119], v[58:59], v[54:55], -v[118:119]
	v_fma_f64 v[134:135], v[60:61], v[54:55], v[56:57]
	ds_load_b128 v[62:65], v41 offset:80
	ds_load_b128 v[66:69], v40 offset:2560
	;; [unrolled: 1-line block ×8, first 2 shown]
	v_add_f64_e32 v[2:3], v[2:3], v[120:121]
	v_add_f64_e32 v[88:89], v[122:123], v[88:89]
	;; [unrolled: 1-line block ×8, first 2 shown]
	s_wait_dscnt 0x6
	v_mul_f64_e32 v[92:93], v[64:65], v[68:69]
	v_mul_f64_e32 v[94:95], v[62:63], v[68:69]
	s_wait_dscnt 0x5
	v_mul_f64_e32 v[96:97], v[64:65], v[72:73]
	v_mul_f64_e32 v[98:99], v[62:63], v[72:73]
	;; [unrolled: 3-line block ×3, first 2 shown]
	v_mul_f64_e32 v[120:121], v[76:77], v[72:73]
	v_mul_f64_e32 v[72:73], v[74:75], v[72:73]
	v_fma_f64 v[104:105], v[20:21], v[24:25], -v[104:105]
	v_fma_f64 v[106:107], v[22:23], v[24:25], v[106:107]
	v_fma_f64 v[108:109], v[20:21], v[28:29], -v[108:109]
	v_fma_f64 v[122:123], v[22:23], v[28:29], v[126:127]
	;; [unrolled: 2-line block ×4, first 2 shown]
	ds_load_b128 v[20:23], v41 offset:112
	ds_load_b128 v[24:27], v40 offset:3584
	;; [unrolled: 1-line block ×4, first 2 shown]
	s_wait_loadcnt_dscnt 0x0
	s_barrier_signal -1
	s_barrier_wait -1
	global_inv scope:SCOPE_SE
	v_add_f64_e32 v[2:3], v[2:3], v[102:103]
	v_add_f64_e32 v[88:89], v[110:111], v[88:89]
	;; [unrolled: 1-line block ×8, first 2 shown]
	v_mul_f64_e32 v[102:103], v[48:49], v[52:53]
	v_mul_f64_e32 v[110:111], v[46:47], v[52:53]
	;; [unrolled: 1-line block ×8, first 2 shown]
	v_fma_f64 v[92:93], v[62:63], v[66:67], -v[92:93]
	v_fma_f64 v[94:95], v[64:65], v[66:67], v[94:95]
	v_fma_f64 v[62:63], v[62:63], v[70:71], -v[96:97]
	v_fma_f64 v[64:65], v[64:65], v[70:71], v[98:99]
	;; [unrolled: 2-line block ×4, first 2 shown]
	v_mul_f64_e32 v[98:99], v[20:21], v[30:31]
	v_mul_f64_e32 v[100:101], v[34:35], v[26:27]
	v_add_f64_e32 v[2:3], v[2:3], v[104:105]
	v_add_f64_e32 v[72:73], v[106:107], v[88:89]
	v_add_f64_e32 v[74:75], v[78:79], v[108:109]
	v_add_f64_e32 v[76:77], v[122:123], v[80:81]
	v_add_f64_e32 v[78:79], v[90:91], v[124:125]
	v_add_f64_e32 v[80:81], v[126:127], v[82:83]
	v_add_f64_e32 v[82:83], v[84:85], v[128:129]
	v_add_f64_e32 v[84:85], v[130:131], v[86:87]
	v_mul_f64_e32 v[86:87], v[22:23], v[26:27]
	v_mul_f64_e32 v[88:89], v[20:21], v[26:27]
	;; [unrolled: 1-line block ×6, first 2 shown]
	v_fma_f64 v[102:103], v[46:47], v[50:51], -v[102:103]
	v_fma_f64 v[106:107], v[48:49], v[50:51], v[110:111]
	v_fma_f64 v[46:47], v[46:47], v[54:55], -v[112:113]
	v_fma_f64 v[48:49], v[48:49], v[54:55], v[114:115]
	;; [unrolled: 2-line block ×4, first 2 shown]
	v_add_f64_e32 v[2:3], v[2:3], v[92:93]
	v_add_f64_e32 v[56:57], v[94:95], v[72:73]
	;; [unrolled: 1-line block ×8, first 2 shown]
	v_fma_f64 v[70:71], v[20:21], v[24:25], -v[86:87]
	v_fma_f64 v[72:73], v[22:23], v[24:25], v[88:89]
	v_fma_f64 v[20:21], v[20:21], v[28:29], -v[90:91]
	v_fma_f64 v[22:23], v[22:23], v[28:29], v[98:99]
	;; [unrolled: 2-line block ×4, first 2 shown]
	v_add_f64_e32 v[2:3], v[2:3], v[102:103]
	v_add_f64_e32 v[24:25], v[106:107], v[56:57]
	;; [unrolled: 1-line block ×16, first 2 shown]
	s_wait_alu 0xfffe
	s_cbranch_vccz .LBB549_21
.LBB549_10:                             ;   Parent Loop BB549_7 Depth=1
                                        ; =>  This Inner Loop Header: Depth=2
	s_mov_b32 s23, 0
	s_mov_b32 s31, s20
	s_and_saveexec_b32 s30, s0
	s_cbranch_execnz .LBB549_18
; %bb.11:                               ;   in Loop: Header=BB549_10 Depth=2
	s_or_b32 exec_lo, exec_lo, s30
	s_and_saveexec_b32 s30, s31
	s_delay_alu instid0(SALU_CYCLE_1)
	s_xor_b32 s30, exec_lo, s30
	s_cbranch_execnz .LBB549_19
.LBB549_12:                             ;   in Loop: Header=BB549_10 Depth=2
	s_or_b32 exec_lo, exec_lo, s30
	s_and_saveexec_b32 s30, s23
	s_cbranch_execz .LBB549_14
.LBB549_13:                             ;   in Loop: Header=BB549_10 Depth=2
	v_mul_lo_u32 v0, s15, v18
	v_mul_lo_u32 v46, s14, v19
	v_mad_co_u64_u32 v[2:3], null, s14, v18, 0
	s_delay_alu instid0(VALU_DEP_1) | instskip(NEXT) | instid1(VALU_DEP_1)
	v_add3_u32 v3, v3, v46, v0
	v_lshlrev_b64_e32 v[2:3], 4, v[2:3]
	s_delay_alu instid0(VALU_DEP_1) | instskip(SKIP_1) | instid1(VALU_DEP_2)
	v_add_co_u32 v2, vcc_lo, v42, v2
	s_wait_alu 0xfffd
	v_add_co_ci_u32_e64 v3, null, v43, v3, vcc_lo
	flat_load_b128 v[46:49], v[2:3]
	s_wait_loadcnt_dscnt 0x0
	ds_store_2addr_b64 v38, v[46:47], v[48:49] offset1:1
.LBB549_14:                             ;   in Loop: Header=BB549_10 Depth=2
	s_or_b32 exec_lo, exec_lo, s30
	s_wait_alu 0xfffe
	v_add_nc_u32_e32 v0, s16, v36
	s_delay_alu instid0(VALU_DEP_1) | instskip(SKIP_1) | instid1(SALU_CYCLE_1)
	v_cmp_le_u64_e32 vcc_lo, s[8:9], v[0:1]
	s_or_b32 s23, vcc_lo, s22
	s_and_saveexec_b32 s30, s23
	s_delay_alu instid0(SALU_CYCLE_1)
	s_xor_b32 s23, exec_lo, s30
; %bb.15:                               ;   in Loop: Header=BB549_10 Depth=2
	v_dual_mov_b32 v0, v1 :: v_dual_mov_b32 v3, v1
	v_mov_b32_e32 v2, v1
	ds_store_b128 v39, v[0:3]
; %bb.16:                               ;   in Loop: Header=BB549_10 Depth=2
	s_and_not1_saveexec_b32 s23, s23
	s_cbranch_execz .LBB549_9
; %bb.17:                               ;   in Loop: Header=BB549_10 Depth=2
	v_lshlrev_b64_e32 v[2:3], 4, v[0:1]
	s_delay_alu instid0(VALU_DEP_1) | instskip(SKIP_1) | instid1(VALU_DEP_2)
	v_add_co_u32 v2, vcc_lo, v44, v2
	s_wait_alu 0xfffd
	v_add_co_ci_u32_e64 v3, null, v45, v3, vcc_lo
	flat_load_b128 v[46:49], v[2:3]
	s_wait_loadcnt_dscnt 0x0
	ds_store_2addr_b64 v39, v[46:47], v[48:49] offset1:1
	s_branch .LBB549_9
.LBB549_18:                             ;   in Loop: Header=BB549_10 Depth=2
	s_wait_alu 0xfffe
	v_add_nc_u32_e32 v0, s16, v37
	v_mov_b32_e32 v19, v1
	s_and_not1_b32 s31, s20, exec_lo
	s_mov_b32 s23, exec_lo
	s_delay_alu instid0(VALU_DEP_2) | instskip(SKIP_2) | instid1(SALU_CYCLE_1)
	v_cmp_le_u64_e32 vcc_lo, s[8:9], v[0:1]
	v_mov_b32_e32 v18, v0
	s_and_b32 s34, vcc_lo, exec_lo
	s_or_b32 s31, s31, s34
	s_or_b32 exec_lo, exec_lo, s30
	s_and_saveexec_b32 s30, s31
	s_delay_alu instid0(SALU_CYCLE_1)
	s_xor_b32 s30, exec_lo, s30
	s_cbranch_execz .LBB549_12
.LBB549_19:                             ;   in Loop: Header=BB549_10 Depth=2
	v_dual_mov_b32 v0, v1 :: v_dual_mov_b32 v3, v1
	v_mov_b32_e32 v2, v1
	s_and_not1_b32 s23, s23, exec_lo
	ds_store_b128 v38, v[0:3]
	s_or_b32 exec_lo, exec_lo, s30
	s_and_saveexec_b32 s30, s23
	s_cbranch_execnz .LBB549_13
	s_branch .LBB549_14
.LBB549_20:                             ;   in Loop: Header=BB549_7 Depth=1
	v_mov_b32_e32 v34, 0
	v_mov_b32_e32 v30, 0
	v_dual_mov_b32 v26, 0 :: v_dual_mov_b32 v35, 0
	v_dual_mov_b32 v28, 0 :: v_dual_mov_b32 v31, 0
	;; [unrolled: 1-line block ×3, first 2 shown]
	v_mov_b32_e32 v22, 0
	v_dual_mov_b32 v20, 0 :: v_dual_mov_b32 v29, 0
	v_mov_b32_e32 v25, 0
	v_mov_b32_e32 v23, 0
	v_mov_b32_e32 v21, 0
.LBB549_21:                             ;   in Loop: Header=BB549_7 Depth=1
	s_wait_loadcnt 0x0
	v_add_co_u32 v0, vcc_lo, v4, s10
	s_wait_alu 0xfffd
	v_add_co_ci_u32_e64 v42, null, s11, v5, vcc_lo
	s_delay_alu instid0(VALU_DEP_2) | instskip(SKIP_1) | instid1(VALU_DEP_2)
	v_add_co_u32 v43, vcc_lo, v0, v14
	s_wait_alu 0xfffd
	v_add_co_ci_u32_e64 v44, null, v42, v15, vcc_lo
	s_and_saveexec_b32 s16, s25
	s_cbranch_execz .LBB549_26
; %bb.22:                               ;   in Loop: Header=BB549_7 Depth=1
	v_mul_f64_e32 v[2:3], s[42:43], v[34:35]
	v_mul_f64_e32 v[4:5], s[40:41], v[34:35]
	s_wait_alu 0xfffe
	s_and_b32 vcc_lo, exec_lo, s21
	s_mov_b32 s17, -1
	s_delay_alu instid0(VALU_DEP_2) | instskip(NEXT) | instid1(VALU_DEP_2)
	v_fma_f64 v[2:3], s[40:41], v[32:33], -v[2:3]
	v_fma_f64 v[4:5], s[42:43], v[32:33], v[4:5]
	s_wait_alu 0xfffe
	s_cbranch_vccz .LBB549_24
; %bb.23:                               ;   in Loop: Header=BB549_7 Depth=1
	v_lshlrev_b64_e32 v[32:33], 4, v[6:7]
	s_mov_b32 s17, 0
	s_delay_alu instid0(VALU_DEP_1) | instskip(SKIP_1) | instid1(VALU_DEP_2)
	v_add_co_u32 v45, vcc_lo, v43, v32
	s_wait_alu 0xfffd
	v_add_co_ci_u32_e64 v46, null, v44, v33, vcc_lo
	flat_load_b128 v[32:35], v[45:46]
	s_wait_loadcnt_dscnt 0x0
	v_mul_f64_e32 v[47:48], s[38:39], v[34:35]
	v_mul_f64_e32 v[34:35], s[36:37], v[34:35]
	s_delay_alu instid0(VALU_DEP_2) | instskip(NEXT) | instid1(VALU_DEP_2)
	v_fma_f64 v[47:48], s[36:37], v[32:33], -v[47:48]
	v_fma_f64 v[34:35], s[38:39], v[32:33], v[34:35]
	s_delay_alu instid0(VALU_DEP_2) | instskip(NEXT) | instid1(VALU_DEP_2)
	v_add_f64_e32 v[32:33], v[2:3], v[47:48]
	v_add_f64_e32 v[34:35], v[4:5], v[34:35]
	flat_store_b128 v[45:46], v[32:35]
.LBB549_24:                             ;   in Loop: Header=BB549_7 Depth=1
	s_wait_alu 0xfffe
	s_and_not1_b32 vcc_lo, exec_lo, s17
	s_wait_alu 0xfffe
	s_cbranch_vccnz .LBB549_26
; %bb.25:                               ;   in Loop: Header=BB549_7 Depth=1
	v_lshlrev_b64_e32 v[32:33], 4, v[6:7]
	s_delay_alu instid0(VALU_DEP_1) | instskip(SKIP_1) | instid1(VALU_DEP_2)
	v_add_co_u32 v32, vcc_lo, v43, v32
	s_wait_alu 0xfffd
	v_add_co_ci_u32_e64 v33, null, v44, v33, vcc_lo
	flat_store_b128 v[32:33], v[2:5]
.LBB549_26:                             ;   in Loop: Header=BB549_7 Depth=1
	s_wait_alu 0xfffe
	s_or_b32 exec_lo, exec_lo, s16
	s_and_saveexec_b32 s16, s28
	s_cbranch_execz .LBB549_31
; %bb.27:                               ;   in Loop: Header=BB549_7 Depth=1
	v_mul_f64_e32 v[2:3], s[42:43], v[30:31]
	v_mul_f64_e32 v[4:5], s[40:41], v[30:31]
	s_and_not1_b32 vcc_lo, exec_lo, s21
	s_mov_b32 s17, -1
	s_delay_alu instid0(VALU_DEP_2) | instskip(NEXT) | instid1(VALU_DEP_2)
	v_fma_f64 v[2:3], s[40:41], v[28:29], -v[2:3]
	v_fma_f64 v[4:5], s[42:43], v[28:29], v[4:5]
	s_wait_alu 0xfffe
	s_cbranch_vccnz .LBB549_29
; %bb.28:                               ;   in Loop: Header=BB549_7 Depth=1
	v_lshlrev_b64_e32 v[28:29], 4, v[8:9]
	s_mov_b32 s17, 0
	s_delay_alu instid0(VALU_DEP_1) | instskip(SKIP_1) | instid1(VALU_DEP_2)
	v_add_co_u32 v32, vcc_lo, v43, v28
	s_wait_alu 0xfffd
	v_add_co_ci_u32_e64 v33, null, v44, v29, vcc_lo
	flat_load_b128 v[28:31], v[32:33]
	s_wait_loadcnt_dscnt 0x0
	v_mul_f64_e32 v[34:35], s[38:39], v[30:31]
	v_mul_f64_e32 v[30:31], s[36:37], v[30:31]
	s_delay_alu instid0(VALU_DEP_2) | instskip(NEXT) | instid1(VALU_DEP_2)
	v_fma_f64 v[34:35], s[36:37], v[28:29], -v[34:35]
	v_fma_f64 v[30:31], s[38:39], v[28:29], v[30:31]
	s_delay_alu instid0(VALU_DEP_2) | instskip(NEXT) | instid1(VALU_DEP_2)
	v_add_f64_e32 v[28:29], v[2:3], v[34:35]
	v_add_f64_e32 v[30:31], v[4:5], v[30:31]
	flat_store_b128 v[32:33], v[28:31]
.LBB549_29:                             ;   in Loop: Header=BB549_7 Depth=1
	s_wait_alu 0xfffe
	s_and_not1_b32 vcc_lo, exec_lo, s17
	s_wait_alu 0xfffe
	s_cbranch_vccnz .LBB549_31
; %bb.30:                               ;   in Loop: Header=BB549_7 Depth=1
	v_lshlrev_b64_e32 v[28:29], 4, v[8:9]
	s_delay_alu instid0(VALU_DEP_1) | instskip(SKIP_1) | instid1(VALU_DEP_2)
	v_add_co_u32 v28, vcc_lo, v43, v28
	s_wait_alu 0xfffd
	v_add_co_ci_u32_e64 v29, null, v44, v29, vcc_lo
	flat_store_b128 v[28:29], v[2:5]
.LBB549_31:                             ;   in Loop: Header=BB549_7 Depth=1
	s_wait_alu 0xfffe
	s_or_b32 exec_lo, exec_lo, s16
	v_add_co_u32 v0, vcc_lo, v0, v16
	s_wait_alu 0xfffd
	v_add_co_ci_u32_e64 v28, null, v42, v17, vcc_lo
	s_and_saveexec_b32 s16, s1
	s_cbranch_execz .LBB549_36
; %bb.32:                               ;   in Loop: Header=BB549_7 Depth=1
	v_mul_f64_e32 v[2:3], s[42:43], v[26:27]
	v_mul_f64_e32 v[4:5], s[40:41], v[26:27]
	s_and_not1_b32 vcc_lo, exec_lo, s21
	s_mov_b32 s17, -1
	s_delay_alu instid0(VALU_DEP_2) | instskip(NEXT) | instid1(VALU_DEP_2)
	v_fma_f64 v[2:3], s[40:41], v[24:25], -v[2:3]
	v_fma_f64 v[4:5], s[42:43], v[24:25], v[4:5]
	v_lshlrev_b64_e32 v[24:25], 4, v[6:7]
	s_wait_alu 0xfffe
	s_cbranch_vccnz .LBB549_34
; %bb.33:                               ;   in Loop: Header=BB549_7 Depth=1
	s_delay_alu instid0(VALU_DEP_1) | instskip(SKIP_1) | instid1(VALU_DEP_2)
	v_add_co_u32 v26, vcc_lo, v0, v24
	s_wait_alu 0xfffd
	v_add_co_ci_u32_e64 v27, null, v28, v25, vcc_lo
	s_mov_b32 s17, 0
	flat_load_b128 v[29:32], v[26:27]
	s_wait_loadcnt_dscnt 0x0
	v_mul_f64_e32 v[33:34], s[38:39], v[31:32]
	v_mul_f64_e32 v[31:32], s[36:37], v[31:32]
	s_delay_alu instid0(VALU_DEP_2) | instskip(NEXT) | instid1(VALU_DEP_2)
	v_fma_f64 v[33:34], s[36:37], v[29:30], -v[33:34]
	v_fma_f64 v[31:32], s[38:39], v[29:30], v[31:32]
	s_delay_alu instid0(VALU_DEP_2) | instskip(NEXT) | instid1(VALU_DEP_2)
	v_add_f64_e32 v[29:30], v[2:3], v[33:34]
	v_add_f64_e32 v[31:32], v[4:5], v[31:32]
	flat_store_b128 v[26:27], v[29:32]
.LBB549_34:                             ;   in Loop: Header=BB549_7 Depth=1
	s_wait_alu 0xfffe
	s_and_not1_b32 vcc_lo, exec_lo, s17
	s_wait_alu 0xfffe
	s_cbranch_vccnz .LBB549_36
; %bb.35:                               ;   in Loop: Header=BB549_7 Depth=1
	v_add_co_u32 v24, vcc_lo, v0, v24
	s_wait_alu 0xfffd
	v_add_co_ci_u32_e64 v25, null, v28, v25, vcc_lo
	flat_store_b128 v[24:25], v[2:5]
.LBB549_36:                             ;   in Loop: Header=BB549_7 Depth=1
	s_wait_alu 0xfffe
	s_or_b32 exec_lo, exec_lo, s16
	s_and_saveexec_b32 s16, s29
	s_cbranch_execz .LBB549_6
; %bb.37:                               ;   in Loop: Header=BB549_7 Depth=1
	v_mul_f64_e32 v[2:3], s[42:43], v[20:21]
	v_mul_f64_e32 v[4:5], s[40:41], v[20:21]
	v_lshlrev_b64_e32 v[20:21], 4, v[8:9]
	s_and_not1_b32 vcc_lo, exec_lo, s21
	s_mov_b32 s17, -1
	s_delay_alu instid0(VALU_DEP_3) | instskip(NEXT) | instid1(VALU_DEP_3)
	v_fma_f64 v[2:3], s[40:41], v[22:23], -v[2:3]
	v_fma_f64 v[4:5], s[42:43], v[22:23], v[4:5]
	s_wait_alu 0xfffe
	s_cbranch_vccnz .LBB549_39
; %bb.38:                               ;   in Loop: Header=BB549_7 Depth=1
	v_add_co_u32 v26, vcc_lo, v0, v20
	s_wait_alu 0xfffd
	v_add_co_ci_u32_e64 v27, null, v28, v21, vcc_lo
	s_mov_b32 s17, 0
	flat_load_b128 v[22:25], v[26:27]
	s_wait_loadcnt_dscnt 0x0
	v_mul_f64_e32 v[29:30], s[38:39], v[24:25]
	v_mul_f64_e32 v[24:25], s[36:37], v[24:25]
	s_delay_alu instid0(VALU_DEP_2) | instskip(NEXT) | instid1(VALU_DEP_2)
	v_fma_f64 v[29:30], s[36:37], v[22:23], -v[29:30]
	v_fma_f64 v[24:25], s[38:39], v[22:23], v[24:25]
	s_delay_alu instid0(VALU_DEP_2) | instskip(NEXT) | instid1(VALU_DEP_2)
	v_add_f64_e32 v[22:23], v[2:3], v[29:30]
	v_add_f64_e32 v[24:25], v[4:5], v[24:25]
	flat_store_b128 v[26:27], v[22:25]
.LBB549_39:                             ;   in Loop: Header=BB549_7 Depth=1
	s_wait_alu 0xfffe
	s_and_not1_b32 vcc_lo, exec_lo, s17
	s_wait_alu 0xfffe
	s_cbranch_vccnz .LBB549_6
; %bb.40:                               ;   in Loop: Header=BB549_7 Depth=1
	v_add_co_u32 v20, vcc_lo, v0, v20
	s_wait_alu 0xfffd
	v_add_co_ci_u32_e64 v21, null, v28, v21, vcc_lo
	flat_store_b128 v[20:21], v[2:5]
	s_branch .LBB549_6
.LBB549_41:
.LBB549_42:
	s_nop 0
	s_sendmsg sendmsg(MSG_DEALLOC_VGPRS)
	s_endpgm
	.section	.rodata,"a",@progbits
	.p2align	6, 0x0
	.amdhsa_kernel _ZL29rocblas_internal_gemmt_kernelIlLi16ELi32ELi8ELc78ELc78ELc76ELb0ELb0E19rocblas_complex_numIdEPKS1_PKS3_PKPS1_EviT_T9_T10_S9_lSB_S9_lSA_T11_S9_li
		.amdhsa_group_segment_fixed_size 8192
		.amdhsa_private_segment_fixed_size 0
		.amdhsa_kernarg_size 108
		.amdhsa_user_sgpr_count 2
		.amdhsa_user_sgpr_dispatch_ptr 0
		.amdhsa_user_sgpr_queue_ptr 0
		.amdhsa_user_sgpr_kernarg_segment_ptr 1
		.amdhsa_user_sgpr_dispatch_id 0
		.amdhsa_user_sgpr_private_segment_size 0
		.amdhsa_wavefront_size32 1
		.amdhsa_uses_dynamic_stack 0
		.amdhsa_enable_private_segment 0
		.amdhsa_system_sgpr_workgroup_id_x 1
		.amdhsa_system_sgpr_workgroup_id_y 1
		.amdhsa_system_sgpr_workgroup_id_z 1
		.amdhsa_system_sgpr_workgroup_info 0
		.amdhsa_system_vgpr_workitem_id 1
		.amdhsa_next_free_vgpr 136
		.amdhsa_next_free_sgpr 44
		.amdhsa_reserve_vcc 1
		.amdhsa_float_round_mode_32 0
		.amdhsa_float_round_mode_16_64 0
		.amdhsa_float_denorm_mode_32 3
		.amdhsa_float_denorm_mode_16_64 3
		.amdhsa_fp16_overflow 0
		.amdhsa_workgroup_processor_mode 1
		.amdhsa_memory_ordered 1
		.amdhsa_forward_progress 1
		.amdhsa_inst_pref_size 29
		.amdhsa_round_robin_scheduling 0
		.amdhsa_exception_fp_ieee_invalid_op 0
		.amdhsa_exception_fp_denorm_src 0
		.amdhsa_exception_fp_ieee_div_zero 0
		.amdhsa_exception_fp_ieee_overflow 0
		.amdhsa_exception_fp_ieee_underflow 0
		.amdhsa_exception_fp_ieee_inexact 0
		.amdhsa_exception_int_div_zero 0
	.end_amdhsa_kernel
	.section	.text._ZL29rocblas_internal_gemmt_kernelIlLi16ELi32ELi8ELc78ELc78ELc76ELb0ELb0E19rocblas_complex_numIdEPKS1_PKS3_PKPS1_EviT_T9_T10_S9_lSB_S9_lSA_T11_S9_li,"axG",@progbits,_ZL29rocblas_internal_gemmt_kernelIlLi16ELi32ELi8ELc78ELc78ELc76ELb0ELb0E19rocblas_complex_numIdEPKS1_PKS3_PKPS1_EviT_T9_T10_S9_lSB_S9_lSA_T11_S9_li,comdat
.Lfunc_end549:
	.size	_ZL29rocblas_internal_gemmt_kernelIlLi16ELi32ELi8ELc78ELc78ELc76ELb0ELb0E19rocblas_complex_numIdEPKS1_PKS3_PKPS1_EviT_T9_T10_S9_lSB_S9_lSA_T11_S9_li, .Lfunc_end549-_ZL29rocblas_internal_gemmt_kernelIlLi16ELi32ELi8ELc78ELc78ELc76ELb0ELb0E19rocblas_complex_numIdEPKS1_PKS3_PKPS1_EviT_T9_T10_S9_lSB_S9_lSA_T11_S9_li
                                        ; -- End function
	.set _ZL29rocblas_internal_gemmt_kernelIlLi16ELi32ELi8ELc78ELc78ELc76ELb0ELb0E19rocblas_complex_numIdEPKS1_PKS3_PKPS1_EviT_T9_T10_S9_lSB_S9_lSA_T11_S9_li.num_vgpr, 136
	.set _ZL29rocblas_internal_gemmt_kernelIlLi16ELi32ELi8ELc78ELc78ELc76ELb0ELb0E19rocblas_complex_numIdEPKS1_PKS3_PKPS1_EviT_T9_T10_S9_lSB_S9_lSA_T11_S9_li.num_agpr, 0
	.set _ZL29rocblas_internal_gemmt_kernelIlLi16ELi32ELi8ELc78ELc78ELc76ELb0ELb0E19rocblas_complex_numIdEPKS1_PKS3_PKPS1_EviT_T9_T10_S9_lSB_S9_lSA_T11_S9_li.numbered_sgpr, 44
	.set _ZL29rocblas_internal_gemmt_kernelIlLi16ELi32ELi8ELc78ELc78ELc76ELb0ELb0E19rocblas_complex_numIdEPKS1_PKS3_PKPS1_EviT_T9_T10_S9_lSB_S9_lSA_T11_S9_li.num_named_barrier, 0
	.set _ZL29rocblas_internal_gemmt_kernelIlLi16ELi32ELi8ELc78ELc78ELc76ELb0ELb0E19rocblas_complex_numIdEPKS1_PKS3_PKPS1_EviT_T9_T10_S9_lSB_S9_lSA_T11_S9_li.private_seg_size, 0
	.set _ZL29rocblas_internal_gemmt_kernelIlLi16ELi32ELi8ELc78ELc78ELc76ELb0ELb0E19rocblas_complex_numIdEPKS1_PKS3_PKPS1_EviT_T9_T10_S9_lSB_S9_lSA_T11_S9_li.uses_vcc, 1
	.set _ZL29rocblas_internal_gemmt_kernelIlLi16ELi32ELi8ELc78ELc78ELc76ELb0ELb0E19rocblas_complex_numIdEPKS1_PKS3_PKPS1_EviT_T9_T10_S9_lSB_S9_lSA_T11_S9_li.uses_flat_scratch, 0
	.set _ZL29rocblas_internal_gemmt_kernelIlLi16ELi32ELi8ELc78ELc78ELc76ELb0ELb0E19rocblas_complex_numIdEPKS1_PKS3_PKPS1_EviT_T9_T10_S9_lSB_S9_lSA_T11_S9_li.has_dyn_sized_stack, 0
	.set _ZL29rocblas_internal_gemmt_kernelIlLi16ELi32ELi8ELc78ELc78ELc76ELb0ELb0E19rocblas_complex_numIdEPKS1_PKS3_PKPS1_EviT_T9_T10_S9_lSB_S9_lSA_T11_S9_li.has_recursion, 0
	.set _ZL29rocblas_internal_gemmt_kernelIlLi16ELi32ELi8ELc78ELc78ELc76ELb0ELb0E19rocblas_complex_numIdEPKS1_PKS3_PKPS1_EviT_T9_T10_S9_lSB_S9_lSA_T11_S9_li.has_indirect_call, 0
	.section	.AMDGPU.csdata,"",@progbits
; Kernel info:
; codeLenInByte = 3600
; TotalNumSgprs: 46
; NumVgprs: 136
; ScratchSize: 0
; MemoryBound: 0
; FloatMode: 240
; IeeeMode: 1
; LDSByteSize: 8192 bytes/workgroup (compile time only)
; SGPRBlocks: 0
; VGPRBlocks: 16
; NumSGPRsForWavesPerEU: 46
; NumVGPRsForWavesPerEU: 136
; Occupancy: 10
; WaveLimiterHint : 1
; COMPUTE_PGM_RSRC2:SCRATCH_EN: 0
; COMPUTE_PGM_RSRC2:USER_SGPR: 2
; COMPUTE_PGM_RSRC2:TRAP_HANDLER: 0
; COMPUTE_PGM_RSRC2:TGID_X_EN: 1
; COMPUTE_PGM_RSRC2:TGID_Y_EN: 1
; COMPUTE_PGM_RSRC2:TGID_Z_EN: 1
; COMPUTE_PGM_RSRC2:TIDIG_COMP_CNT: 1
	.section	.text._ZL29rocblas_internal_gemmt_kernelIlLi16ELi32ELi8ELc78ELc84ELc76ELb0ELb0E19rocblas_complex_numIdEPKS1_PKS3_PKPS1_EviT_T9_T10_S9_lSB_S9_lSA_T11_S9_li,"axG",@progbits,_ZL29rocblas_internal_gemmt_kernelIlLi16ELi32ELi8ELc78ELc84ELc76ELb0ELb0E19rocblas_complex_numIdEPKS1_PKS3_PKPS1_EviT_T9_T10_S9_lSB_S9_lSA_T11_S9_li,comdat
	.globl	_ZL29rocblas_internal_gemmt_kernelIlLi16ELi32ELi8ELc78ELc84ELc76ELb0ELb0E19rocblas_complex_numIdEPKS1_PKS3_PKPS1_EviT_T9_T10_S9_lSB_S9_lSA_T11_S9_li ; -- Begin function _ZL29rocblas_internal_gemmt_kernelIlLi16ELi32ELi8ELc78ELc84ELc76ELb0ELb0E19rocblas_complex_numIdEPKS1_PKS3_PKPS1_EviT_T9_T10_S9_lSB_S9_lSA_T11_S9_li
	.p2align	8
	.type	_ZL29rocblas_internal_gemmt_kernelIlLi16ELi32ELi8ELc78ELc84ELc76ELb0ELb0E19rocblas_complex_numIdEPKS1_PKS3_PKPS1_EviT_T9_T10_S9_lSB_S9_lSA_T11_S9_li,@function
_ZL29rocblas_internal_gemmt_kernelIlLi16ELi32ELi8ELc78ELc84ELc76ELb0ELb0E19rocblas_complex_numIdEPKS1_PKS3_PKPS1_EviT_T9_T10_S9_lSB_S9_lSA_T11_S9_li: ; @_ZL29rocblas_internal_gemmt_kernelIlLi16ELi32ELi8ELc78ELc84ELc76ELb0ELb0E19rocblas_complex_numIdEPKS1_PKS3_PKPS1_EviT_T9_T10_S9_lSB_S9_lSA_T11_S9_li
; %bb.0:
	s_clause 0x1
	s_load_b256 s[24:31], s[0:1], 0x48
	s_load_b512 s[8:23], s[0:1], 0x8
	s_wait_kmcnt 0x0
	s_load_b128 s[36:39], s[24:25], 0x0
	s_load_b128 s[40:43], s[10:11], 0x0
	s_wait_kmcnt 0x0
	v_cmp_eq_f64_e64 s3, s[36:37], 1.0
	v_cmp_eq_f64_e64 s2, s[38:39], 0
	s_and_b32 s3, s3, s2
	s_delay_alu instid0(SALU_CYCLE_1)
	s_and_not1_b32 vcc_lo, exec_lo, s3
	s_mov_b32 s3, -1
	s_cbranch_vccnz .LBB550_3
; %bb.1:
	s_cmp_lg_u64 s[8:9], 0
	s_cbranch_scc0 .LBB550_41
; %bb.2:
	v_cmp_neq_f64_e64 s3, s[40:41], 0
	v_cmp_neq_f64_e64 s4, s[42:43], 0
	s_or_b32 s3, s3, s4
.LBB550_3:
	s_delay_alu instid0(SALU_CYCLE_1)
	s_and_b32 vcc_lo, exec_lo, s3
	s_cbranch_vccz .LBB550_42
; %bb.4:
	s_load_b32 s24, s[0:1], 0x68
	s_lshr_b32 s6, ttmp7, 16
	s_wait_kmcnt 0x0
	s_cmp_ge_u32 s6, s24
	s_cbranch_scc1 .LBB550_42
; %bb.5:
	v_cmp_neq_f64_e64 s3, s[40:41], 0
	v_cmp_neq_f64_e64 s4, s[42:43], 0
	;; [unrolled: 1-line block ×3, first 2 shown]
	v_bfe_u32 v9, v0, 10, 10
	s_load_b32 s7, s[0:1], 0x0
	s_lshl_b32 s1, ttmp7, 5
	v_dual_mov_b32 v1, 0 :: v_dual_and_b32 v2, 0x3ff, v0
	s_and_b32 s1, s1, 0x1fffe0
	v_and_b32_e32 v34, 7, v0
	v_add_nc_u32_e32 v10, s1, v9
	s_lshl_b32 s0, ttmp9, 5
	v_lshl_add_u32 v0, v9, 4, v2
	s_wait_alu 0xfffe
	v_add_nc_u32_e32 v6, s0, v2
	v_cmp_gt_i64_e64 s10, s[8:9], 0
	v_add_nc_u32_e32 v12, 16, v10
	v_lshl_add_u32 v39, v9, 7, 0x1000
	v_lshrrev_b32_e32 v36, 5, v0
	v_and_b32_e32 v7, 31, v0
	v_lshrrev_b32_e32 v0, 3, v0
	v_mad_co_u64_u32 v[14:15], null, s28, v12, 0
	v_lshlrev_b32_e32 v35, 4, v2
	v_mad_co_u64_u32 v[2:3], null, s28, v10, 0
	v_lshlrev_b32_e32 v5, 4, v34
	v_or_b32_e32 v4, s0, v7
	v_add_nc_u32_e32 v16, s1, v0
	v_lshlrev_b32_e32 v7, 4, v7
	s_xor_b32 s1, s2, -1
	v_lshl_or_b32 v11, v0, 7, v5
	v_mov_b32_e32 v0, v3
	v_ashrrev_i32_e32 v5, 31, v4
	v_lshl_or_b32 v37, v36, 9, v7
	s_wait_kmcnt 0x0
	v_cmp_gt_i32_e32 vcc_lo, s7, v16
	v_add_nc_u32_e32 v38, 0x1000, v11
	v_mad_co_u64_u32 v[7:8], null, s29, v10, v[0:1]
	v_add_nc_u32_e32 v8, 16, v6
	v_mov_b32_e32 v0, v15
	s_or_b32 s11, s3, s4
	s_wait_alu 0xfffe
	s_or_b32 s28, s5, s1
	v_cmp_le_i32_e64 s1, v10, v6
	v_cmp_le_i32_e64 s3, v10, v8
	v_mad_co_u64_u32 v[10:11], null, s29, v12, v[0:1]
	v_mov_b32_e32 v3, v7
	v_cmp_gt_i32_e64 s4, s7, v8
	v_cmp_le_i32_e64 s5, v12, v8
	v_cmp_gt_i32_e64 s0, s7, v4
	v_cmp_le_i32_e64 s25, s7, v4
	v_ashrrev_i32_e32 v9, 31, v8
	v_mov_b32_e32 v15, v10
	v_cmp_gt_i32_e64 s2, s7, v6
	v_lshlrev_b64_e32 v[10:11], 4, v[4:5]
	v_ashrrev_i32_e32 v7, 31, v6
	v_lshlrev_b32_e32 v40, 4, v16
	v_lshlrev_b64_e32 v[14:15], 4, v[14:15]
	s_and_b32 s29, s1, s2
	v_cmp_le_i32_e64 s1, v12, v6
	v_lshlrev_b64_e32 v[12:13], 4, v[2:3]
	s_and_b32 s33, s3, s4
	s_and_b32 s34, s5, s4
	s_mov_b32 s7, 0
	s_and_b32 s1, s1, s2
	s_and_b32 s35, s11, s10
	s_lshl_b64 s[2:3], s[22:23], 4
	s_lshl_b64 s[4:5], s[16:17], 4
	s_xor_b32 s22, vcc_lo, -1
	s_lshl_b64 s[10:11], s[30:31], 4
                                        ; implicit-def: $vgpr16_vgpr17
	s_branch .LBB550_7
.LBB550_6:                              ;   in Loop: Header=BB550_7 Depth=1
	s_wait_alu 0xfffe
	s_or_b32 exec_lo, exec_lo, s16
	s_add_co_i32 s6, s6, 0x10000
	s_wait_alu 0xfffe
	s_cmp_lt_u32 s6, s24
	s_cbranch_scc0 .LBB550_42
.LBB550_7:                              ; =>This Loop Header: Depth=1
                                        ;     Child Loop BB550_10 Depth 2
	s_wait_alu 0xfffe
	s_lshl_b64 s[16:17], s[6:7], 3
	v_mov_b32_e32 v30, 0
	s_wait_alu 0xfffe
	s_add_nc_u64 s[30:31], s[26:27], s[16:17]
	v_mov_b32_e32 v31, 0
	global_load_b64 v[4:5], v1, s[30:31]
	s_and_not1_b32 vcc_lo, exec_lo, s35
	s_wait_alu 0xfffe
	s_cbranch_vccnz .LBB550_20
; %bb.8:                                ;   in Loop: Header=BB550_7 Depth=1
	s_add_nc_u64 s[30:31], s[12:13], s[16:17]
	s_add_nc_u64 s[16:17], s[18:19], s[16:17]
	s_clause 0x1
	global_load_b64 v[2:3], v1, s[30:31]
	global_load_b64 v[41:42], v1, s[16:17]
	v_mov_b32_e32 v18, 0
	v_mov_b32_e32 v24, 0
	;; [unrolled: 1-line block ×3, first 2 shown]
	v_dual_mov_b32 v32, 0 :: v_dual_mov_b32 v19, 0
	v_dual_mov_b32 v20, 0 :: v_dual_mov_b32 v25, 0
	;; [unrolled: 1-line block ×5, first 2 shown]
	v_mov_b32_e32 v23, 0
	v_mov_b32_e32 v27, 0
	;; [unrolled: 1-line block ×3, first 2 shown]
	s_mov_b64 s[16:17], 0
	s_wait_loadcnt 0x1
	v_add_co_u32 v0, vcc_lo, v2, s4
	s_wait_alu 0xfffd
	v_add_co_ci_u32_e64 v2, null, s5, v3, vcc_lo
	s_wait_loadcnt 0x0
	v_add_co_u32 v3, vcc_lo, v41, s2
	s_wait_alu 0xfffd
	v_add_co_ci_u32_e64 v44, null, s3, v42, vcc_lo
	v_add_co_u32 v41, vcc_lo, v0, v10
	s_wait_alu 0xfffd
	v_add_co_ci_u32_e64 v42, null, v2, v11, vcc_lo
	;; [unrolled: 3-line block ×3, first 2 shown]
	s_branch .LBB550_10
.LBB550_9:                              ;   in Loop: Header=BB550_10 Depth=2
	s_or_b32 exec_lo, exec_lo, s23
	s_wait_dscnt 0x0
	s_barrier_signal -1
	s_barrier_wait -1
	global_inv scope:SCOPE_SE
	ds_load_b128 v[45:48], v39
	ds_load_b128 v[49:52], v35
	ds_load_b128 v[53:56], v35 offset:256
	ds_load_b128 v[57:60], v39 offset:2048
	;; [unrolled: 1-line block ×10, first 2 shown]
	s_add_nc_u64 s[16:17], s[16:17], 8
	s_wait_alu 0xfffe
	v_cmp_gt_i64_e64 s23, s[8:9], s[16:17]
	s_and_b32 vcc_lo, exec_lo, s23
	s_wait_dscnt 0xa
	v_mul_f64_e32 v[2:3], v[47:48], v[51:52]
	v_mul_f64_e32 v[93:94], v[45:46], v[51:52]
	s_wait_dscnt 0x9
	v_mul_f64_e32 v[95:96], v[47:48], v[55:56]
	v_mul_f64_e32 v[97:98], v[45:46], v[55:56]
	;; [unrolled: 3-line block ×3, first 2 shown]
	v_mul_f64_e32 v[101:102], v[59:60], v[55:56]
	v_mul_f64_e32 v[55:56], v[57:58], v[55:56]
	s_wait_dscnt 0x5
	v_mul_f64_e32 v[103:104], v[63:64], v[71:72]
	v_mul_f64_e32 v[105:106], v[61:62], v[71:72]
	s_wait_dscnt 0x4
	v_mul_f64_e32 v[107:108], v[63:64], v[75:76]
	v_mul_f64_e32 v[109:110], v[61:62], v[75:76]
	;; [unrolled: 1-line block ×6, first 2 shown]
	s_wait_dscnt 0x2
	v_mul_f64_e32 v[119:120], v[79:80], v[83:84]
	v_mul_f64_e32 v[121:122], v[77:78], v[83:84]
	s_wait_dscnt 0x1
	v_mul_f64_e32 v[123:124], v[79:80], v[87:88]
	v_mul_f64_e32 v[125:126], v[77:78], v[87:88]
	s_wait_dscnt 0x0
	v_mul_f64_e32 v[127:128], v[91:92], v[83:84]
	v_mul_f64_e32 v[83:84], v[89:90], v[83:84]
	v_mul_f64_e32 v[129:130], v[91:92], v[87:88]
	v_mul_f64_e32 v[87:88], v[89:90], v[87:88]
	v_fma_f64 v[2:3], v[45:46], v[49:50], -v[2:3]
	v_fma_f64 v[93:94], v[47:48], v[49:50], v[93:94]
	v_fma_f64 v[95:96], v[45:46], v[53:54], -v[95:96]
	v_fma_f64 v[97:98], v[47:48], v[53:54], v[97:98]
	;; [unrolled: 2-line block ×8, first 2 shown]
	ds_load_b128 v[45:48], v39 offset:48
	ds_load_b128 v[49:52], v35 offset:1536
	;; [unrolled: 1-line block ×4, first 2 shown]
	v_fma_f64 v[119:120], v[77:78], v[81:82], -v[119:120]
	v_fma_f64 v[121:122], v[79:80], v[81:82], v[121:122]
	v_fma_f64 v[77:78], v[77:78], v[85:86], -v[123:124]
	v_fma_f64 v[79:80], v[79:80], v[85:86], v[125:126]
	;; [unrolled: 2-line block ×4, first 2 shown]
	s_wait_dscnt 0x2
	v_mul_f64_e32 v[109:110], v[45:46], v[51:52]
	s_wait_dscnt 0x1
	v_mul_f64_e32 v[111:112], v[47:48], v[55:56]
	v_mul_f64_e32 v[113:114], v[45:46], v[55:56]
	v_add_f64_e32 v[2:3], v[30:31], v[2:3]
	v_add_f64_e32 v[71:72], v[93:94], v[32:33]
	;; [unrolled: 1-line block ×8, first 2 shown]
	v_mul_f64_e32 v[101:102], v[47:48], v[51:52]
	s_wait_dscnt 0x0
	v_mul_f64_e32 v[115:116], v[59:60], v[51:52]
	v_mul_f64_e32 v[51:52], v[57:58], v[51:52]
	;; [unrolled: 1-line block ×4, first 2 shown]
	ds_load_b128 v[18:21], v39 offset:64
	ds_load_b128 v[22:25], v35 offset:2048
	;; [unrolled: 1-line block ×4, first 2 shown]
	s_wait_dscnt 0x1
	v_mul_f64_e32 v[125:126], v[18:19], v[28:29]
	s_wait_dscnt 0x0
	v_mul_f64_e32 v[127:128], v[32:33], v[24:25]
	v_mul_f64_e32 v[129:130], v[32:33], v[28:29]
	v_fma_f64 v[109:110], v[47:48], v[49:50], v[109:110]
	v_fma_f64 v[111:112], v[45:46], v[53:54], -v[111:112]
	v_fma_f64 v[113:114], v[47:48], v[53:54], v[113:114]
	v_add_f64_e32 v[2:3], v[2:3], v[103:104]
	v_add_f64_e32 v[87:88], v[105:106], v[71:72]
	;; [unrolled: 1-line block ×8, first 2 shown]
	v_mul_f64_e32 v[103:104], v[20:21], v[24:25]
	v_mul_f64_e32 v[105:106], v[18:19], v[24:25]
	;; [unrolled: 1-line block ×5, first 2 shown]
	v_fma_f64 v[101:102], v[45:46], v[49:50], -v[101:102]
	v_fma_f64 v[115:116], v[57:58], v[49:50], -v[115:116]
	v_fma_f64 v[131:132], v[59:60], v[49:50], v[51:52]
	v_fma_f64 v[117:118], v[57:58], v[53:54], -v[117:118]
	v_fma_f64 v[133:134], v[59:60], v[53:54], v[55:56]
	ds_load_b128 v[61:64], v39 offset:80
	ds_load_b128 v[65:68], v35 offset:2560
	;; [unrolled: 1-line block ×8, first 2 shown]
	v_add_f64_e32 v[2:3], v[2:3], v[119:120]
	v_add_f64_e32 v[87:88], v[121:122], v[87:88]
	;; [unrolled: 1-line block ×8, first 2 shown]
	s_wait_dscnt 0x6
	v_mul_f64_e32 v[91:92], v[63:64], v[67:68]
	v_mul_f64_e32 v[93:94], v[61:62], v[67:68]
	s_wait_dscnt 0x5
	v_mul_f64_e32 v[95:96], v[63:64], v[71:72]
	v_mul_f64_e32 v[97:98], v[61:62], v[71:72]
	;; [unrolled: 3-line block ×3, first 2 shown]
	v_mul_f64_e32 v[119:120], v[75:76], v[71:72]
	v_mul_f64_e32 v[71:72], v[73:74], v[71:72]
	v_fma_f64 v[103:104], v[18:19], v[22:23], -v[103:104]
	v_fma_f64 v[105:106], v[20:21], v[22:23], v[105:106]
	v_fma_f64 v[107:108], v[18:19], v[26:27], -v[107:108]
	v_fma_f64 v[121:122], v[20:21], v[26:27], v[125:126]
	;; [unrolled: 2-line block ×4, first 2 shown]
	ds_load_b128 v[18:21], v39 offset:112
	ds_load_b128 v[22:25], v35 offset:3584
	;; [unrolled: 1-line block ×4, first 2 shown]
	s_wait_loadcnt_dscnt 0x0
	s_barrier_signal -1
	s_barrier_wait -1
	global_inv scope:SCOPE_SE
	v_add_f64_e32 v[2:3], v[2:3], v[101:102]
	v_add_f64_e32 v[87:88], v[109:110], v[87:88]
	;; [unrolled: 1-line block ×8, first 2 shown]
	v_mul_f64_e32 v[101:102], v[47:48], v[51:52]
	v_mul_f64_e32 v[109:110], v[45:46], v[51:52]
	;; [unrolled: 1-line block ×8, first 2 shown]
	v_fma_f64 v[91:92], v[61:62], v[65:66], -v[91:92]
	v_fma_f64 v[93:94], v[63:64], v[65:66], v[93:94]
	v_fma_f64 v[61:62], v[61:62], v[69:70], -v[95:96]
	v_fma_f64 v[63:64], v[63:64], v[69:70], v[97:98]
	;; [unrolled: 2-line block ×4, first 2 shown]
	v_mul_f64_e32 v[97:98], v[18:19], v[28:29]
	v_mul_f64_e32 v[99:100], v[32:33], v[24:25]
	v_add_f64_e32 v[2:3], v[2:3], v[103:104]
	v_add_f64_e32 v[71:72], v[105:106], v[87:88]
	;; [unrolled: 1-line block ×8, first 2 shown]
	v_mul_f64_e32 v[85:86], v[20:21], v[24:25]
	v_mul_f64_e32 v[87:88], v[18:19], v[24:25]
	;; [unrolled: 1-line block ×6, first 2 shown]
	v_fma_f64 v[101:102], v[45:46], v[49:50], -v[101:102]
	v_fma_f64 v[105:106], v[47:48], v[49:50], v[109:110]
	v_fma_f64 v[45:46], v[45:46], v[53:54], -v[111:112]
	v_fma_f64 v[47:48], v[47:48], v[53:54], v[113:114]
	;; [unrolled: 2-line block ×4, first 2 shown]
	v_add_f64_e32 v[2:3], v[2:3], v[91:92]
	v_add_f64_e32 v[55:56], v[93:94], v[71:72]
	;; [unrolled: 1-line block ×8, first 2 shown]
	v_fma_f64 v[69:70], v[18:19], v[22:23], -v[85:86]
	v_fma_f64 v[71:72], v[20:21], v[22:23], v[87:88]
	v_fma_f64 v[18:19], v[18:19], v[26:27], -v[89:90]
	v_fma_f64 v[20:21], v[20:21], v[26:27], v[97:98]
	;; [unrolled: 2-line block ×4, first 2 shown]
	v_add_f64_e32 v[2:3], v[2:3], v[101:102]
	v_add_f64_e32 v[22:23], v[105:106], v[55:56]
	;; [unrolled: 1-line block ×16, first 2 shown]
	s_wait_alu 0xfffe
	s_cbranch_vccz .LBB550_21
.LBB550_10:                             ;   Parent Loop BB550_7 Depth=1
                                        ; =>  This Inner Loop Header: Depth=2
	s_mov_b32 s23, 0
	s_mov_b32 s31, s25
	s_and_saveexec_b32 s30, s0
	s_cbranch_execnz .LBB550_18
; %bb.11:                               ;   in Loop: Header=BB550_10 Depth=2
	s_or_b32 exec_lo, exec_lo, s30
	s_and_saveexec_b32 s30, s31
	s_delay_alu instid0(SALU_CYCLE_1)
	s_xor_b32 s30, exec_lo, s30
	s_cbranch_execnz .LBB550_19
.LBB550_12:                             ;   in Loop: Header=BB550_10 Depth=2
	s_or_b32 exec_lo, exec_lo, s30
	s_and_saveexec_b32 s30, s23
	s_cbranch_execz .LBB550_14
.LBB550_13:                             ;   in Loop: Header=BB550_10 Depth=2
	v_mul_lo_u32 v0, s15, v16
	v_mul_lo_u32 v45, s14, v17
	v_mad_co_u64_u32 v[2:3], null, s14, v16, 0
	s_delay_alu instid0(VALU_DEP_1) | instskip(NEXT) | instid1(VALU_DEP_1)
	v_add3_u32 v3, v3, v45, v0
	v_lshlrev_b64_e32 v[2:3], 4, v[2:3]
	s_delay_alu instid0(VALU_DEP_1) | instskip(SKIP_1) | instid1(VALU_DEP_2)
	v_add_co_u32 v2, vcc_lo, v41, v2
	s_wait_alu 0xfffd
	v_add_co_ci_u32_e64 v3, null, v42, v3, vcc_lo
	flat_load_b128 v[45:48], v[2:3]
	s_wait_loadcnt_dscnt 0x0
	ds_store_2addr_b64 v37, v[45:46], v[47:48] offset1:1
.LBB550_14:                             ;   in Loop: Header=BB550_10 Depth=2
	s_or_b32 exec_lo, exec_lo, s30
	s_wait_alu 0xfffe
	v_add_nc_u32_e32 v0, s16, v34
	s_delay_alu instid0(VALU_DEP_1) | instskip(SKIP_1) | instid1(SALU_CYCLE_1)
	v_cmp_le_u64_e32 vcc_lo, s[8:9], v[0:1]
	s_or_b32 s23, vcc_lo, s22
	s_and_saveexec_b32 s30, s23
	s_delay_alu instid0(SALU_CYCLE_1)
	s_xor_b32 s23, exec_lo, s30
; %bb.15:                               ;   in Loop: Header=BB550_10 Depth=2
	v_dual_mov_b32 v0, v1 :: v_dual_mov_b32 v3, v1
	v_mov_b32_e32 v2, v1
	ds_store_b128 v38, v[0:3]
; %bb.16:                               ;   in Loop: Header=BB550_10 Depth=2
	s_and_not1_saveexec_b32 s23, s23
	s_cbranch_execz .LBB550_9
; %bb.17:                               ;   in Loop: Header=BB550_10 Depth=2
	v_mad_co_u64_u32 v[2:3], null, s20, v0, 0
	s_delay_alu instid0(VALU_DEP_1) | instskip(NEXT) | instid1(VALU_DEP_1)
	v_mad_co_u64_u32 v[45:46], null, s21, v0, v[3:4]
	v_mov_b32_e32 v3, v45
	s_delay_alu instid0(VALU_DEP_1) | instskip(NEXT) | instid1(VALU_DEP_1)
	v_lshlrev_b64_e32 v[2:3], 4, v[2:3]
	v_add_co_u32 v2, vcc_lo, v43, v2
	s_wait_alu 0xfffd
	s_delay_alu instid0(VALU_DEP_2)
	v_add_co_ci_u32_e64 v3, null, v44, v3, vcc_lo
	flat_load_b128 v[45:48], v[2:3]
	s_wait_loadcnt_dscnt 0x0
	ds_store_2addr_b64 v38, v[45:46], v[47:48] offset1:1
	s_branch .LBB550_9
.LBB550_18:                             ;   in Loop: Header=BB550_10 Depth=2
	s_wait_alu 0xfffe
	v_add_nc_u32_e32 v0, s16, v36
	v_mov_b32_e32 v17, v1
	s_and_not1_b32 s31, s25, exec_lo
	s_mov_b32 s23, exec_lo
	s_delay_alu instid0(VALU_DEP_2) | instskip(SKIP_2) | instid1(SALU_CYCLE_1)
	v_cmp_le_u64_e32 vcc_lo, s[8:9], v[0:1]
	v_mov_b32_e32 v16, v0
	s_and_b32 s44, vcc_lo, exec_lo
	s_or_b32 s31, s31, s44
	s_or_b32 exec_lo, exec_lo, s30
	s_and_saveexec_b32 s30, s31
	s_delay_alu instid0(SALU_CYCLE_1)
	s_xor_b32 s30, exec_lo, s30
	s_cbranch_execz .LBB550_12
.LBB550_19:                             ;   in Loop: Header=BB550_10 Depth=2
	v_dual_mov_b32 v0, v1 :: v_dual_mov_b32 v3, v1
	v_mov_b32_e32 v2, v1
	s_and_not1_b32 s23, s23, exec_lo
	ds_store_b128 v37, v[0:3]
	s_or_b32 exec_lo, exec_lo, s30
	s_and_saveexec_b32 s30, s23
	s_cbranch_execnz .LBB550_13
	s_branch .LBB550_14
.LBB550_20:                             ;   in Loop: Header=BB550_7 Depth=1
	v_mov_b32_e32 v32, 0
	v_mov_b32_e32 v28, 0
	v_dual_mov_b32 v24, 0 :: v_dual_mov_b32 v33, 0
	v_dual_mov_b32 v26, 0 :: v_dual_mov_b32 v29, 0
	v_dual_mov_b32 v22, 0 :: v_dual_mov_b32 v25, 0
	v_mov_b32_e32 v20, 0
	v_dual_mov_b32 v18, 0 :: v_dual_mov_b32 v27, 0
	v_mov_b32_e32 v23, 0
	v_mov_b32_e32 v21, 0
	;; [unrolled: 1-line block ×3, first 2 shown]
.LBB550_21:                             ;   in Loop: Header=BB550_7 Depth=1
	s_wait_loadcnt 0x0
	v_add_co_u32 v0, vcc_lo, v4, s10
	s_wait_alu 0xfffd
	v_add_co_ci_u32_e64 v41, null, s11, v5, vcc_lo
	s_delay_alu instid0(VALU_DEP_2) | instskip(SKIP_1) | instid1(VALU_DEP_2)
	v_add_co_u32 v42, vcc_lo, v0, v12
	s_wait_alu 0xfffd
	v_add_co_ci_u32_e64 v43, null, v41, v13, vcc_lo
	s_and_saveexec_b32 s16, s29
	s_cbranch_execz .LBB550_26
; %bb.22:                               ;   in Loop: Header=BB550_7 Depth=1
	v_mul_f64_e32 v[2:3], s[42:43], v[32:33]
	v_mul_f64_e32 v[4:5], s[40:41], v[32:33]
	s_and_b32 vcc_lo, exec_lo, s28
	s_mov_b32 s17, -1
	s_delay_alu instid0(VALU_DEP_2) | instskip(NEXT) | instid1(VALU_DEP_2)
	v_fma_f64 v[2:3], s[40:41], v[30:31], -v[2:3]
	v_fma_f64 v[4:5], s[42:43], v[30:31], v[4:5]
	s_wait_alu 0xfffe
	s_cbranch_vccz .LBB550_24
; %bb.23:                               ;   in Loop: Header=BB550_7 Depth=1
	v_lshlrev_b64_e32 v[30:31], 4, v[6:7]
	s_mov_b32 s17, 0
	s_delay_alu instid0(VALU_DEP_1) | instskip(SKIP_1) | instid1(VALU_DEP_2)
	v_add_co_u32 v44, vcc_lo, v42, v30
	s_wait_alu 0xfffd
	v_add_co_ci_u32_e64 v45, null, v43, v31, vcc_lo
	flat_load_b128 v[30:33], v[44:45]
	s_wait_loadcnt_dscnt 0x0
	v_mul_f64_e32 v[46:47], s[38:39], v[32:33]
	v_mul_f64_e32 v[32:33], s[36:37], v[32:33]
	s_delay_alu instid0(VALU_DEP_2) | instskip(NEXT) | instid1(VALU_DEP_2)
	v_fma_f64 v[46:47], s[36:37], v[30:31], -v[46:47]
	v_fma_f64 v[32:33], s[38:39], v[30:31], v[32:33]
	s_delay_alu instid0(VALU_DEP_2) | instskip(NEXT) | instid1(VALU_DEP_2)
	v_add_f64_e32 v[30:31], v[2:3], v[46:47]
	v_add_f64_e32 v[32:33], v[4:5], v[32:33]
	flat_store_b128 v[44:45], v[30:33]
.LBB550_24:                             ;   in Loop: Header=BB550_7 Depth=1
	s_wait_alu 0xfffe
	s_and_not1_b32 vcc_lo, exec_lo, s17
	s_wait_alu 0xfffe
	s_cbranch_vccnz .LBB550_26
; %bb.25:                               ;   in Loop: Header=BB550_7 Depth=1
	v_lshlrev_b64_e32 v[30:31], 4, v[6:7]
	s_delay_alu instid0(VALU_DEP_1) | instskip(SKIP_1) | instid1(VALU_DEP_2)
	v_add_co_u32 v30, vcc_lo, v42, v30
	s_wait_alu 0xfffd
	v_add_co_ci_u32_e64 v31, null, v43, v31, vcc_lo
	flat_store_b128 v[30:31], v[2:5]
.LBB550_26:                             ;   in Loop: Header=BB550_7 Depth=1
	s_wait_alu 0xfffe
	s_or_b32 exec_lo, exec_lo, s16
	s_and_saveexec_b32 s16, s33
	s_cbranch_execz .LBB550_31
; %bb.27:                               ;   in Loop: Header=BB550_7 Depth=1
	v_mul_f64_e32 v[2:3], s[42:43], v[28:29]
	v_mul_f64_e32 v[4:5], s[40:41], v[28:29]
	s_and_not1_b32 vcc_lo, exec_lo, s28
	s_mov_b32 s17, -1
	s_delay_alu instid0(VALU_DEP_2) | instskip(NEXT) | instid1(VALU_DEP_2)
	v_fma_f64 v[2:3], s[40:41], v[26:27], -v[2:3]
	v_fma_f64 v[4:5], s[42:43], v[26:27], v[4:5]
	s_wait_alu 0xfffe
	s_cbranch_vccnz .LBB550_29
; %bb.28:                               ;   in Loop: Header=BB550_7 Depth=1
	v_lshlrev_b64_e32 v[26:27], 4, v[8:9]
	s_mov_b32 s17, 0
	s_delay_alu instid0(VALU_DEP_1) | instskip(SKIP_1) | instid1(VALU_DEP_2)
	v_add_co_u32 v30, vcc_lo, v42, v26
	s_wait_alu 0xfffd
	v_add_co_ci_u32_e64 v31, null, v43, v27, vcc_lo
	flat_load_b128 v[26:29], v[30:31]
	s_wait_loadcnt_dscnt 0x0
	v_mul_f64_e32 v[32:33], s[38:39], v[28:29]
	v_mul_f64_e32 v[28:29], s[36:37], v[28:29]
	s_delay_alu instid0(VALU_DEP_2) | instskip(NEXT) | instid1(VALU_DEP_2)
	v_fma_f64 v[32:33], s[36:37], v[26:27], -v[32:33]
	v_fma_f64 v[28:29], s[38:39], v[26:27], v[28:29]
	s_delay_alu instid0(VALU_DEP_2) | instskip(NEXT) | instid1(VALU_DEP_2)
	v_add_f64_e32 v[26:27], v[2:3], v[32:33]
	v_add_f64_e32 v[28:29], v[4:5], v[28:29]
	flat_store_b128 v[30:31], v[26:29]
.LBB550_29:                             ;   in Loop: Header=BB550_7 Depth=1
	s_wait_alu 0xfffe
	s_and_not1_b32 vcc_lo, exec_lo, s17
	s_wait_alu 0xfffe
	s_cbranch_vccnz .LBB550_31
; %bb.30:                               ;   in Loop: Header=BB550_7 Depth=1
	v_lshlrev_b64_e32 v[26:27], 4, v[8:9]
	s_delay_alu instid0(VALU_DEP_1) | instskip(SKIP_1) | instid1(VALU_DEP_2)
	v_add_co_u32 v26, vcc_lo, v42, v26
	s_wait_alu 0xfffd
	v_add_co_ci_u32_e64 v27, null, v43, v27, vcc_lo
	flat_store_b128 v[26:27], v[2:5]
.LBB550_31:                             ;   in Loop: Header=BB550_7 Depth=1
	s_wait_alu 0xfffe
	s_or_b32 exec_lo, exec_lo, s16
	v_add_co_u32 v0, vcc_lo, v0, v14
	s_wait_alu 0xfffd
	v_add_co_ci_u32_e64 v26, null, v41, v15, vcc_lo
	s_and_saveexec_b32 s16, s1
	s_cbranch_execz .LBB550_36
; %bb.32:                               ;   in Loop: Header=BB550_7 Depth=1
	v_mul_f64_e32 v[2:3], s[42:43], v[24:25]
	v_mul_f64_e32 v[4:5], s[40:41], v[24:25]
	s_and_not1_b32 vcc_lo, exec_lo, s28
	s_mov_b32 s17, -1
	s_delay_alu instid0(VALU_DEP_2) | instskip(NEXT) | instid1(VALU_DEP_2)
	v_fma_f64 v[2:3], s[40:41], v[22:23], -v[2:3]
	v_fma_f64 v[4:5], s[42:43], v[22:23], v[4:5]
	v_lshlrev_b64_e32 v[22:23], 4, v[6:7]
	s_wait_alu 0xfffe
	s_cbranch_vccnz .LBB550_34
; %bb.33:                               ;   in Loop: Header=BB550_7 Depth=1
	s_delay_alu instid0(VALU_DEP_1) | instskip(SKIP_1) | instid1(VALU_DEP_2)
	v_add_co_u32 v24, vcc_lo, v0, v22
	s_wait_alu 0xfffd
	v_add_co_ci_u32_e64 v25, null, v26, v23, vcc_lo
	s_mov_b32 s17, 0
	flat_load_b128 v[27:30], v[24:25]
	s_wait_loadcnt_dscnt 0x0
	v_mul_f64_e32 v[31:32], s[38:39], v[29:30]
	v_mul_f64_e32 v[29:30], s[36:37], v[29:30]
	s_delay_alu instid0(VALU_DEP_2) | instskip(NEXT) | instid1(VALU_DEP_2)
	v_fma_f64 v[31:32], s[36:37], v[27:28], -v[31:32]
	v_fma_f64 v[29:30], s[38:39], v[27:28], v[29:30]
	s_delay_alu instid0(VALU_DEP_2) | instskip(NEXT) | instid1(VALU_DEP_2)
	v_add_f64_e32 v[27:28], v[2:3], v[31:32]
	v_add_f64_e32 v[29:30], v[4:5], v[29:30]
	flat_store_b128 v[24:25], v[27:30]
.LBB550_34:                             ;   in Loop: Header=BB550_7 Depth=1
	s_wait_alu 0xfffe
	s_and_not1_b32 vcc_lo, exec_lo, s17
	s_wait_alu 0xfffe
	s_cbranch_vccnz .LBB550_36
; %bb.35:                               ;   in Loop: Header=BB550_7 Depth=1
	v_add_co_u32 v22, vcc_lo, v0, v22
	s_wait_alu 0xfffd
	v_add_co_ci_u32_e64 v23, null, v26, v23, vcc_lo
	flat_store_b128 v[22:23], v[2:5]
.LBB550_36:                             ;   in Loop: Header=BB550_7 Depth=1
	s_wait_alu 0xfffe
	s_or_b32 exec_lo, exec_lo, s16
	s_and_saveexec_b32 s16, s34
	s_cbranch_execz .LBB550_6
; %bb.37:                               ;   in Loop: Header=BB550_7 Depth=1
	v_mul_f64_e32 v[2:3], s[42:43], v[18:19]
	v_mul_f64_e32 v[4:5], s[40:41], v[18:19]
	v_lshlrev_b64_e32 v[18:19], 4, v[8:9]
	s_and_not1_b32 vcc_lo, exec_lo, s28
	s_mov_b32 s17, -1
	s_delay_alu instid0(VALU_DEP_3) | instskip(NEXT) | instid1(VALU_DEP_3)
	v_fma_f64 v[2:3], s[40:41], v[20:21], -v[2:3]
	v_fma_f64 v[4:5], s[42:43], v[20:21], v[4:5]
	s_wait_alu 0xfffe
	s_cbranch_vccnz .LBB550_39
; %bb.38:                               ;   in Loop: Header=BB550_7 Depth=1
	v_add_co_u32 v24, vcc_lo, v0, v18
	s_wait_alu 0xfffd
	v_add_co_ci_u32_e64 v25, null, v26, v19, vcc_lo
	s_mov_b32 s17, 0
	flat_load_b128 v[20:23], v[24:25]
	s_wait_loadcnt_dscnt 0x0
	v_mul_f64_e32 v[27:28], s[38:39], v[22:23]
	v_mul_f64_e32 v[22:23], s[36:37], v[22:23]
	s_delay_alu instid0(VALU_DEP_2) | instskip(NEXT) | instid1(VALU_DEP_2)
	v_fma_f64 v[27:28], s[36:37], v[20:21], -v[27:28]
	v_fma_f64 v[22:23], s[38:39], v[20:21], v[22:23]
	s_delay_alu instid0(VALU_DEP_2) | instskip(NEXT) | instid1(VALU_DEP_2)
	v_add_f64_e32 v[20:21], v[2:3], v[27:28]
	v_add_f64_e32 v[22:23], v[4:5], v[22:23]
	flat_store_b128 v[24:25], v[20:23]
.LBB550_39:                             ;   in Loop: Header=BB550_7 Depth=1
	s_wait_alu 0xfffe
	s_and_not1_b32 vcc_lo, exec_lo, s17
	s_wait_alu 0xfffe
	s_cbranch_vccnz .LBB550_6
; %bb.40:                               ;   in Loop: Header=BB550_7 Depth=1
	v_add_co_u32 v18, vcc_lo, v0, v18
	s_wait_alu 0xfffd
	v_add_co_ci_u32_e64 v19, null, v26, v19, vcc_lo
	flat_store_b128 v[18:19], v[2:5]
	s_branch .LBB550_6
.LBB550_41:
.LBB550_42:
	s_nop 0
	s_sendmsg sendmsg(MSG_DEALLOC_VGPRS)
	s_endpgm
	.section	.rodata,"a",@progbits
	.p2align	6, 0x0
	.amdhsa_kernel _ZL29rocblas_internal_gemmt_kernelIlLi16ELi32ELi8ELc78ELc84ELc76ELb0ELb0E19rocblas_complex_numIdEPKS1_PKS3_PKPS1_EviT_T9_T10_S9_lSB_S9_lSA_T11_S9_li
		.amdhsa_group_segment_fixed_size 8192
		.amdhsa_private_segment_fixed_size 0
		.amdhsa_kernarg_size 108
		.amdhsa_user_sgpr_count 2
		.amdhsa_user_sgpr_dispatch_ptr 0
		.amdhsa_user_sgpr_queue_ptr 0
		.amdhsa_user_sgpr_kernarg_segment_ptr 1
		.amdhsa_user_sgpr_dispatch_id 0
		.amdhsa_user_sgpr_private_segment_size 0
		.amdhsa_wavefront_size32 1
		.amdhsa_uses_dynamic_stack 0
		.amdhsa_enable_private_segment 0
		.amdhsa_system_sgpr_workgroup_id_x 1
		.amdhsa_system_sgpr_workgroup_id_y 1
		.amdhsa_system_sgpr_workgroup_id_z 1
		.amdhsa_system_sgpr_workgroup_info 0
		.amdhsa_system_vgpr_workitem_id 1
		.amdhsa_next_free_vgpr 135
		.amdhsa_next_free_sgpr 45
		.amdhsa_reserve_vcc 1
		.amdhsa_float_round_mode_32 0
		.amdhsa_float_round_mode_16_64 0
		.amdhsa_float_denorm_mode_32 3
		.amdhsa_float_denorm_mode_16_64 3
		.amdhsa_fp16_overflow 0
		.amdhsa_workgroup_processor_mode 1
		.amdhsa_memory_ordered 1
		.amdhsa_forward_progress 1
		.amdhsa_inst_pref_size 28
		.amdhsa_round_robin_scheduling 0
		.amdhsa_exception_fp_ieee_invalid_op 0
		.amdhsa_exception_fp_denorm_src 0
		.amdhsa_exception_fp_ieee_div_zero 0
		.amdhsa_exception_fp_ieee_overflow 0
		.amdhsa_exception_fp_ieee_underflow 0
		.amdhsa_exception_fp_ieee_inexact 0
		.amdhsa_exception_int_div_zero 0
	.end_amdhsa_kernel
	.section	.text._ZL29rocblas_internal_gemmt_kernelIlLi16ELi32ELi8ELc78ELc84ELc76ELb0ELb0E19rocblas_complex_numIdEPKS1_PKS3_PKPS1_EviT_T9_T10_S9_lSB_S9_lSA_T11_S9_li,"axG",@progbits,_ZL29rocblas_internal_gemmt_kernelIlLi16ELi32ELi8ELc78ELc84ELc76ELb0ELb0E19rocblas_complex_numIdEPKS1_PKS3_PKPS1_EviT_T9_T10_S9_lSB_S9_lSA_T11_S9_li,comdat
.Lfunc_end550:
	.size	_ZL29rocblas_internal_gemmt_kernelIlLi16ELi32ELi8ELc78ELc84ELc76ELb0ELb0E19rocblas_complex_numIdEPKS1_PKS3_PKPS1_EviT_T9_T10_S9_lSB_S9_lSA_T11_S9_li, .Lfunc_end550-_ZL29rocblas_internal_gemmt_kernelIlLi16ELi32ELi8ELc78ELc84ELc76ELb0ELb0E19rocblas_complex_numIdEPKS1_PKS3_PKPS1_EviT_T9_T10_S9_lSB_S9_lSA_T11_S9_li
                                        ; -- End function
	.set _ZL29rocblas_internal_gemmt_kernelIlLi16ELi32ELi8ELc78ELc84ELc76ELb0ELb0E19rocblas_complex_numIdEPKS1_PKS3_PKPS1_EviT_T9_T10_S9_lSB_S9_lSA_T11_S9_li.num_vgpr, 135
	.set _ZL29rocblas_internal_gemmt_kernelIlLi16ELi32ELi8ELc78ELc84ELc76ELb0ELb0E19rocblas_complex_numIdEPKS1_PKS3_PKPS1_EviT_T9_T10_S9_lSB_S9_lSA_T11_S9_li.num_agpr, 0
	.set _ZL29rocblas_internal_gemmt_kernelIlLi16ELi32ELi8ELc78ELc84ELc76ELb0ELb0E19rocblas_complex_numIdEPKS1_PKS3_PKPS1_EviT_T9_T10_S9_lSB_S9_lSA_T11_S9_li.numbered_sgpr, 45
	.set _ZL29rocblas_internal_gemmt_kernelIlLi16ELi32ELi8ELc78ELc84ELc76ELb0ELb0E19rocblas_complex_numIdEPKS1_PKS3_PKPS1_EviT_T9_T10_S9_lSB_S9_lSA_T11_S9_li.num_named_barrier, 0
	.set _ZL29rocblas_internal_gemmt_kernelIlLi16ELi32ELi8ELc78ELc84ELc76ELb0ELb0E19rocblas_complex_numIdEPKS1_PKS3_PKPS1_EviT_T9_T10_S9_lSB_S9_lSA_T11_S9_li.private_seg_size, 0
	.set _ZL29rocblas_internal_gemmt_kernelIlLi16ELi32ELi8ELc78ELc84ELc76ELb0ELb0E19rocblas_complex_numIdEPKS1_PKS3_PKPS1_EviT_T9_T10_S9_lSB_S9_lSA_T11_S9_li.uses_vcc, 1
	.set _ZL29rocblas_internal_gemmt_kernelIlLi16ELi32ELi8ELc78ELc84ELc76ELb0ELb0E19rocblas_complex_numIdEPKS1_PKS3_PKPS1_EviT_T9_T10_S9_lSB_S9_lSA_T11_S9_li.uses_flat_scratch, 0
	.set _ZL29rocblas_internal_gemmt_kernelIlLi16ELi32ELi8ELc78ELc84ELc76ELb0ELb0E19rocblas_complex_numIdEPKS1_PKS3_PKPS1_EviT_T9_T10_S9_lSB_S9_lSA_T11_S9_li.has_dyn_sized_stack, 0
	.set _ZL29rocblas_internal_gemmt_kernelIlLi16ELi32ELi8ELc78ELc84ELc76ELb0ELb0E19rocblas_complex_numIdEPKS1_PKS3_PKPS1_EviT_T9_T10_S9_lSB_S9_lSA_T11_S9_li.has_recursion, 0
	.set _ZL29rocblas_internal_gemmt_kernelIlLi16ELi32ELi8ELc78ELc84ELc76ELb0ELb0E19rocblas_complex_numIdEPKS1_PKS3_PKPS1_EviT_T9_T10_S9_lSB_S9_lSA_T11_S9_li.has_indirect_call, 0
	.section	.AMDGPU.csdata,"",@progbits
; Kernel info:
; codeLenInByte = 3584
; TotalNumSgprs: 47
; NumVgprs: 135
; ScratchSize: 0
; MemoryBound: 0
; FloatMode: 240
; IeeeMode: 1
; LDSByteSize: 8192 bytes/workgroup (compile time only)
; SGPRBlocks: 0
; VGPRBlocks: 16
; NumSGPRsForWavesPerEU: 47
; NumVGPRsForWavesPerEU: 135
; Occupancy: 10
; WaveLimiterHint : 1
; COMPUTE_PGM_RSRC2:SCRATCH_EN: 0
; COMPUTE_PGM_RSRC2:USER_SGPR: 2
; COMPUTE_PGM_RSRC2:TRAP_HANDLER: 0
; COMPUTE_PGM_RSRC2:TGID_X_EN: 1
; COMPUTE_PGM_RSRC2:TGID_Y_EN: 1
; COMPUTE_PGM_RSRC2:TGID_Z_EN: 1
; COMPUTE_PGM_RSRC2:TIDIG_COMP_CNT: 1
	.section	.text._ZL29rocblas_internal_gemmt_kernelIlLi16ELi32ELi8ELc78ELc67ELc76ELb0ELb1E19rocblas_complex_numIdEPKS1_PKS3_PKPS1_EviT_T9_T10_S9_lSB_S9_lSA_T11_S9_li,"axG",@progbits,_ZL29rocblas_internal_gemmt_kernelIlLi16ELi32ELi8ELc78ELc67ELc76ELb0ELb1E19rocblas_complex_numIdEPKS1_PKS3_PKPS1_EviT_T9_T10_S9_lSB_S9_lSA_T11_S9_li,comdat
	.globl	_ZL29rocblas_internal_gemmt_kernelIlLi16ELi32ELi8ELc78ELc67ELc76ELb0ELb1E19rocblas_complex_numIdEPKS1_PKS3_PKPS1_EviT_T9_T10_S9_lSB_S9_lSA_T11_S9_li ; -- Begin function _ZL29rocblas_internal_gemmt_kernelIlLi16ELi32ELi8ELc78ELc67ELc76ELb0ELb1E19rocblas_complex_numIdEPKS1_PKS3_PKPS1_EviT_T9_T10_S9_lSB_S9_lSA_T11_S9_li
	.p2align	8
	.type	_ZL29rocblas_internal_gemmt_kernelIlLi16ELi32ELi8ELc78ELc67ELc76ELb0ELb1E19rocblas_complex_numIdEPKS1_PKS3_PKPS1_EviT_T9_T10_S9_lSB_S9_lSA_T11_S9_li,@function
_ZL29rocblas_internal_gemmt_kernelIlLi16ELi32ELi8ELc78ELc67ELc76ELb0ELb1E19rocblas_complex_numIdEPKS1_PKS3_PKPS1_EviT_T9_T10_S9_lSB_S9_lSA_T11_S9_li: ; @_ZL29rocblas_internal_gemmt_kernelIlLi16ELi32ELi8ELc78ELc67ELc76ELb0ELb1E19rocblas_complex_numIdEPKS1_PKS3_PKPS1_EviT_T9_T10_S9_lSB_S9_lSA_T11_S9_li
; %bb.0:
	s_clause 0x1
	s_load_b256 s[24:31], s[0:1], 0x48
	s_load_b512 s[8:23], s[0:1], 0x8
	s_wait_kmcnt 0x0
	s_load_b128 s[36:39], s[24:25], 0x0
	s_load_b128 s[40:43], s[10:11], 0x0
	s_wait_kmcnt 0x0
	v_cmp_eq_f64_e64 s3, s[36:37], 1.0
	v_cmp_eq_f64_e64 s2, s[38:39], 0
	s_and_b32 s3, s3, s2
	s_delay_alu instid0(SALU_CYCLE_1)
	s_and_not1_b32 vcc_lo, exec_lo, s3
	s_mov_b32 s3, -1
	s_cbranch_vccnz .LBB551_3
; %bb.1:
	s_cmp_lg_u64 s[8:9], 0
	s_cbranch_scc0 .LBB551_39
; %bb.2:
	v_cmp_neq_f64_e64 s3, s[40:41], 0
	v_cmp_neq_f64_e64 s4, s[42:43], 0
	s_or_b32 s3, s3, s4
.LBB551_3:
	s_delay_alu instid0(SALU_CYCLE_1)
	s_and_b32 vcc_lo, exec_lo, s3
	s_cbranch_vccz .LBB551_40
; %bb.4:
	s_load_b32 s24, s[0:1], 0x68
	s_lshr_b32 s6, ttmp7, 16
	s_wait_kmcnt 0x0
	s_cmp_ge_u32 s6, s24
	s_cbranch_scc1 .LBB551_40
; %bb.5:
	v_cmp_neq_f64_e64 s3, s[40:41], 0
	v_cmp_neq_f64_e64 s4, s[42:43], 0
	v_bfe_u32 v9, v0, 10, 10
	s_load_b32 s7, s[0:1], 0x0
	s_lshl_b32 s1, ttmp7, 5
	v_cmp_neq_f64_e64 s5, s[36:37], 0
	s_and_b32 s1, s1, 0x1fffe0
	v_dual_mov_b32 v1, 0 :: v_dual_and_b32 v2, 0x3ff, v0
	v_add_nc_u32_e32 v10, s1, v9
	v_and_b32_e32 v36, 7, v0
	s_lshl_b32 s0, ttmp9, 5
	s_delay_alu instid0(VALU_DEP_3)
	v_lshl_add_u32 v0, v9, 4, v2
	s_wait_alu 0xfffe
	v_add_nc_u32_e32 v6, s0, v2
	v_add_nc_u32_e32 v12, 16, v10
	s_xor_b32 s2, s2, -1
	v_cmp_gt_i64_e64 s10, s[8:9], 0
	v_lshrrev_b32_e32 v38, 5, v0
	v_and_b32_e32 v7, 31, v0
	v_mad_co_u64_u32 v[14:15], null, s28, v12, 0
	v_lshlrev_b32_e32 v37, 4, v2
	v_mad_co_u64_u32 v[2:3], null, s28, v10, 0
	v_lshlrev_b32_e32 v5, 4, v36
	v_lshrrev_b32_e32 v0, 3, v0
	v_or_b32_e32 v4, s0, v7
	v_lshlrev_b32_e32 v7, 4, v7
	v_cmp_le_i32_e32 vcc_lo, v10, v6
	v_lshl_add_u32 v41, v9, 7, 0x1000
	v_add_nc_u32_e32 v16, s1, v0
	v_lshl_or_b32 v11, v0, 7, v5
	v_mov_b32_e32 v0, v3
	v_lshl_or_b32 v39, v38, 9, v7
	v_ashrrev_i32_e32 v5, 31, v4
	s_wait_kmcnt 0x0
	v_cmp_gt_i32_e64 s0, s7, v4
	v_add_nc_u32_e32 v40, 0x1000, v11
	v_mad_co_u64_u32 v[7:8], null, s29, v10, v[0:1]
	v_add_nc_u32_e32 v8, 16, v6
	v_mov_b32_e32 v0, v15
	s_or_b32 s11, s3, s4
	v_cmp_le_i32_e64 s25, s7, v4
	s_or_b32 s28, s5, s2
	v_cmp_le_i32_e64 s3, v10, v8
	v_mad_co_u64_u32 v[10:11], null, s29, v12, v[0:1]
	v_mov_b32_e32 v3, v7
	v_cmp_gt_i32_e64 s4, s7, v8
	v_cmp_le_i32_e64 s5, v12, v8
	v_cmp_gt_i32_e64 s1, s7, v16
	v_ashrrev_i32_e32 v9, 31, v8
	v_dual_mov_b32 v15, v10 :: v_dual_lshlrev_b32 v42, 4, v16
	v_cmp_gt_i32_e64 s2, s7, v6
	v_lshlrev_b64_e32 v[10:11], 4, v[4:5]
	v_ashrrev_i32_e32 v7, 31, v6
	s_and_b32 s33, s3, s4
	v_lshlrev_b64_e32 v[14:15], 4, v[14:15]
	s_and_b32 s29, vcc_lo, s2
	v_cmp_le_i32_e32 vcc_lo, v12, v6
	v_lshlrev_b64_e32 v[12:13], 4, v[2:3]
	s_and_b32 s35, s5, s4
	s_mov_b32 s7, 0
	s_and_b32 s44, s11, s10
	s_and_b32 s34, vcc_lo, s2
	s_lshl_b64 s[2:3], s[22:23], 4
	s_lshl_b64 s[4:5], s[16:17], 4
	;; [unrolled: 1-line block ×3, first 2 shown]
                                        ; implicit-def: $vgpr16_vgpr17
	s_branch .LBB551_7
.LBB551_6:                              ;   in Loop: Header=BB551_7 Depth=1
	s_wait_alu 0xfffe
	s_or_b32 exec_lo, exec_lo, s16
	s_add_co_i32 s6, s6, 0x10000
	s_wait_alu 0xfffe
	s_cmp_lt_u32 s6, s24
	s_cbranch_scc0 .LBB551_40
.LBB551_7:                              ; =>This Loop Header: Depth=1
                                        ;     Child Loop BB551_10 Depth 2
	s_wait_alu 0xfffe
	s_lshl_b64 s[16:17], s[6:7], 3
	v_mov_b32_e32 v32, 0
	s_wait_alu 0xfffe
	s_add_nc_u64 s[22:23], s[26:27], s[16:17]
	v_mov_b32_e32 v33, 0
	global_load_b64 v[18:19], v1, s[22:23]
	s_and_not1_b32 vcc_lo, exec_lo, s44
	s_wait_alu 0xfffe
	s_cbranch_vccnz .LBB551_18
; %bb.8:                                ;   in Loop: Header=BB551_7 Depth=1
	s_add_nc_u64 s[22:23], s[12:13], s[16:17]
	s_add_nc_u64 s[16:17], s[18:19], s[16:17]
	s_clause 0x1
	global_load_b64 v[2:3], v1, s[22:23]
	global_load_b64 v[4:5], v1, s[16:17]
	v_mov_b32_e32 v20, 0
	v_mov_b32_e32 v26, 0
	;; [unrolled: 1-line block ×3, first 2 shown]
	v_dual_mov_b32 v34, 0 :: v_dual_mov_b32 v21, 0
	v_dual_mov_b32 v22, 0 :: v_dual_mov_b32 v27, 0
	;; [unrolled: 1-line block ×5, first 2 shown]
	v_mov_b32_e32 v25, 0
	v_mov_b32_e32 v29, 0
	;; [unrolled: 1-line block ×3, first 2 shown]
	s_mov_b64 s[16:17], 0
	s_wait_loadcnt 0x1
	v_add_co_u32 v0, vcc_lo, v2, s4
	s_wait_alu 0xfffd
	v_add_co_ci_u32_e64 v2, null, s5, v3, vcc_lo
	s_wait_loadcnt 0x0
	v_add_co_u32 v3, vcc_lo, v4, s2
	s_wait_alu 0xfffd
	v_add_co_ci_u32_e64 v4, null, s3, v5, vcc_lo
	v_add_co_u32 v43, vcc_lo, v0, v10
	s_wait_alu 0xfffd
	v_add_co_ci_u32_e64 v44, null, v2, v11, vcc_lo
	;; [unrolled: 3-line block ×3, first 2 shown]
	s_branch .LBB551_10
.LBB551_9:                              ;   in Loop: Header=BB551_10 Depth=2
	s_or_b32 exec_lo, exec_lo, s22
	ds_store_b128 v40, v[2:5]
	s_wait_dscnt 0x0
	s_barrier_signal -1
	s_barrier_wait -1
	global_inv scope:SCOPE_SE
	ds_load_b128 v[2:5], v41
	ds_load_b128 v[47:50], v37
	ds_load_b128 v[51:54], v37 offset:256
	ds_load_b128 v[55:58], v41 offset:2048
	;; [unrolled: 1-line block ×10, first 2 shown]
	s_add_nc_u64 s[16:17], s[16:17], 8
	s_wait_alu 0xfffe
	v_cmp_gt_i64_e64 s22, s[8:9], s[16:17]
	s_and_b32 vcc_lo, exec_lo, s22
	s_wait_dscnt 0xa
	v_mul_f64_e32 v[91:92], v[4:5], v[49:50]
	v_mul_f64_e32 v[93:94], v[2:3], v[49:50]
	s_wait_dscnt 0x9
	v_mul_f64_e32 v[95:96], v[4:5], v[53:54]
	v_mul_f64_e32 v[97:98], v[2:3], v[53:54]
	;; [unrolled: 3-line block ×3, first 2 shown]
	v_mul_f64_e32 v[101:102], v[57:58], v[53:54]
	v_mul_f64_e32 v[53:54], v[55:56], v[53:54]
	s_wait_dscnt 0x5
	v_mul_f64_e32 v[103:104], v[61:62], v[69:70]
	v_mul_f64_e32 v[105:106], v[59:60], v[69:70]
	s_wait_dscnt 0x4
	v_mul_f64_e32 v[107:108], v[61:62], v[73:74]
	v_mul_f64_e32 v[109:110], v[59:60], v[73:74]
	;; [unrolled: 1-line block ×6, first 2 shown]
	s_wait_dscnt 0x2
	v_mul_f64_e32 v[119:120], v[77:78], v[81:82]
	v_mul_f64_e32 v[121:122], v[75:76], v[81:82]
	s_wait_dscnt 0x1
	v_mul_f64_e32 v[123:124], v[77:78], v[85:86]
	v_mul_f64_e32 v[125:126], v[75:76], v[85:86]
	;; [unrolled: 3-line block ×3, first 2 shown]
	v_mul_f64_e32 v[129:130], v[89:90], v[85:86]
	v_mul_f64_e32 v[85:86], v[87:88], v[85:86]
	v_fma_f64 v[91:92], v[2:3], v[47:48], -v[91:92]
	v_fma_f64 v[93:94], v[4:5], v[47:48], v[93:94]
	v_fma_f64 v[95:96], v[2:3], v[51:52], -v[95:96]
	v_fma_f64 v[97:98], v[4:5], v[51:52], v[97:98]
	;; [unrolled: 2-line block ×8, first 2 shown]
	ds_load_b128 v[2:5], v41 offset:48
	ds_load_b128 v[47:50], v37 offset:1536
	;; [unrolled: 1-line block ×4, first 2 shown]
	v_fma_f64 v[119:120], v[75:76], v[79:80], -v[119:120]
	v_fma_f64 v[121:122], v[77:78], v[79:80], v[121:122]
	v_fma_f64 v[75:76], v[75:76], v[83:84], -v[123:124]
	v_fma_f64 v[77:78], v[77:78], v[83:84], v[125:126]
	;; [unrolled: 2-line block ×4, first 2 shown]
	s_wait_dscnt 0x2
	v_mul_f64_e32 v[109:110], v[2:3], v[49:50]
	s_wait_dscnt 0x1
	v_mul_f64_e32 v[111:112], v[4:5], v[53:54]
	v_mul_f64_e32 v[113:114], v[2:3], v[53:54]
	v_add_f64_e32 v[69:70], v[32:33], v[91:92]
	v_add_f64_e32 v[71:72], v[93:94], v[34:35]
	;; [unrolled: 1-line block ×8, first 2 shown]
	v_mul_f64_e32 v[101:102], v[4:5], v[49:50]
	s_wait_dscnt 0x0
	v_mul_f64_e32 v[115:116], v[57:58], v[49:50]
	v_mul_f64_e32 v[49:50], v[55:56], v[49:50]
	;; [unrolled: 1-line block ×4, first 2 shown]
	ds_load_b128 v[20:23], v41 offset:64
	ds_load_b128 v[24:27], v37 offset:2048
	;; [unrolled: 1-line block ×4, first 2 shown]
	s_wait_dscnt 0x1
	v_mul_f64_e32 v[125:126], v[20:21], v[30:31]
	s_wait_dscnt 0x0
	v_mul_f64_e32 v[127:128], v[34:35], v[26:27]
	v_mul_f64_e32 v[129:130], v[34:35], v[30:31]
	v_fma_f64 v[109:110], v[4:5], v[47:48], v[109:110]
	v_fma_f64 v[111:112], v[2:3], v[51:52], -v[111:112]
	v_fma_f64 v[113:114], v[4:5], v[51:52], v[113:114]
	v_add_f64_e32 v[85:86], v[69:70], v[103:104]
	v_add_f64_e32 v[87:88], v[105:106], v[71:72]
	;; [unrolled: 1-line block ×8, first 2 shown]
	v_mul_f64_e32 v[103:104], v[22:23], v[26:27]
	v_mul_f64_e32 v[105:106], v[20:21], v[26:27]
	;; [unrolled: 1-line block ×5, first 2 shown]
	v_fma_f64 v[101:102], v[2:3], v[47:48], -v[101:102]
	v_fma_f64 v[115:116], v[55:56], v[47:48], -v[115:116]
	v_fma_f64 v[131:132], v[57:58], v[47:48], v[49:50]
	v_fma_f64 v[117:118], v[55:56], v[51:52], -v[117:118]
	v_fma_f64 v[133:134], v[57:58], v[51:52], v[53:54]
	ds_load_b128 v[59:62], v41 offset:80
	ds_load_b128 v[63:66], v37 offset:2560
	;; [unrolled: 1-line block ×8, first 2 shown]
	v_add_f64_e32 v[85:86], v[85:86], v[119:120]
	v_add_f64_e32 v[87:88], v[121:122], v[87:88]
	;; [unrolled: 1-line block ×8, first 2 shown]
	s_wait_dscnt 0x6
	v_mul_f64_e32 v[91:92], v[61:62], v[65:66]
	v_mul_f64_e32 v[93:94], v[59:60], v[65:66]
	s_wait_dscnt 0x5
	v_mul_f64_e32 v[95:96], v[61:62], v[69:70]
	v_mul_f64_e32 v[97:98], v[59:60], v[69:70]
	;; [unrolled: 3-line block ×3, first 2 shown]
	v_mul_f64_e32 v[119:120], v[73:74], v[69:70]
	v_mul_f64_e32 v[69:70], v[71:72], v[69:70]
	v_fma_f64 v[103:104], v[20:21], v[24:25], -v[103:104]
	v_fma_f64 v[105:106], v[22:23], v[24:25], v[105:106]
	v_fma_f64 v[107:108], v[20:21], v[28:29], -v[107:108]
	v_fma_f64 v[121:122], v[22:23], v[28:29], v[125:126]
	v_fma_f64 v[123:124], v[32:33], v[24:25], -v[127:128]
	v_fma_f64 v[125:126], v[34:35], v[24:25], v[26:27]
	v_fma_f64 v[127:128], v[32:33], v[28:29], -v[129:130]
	v_fma_f64 v[129:130], v[34:35], v[28:29], v[30:31]
	ds_load_b128 v[20:23], v41 offset:112
	ds_load_b128 v[24:27], v37 offset:3584
	;; [unrolled: 1-line block ×4, first 2 shown]
	s_wait_loadcnt_dscnt 0x0
	s_barrier_signal -1
	s_barrier_wait -1
	global_inv scope:SCOPE_SE
	v_add_f64_e32 v[85:86], v[85:86], v[101:102]
	v_add_f64_e32 v[87:88], v[109:110], v[87:88]
	;; [unrolled: 1-line block ×8, first 2 shown]
	v_mul_f64_e32 v[101:102], v[4:5], v[49:50]
	v_mul_f64_e32 v[109:110], v[2:3], v[49:50]
	;; [unrolled: 1-line block ×8, first 2 shown]
	v_fma_f64 v[91:92], v[59:60], v[63:64], -v[91:92]
	v_fma_f64 v[93:94], v[61:62], v[63:64], v[93:94]
	v_fma_f64 v[59:60], v[59:60], v[67:68], -v[95:96]
	v_fma_f64 v[61:62], v[61:62], v[67:68], v[97:98]
	;; [unrolled: 2-line block ×4, first 2 shown]
	v_mul_f64_e32 v[97:98], v[20:21], v[30:31]
	v_mul_f64_e32 v[99:100], v[34:35], v[26:27]
	v_add_f64_e32 v[69:70], v[85:86], v[103:104]
	v_add_f64_e32 v[71:72], v[105:106], v[87:88]
	;; [unrolled: 1-line block ×8, first 2 shown]
	v_mul_f64_e32 v[85:86], v[22:23], v[26:27]
	v_mul_f64_e32 v[87:88], v[20:21], v[26:27]
	;; [unrolled: 1-line block ×6, first 2 shown]
	v_fma_f64 v[101:102], v[2:3], v[47:48], -v[101:102]
	v_fma_f64 v[105:106], v[4:5], v[47:48], v[109:110]
	v_fma_f64 v[2:3], v[2:3], v[51:52], -v[111:112]
	v_fma_f64 v[4:5], v[4:5], v[51:52], v[113:114]
	;; [unrolled: 2-line block ×4, first 2 shown]
	v_add_f64_e32 v[53:54], v[69:70], v[91:92]
	v_add_f64_e32 v[55:56], v[93:94], v[71:72]
	;; [unrolled: 1-line block ×8, first 2 shown]
	v_fma_f64 v[69:70], v[20:21], v[24:25], -v[85:86]
	v_fma_f64 v[71:72], v[22:23], v[24:25], v[87:88]
	v_fma_f64 v[20:21], v[20:21], v[28:29], -v[89:90]
	v_fma_f64 v[22:23], v[22:23], v[28:29], v[97:98]
	;; [unrolled: 2-line block ×4, first 2 shown]
	v_add_f64_e32 v[24:25], v[53:54], v[101:102]
	v_add_f64_e32 v[28:29], v[105:106], v[55:56]
	v_add_f64_e32 v[2:3], v[57:58], v[2:3]
	v_add_f64_e32 v[4:5], v[4:5], v[59:60]
	v_add_f64_e32 v[53:54], v[61:62], v[107:108]
	v_add_f64_e32 v[47:48], v[47:48], v[63:64]
	v_add_f64_e32 v[49:50], v[65:66], v[49:50]
	v_add_f64_e32 v[51:52], v[51:52], v[67:68]
	v_add_f64_e32 v[32:33], v[24:25], v[69:70]
	v_add_f64_e32 v[34:35], v[71:72], v[28:29]
	v_add_f64_e32 v[28:29], v[2:3], v[20:21]
	v_add_f64_e32 v[30:31], v[22:23], v[4:5]
	v_add_f64_e32 v[24:25], v[53:54], v[73:74]
	v_add_f64_e32 v[26:27], v[26:27], v[47:48]
	v_add_f64_e32 v[22:23], v[49:50], v[75:76]
	v_add_f64_e32 v[20:21], v[77:78], v[51:52]
	s_wait_alu 0xfffe
	s_cbranch_vccz .LBB551_19
.LBB551_10:                             ;   Parent Loop BB551_7 Depth=1
                                        ; =>  This Inner Loop Header: Depth=2
	s_mov_b32 s22, 0
	s_mov_b32 s30, s25
	s_and_saveexec_b32 s23, s0
	s_cbranch_execnz .LBB551_16
; %bb.11:                               ;   in Loop: Header=BB551_10 Depth=2
	s_or_b32 exec_lo, exec_lo, s23
	s_and_saveexec_b32 s23, s30
	s_delay_alu instid0(SALU_CYCLE_1)
	s_xor_b32 s23, exec_lo, s23
	s_cbranch_execnz .LBB551_17
.LBB551_12:                             ;   in Loop: Header=BB551_10 Depth=2
	s_or_b32 exec_lo, exec_lo, s23
	s_and_saveexec_b32 s23, s22
	s_cbranch_execz .LBB551_14
.LBB551_13:                             ;   in Loop: Header=BB551_10 Depth=2
	v_mul_lo_u32 v0, s15, v16
	v_mul_lo_u32 v4, s14, v17
	v_mad_co_u64_u32 v[2:3], null, s14, v16, 0
	s_delay_alu instid0(VALU_DEP_1) | instskip(NEXT) | instid1(VALU_DEP_1)
	v_add3_u32 v3, v3, v4, v0
	v_lshlrev_b64_e32 v[2:3], 4, v[2:3]
	s_delay_alu instid0(VALU_DEP_1) | instskip(SKIP_1) | instid1(VALU_DEP_2)
	v_add_co_u32 v2, vcc_lo, v43, v2
	s_wait_alu 0xfffd
	v_add_co_ci_u32_e64 v3, null, v44, v3, vcc_lo
	flat_load_b128 v[2:5], v[2:3]
	s_wait_loadcnt_dscnt 0x0
	ds_store_2addr_b64 v39, v[2:3], v[4:5] offset1:1
.LBB551_14:                             ;   in Loop: Header=BB551_10 Depth=2
	s_or_b32 exec_lo, exec_lo, s23
	s_wait_alu 0xfffe
	v_add_nc_u32_e32 v0, s16, v36
	v_mov_b32_e32 v2, 0
	v_dual_mov_b32 v3, 0 :: v_dual_mov_b32 v4, 0
	v_mov_b32_e32 v5, 0
	s_delay_alu instid0(VALU_DEP_4) | instskip(SKIP_1) | instid1(SALU_CYCLE_1)
	v_cmp_gt_u64_e32 vcc_lo, s[8:9], v[0:1]
	s_and_b32 s23, vcc_lo, s1
	s_and_saveexec_b32 s22, s23
	s_cbranch_execz .LBB551_9
; %bb.15:                               ;   in Loop: Header=BB551_10 Depth=2
	v_mad_co_u64_u32 v[2:3], null, s20, v0, 0
	s_delay_alu instid0(VALU_DEP_1) | instskip(NEXT) | instid1(VALU_DEP_1)
	v_mad_co_u64_u32 v[3:4], null, s21, v0, v[3:4]
	v_lshlrev_b64_e32 v[2:3], 4, v[2:3]
	s_delay_alu instid0(VALU_DEP_1) | instskip(SKIP_1) | instid1(VALU_DEP_2)
	v_add_co_u32 v2, vcc_lo, v45, v2
	s_wait_alu 0xfffd
	v_add_co_ci_u32_e64 v3, null, v46, v3, vcc_lo
	flat_load_b128 v[2:5], v[2:3]
	s_wait_loadcnt_dscnt 0x0
	v_xor_b32_e32 v5, 0x80000000, v5
	s_branch .LBB551_9
.LBB551_16:                             ;   in Loop: Header=BB551_10 Depth=2
	s_wait_alu 0xfffe
	v_add_nc_u32_e32 v0, s16, v38
	v_mov_b32_e32 v17, v1
	s_and_not1_b32 s30, s25, exec_lo
	s_mov_b32 s22, exec_lo
	s_delay_alu instid0(VALU_DEP_2) | instskip(SKIP_2) | instid1(SALU_CYCLE_1)
	v_cmp_le_u64_e32 vcc_lo, s[8:9], v[0:1]
	v_mov_b32_e32 v16, v0
	s_and_b32 s31, vcc_lo, exec_lo
	s_or_b32 s30, s30, s31
	s_or_b32 exec_lo, exec_lo, s23
	s_and_saveexec_b32 s23, s30
	s_delay_alu instid0(SALU_CYCLE_1)
	s_xor_b32 s23, exec_lo, s23
	s_cbranch_execz .LBB551_12
.LBB551_17:                             ;   in Loop: Header=BB551_10 Depth=2
	v_dual_mov_b32 v0, v1 :: v_dual_mov_b32 v3, v1
	v_mov_b32_e32 v2, v1
	s_and_not1_b32 s22, s22, exec_lo
	ds_store_b128 v39, v[0:3]
	s_or_b32 exec_lo, exec_lo, s23
	s_and_saveexec_b32 s23, s22
	s_cbranch_execnz .LBB551_13
	s_branch .LBB551_14
.LBB551_18:                             ;   in Loop: Header=BB551_7 Depth=1
	v_mov_b32_e32 v34, 0
	v_mov_b32_e32 v30, 0
	v_dual_mov_b32 v26, 0 :: v_dual_mov_b32 v35, 0
	v_dual_mov_b32 v28, 0 :: v_dual_mov_b32 v31, 0
	;; [unrolled: 1-line block ×3, first 2 shown]
	v_mov_b32_e32 v22, 0
	v_dual_mov_b32 v20, 0 :: v_dual_mov_b32 v29, 0
	v_mov_b32_e32 v25, 0
	v_mov_b32_e32 v23, 0
	;; [unrolled: 1-line block ×3, first 2 shown]
.LBB551_19:                             ;   in Loop: Header=BB551_7 Depth=1
	s_wait_loadcnt 0x0
	v_add_co_u32 v0, vcc_lo, v18, s10
	s_wait_alu 0xfffd
	v_add_co_ci_u32_e64 v18, null, s11, v19, vcc_lo
	s_delay_alu instid0(VALU_DEP_2) | instskip(SKIP_1) | instid1(VALU_DEP_2)
	v_add_co_u32 v19, vcc_lo, v0, v12
	s_wait_alu 0xfffd
	v_add_co_ci_u32_e64 v43, null, v18, v13, vcc_lo
	s_and_saveexec_b32 s16, s29
	s_cbranch_execz .LBB551_24
; %bb.20:                               ;   in Loop: Header=BB551_7 Depth=1
	v_mul_f64_e32 v[2:3], s[42:43], v[34:35]
	v_mul_f64_e32 v[4:5], s[40:41], v[34:35]
	s_and_b32 vcc_lo, exec_lo, s28
	s_mov_b32 s17, -1
	s_delay_alu instid0(VALU_DEP_2) | instskip(NEXT) | instid1(VALU_DEP_2)
	v_fma_f64 v[2:3], s[40:41], v[32:33], -v[2:3]
	v_fma_f64 v[4:5], s[42:43], v[32:33], v[4:5]
	s_wait_alu 0xfffe
	s_cbranch_vccz .LBB551_22
; %bb.21:                               ;   in Loop: Header=BB551_7 Depth=1
	v_lshlrev_b64_e32 v[32:33], 4, v[6:7]
	s_mov_b32 s17, 0
	s_delay_alu instid0(VALU_DEP_1) | instskip(SKIP_1) | instid1(VALU_DEP_2)
	v_add_co_u32 v44, vcc_lo, v19, v32
	s_wait_alu 0xfffd
	v_add_co_ci_u32_e64 v45, null, v43, v33, vcc_lo
	flat_load_b128 v[32:35], v[44:45]
	s_wait_loadcnt_dscnt 0x0
	v_mul_f64_e32 v[46:47], s[38:39], v[34:35]
	v_mul_f64_e32 v[34:35], s[36:37], v[34:35]
	s_delay_alu instid0(VALU_DEP_2) | instskip(NEXT) | instid1(VALU_DEP_2)
	v_fma_f64 v[46:47], s[36:37], v[32:33], -v[46:47]
	v_fma_f64 v[34:35], s[38:39], v[32:33], v[34:35]
	s_delay_alu instid0(VALU_DEP_2) | instskip(NEXT) | instid1(VALU_DEP_2)
	v_add_f64_e32 v[32:33], v[2:3], v[46:47]
	v_add_f64_e32 v[34:35], v[4:5], v[34:35]
	flat_store_b128 v[44:45], v[32:35]
.LBB551_22:                             ;   in Loop: Header=BB551_7 Depth=1
	s_wait_alu 0xfffe
	s_and_not1_b32 vcc_lo, exec_lo, s17
	s_wait_alu 0xfffe
	s_cbranch_vccnz .LBB551_24
; %bb.23:                               ;   in Loop: Header=BB551_7 Depth=1
	v_lshlrev_b64_e32 v[32:33], 4, v[6:7]
	s_delay_alu instid0(VALU_DEP_1) | instskip(SKIP_1) | instid1(VALU_DEP_2)
	v_add_co_u32 v32, vcc_lo, v19, v32
	s_wait_alu 0xfffd
	v_add_co_ci_u32_e64 v33, null, v43, v33, vcc_lo
	flat_store_b128 v[32:33], v[2:5]
.LBB551_24:                             ;   in Loop: Header=BB551_7 Depth=1
	s_wait_alu 0xfffe
	s_or_b32 exec_lo, exec_lo, s16
	s_and_saveexec_b32 s16, s33
	s_cbranch_execz .LBB551_29
; %bb.25:                               ;   in Loop: Header=BB551_7 Depth=1
	v_mul_f64_e32 v[2:3], s[42:43], v[30:31]
	v_mul_f64_e32 v[4:5], s[40:41], v[30:31]
	s_and_not1_b32 vcc_lo, exec_lo, s28
	s_mov_b32 s17, -1
	s_delay_alu instid0(VALU_DEP_2) | instskip(NEXT) | instid1(VALU_DEP_2)
	v_fma_f64 v[2:3], s[40:41], v[28:29], -v[2:3]
	v_fma_f64 v[4:5], s[42:43], v[28:29], v[4:5]
	s_wait_alu 0xfffe
	s_cbranch_vccnz .LBB551_27
; %bb.26:                               ;   in Loop: Header=BB551_7 Depth=1
	v_lshlrev_b64_e32 v[28:29], 4, v[8:9]
	s_mov_b32 s17, 0
	s_delay_alu instid0(VALU_DEP_1) | instskip(SKIP_1) | instid1(VALU_DEP_2)
	v_add_co_u32 v32, vcc_lo, v19, v28
	s_wait_alu 0xfffd
	v_add_co_ci_u32_e64 v33, null, v43, v29, vcc_lo
	flat_load_b128 v[28:31], v[32:33]
	s_wait_loadcnt_dscnt 0x0
	v_mul_f64_e32 v[34:35], s[38:39], v[30:31]
	v_mul_f64_e32 v[30:31], s[36:37], v[30:31]
	s_delay_alu instid0(VALU_DEP_2) | instskip(NEXT) | instid1(VALU_DEP_2)
	v_fma_f64 v[34:35], s[36:37], v[28:29], -v[34:35]
	v_fma_f64 v[30:31], s[38:39], v[28:29], v[30:31]
	s_delay_alu instid0(VALU_DEP_2) | instskip(NEXT) | instid1(VALU_DEP_2)
	v_add_f64_e32 v[28:29], v[2:3], v[34:35]
	v_add_f64_e32 v[30:31], v[4:5], v[30:31]
	flat_store_b128 v[32:33], v[28:31]
.LBB551_27:                             ;   in Loop: Header=BB551_7 Depth=1
	s_wait_alu 0xfffe
	s_and_not1_b32 vcc_lo, exec_lo, s17
	s_wait_alu 0xfffe
	s_cbranch_vccnz .LBB551_29
; %bb.28:                               ;   in Loop: Header=BB551_7 Depth=1
	v_lshlrev_b64_e32 v[28:29], 4, v[8:9]
	s_delay_alu instid0(VALU_DEP_1) | instskip(SKIP_1) | instid1(VALU_DEP_2)
	v_add_co_u32 v28, vcc_lo, v19, v28
	s_wait_alu 0xfffd
	v_add_co_ci_u32_e64 v29, null, v43, v29, vcc_lo
	flat_store_b128 v[28:29], v[2:5]
.LBB551_29:                             ;   in Loop: Header=BB551_7 Depth=1
	s_wait_alu 0xfffe
	s_or_b32 exec_lo, exec_lo, s16
	v_add_co_u32 v0, vcc_lo, v0, v14
	s_wait_alu 0xfffd
	v_add_co_ci_u32_e64 v28, null, v18, v15, vcc_lo
	s_and_saveexec_b32 s16, s34
	s_cbranch_execz .LBB551_34
; %bb.30:                               ;   in Loop: Header=BB551_7 Depth=1
	v_mul_f64_e32 v[2:3], s[42:43], v[26:27]
	v_mul_f64_e32 v[4:5], s[40:41], v[26:27]
	v_lshlrev_b64_e32 v[18:19], 4, v[6:7]
	s_and_not1_b32 vcc_lo, exec_lo, s28
	s_mov_b32 s17, -1
	s_delay_alu instid0(VALU_DEP_3) | instskip(NEXT) | instid1(VALU_DEP_3)
	v_fma_f64 v[2:3], s[40:41], v[24:25], -v[2:3]
	v_fma_f64 v[4:5], s[42:43], v[24:25], v[4:5]
	s_wait_alu 0xfffe
	s_cbranch_vccnz .LBB551_32
; %bb.31:                               ;   in Loop: Header=BB551_7 Depth=1
	v_add_co_u32 v29, vcc_lo, v0, v18
	s_wait_alu 0xfffd
	v_add_co_ci_u32_e64 v30, null, v28, v19, vcc_lo
	s_mov_b32 s17, 0
	flat_load_b128 v[24:27], v[29:30]
	s_wait_loadcnt_dscnt 0x0
	v_mul_f64_e32 v[31:32], s[38:39], v[26:27]
	v_mul_f64_e32 v[26:27], s[36:37], v[26:27]
	s_delay_alu instid0(VALU_DEP_2) | instskip(NEXT) | instid1(VALU_DEP_2)
	v_fma_f64 v[31:32], s[36:37], v[24:25], -v[31:32]
	v_fma_f64 v[26:27], s[38:39], v[24:25], v[26:27]
	s_delay_alu instid0(VALU_DEP_2) | instskip(NEXT) | instid1(VALU_DEP_2)
	v_add_f64_e32 v[24:25], v[2:3], v[31:32]
	v_add_f64_e32 v[26:27], v[4:5], v[26:27]
	flat_store_b128 v[29:30], v[24:27]
.LBB551_32:                             ;   in Loop: Header=BB551_7 Depth=1
	s_wait_alu 0xfffe
	s_and_not1_b32 vcc_lo, exec_lo, s17
	s_wait_alu 0xfffe
	s_cbranch_vccnz .LBB551_34
; %bb.33:                               ;   in Loop: Header=BB551_7 Depth=1
	v_add_co_u32 v18, vcc_lo, v0, v18
	s_wait_alu 0xfffd
	v_add_co_ci_u32_e64 v19, null, v28, v19, vcc_lo
	flat_store_b128 v[18:19], v[2:5]
.LBB551_34:                             ;   in Loop: Header=BB551_7 Depth=1
	s_wait_alu 0xfffe
	s_or_b32 exec_lo, exec_lo, s16
	s_and_saveexec_b32 s16, s35
	s_cbranch_execz .LBB551_6
; %bb.35:                               ;   in Loop: Header=BB551_7 Depth=1
	v_mul_f64_e32 v[2:3], s[42:43], v[20:21]
	v_mul_f64_e32 v[4:5], s[40:41], v[20:21]
	v_lshlrev_b64_e32 v[18:19], 4, v[8:9]
	s_and_not1_b32 vcc_lo, exec_lo, s28
	s_mov_b32 s17, -1
	s_delay_alu instid0(VALU_DEP_3) | instskip(NEXT) | instid1(VALU_DEP_3)
	v_fma_f64 v[2:3], s[40:41], v[22:23], -v[2:3]
	v_fma_f64 v[4:5], s[42:43], v[22:23], v[4:5]
	s_wait_alu 0xfffe
	s_cbranch_vccnz .LBB551_37
; %bb.36:                               ;   in Loop: Header=BB551_7 Depth=1
	v_add_co_u32 v24, vcc_lo, v0, v18
	s_wait_alu 0xfffd
	v_add_co_ci_u32_e64 v25, null, v28, v19, vcc_lo
	s_mov_b32 s17, 0
	flat_load_b128 v[20:23], v[24:25]
	s_wait_loadcnt_dscnt 0x0
	v_mul_f64_e32 v[26:27], s[38:39], v[22:23]
	v_mul_f64_e32 v[22:23], s[36:37], v[22:23]
	s_delay_alu instid0(VALU_DEP_2) | instskip(NEXT) | instid1(VALU_DEP_2)
	v_fma_f64 v[26:27], s[36:37], v[20:21], -v[26:27]
	v_fma_f64 v[22:23], s[38:39], v[20:21], v[22:23]
	s_delay_alu instid0(VALU_DEP_2) | instskip(NEXT) | instid1(VALU_DEP_2)
	v_add_f64_e32 v[20:21], v[2:3], v[26:27]
	v_add_f64_e32 v[22:23], v[4:5], v[22:23]
	flat_store_b128 v[24:25], v[20:23]
.LBB551_37:                             ;   in Loop: Header=BB551_7 Depth=1
	s_wait_alu 0xfffe
	s_and_not1_b32 vcc_lo, exec_lo, s17
	s_wait_alu 0xfffe
	s_cbranch_vccnz .LBB551_6
; %bb.38:                               ;   in Loop: Header=BB551_7 Depth=1
	v_add_co_u32 v18, vcc_lo, v0, v18
	s_wait_alu 0xfffd
	v_add_co_ci_u32_e64 v19, null, v28, v19, vcc_lo
	flat_store_b128 v[18:19], v[2:5]
	s_branch .LBB551_6
.LBB551_39:
.LBB551_40:
	s_nop 0
	s_sendmsg sendmsg(MSG_DEALLOC_VGPRS)
	s_endpgm
	.section	.rodata,"a",@progbits
	.p2align	6, 0x0
	.amdhsa_kernel _ZL29rocblas_internal_gemmt_kernelIlLi16ELi32ELi8ELc78ELc67ELc76ELb0ELb1E19rocblas_complex_numIdEPKS1_PKS3_PKPS1_EviT_T9_T10_S9_lSB_S9_lSA_T11_S9_li
		.amdhsa_group_segment_fixed_size 8192
		.amdhsa_private_segment_fixed_size 0
		.amdhsa_kernarg_size 108
		.amdhsa_user_sgpr_count 2
		.amdhsa_user_sgpr_dispatch_ptr 0
		.amdhsa_user_sgpr_queue_ptr 0
		.amdhsa_user_sgpr_kernarg_segment_ptr 1
		.amdhsa_user_sgpr_dispatch_id 0
		.amdhsa_user_sgpr_private_segment_size 0
		.amdhsa_wavefront_size32 1
		.amdhsa_uses_dynamic_stack 0
		.amdhsa_enable_private_segment 0
		.amdhsa_system_sgpr_workgroup_id_x 1
		.amdhsa_system_sgpr_workgroup_id_y 1
		.amdhsa_system_sgpr_workgroup_id_z 1
		.amdhsa_system_sgpr_workgroup_info 0
		.amdhsa_system_vgpr_workitem_id 1
		.amdhsa_next_free_vgpr 135
		.amdhsa_next_free_sgpr 45
		.amdhsa_reserve_vcc 1
		.amdhsa_float_round_mode_32 0
		.amdhsa_float_round_mode_16_64 0
		.amdhsa_float_denorm_mode_32 3
		.amdhsa_float_denorm_mode_16_64 3
		.amdhsa_fp16_overflow 0
		.amdhsa_workgroup_processor_mode 1
		.amdhsa_memory_ordered 1
		.amdhsa_forward_progress 1
		.amdhsa_inst_pref_size 28
		.amdhsa_round_robin_scheduling 0
		.amdhsa_exception_fp_ieee_invalid_op 0
		.amdhsa_exception_fp_denorm_src 0
		.amdhsa_exception_fp_ieee_div_zero 0
		.amdhsa_exception_fp_ieee_overflow 0
		.amdhsa_exception_fp_ieee_underflow 0
		.amdhsa_exception_fp_ieee_inexact 0
		.amdhsa_exception_int_div_zero 0
	.end_amdhsa_kernel
	.section	.text._ZL29rocblas_internal_gemmt_kernelIlLi16ELi32ELi8ELc78ELc67ELc76ELb0ELb1E19rocblas_complex_numIdEPKS1_PKS3_PKPS1_EviT_T9_T10_S9_lSB_S9_lSA_T11_S9_li,"axG",@progbits,_ZL29rocblas_internal_gemmt_kernelIlLi16ELi32ELi8ELc78ELc67ELc76ELb0ELb1E19rocblas_complex_numIdEPKS1_PKS3_PKPS1_EviT_T9_T10_S9_lSB_S9_lSA_T11_S9_li,comdat
.Lfunc_end551:
	.size	_ZL29rocblas_internal_gemmt_kernelIlLi16ELi32ELi8ELc78ELc67ELc76ELb0ELb1E19rocblas_complex_numIdEPKS1_PKS3_PKPS1_EviT_T9_T10_S9_lSB_S9_lSA_T11_S9_li, .Lfunc_end551-_ZL29rocblas_internal_gemmt_kernelIlLi16ELi32ELi8ELc78ELc67ELc76ELb0ELb1E19rocblas_complex_numIdEPKS1_PKS3_PKPS1_EviT_T9_T10_S9_lSB_S9_lSA_T11_S9_li
                                        ; -- End function
	.set _ZL29rocblas_internal_gemmt_kernelIlLi16ELi32ELi8ELc78ELc67ELc76ELb0ELb1E19rocblas_complex_numIdEPKS1_PKS3_PKPS1_EviT_T9_T10_S9_lSB_S9_lSA_T11_S9_li.num_vgpr, 135
	.set _ZL29rocblas_internal_gemmt_kernelIlLi16ELi32ELi8ELc78ELc67ELc76ELb0ELb1E19rocblas_complex_numIdEPKS1_PKS3_PKPS1_EviT_T9_T10_S9_lSB_S9_lSA_T11_S9_li.num_agpr, 0
	.set _ZL29rocblas_internal_gemmt_kernelIlLi16ELi32ELi8ELc78ELc67ELc76ELb0ELb1E19rocblas_complex_numIdEPKS1_PKS3_PKPS1_EviT_T9_T10_S9_lSB_S9_lSA_T11_S9_li.numbered_sgpr, 45
	.set _ZL29rocblas_internal_gemmt_kernelIlLi16ELi32ELi8ELc78ELc67ELc76ELb0ELb1E19rocblas_complex_numIdEPKS1_PKS3_PKPS1_EviT_T9_T10_S9_lSB_S9_lSA_T11_S9_li.num_named_barrier, 0
	.set _ZL29rocblas_internal_gemmt_kernelIlLi16ELi32ELi8ELc78ELc67ELc76ELb0ELb1E19rocblas_complex_numIdEPKS1_PKS3_PKPS1_EviT_T9_T10_S9_lSB_S9_lSA_T11_S9_li.private_seg_size, 0
	.set _ZL29rocblas_internal_gemmt_kernelIlLi16ELi32ELi8ELc78ELc67ELc76ELb0ELb1E19rocblas_complex_numIdEPKS1_PKS3_PKPS1_EviT_T9_T10_S9_lSB_S9_lSA_T11_S9_li.uses_vcc, 1
	.set _ZL29rocblas_internal_gemmt_kernelIlLi16ELi32ELi8ELc78ELc67ELc76ELb0ELb1E19rocblas_complex_numIdEPKS1_PKS3_PKPS1_EviT_T9_T10_S9_lSB_S9_lSA_T11_S9_li.uses_flat_scratch, 0
	.set _ZL29rocblas_internal_gemmt_kernelIlLi16ELi32ELi8ELc78ELc67ELc76ELb0ELb1E19rocblas_complex_numIdEPKS1_PKS3_PKPS1_EviT_T9_T10_S9_lSB_S9_lSA_T11_S9_li.has_dyn_sized_stack, 0
	.set _ZL29rocblas_internal_gemmt_kernelIlLi16ELi32ELi8ELc78ELc67ELc76ELb0ELb1E19rocblas_complex_numIdEPKS1_PKS3_PKPS1_EviT_T9_T10_S9_lSB_S9_lSA_T11_S9_li.has_recursion, 0
	.set _ZL29rocblas_internal_gemmt_kernelIlLi16ELi32ELi8ELc78ELc67ELc76ELb0ELb1E19rocblas_complex_numIdEPKS1_PKS3_PKPS1_EviT_T9_T10_S9_lSB_S9_lSA_T11_S9_li.has_indirect_call, 0
	.section	.AMDGPU.csdata,"",@progbits
; Kernel info:
; codeLenInByte = 3556
; TotalNumSgprs: 47
; NumVgprs: 135
; ScratchSize: 0
; MemoryBound: 1
; FloatMode: 240
; IeeeMode: 1
; LDSByteSize: 8192 bytes/workgroup (compile time only)
; SGPRBlocks: 0
; VGPRBlocks: 16
; NumSGPRsForWavesPerEU: 47
; NumVGPRsForWavesPerEU: 135
; Occupancy: 10
; WaveLimiterHint : 1
; COMPUTE_PGM_RSRC2:SCRATCH_EN: 0
; COMPUTE_PGM_RSRC2:USER_SGPR: 2
; COMPUTE_PGM_RSRC2:TRAP_HANDLER: 0
; COMPUTE_PGM_RSRC2:TGID_X_EN: 1
; COMPUTE_PGM_RSRC2:TGID_Y_EN: 1
; COMPUTE_PGM_RSRC2:TGID_Z_EN: 1
; COMPUTE_PGM_RSRC2:TIDIG_COMP_CNT: 1
	.section	.text._ZL29rocblas_internal_gemmt_kernelIlLi16ELi32ELi8ELc84ELc78ELc76ELb0ELb0E19rocblas_complex_numIdEPKS1_PKS3_PKPS1_EviT_T9_T10_S9_lSB_S9_lSA_T11_S9_li,"axG",@progbits,_ZL29rocblas_internal_gemmt_kernelIlLi16ELi32ELi8ELc84ELc78ELc76ELb0ELb0E19rocblas_complex_numIdEPKS1_PKS3_PKPS1_EviT_T9_T10_S9_lSB_S9_lSA_T11_S9_li,comdat
	.globl	_ZL29rocblas_internal_gemmt_kernelIlLi16ELi32ELi8ELc84ELc78ELc76ELb0ELb0E19rocblas_complex_numIdEPKS1_PKS3_PKPS1_EviT_T9_T10_S9_lSB_S9_lSA_T11_S9_li ; -- Begin function _ZL29rocblas_internal_gemmt_kernelIlLi16ELi32ELi8ELc84ELc78ELc76ELb0ELb0E19rocblas_complex_numIdEPKS1_PKS3_PKPS1_EviT_T9_T10_S9_lSB_S9_lSA_T11_S9_li
	.p2align	8
	.type	_ZL29rocblas_internal_gemmt_kernelIlLi16ELi32ELi8ELc84ELc78ELc76ELb0ELb0E19rocblas_complex_numIdEPKS1_PKS3_PKPS1_EviT_T9_T10_S9_lSB_S9_lSA_T11_S9_li,@function
_ZL29rocblas_internal_gemmt_kernelIlLi16ELi32ELi8ELc84ELc78ELc76ELb0ELb0E19rocblas_complex_numIdEPKS1_PKS3_PKPS1_EviT_T9_T10_S9_lSB_S9_lSA_T11_S9_li: ; @_ZL29rocblas_internal_gemmt_kernelIlLi16ELi32ELi8ELc84ELc78ELc76ELb0ELb0E19rocblas_complex_numIdEPKS1_PKS3_PKPS1_EviT_T9_T10_S9_lSB_S9_lSA_T11_S9_li
; %bb.0:
	s_clause 0x1
	s_load_b256 s[24:31], s[0:1], 0x48
	s_load_b512 s[8:23], s[0:1], 0x8
	s_wait_kmcnt 0x0
	s_load_b128 s[36:39], s[24:25], 0x0
	s_load_b128 s[40:43], s[10:11], 0x0
	s_wait_kmcnt 0x0
	v_cmp_eq_f64_e64 s3, s[36:37], 1.0
	v_cmp_eq_f64_e64 s2, s[38:39], 0
	s_and_b32 s3, s3, s2
	s_delay_alu instid0(SALU_CYCLE_1)
	s_and_not1_b32 vcc_lo, exec_lo, s3
	s_mov_b32 s3, -1
	s_cbranch_vccnz .LBB552_3
; %bb.1:
	s_cmp_lg_u64 s[8:9], 0
	s_cbranch_scc0 .LBB552_41
; %bb.2:
	v_cmp_neq_f64_e64 s3, s[40:41], 0
	v_cmp_neq_f64_e64 s4, s[42:43], 0
	s_or_b32 s3, s3, s4
.LBB552_3:
	s_delay_alu instid0(SALU_CYCLE_1)
	s_and_b32 vcc_lo, exec_lo, s3
	s_cbranch_vccz .LBB552_42
; %bb.4:
	s_load_b32 s24, s[0:1], 0x68
	s_lshr_b32 s6, ttmp7, 16
	s_wait_kmcnt 0x0
	s_cmp_ge_u32 s6, s24
	s_cbranch_scc1 .LBB552_42
; %bb.5:
	v_bfe_u32 v8, v0, 10, 10
	s_load_b32 s5, s[0:1], 0x0
	s_lshl_b32 s0, ttmp7, 5
	v_and_b32_e32 v7, 0x3ff, v0
	s_and_b32 s0, s0, 0x1fffe0
	v_cmp_neq_f64_e64 s7, s[36:37], 0
	v_add_nc_u32_e32 v13, s0, v8
	v_cmp_neq_f64_e64 s3, s[40:41], 0
	v_cmp_neq_f64_e64 s4, s[42:43], 0
	s_lshl_b32 s1, ttmp9, 5
	v_lshl_add_u32 v41, v8, 7, 0x1000
	v_mad_co_u64_u32 v[4:5], null, s28, v13, 0
	v_and_b32_e32 v36, 7, v0
	v_lshl_add_u32 v0, v8, 4, v7
	s_wait_alu 0xfffe
	s_ashr_i32 s11, s1, 31
	v_cmp_gt_i64_e64 s10, s[8:9], 0
	s_mul_i32 s11, s14, s11
	v_lshlrev_b32_e32 v12, 4, v36
	v_lshrrev_b32_e32 v1, 3, v0
	v_and_b32_e32 v6, 31, v0
	v_lshrrev_b32_e32 v37, 5, v0
                                        ; implicit-def: $vgpr18_vgpr19
	s_delay_alu instid0(VALU_DEP_3) | instskip(NEXT) | instid1(VALU_DEP_1)
	v_add_nc_u32_e32 v9, s0, v1
	v_mad_co_u64_u32 v[2:3], null, s20, v9, 0
	s_wait_kmcnt 0x0
	v_cmp_gt_i32_e32 vcc_lo, s5, v9
	s_delay_alu instid0(VALU_DEP_2) | instskip(SKIP_2) | instid1(VALU_DEP_3)
	v_mov_b32_e32 v0, v3
	v_lshl_or_b32 v3, v1, 7, v12
	v_lshlrev_b32_e32 v40, 4, v7
	v_mad_co_u64_u32 v[0:1], null, s21, v9, v[0:1]
	v_mov_b32_e32 v1, v5
	v_add_nc_u32_e32 v9, 16, v13
	v_add_nc_u32_e32 v39, 0x1000, v3
	s_delay_alu instid0(VALU_DEP_4) | instskip(NEXT) | instid1(VALU_DEP_4)
	v_mov_b32_e32 v3, v0
	v_mad_co_u64_u32 v[0:1], null, s29, v13, v[1:2]
	s_delay_alu instid0(VALU_DEP_4) | instskip(SKIP_1) | instid1(VALU_DEP_3)
	v_mad_co_u64_u32 v[16:17], null, s28, v9, 0
	v_or_b32_e32 v14, s1, v6
	v_mov_b32_e32 v5, v0
	s_delay_alu instid0(VALU_DEP_2) | instskip(NEXT) | instid1(VALU_DEP_4)
	v_mul_lo_u32 v15, s15, v14
	v_mov_b32_e32 v0, v17
	v_mad_co_u64_u32 v[10:11], null, s14, v14, 0
	v_cmp_gt_i32_e64 s0, s5, v14
	v_cmp_le_i32_e64 s20, s5, v14
	s_delay_alu instid0(VALU_DEP_4)
	v_mad_co_u64_u32 v[0:1], null, s29, v9, v[0:1]
	v_dual_mov_b32 v1, 0 :: v_dual_lshlrev_b32 v6, 4, v6
	v_add3_u32 v11, v11, s11, v15
	s_or_b32 s11, s3, s4
	v_lshlrev_b64_e32 v[14:15], 4, v[4:5]
	s_wait_alu 0xfffe
	s_and_b32 s33, s11, s10
	s_delay_alu instid0(VALU_DEP_4)
	v_mov_b32_e32 v17, v0
	v_lshl_or_b32 v38, v37, 9, v6
	v_add_nc_u32_e32 v6, s1, v7
	s_xor_b32 s1, s2, -1
	v_lshlrev_b64_e32 v[10:11], 4, v[10:11]
	s_wait_alu 0xfffe
	s_or_b32 s21, s7, s1
	v_lshlrev_b64_e32 v[16:17], 4, v[16:17]
	v_add_nc_u32_e32 v8, 16, v6
	v_cmp_le_i32_e64 s1, v13, v6
	v_cmp_gt_i32_e64 s2, s5, v6
	v_ashrrev_i32_e32 v7, 31, v6
	s_mov_b32 s7, 0
	v_cmp_le_i32_e64 s3, v13, v8
	v_cmp_gt_i32_e64 s4, s5, v8
	s_and_b32 s25, s1, s2
	v_cmp_le_i32_e64 s1, v9, v6
	v_cmp_le_i32_e64 s5, v9, v8
	v_lshlrev_b64_e32 v[12:13], 4, v[2:3]
	v_ashrrev_i32_e32 v9, 31, v8
	s_and_b32 s28, s3, s4
	s_and_b32 s1, s1, s2
	;; [unrolled: 1-line block ×3, first 2 shown]
	s_lshl_b64 s[2:3], s[22:23], 4
	s_lshl_b64 s[4:5], s[16:17], 4
	s_xor_b32 s16, vcc_lo, -1
	s_lshl_b64 s[10:11], s[30:31], 4
	s_branch .LBB552_7
.LBB552_6:                              ;   in Loop: Header=BB552_7 Depth=1
	s_wait_alu 0xfffe
	s_or_b32 exec_lo, exec_lo, s14
	s_add_co_i32 s6, s6, 0x10000
	s_delay_alu instid0(SALU_CYCLE_1)
	s_cmp_lt_u32 s6, s24
	s_cbranch_scc0 .LBB552_42
.LBB552_7:                              ; =>This Loop Header: Depth=1
                                        ;     Child Loop BB552_10 Depth 2
	s_lshl_b64 s[14:15], s[6:7], 3
	v_mov_b32_e32 v32, 0
	s_wait_alu 0xfffe
	s_add_nc_u64 s[22:23], s[26:27], s[14:15]
	v_mov_b32_e32 v33, 0
	global_load_b64 v[4:5], v1, s[22:23]
	s_and_not1_b32 vcc_lo, exec_lo, s33
	s_wait_alu 0xfffe
	s_cbranch_vccnz .LBB552_20
; %bb.8:                                ;   in Loop: Header=BB552_7 Depth=1
	s_add_nc_u64 s[22:23], s[12:13], s[14:15]
	s_add_nc_u64 s[14:15], s[18:19], s[14:15]
	s_clause 0x1
	global_load_b64 v[2:3], v1, s[22:23]
	global_load_b64 v[42:43], v1, s[14:15]
	v_mov_b32_e32 v20, 0
	v_mov_b32_e32 v26, 0
	;; [unrolled: 1-line block ×3, first 2 shown]
	v_dual_mov_b32 v34, 0 :: v_dual_mov_b32 v21, 0
	v_dual_mov_b32 v22, 0 :: v_dual_mov_b32 v27, 0
	;; [unrolled: 1-line block ×5, first 2 shown]
	v_mov_b32_e32 v25, 0
	v_mov_b32_e32 v29, 0
	;; [unrolled: 1-line block ×3, first 2 shown]
	s_mov_b64 s[14:15], 0
	s_wait_loadcnt 0x1
	v_add_co_u32 v0, vcc_lo, v2, s4
	s_wait_alu 0xfffd
	v_add_co_ci_u32_e64 v2, null, s5, v3, vcc_lo
	s_wait_loadcnt 0x0
	v_add_co_u32 v3, vcc_lo, v42, s2
	s_wait_alu 0xfffd
	v_add_co_ci_u32_e64 v45, null, s3, v43, vcc_lo
	v_add_co_u32 v42, vcc_lo, v0, v10
	s_wait_alu 0xfffd
	v_add_co_ci_u32_e64 v43, null, v2, v11, vcc_lo
	;; [unrolled: 3-line block ×3, first 2 shown]
	s_branch .LBB552_10
.LBB552_9:                              ;   in Loop: Header=BB552_10 Depth=2
	s_or_b32 exec_lo, exec_lo, s17
	s_wait_dscnt 0x0
	s_barrier_signal -1
	s_barrier_wait -1
	global_inv scope:SCOPE_SE
	ds_load_b128 v[46:49], v41
	ds_load_b128 v[50:53], v40
	ds_load_b128 v[54:57], v40 offset:256
	ds_load_b128 v[58:61], v41 offset:2048
	;; [unrolled: 1-line block ×10, first 2 shown]
	s_add_nc_u64 s[14:15], s[14:15], 8
	s_wait_alu 0xfffe
	v_cmp_gt_i64_e64 s17, s[8:9], s[14:15]
	s_and_b32 vcc_lo, exec_lo, s17
	s_wait_dscnt 0xa
	v_mul_f64_e32 v[2:3], v[48:49], v[52:53]
	v_mul_f64_e32 v[94:95], v[46:47], v[52:53]
	s_wait_dscnt 0x9
	v_mul_f64_e32 v[96:97], v[48:49], v[56:57]
	v_mul_f64_e32 v[98:99], v[46:47], v[56:57]
	;; [unrolled: 3-line block ×3, first 2 shown]
	v_mul_f64_e32 v[102:103], v[60:61], v[56:57]
	v_mul_f64_e32 v[56:57], v[58:59], v[56:57]
	s_wait_dscnt 0x5
	v_mul_f64_e32 v[104:105], v[64:65], v[72:73]
	v_mul_f64_e32 v[106:107], v[62:63], v[72:73]
	s_wait_dscnt 0x4
	v_mul_f64_e32 v[108:109], v[64:65], v[76:77]
	v_mul_f64_e32 v[110:111], v[62:63], v[76:77]
	;; [unrolled: 1-line block ×6, first 2 shown]
	s_wait_dscnt 0x2
	v_mul_f64_e32 v[120:121], v[80:81], v[84:85]
	v_mul_f64_e32 v[122:123], v[78:79], v[84:85]
	s_wait_dscnt 0x1
	v_mul_f64_e32 v[124:125], v[80:81], v[88:89]
	v_mul_f64_e32 v[126:127], v[78:79], v[88:89]
	;; [unrolled: 3-line block ×3, first 2 shown]
	v_mul_f64_e32 v[130:131], v[92:93], v[88:89]
	v_mul_f64_e32 v[88:89], v[90:91], v[88:89]
	v_fma_f64 v[2:3], v[46:47], v[50:51], -v[2:3]
	v_fma_f64 v[94:95], v[48:49], v[50:51], v[94:95]
	v_fma_f64 v[96:97], v[46:47], v[54:55], -v[96:97]
	v_fma_f64 v[98:99], v[48:49], v[54:55], v[98:99]
	;; [unrolled: 2-line block ×8, first 2 shown]
	ds_load_b128 v[46:49], v41 offset:48
	ds_load_b128 v[50:53], v40 offset:1536
	;; [unrolled: 1-line block ×4, first 2 shown]
	v_fma_f64 v[120:121], v[78:79], v[82:83], -v[120:121]
	v_fma_f64 v[122:123], v[80:81], v[82:83], v[122:123]
	v_fma_f64 v[78:79], v[78:79], v[86:87], -v[124:125]
	v_fma_f64 v[80:81], v[80:81], v[86:87], v[126:127]
	;; [unrolled: 2-line block ×4, first 2 shown]
	s_wait_dscnt 0x2
	v_mul_f64_e32 v[110:111], v[46:47], v[52:53]
	s_wait_dscnt 0x1
	v_mul_f64_e32 v[112:113], v[48:49], v[56:57]
	v_mul_f64_e32 v[114:115], v[46:47], v[56:57]
	v_add_f64_e32 v[2:3], v[32:33], v[2:3]
	v_add_f64_e32 v[72:73], v[94:95], v[34:35]
	;; [unrolled: 1-line block ×8, first 2 shown]
	v_mul_f64_e32 v[102:103], v[48:49], v[52:53]
	s_wait_dscnt 0x0
	v_mul_f64_e32 v[116:117], v[60:61], v[52:53]
	v_mul_f64_e32 v[52:53], v[58:59], v[52:53]
	;; [unrolled: 1-line block ×4, first 2 shown]
	ds_load_b128 v[20:23], v41 offset:64
	ds_load_b128 v[24:27], v40 offset:2048
	;; [unrolled: 1-line block ×4, first 2 shown]
	s_wait_dscnt 0x1
	v_mul_f64_e32 v[126:127], v[20:21], v[30:31]
	s_wait_dscnt 0x0
	v_mul_f64_e32 v[128:129], v[34:35], v[26:27]
	v_mul_f64_e32 v[130:131], v[34:35], v[30:31]
	v_fma_f64 v[110:111], v[48:49], v[50:51], v[110:111]
	v_fma_f64 v[112:113], v[46:47], v[54:55], -v[112:113]
	v_fma_f64 v[114:115], v[48:49], v[54:55], v[114:115]
	v_add_f64_e32 v[2:3], v[2:3], v[104:105]
	v_add_f64_e32 v[88:89], v[106:107], v[72:73]
	;; [unrolled: 1-line block ×8, first 2 shown]
	v_mul_f64_e32 v[104:105], v[22:23], v[26:27]
	v_mul_f64_e32 v[106:107], v[20:21], v[26:27]
	v_mul_f64_e32 v[108:109], v[22:23], v[30:31]
	v_mul_f64_e32 v[26:27], v[32:33], v[26:27]
	v_mul_f64_e32 v[30:31], v[32:33], v[30:31]
	v_fma_f64 v[102:103], v[46:47], v[50:51], -v[102:103]
	v_fma_f64 v[116:117], v[58:59], v[50:51], -v[116:117]
	v_fma_f64 v[132:133], v[60:61], v[50:51], v[52:53]
	v_fma_f64 v[118:119], v[58:59], v[54:55], -v[118:119]
	v_fma_f64 v[134:135], v[60:61], v[54:55], v[56:57]
	ds_load_b128 v[62:65], v41 offset:80
	ds_load_b128 v[66:69], v40 offset:2560
	;; [unrolled: 1-line block ×8, first 2 shown]
	v_add_f64_e32 v[2:3], v[2:3], v[120:121]
	v_add_f64_e32 v[88:89], v[122:123], v[88:89]
	;; [unrolled: 1-line block ×8, first 2 shown]
	s_wait_dscnt 0x6
	v_mul_f64_e32 v[92:93], v[64:65], v[68:69]
	v_mul_f64_e32 v[94:95], v[62:63], v[68:69]
	s_wait_dscnt 0x5
	v_mul_f64_e32 v[96:97], v[64:65], v[72:73]
	v_mul_f64_e32 v[98:99], v[62:63], v[72:73]
	;; [unrolled: 3-line block ×3, first 2 shown]
	v_mul_f64_e32 v[120:121], v[76:77], v[72:73]
	v_mul_f64_e32 v[72:73], v[74:75], v[72:73]
	v_fma_f64 v[104:105], v[20:21], v[24:25], -v[104:105]
	v_fma_f64 v[106:107], v[22:23], v[24:25], v[106:107]
	v_fma_f64 v[108:109], v[20:21], v[28:29], -v[108:109]
	v_fma_f64 v[122:123], v[22:23], v[28:29], v[126:127]
	;; [unrolled: 2-line block ×4, first 2 shown]
	ds_load_b128 v[20:23], v41 offset:112
	ds_load_b128 v[24:27], v40 offset:3584
	ds_load_b128 v[28:31], v40 offset:3840
	ds_load_b128 v[32:35], v41 offset:2160
	s_wait_loadcnt_dscnt 0x0
	s_barrier_signal -1
	s_barrier_wait -1
	global_inv scope:SCOPE_SE
	v_add_f64_e32 v[2:3], v[2:3], v[102:103]
	v_add_f64_e32 v[88:89], v[110:111], v[88:89]
	;; [unrolled: 1-line block ×8, first 2 shown]
	v_mul_f64_e32 v[102:103], v[48:49], v[52:53]
	v_mul_f64_e32 v[110:111], v[46:47], v[52:53]
	;; [unrolled: 1-line block ×8, first 2 shown]
	v_fma_f64 v[92:93], v[62:63], v[66:67], -v[92:93]
	v_fma_f64 v[94:95], v[64:65], v[66:67], v[94:95]
	v_fma_f64 v[62:63], v[62:63], v[70:71], -v[96:97]
	v_fma_f64 v[64:65], v[64:65], v[70:71], v[98:99]
	v_fma_f64 v[96:97], v[74:75], v[66:67], -v[100:101]
	v_fma_f64 v[66:67], v[76:77], v[66:67], v[68:69]
	v_fma_f64 v[68:69], v[74:75], v[70:71], -v[120:121]
	v_fma_f64 v[70:71], v[76:77], v[70:71], v[72:73]
	v_mul_f64_e32 v[98:99], v[20:21], v[30:31]
	v_mul_f64_e32 v[100:101], v[34:35], v[26:27]
	v_add_f64_e32 v[2:3], v[2:3], v[104:105]
	v_add_f64_e32 v[72:73], v[106:107], v[88:89]
	v_add_f64_e32 v[74:75], v[78:79], v[108:109]
	v_add_f64_e32 v[76:77], v[122:123], v[80:81]
	v_add_f64_e32 v[78:79], v[90:91], v[124:125]
	v_add_f64_e32 v[80:81], v[126:127], v[82:83]
	v_add_f64_e32 v[82:83], v[84:85], v[128:129]
	v_add_f64_e32 v[84:85], v[130:131], v[86:87]
	v_mul_f64_e32 v[86:87], v[22:23], v[26:27]
	v_mul_f64_e32 v[88:89], v[20:21], v[26:27]
	;; [unrolled: 1-line block ×6, first 2 shown]
	v_fma_f64 v[102:103], v[46:47], v[50:51], -v[102:103]
	v_fma_f64 v[106:107], v[48:49], v[50:51], v[110:111]
	v_fma_f64 v[46:47], v[46:47], v[54:55], -v[112:113]
	v_fma_f64 v[48:49], v[48:49], v[54:55], v[114:115]
	;; [unrolled: 2-line block ×4, first 2 shown]
	v_add_f64_e32 v[2:3], v[2:3], v[92:93]
	v_add_f64_e32 v[56:57], v[94:95], v[72:73]
	;; [unrolled: 1-line block ×8, first 2 shown]
	v_fma_f64 v[70:71], v[20:21], v[24:25], -v[86:87]
	v_fma_f64 v[72:73], v[22:23], v[24:25], v[88:89]
	v_fma_f64 v[20:21], v[20:21], v[28:29], -v[90:91]
	v_fma_f64 v[22:23], v[22:23], v[28:29], v[98:99]
	;; [unrolled: 2-line block ×4, first 2 shown]
	v_add_f64_e32 v[2:3], v[2:3], v[102:103]
	v_add_f64_e32 v[24:25], v[106:107], v[56:57]
	;; [unrolled: 1-line block ×16, first 2 shown]
	s_wait_alu 0xfffe
	s_cbranch_vccz .LBB552_21
.LBB552_10:                             ;   Parent Loop BB552_7 Depth=1
                                        ; =>  This Inner Loop Header: Depth=2
	s_mov_b32 s17, 0
	s_mov_b32 s23, s20
	s_and_saveexec_b32 s22, s0
	s_cbranch_execnz .LBB552_18
; %bb.11:                               ;   in Loop: Header=BB552_10 Depth=2
	s_or_b32 exec_lo, exec_lo, s22
	s_and_saveexec_b32 s22, s23
	s_delay_alu instid0(SALU_CYCLE_1)
	s_xor_b32 s22, exec_lo, s22
	s_cbranch_execnz .LBB552_19
.LBB552_12:                             ;   in Loop: Header=BB552_10 Depth=2
	s_or_b32 exec_lo, exec_lo, s22
	s_and_saveexec_b32 s22, s17
	s_cbranch_execz .LBB552_14
.LBB552_13:                             ;   in Loop: Header=BB552_10 Depth=2
	v_lshlrev_b64_e32 v[2:3], 4, v[18:19]
	s_delay_alu instid0(VALU_DEP_1) | instskip(SKIP_1) | instid1(VALU_DEP_2)
	v_add_co_u32 v2, vcc_lo, v42, v2
	s_wait_alu 0xfffd
	v_add_co_ci_u32_e64 v3, null, v43, v3, vcc_lo
	flat_load_b128 v[46:49], v[2:3]
	s_wait_loadcnt_dscnt 0x0
	ds_store_2addr_b64 v38, v[46:47], v[48:49] offset1:1
.LBB552_14:                             ;   in Loop: Header=BB552_10 Depth=2
	s_or_b32 exec_lo, exec_lo, s22
	s_wait_alu 0xfffe
	v_add_nc_u32_e32 v0, s14, v36
	s_delay_alu instid0(VALU_DEP_1) | instskip(SKIP_1) | instid1(SALU_CYCLE_1)
	v_cmp_le_u64_e32 vcc_lo, s[8:9], v[0:1]
	s_or_b32 s17, vcc_lo, s16
	s_and_saveexec_b32 s22, s17
	s_delay_alu instid0(SALU_CYCLE_1)
	s_xor_b32 s17, exec_lo, s22
; %bb.15:                               ;   in Loop: Header=BB552_10 Depth=2
	v_dual_mov_b32 v0, v1 :: v_dual_mov_b32 v3, v1
	v_mov_b32_e32 v2, v1
	ds_store_b128 v39, v[0:3]
; %bb.16:                               ;   in Loop: Header=BB552_10 Depth=2
	s_and_not1_saveexec_b32 s17, s17
	s_cbranch_execz .LBB552_9
; %bb.17:                               ;   in Loop: Header=BB552_10 Depth=2
	v_lshlrev_b64_e32 v[2:3], 4, v[0:1]
	s_delay_alu instid0(VALU_DEP_1) | instskip(SKIP_1) | instid1(VALU_DEP_2)
	v_add_co_u32 v2, vcc_lo, v44, v2
	s_wait_alu 0xfffd
	v_add_co_ci_u32_e64 v3, null, v45, v3, vcc_lo
	flat_load_b128 v[46:49], v[2:3]
	s_wait_loadcnt_dscnt 0x0
	ds_store_2addr_b64 v39, v[46:47], v[48:49] offset1:1
	s_branch .LBB552_9
.LBB552_18:                             ;   in Loop: Header=BB552_10 Depth=2
	s_wait_alu 0xfffe
	v_add_nc_u32_e32 v0, s14, v37
	v_mov_b32_e32 v19, v1
	s_and_not1_b32 s23, s20, exec_lo
	s_mov_b32 s17, exec_lo
	s_delay_alu instid0(VALU_DEP_2) | instskip(SKIP_2) | instid1(SALU_CYCLE_1)
	v_cmp_le_u64_e32 vcc_lo, s[8:9], v[0:1]
	v_mov_b32_e32 v18, v0
	s_and_b32 s30, vcc_lo, exec_lo
	s_or_b32 s23, s23, s30
	s_or_b32 exec_lo, exec_lo, s22
	s_and_saveexec_b32 s22, s23
	s_delay_alu instid0(SALU_CYCLE_1)
	s_xor_b32 s22, exec_lo, s22
	s_cbranch_execz .LBB552_12
.LBB552_19:                             ;   in Loop: Header=BB552_10 Depth=2
	v_dual_mov_b32 v0, v1 :: v_dual_mov_b32 v3, v1
	v_mov_b32_e32 v2, v1
	s_and_not1_b32 s17, s17, exec_lo
	ds_store_b128 v38, v[0:3]
	s_or_b32 exec_lo, exec_lo, s22
	s_and_saveexec_b32 s22, s17
	s_cbranch_execnz .LBB552_13
	s_branch .LBB552_14
.LBB552_20:                             ;   in Loop: Header=BB552_7 Depth=1
	v_mov_b32_e32 v34, 0
	v_mov_b32_e32 v30, 0
	v_dual_mov_b32 v26, 0 :: v_dual_mov_b32 v35, 0
	v_dual_mov_b32 v28, 0 :: v_dual_mov_b32 v31, 0
	;; [unrolled: 1-line block ×3, first 2 shown]
	v_mov_b32_e32 v22, 0
	v_dual_mov_b32 v20, 0 :: v_dual_mov_b32 v29, 0
	v_mov_b32_e32 v25, 0
	v_mov_b32_e32 v23, 0
	;; [unrolled: 1-line block ×3, first 2 shown]
.LBB552_21:                             ;   in Loop: Header=BB552_7 Depth=1
	s_wait_loadcnt 0x0
	v_add_co_u32 v0, vcc_lo, v4, s10
	s_wait_alu 0xfffd
	v_add_co_ci_u32_e64 v42, null, s11, v5, vcc_lo
	s_delay_alu instid0(VALU_DEP_2) | instskip(SKIP_1) | instid1(VALU_DEP_2)
	v_add_co_u32 v43, vcc_lo, v0, v14
	s_wait_alu 0xfffd
	v_add_co_ci_u32_e64 v44, null, v42, v15, vcc_lo
	s_and_saveexec_b32 s14, s25
	s_cbranch_execz .LBB552_26
; %bb.22:                               ;   in Loop: Header=BB552_7 Depth=1
	v_mul_f64_e32 v[2:3], s[42:43], v[34:35]
	v_mul_f64_e32 v[4:5], s[40:41], v[34:35]
	s_and_b32 vcc_lo, exec_lo, s21
	s_mov_b32 s15, -1
	s_delay_alu instid0(VALU_DEP_2) | instskip(NEXT) | instid1(VALU_DEP_2)
	v_fma_f64 v[2:3], s[40:41], v[32:33], -v[2:3]
	v_fma_f64 v[4:5], s[42:43], v[32:33], v[4:5]
	s_wait_alu 0xfffe
	s_cbranch_vccz .LBB552_24
; %bb.23:                               ;   in Loop: Header=BB552_7 Depth=1
	v_lshlrev_b64_e32 v[32:33], 4, v[6:7]
	s_mov_b32 s15, 0
	s_delay_alu instid0(VALU_DEP_1) | instskip(SKIP_1) | instid1(VALU_DEP_2)
	v_add_co_u32 v45, vcc_lo, v43, v32
	s_wait_alu 0xfffd
	v_add_co_ci_u32_e64 v46, null, v44, v33, vcc_lo
	flat_load_b128 v[32:35], v[45:46]
	s_wait_loadcnt_dscnt 0x0
	v_mul_f64_e32 v[47:48], s[38:39], v[34:35]
	v_mul_f64_e32 v[34:35], s[36:37], v[34:35]
	s_delay_alu instid0(VALU_DEP_2) | instskip(NEXT) | instid1(VALU_DEP_2)
	v_fma_f64 v[47:48], s[36:37], v[32:33], -v[47:48]
	v_fma_f64 v[34:35], s[38:39], v[32:33], v[34:35]
	s_delay_alu instid0(VALU_DEP_2) | instskip(NEXT) | instid1(VALU_DEP_2)
	v_add_f64_e32 v[32:33], v[2:3], v[47:48]
	v_add_f64_e32 v[34:35], v[4:5], v[34:35]
	flat_store_b128 v[45:46], v[32:35]
.LBB552_24:                             ;   in Loop: Header=BB552_7 Depth=1
	s_wait_alu 0xfffe
	s_and_not1_b32 vcc_lo, exec_lo, s15
	s_wait_alu 0xfffe
	s_cbranch_vccnz .LBB552_26
; %bb.25:                               ;   in Loop: Header=BB552_7 Depth=1
	v_lshlrev_b64_e32 v[32:33], 4, v[6:7]
	s_delay_alu instid0(VALU_DEP_1) | instskip(SKIP_1) | instid1(VALU_DEP_2)
	v_add_co_u32 v32, vcc_lo, v43, v32
	s_wait_alu 0xfffd
	v_add_co_ci_u32_e64 v33, null, v44, v33, vcc_lo
	flat_store_b128 v[32:33], v[2:5]
.LBB552_26:                             ;   in Loop: Header=BB552_7 Depth=1
	s_wait_alu 0xfffe
	s_or_b32 exec_lo, exec_lo, s14
	s_and_saveexec_b32 s14, s28
	s_cbranch_execz .LBB552_31
; %bb.27:                               ;   in Loop: Header=BB552_7 Depth=1
	v_mul_f64_e32 v[2:3], s[42:43], v[30:31]
	v_mul_f64_e32 v[4:5], s[40:41], v[30:31]
	s_and_not1_b32 vcc_lo, exec_lo, s21
	s_mov_b32 s15, -1
	s_delay_alu instid0(VALU_DEP_2) | instskip(NEXT) | instid1(VALU_DEP_2)
	v_fma_f64 v[2:3], s[40:41], v[28:29], -v[2:3]
	v_fma_f64 v[4:5], s[42:43], v[28:29], v[4:5]
	s_wait_alu 0xfffe
	s_cbranch_vccnz .LBB552_29
; %bb.28:                               ;   in Loop: Header=BB552_7 Depth=1
	v_lshlrev_b64_e32 v[28:29], 4, v[8:9]
	s_mov_b32 s15, 0
	s_delay_alu instid0(VALU_DEP_1) | instskip(SKIP_1) | instid1(VALU_DEP_2)
	v_add_co_u32 v32, vcc_lo, v43, v28
	s_wait_alu 0xfffd
	v_add_co_ci_u32_e64 v33, null, v44, v29, vcc_lo
	flat_load_b128 v[28:31], v[32:33]
	s_wait_loadcnt_dscnt 0x0
	v_mul_f64_e32 v[34:35], s[38:39], v[30:31]
	v_mul_f64_e32 v[30:31], s[36:37], v[30:31]
	s_delay_alu instid0(VALU_DEP_2) | instskip(NEXT) | instid1(VALU_DEP_2)
	v_fma_f64 v[34:35], s[36:37], v[28:29], -v[34:35]
	v_fma_f64 v[30:31], s[38:39], v[28:29], v[30:31]
	s_delay_alu instid0(VALU_DEP_2) | instskip(NEXT) | instid1(VALU_DEP_2)
	v_add_f64_e32 v[28:29], v[2:3], v[34:35]
	v_add_f64_e32 v[30:31], v[4:5], v[30:31]
	flat_store_b128 v[32:33], v[28:31]
.LBB552_29:                             ;   in Loop: Header=BB552_7 Depth=1
	s_wait_alu 0xfffe
	s_and_not1_b32 vcc_lo, exec_lo, s15
	s_wait_alu 0xfffe
	s_cbranch_vccnz .LBB552_31
; %bb.30:                               ;   in Loop: Header=BB552_7 Depth=1
	v_lshlrev_b64_e32 v[28:29], 4, v[8:9]
	s_delay_alu instid0(VALU_DEP_1) | instskip(SKIP_1) | instid1(VALU_DEP_2)
	v_add_co_u32 v28, vcc_lo, v43, v28
	s_wait_alu 0xfffd
	v_add_co_ci_u32_e64 v29, null, v44, v29, vcc_lo
	flat_store_b128 v[28:29], v[2:5]
.LBB552_31:                             ;   in Loop: Header=BB552_7 Depth=1
	s_wait_alu 0xfffe
	s_or_b32 exec_lo, exec_lo, s14
	v_add_co_u32 v0, vcc_lo, v0, v16
	s_wait_alu 0xfffd
	v_add_co_ci_u32_e64 v28, null, v42, v17, vcc_lo
	s_and_saveexec_b32 s14, s1
	s_cbranch_execz .LBB552_36
; %bb.32:                               ;   in Loop: Header=BB552_7 Depth=1
	v_mul_f64_e32 v[2:3], s[42:43], v[26:27]
	v_mul_f64_e32 v[4:5], s[40:41], v[26:27]
	s_and_not1_b32 vcc_lo, exec_lo, s21
	s_mov_b32 s15, -1
	s_delay_alu instid0(VALU_DEP_2) | instskip(NEXT) | instid1(VALU_DEP_2)
	v_fma_f64 v[2:3], s[40:41], v[24:25], -v[2:3]
	v_fma_f64 v[4:5], s[42:43], v[24:25], v[4:5]
	v_lshlrev_b64_e32 v[24:25], 4, v[6:7]
	s_wait_alu 0xfffe
	s_cbranch_vccnz .LBB552_34
; %bb.33:                               ;   in Loop: Header=BB552_7 Depth=1
	s_delay_alu instid0(VALU_DEP_1) | instskip(SKIP_1) | instid1(VALU_DEP_2)
	v_add_co_u32 v26, vcc_lo, v0, v24
	s_wait_alu 0xfffd
	v_add_co_ci_u32_e64 v27, null, v28, v25, vcc_lo
	s_mov_b32 s15, 0
	flat_load_b128 v[29:32], v[26:27]
	s_wait_loadcnt_dscnt 0x0
	v_mul_f64_e32 v[33:34], s[38:39], v[31:32]
	v_mul_f64_e32 v[31:32], s[36:37], v[31:32]
	s_delay_alu instid0(VALU_DEP_2) | instskip(NEXT) | instid1(VALU_DEP_2)
	v_fma_f64 v[33:34], s[36:37], v[29:30], -v[33:34]
	v_fma_f64 v[31:32], s[38:39], v[29:30], v[31:32]
	s_delay_alu instid0(VALU_DEP_2) | instskip(NEXT) | instid1(VALU_DEP_2)
	v_add_f64_e32 v[29:30], v[2:3], v[33:34]
	v_add_f64_e32 v[31:32], v[4:5], v[31:32]
	flat_store_b128 v[26:27], v[29:32]
.LBB552_34:                             ;   in Loop: Header=BB552_7 Depth=1
	s_wait_alu 0xfffe
	s_and_not1_b32 vcc_lo, exec_lo, s15
	s_wait_alu 0xfffe
	s_cbranch_vccnz .LBB552_36
; %bb.35:                               ;   in Loop: Header=BB552_7 Depth=1
	v_add_co_u32 v24, vcc_lo, v0, v24
	s_wait_alu 0xfffd
	v_add_co_ci_u32_e64 v25, null, v28, v25, vcc_lo
	flat_store_b128 v[24:25], v[2:5]
.LBB552_36:                             ;   in Loop: Header=BB552_7 Depth=1
	s_wait_alu 0xfffe
	s_or_b32 exec_lo, exec_lo, s14
	s_and_saveexec_b32 s14, s29
	s_cbranch_execz .LBB552_6
; %bb.37:                               ;   in Loop: Header=BB552_7 Depth=1
	v_mul_f64_e32 v[2:3], s[42:43], v[20:21]
	v_mul_f64_e32 v[4:5], s[40:41], v[20:21]
	v_lshlrev_b64_e32 v[20:21], 4, v[8:9]
	s_and_not1_b32 vcc_lo, exec_lo, s21
	s_mov_b32 s15, -1
	s_delay_alu instid0(VALU_DEP_3) | instskip(NEXT) | instid1(VALU_DEP_3)
	v_fma_f64 v[2:3], s[40:41], v[22:23], -v[2:3]
	v_fma_f64 v[4:5], s[42:43], v[22:23], v[4:5]
	s_wait_alu 0xfffe
	s_cbranch_vccnz .LBB552_39
; %bb.38:                               ;   in Loop: Header=BB552_7 Depth=1
	v_add_co_u32 v26, vcc_lo, v0, v20
	s_wait_alu 0xfffd
	v_add_co_ci_u32_e64 v27, null, v28, v21, vcc_lo
	s_mov_b32 s15, 0
	flat_load_b128 v[22:25], v[26:27]
	s_wait_loadcnt_dscnt 0x0
	v_mul_f64_e32 v[29:30], s[38:39], v[24:25]
	v_mul_f64_e32 v[24:25], s[36:37], v[24:25]
	s_delay_alu instid0(VALU_DEP_2) | instskip(NEXT) | instid1(VALU_DEP_2)
	v_fma_f64 v[29:30], s[36:37], v[22:23], -v[29:30]
	v_fma_f64 v[24:25], s[38:39], v[22:23], v[24:25]
	s_delay_alu instid0(VALU_DEP_2) | instskip(NEXT) | instid1(VALU_DEP_2)
	v_add_f64_e32 v[22:23], v[2:3], v[29:30]
	v_add_f64_e32 v[24:25], v[4:5], v[24:25]
	flat_store_b128 v[26:27], v[22:25]
.LBB552_39:                             ;   in Loop: Header=BB552_7 Depth=1
	s_wait_alu 0xfffe
	s_and_not1_b32 vcc_lo, exec_lo, s15
	s_wait_alu 0xfffe
	s_cbranch_vccnz .LBB552_6
; %bb.40:                               ;   in Loop: Header=BB552_7 Depth=1
	v_add_co_u32 v20, vcc_lo, v0, v20
	s_wait_alu 0xfffd
	v_add_co_ci_u32_e64 v21, null, v28, v21, vcc_lo
	flat_store_b128 v[20:21], v[2:5]
	s_branch .LBB552_6
.LBB552_41:
.LBB552_42:
	s_nop 0
	s_sendmsg sendmsg(MSG_DEALLOC_VGPRS)
	s_endpgm
	.section	.rodata,"a",@progbits
	.p2align	6, 0x0
	.amdhsa_kernel _ZL29rocblas_internal_gemmt_kernelIlLi16ELi32ELi8ELc84ELc78ELc76ELb0ELb0E19rocblas_complex_numIdEPKS1_PKS3_PKPS1_EviT_T9_T10_S9_lSB_S9_lSA_T11_S9_li
		.amdhsa_group_segment_fixed_size 8192
		.amdhsa_private_segment_fixed_size 0
		.amdhsa_kernarg_size 108
		.amdhsa_user_sgpr_count 2
		.amdhsa_user_sgpr_dispatch_ptr 0
		.amdhsa_user_sgpr_queue_ptr 0
		.amdhsa_user_sgpr_kernarg_segment_ptr 1
		.amdhsa_user_sgpr_dispatch_id 0
		.amdhsa_user_sgpr_private_segment_size 0
		.amdhsa_wavefront_size32 1
		.amdhsa_uses_dynamic_stack 0
		.amdhsa_enable_private_segment 0
		.amdhsa_system_sgpr_workgroup_id_x 1
		.amdhsa_system_sgpr_workgroup_id_y 1
		.amdhsa_system_sgpr_workgroup_id_z 1
		.amdhsa_system_sgpr_workgroup_info 0
		.amdhsa_system_vgpr_workitem_id 1
		.amdhsa_next_free_vgpr 136
		.amdhsa_next_free_sgpr 44
		.amdhsa_reserve_vcc 1
		.amdhsa_float_round_mode_32 0
		.amdhsa_float_round_mode_16_64 0
		.amdhsa_float_denorm_mode_32 3
		.amdhsa_float_denorm_mode_16_64 3
		.amdhsa_fp16_overflow 0
		.amdhsa_workgroup_processor_mode 1
		.amdhsa_memory_ordered 1
		.amdhsa_forward_progress 1
		.amdhsa_inst_pref_size 29
		.amdhsa_round_robin_scheduling 0
		.amdhsa_exception_fp_ieee_invalid_op 0
		.amdhsa_exception_fp_denorm_src 0
		.amdhsa_exception_fp_ieee_div_zero 0
		.amdhsa_exception_fp_ieee_overflow 0
		.amdhsa_exception_fp_ieee_underflow 0
		.amdhsa_exception_fp_ieee_inexact 0
		.amdhsa_exception_int_div_zero 0
	.end_amdhsa_kernel
	.section	.text._ZL29rocblas_internal_gemmt_kernelIlLi16ELi32ELi8ELc84ELc78ELc76ELb0ELb0E19rocblas_complex_numIdEPKS1_PKS3_PKPS1_EviT_T9_T10_S9_lSB_S9_lSA_T11_S9_li,"axG",@progbits,_ZL29rocblas_internal_gemmt_kernelIlLi16ELi32ELi8ELc84ELc78ELc76ELb0ELb0E19rocblas_complex_numIdEPKS1_PKS3_PKPS1_EviT_T9_T10_S9_lSB_S9_lSA_T11_S9_li,comdat
.Lfunc_end552:
	.size	_ZL29rocblas_internal_gemmt_kernelIlLi16ELi32ELi8ELc84ELc78ELc76ELb0ELb0E19rocblas_complex_numIdEPKS1_PKS3_PKPS1_EviT_T9_T10_S9_lSB_S9_lSA_T11_S9_li, .Lfunc_end552-_ZL29rocblas_internal_gemmt_kernelIlLi16ELi32ELi8ELc84ELc78ELc76ELb0ELb0E19rocblas_complex_numIdEPKS1_PKS3_PKPS1_EviT_T9_T10_S9_lSB_S9_lSA_T11_S9_li
                                        ; -- End function
	.set _ZL29rocblas_internal_gemmt_kernelIlLi16ELi32ELi8ELc84ELc78ELc76ELb0ELb0E19rocblas_complex_numIdEPKS1_PKS3_PKPS1_EviT_T9_T10_S9_lSB_S9_lSA_T11_S9_li.num_vgpr, 136
	.set _ZL29rocblas_internal_gemmt_kernelIlLi16ELi32ELi8ELc84ELc78ELc76ELb0ELb0E19rocblas_complex_numIdEPKS1_PKS3_PKPS1_EviT_T9_T10_S9_lSB_S9_lSA_T11_S9_li.num_agpr, 0
	.set _ZL29rocblas_internal_gemmt_kernelIlLi16ELi32ELi8ELc84ELc78ELc76ELb0ELb0E19rocblas_complex_numIdEPKS1_PKS3_PKPS1_EviT_T9_T10_S9_lSB_S9_lSA_T11_S9_li.numbered_sgpr, 44
	.set _ZL29rocblas_internal_gemmt_kernelIlLi16ELi32ELi8ELc84ELc78ELc76ELb0ELb0E19rocblas_complex_numIdEPKS1_PKS3_PKPS1_EviT_T9_T10_S9_lSB_S9_lSA_T11_S9_li.num_named_barrier, 0
	.set _ZL29rocblas_internal_gemmt_kernelIlLi16ELi32ELi8ELc84ELc78ELc76ELb0ELb0E19rocblas_complex_numIdEPKS1_PKS3_PKPS1_EviT_T9_T10_S9_lSB_S9_lSA_T11_S9_li.private_seg_size, 0
	.set _ZL29rocblas_internal_gemmt_kernelIlLi16ELi32ELi8ELc84ELc78ELc76ELb0ELb0E19rocblas_complex_numIdEPKS1_PKS3_PKPS1_EviT_T9_T10_S9_lSB_S9_lSA_T11_S9_li.uses_vcc, 1
	.set _ZL29rocblas_internal_gemmt_kernelIlLi16ELi32ELi8ELc84ELc78ELc76ELb0ELb0E19rocblas_complex_numIdEPKS1_PKS3_PKPS1_EviT_T9_T10_S9_lSB_S9_lSA_T11_S9_li.uses_flat_scratch, 0
	.set _ZL29rocblas_internal_gemmt_kernelIlLi16ELi32ELi8ELc84ELc78ELc76ELb0ELb0E19rocblas_complex_numIdEPKS1_PKS3_PKPS1_EviT_T9_T10_S9_lSB_S9_lSA_T11_S9_li.has_dyn_sized_stack, 0
	.set _ZL29rocblas_internal_gemmt_kernelIlLi16ELi32ELi8ELc84ELc78ELc76ELb0ELb0E19rocblas_complex_numIdEPKS1_PKS3_PKPS1_EviT_T9_T10_S9_lSB_S9_lSA_T11_S9_li.has_recursion, 0
	.set _ZL29rocblas_internal_gemmt_kernelIlLi16ELi32ELi8ELc84ELc78ELc76ELb0ELb0E19rocblas_complex_numIdEPKS1_PKS3_PKPS1_EviT_T9_T10_S9_lSB_S9_lSA_T11_S9_li.has_indirect_call, 0
	.section	.AMDGPU.csdata,"",@progbits
; Kernel info:
; codeLenInByte = 3600
; TotalNumSgprs: 46
; NumVgprs: 136
; ScratchSize: 0
; MemoryBound: 0
; FloatMode: 240
; IeeeMode: 1
; LDSByteSize: 8192 bytes/workgroup (compile time only)
; SGPRBlocks: 0
; VGPRBlocks: 16
; NumSGPRsForWavesPerEU: 46
; NumVGPRsForWavesPerEU: 136
; Occupancy: 10
; WaveLimiterHint : 1
; COMPUTE_PGM_RSRC2:SCRATCH_EN: 0
; COMPUTE_PGM_RSRC2:USER_SGPR: 2
; COMPUTE_PGM_RSRC2:TRAP_HANDLER: 0
; COMPUTE_PGM_RSRC2:TGID_X_EN: 1
; COMPUTE_PGM_RSRC2:TGID_Y_EN: 1
; COMPUTE_PGM_RSRC2:TGID_Z_EN: 1
; COMPUTE_PGM_RSRC2:TIDIG_COMP_CNT: 1
	.section	.text._ZL29rocblas_internal_gemmt_kernelIlLi16ELi32ELi8ELc84ELc84ELc76ELb0ELb0E19rocblas_complex_numIdEPKS1_PKS3_PKPS1_EviT_T9_T10_S9_lSB_S9_lSA_T11_S9_li,"axG",@progbits,_ZL29rocblas_internal_gemmt_kernelIlLi16ELi32ELi8ELc84ELc84ELc76ELb0ELb0E19rocblas_complex_numIdEPKS1_PKS3_PKPS1_EviT_T9_T10_S9_lSB_S9_lSA_T11_S9_li,comdat
	.globl	_ZL29rocblas_internal_gemmt_kernelIlLi16ELi32ELi8ELc84ELc84ELc76ELb0ELb0E19rocblas_complex_numIdEPKS1_PKS3_PKPS1_EviT_T9_T10_S9_lSB_S9_lSA_T11_S9_li ; -- Begin function _ZL29rocblas_internal_gemmt_kernelIlLi16ELi32ELi8ELc84ELc84ELc76ELb0ELb0E19rocblas_complex_numIdEPKS1_PKS3_PKPS1_EviT_T9_T10_S9_lSB_S9_lSA_T11_S9_li
	.p2align	8
	.type	_ZL29rocblas_internal_gemmt_kernelIlLi16ELi32ELi8ELc84ELc84ELc76ELb0ELb0E19rocblas_complex_numIdEPKS1_PKS3_PKPS1_EviT_T9_T10_S9_lSB_S9_lSA_T11_S9_li,@function
_ZL29rocblas_internal_gemmt_kernelIlLi16ELi32ELi8ELc84ELc84ELc76ELb0ELb0E19rocblas_complex_numIdEPKS1_PKS3_PKPS1_EviT_T9_T10_S9_lSB_S9_lSA_T11_S9_li: ; @_ZL29rocblas_internal_gemmt_kernelIlLi16ELi32ELi8ELc84ELc84ELc76ELb0ELb0E19rocblas_complex_numIdEPKS1_PKS3_PKPS1_EviT_T9_T10_S9_lSB_S9_lSA_T11_S9_li
; %bb.0:
	s_clause 0x1
	s_load_b256 s[24:31], s[0:1], 0x48
	s_load_b512 s[8:23], s[0:1], 0x8
	s_wait_kmcnt 0x0
	s_load_b128 s[36:39], s[24:25], 0x0
	s_load_b128 s[40:43], s[10:11], 0x0
	s_wait_kmcnt 0x0
	v_cmp_eq_f64_e64 s3, s[36:37], 1.0
	v_cmp_eq_f64_e64 s2, s[38:39], 0
	s_and_b32 s3, s3, s2
	s_delay_alu instid0(SALU_CYCLE_1)
	s_and_not1_b32 vcc_lo, exec_lo, s3
	s_mov_b32 s3, -1
	s_cbranch_vccnz .LBB553_3
; %bb.1:
	s_cmp_lg_u64 s[8:9], 0
	s_cbranch_scc0 .LBB553_41
; %bb.2:
	v_cmp_neq_f64_e64 s3, s[40:41], 0
	v_cmp_neq_f64_e64 s4, s[42:43], 0
	s_or_b32 s3, s3, s4
.LBB553_3:
	s_delay_alu instid0(SALU_CYCLE_1)
	s_and_b32 vcc_lo, exec_lo, s3
	s_cbranch_vccz .LBB553_42
; %bb.4:
	s_load_b32 s24, s[0:1], 0x68
	s_lshr_b32 s6, ttmp7, 16
	s_wait_kmcnt 0x0
	s_cmp_ge_u32 s6, s24
	s_cbranch_scc1 .LBB553_42
; %bb.5:
	v_bfe_u32 v10, v0, 10, 10
	s_load_b32 s5, s[0:1], 0x0
	s_lshl_b32 s0, ttmp7, 5
	v_cmp_neq_f64_e64 s3, s[40:41], 0
	v_cmp_neq_f64_e64 s4, s[42:43], 0
	;; [unrolled: 1-line block ×3, first 2 shown]
	s_and_b32 s0, s0, 0x1fffe0
	v_dual_mov_b32 v1, 0 :: v_dual_and_b32 v34, 7, v0
	v_add_nc_u32_e32 v11, s0, v10
	s_lshl_b32 s1, ttmp9, 5
	v_lshl_add_u32 v39, v10, 7, 0x1000
	s_delay_alu instid0(VALU_DEP_3)
	v_lshlrev_b32_e32 v6, 4, v34
	s_wait_alu 0xfffe
	s_ashr_i32 s11, s1, 31
	v_mad_co_u64_u32 v[2:3], null, s28, v11, 0
	v_and_b32_e32 v9, 0x3ff, v0
	v_add_nc_u32_e32 v12, 16, v11
	s_mul_i32 s11, s14, s11
	v_cmp_gt_i64_e64 s10, s[8:9], 0
	s_delay_alu instid0(VALU_DEP_3) | instskip(NEXT) | instid1(VALU_DEP_3)
	v_lshl_add_u32 v0, v10, 4, v9
	v_mad_co_u64_u32 v[14:15], null, s28, v12, 0
	s_delay_alu instid0(VALU_DEP_2) | instskip(SKIP_2) | instid1(VALU_DEP_3)
	v_and_b32_e32 v4, 31, v0
	v_lshrrev_b32_e32 v35, 5, v0
	v_lshrrev_b32_e32 v0, 3, v0
	v_or_b32_e32 v7, s1, v4
	v_lshlrev_b32_e32 v8, 4, v4
	s_delay_alu instid0(VALU_DEP_3)
	v_lshl_or_b32 v6, v0, 7, v6
	v_add_nc_u32_e32 v16, s0, v0
	v_mov_b32_e32 v0, v3
	v_mul_lo_u32 v13, s15, v7
	v_mad_co_u64_u32 v[4:5], null, s14, v7, 0
	v_add_nc_u32_e32 v37, 0x1000, v6
	v_add_nc_u32_e32 v6, s1, v9
	s_wait_kmcnt 0x0
	v_cmp_gt_i32_e64 s0, s5, v7
	v_cmp_le_i32_e64 s25, s5, v7
	v_lshl_or_b32 v36, v35, 9, v8
	v_mad_co_u64_u32 v[7:8], null, s29, v11, v[0:1]
	v_add_nc_u32_e32 v8, 16, v6
	v_mov_b32_e32 v0, v15
	s_xor_b32 s1, s2, -1
	v_add3_u32 v5, v5, s11, v13
	s_or_b32 s11, s3, s4
	s_wait_alu 0xfffe
	s_or_b32 s28, s7, s1
	v_cmp_le_i32_e64 s1, v11, v6
	v_cmp_le_i32_e64 s3, v11, v8
	v_mad_co_u64_u32 v[10:11], null, s29, v12, v[0:1]
	v_cmp_gt_i32_e64 s2, s5, v6
	v_mov_b32_e32 v3, v7
	v_cmp_gt_i32_e32 vcc_lo, s5, v16
	v_cmp_gt_i32_e64 s4, s5, v8
	v_cmp_le_i32_e64 s5, v12, v8
	s_and_b32 s29, s1, s2
	v_mov_b32_e32 v15, v10
	v_cmp_le_i32_e64 s1, v12, v6
	v_lshlrev_b64_e32 v[10:11], 4, v[4:5]
	v_lshlrev_b64_e32 v[12:13], 4, v[2:3]
	v_lshlrev_b32_e32 v38, 4, v9
	v_lshlrev_b64_e32 v[14:15], 4, v[14:15]
	v_ashrrev_i32_e32 v7, 31, v6
	v_ashrrev_i32_e32 v9, 31, v8
	v_lshlrev_b32_e32 v40, 4, v16
	s_and_b32 s33, s3, s4
	s_and_b32 s1, s1, s2
	;; [unrolled: 1-line block ×3, first 2 shown]
	s_mov_b32 s7, 0
	s_and_b32 s35, s11, s10
	s_lshl_b64 s[2:3], s[22:23], 4
	s_lshl_b64 s[4:5], s[16:17], 4
	s_xor_b32 s16, vcc_lo, -1
	s_lshl_b64 s[10:11], s[30:31], 4
                                        ; implicit-def: $vgpr16_vgpr17
	s_branch .LBB553_7
.LBB553_6:                              ;   in Loop: Header=BB553_7 Depth=1
	s_wait_alu 0xfffe
	s_or_b32 exec_lo, exec_lo, s14
	s_add_co_i32 s6, s6, 0x10000
	s_delay_alu instid0(SALU_CYCLE_1)
	s_cmp_lt_u32 s6, s24
	s_cbranch_scc0 .LBB553_42
.LBB553_7:                              ; =>This Loop Header: Depth=1
                                        ;     Child Loop BB553_10 Depth 2
	s_lshl_b64 s[14:15], s[6:7], 3
	v_mov_b32_e32 v30, 0
	s_wait_alu 0xfffe
	s_add_nc_u64 s[22:23], s[26:27], s[14:15]
	v_mov_b32_e32 v31, 0
	global_load_b64 v[4:5], v1, s[22:23]
	s_and_not1_b32 vcc_lo, exec_lo, s35
	s_wait_alu 0xfffe
	s_cbranch_vccnz .LBB553_20
; %bb.8:                                ;   in Loop: Header=BB553_7 Depth=1
	s_add_nc_u64 s[22:23], s[12:13], s[14:15]
	s_add_nc_u64 s[14:15], s[18:19], s[14:15]
	s_clause 0x1
	global_load_b64 v[2:3], v1, s[22:23]
	global_load_b64 v[41:42], v1, s[14:15]
	v_mov_b32_e32 v18, 0
	v_mov_b32_e32 v24, 0
	;; [unrolled: 1-line block ×3, first 2 shown]
	v_dual_mov_b32 v32, 0 :: v_dual_mov_b32 v19, 0
	v_dual_mov_b32 v20, 0 :: v_dual_mov_b32 v25, 0
	;; [unrolled: 1-line block ×5, first 2 shown]
	v_mov_b32_e32 v23, 0
	v_mov_b32_e32 v27, 0
	;; [unrolled: 1-line block ×3, first 2 shown]
	s_mov_b64 s[14:15], 0
	s_wait_loadcnt 0x1
	v_add_co_u32 v0, vcc_lo, v2, s4
	s_wait_alu 0xfffd
	v_add_co_ci_u32_e64 v2, null, s5, v3, vcc_lo
	s_wait_loadcnt 0x0
	v_add_co_u32 v3, vcc_lo, v41, s2
	s_wait_alu 0xfffd
	v_add_co_ci_u32_e64 v44, null, s3, v42, vcc_lo
	v_add_co_u32 v41, vcc_lo, v0, v10
	s_wait_alu 0xfffd
	v_add_co_ci_u32_e64 v42, null, v2, v11, vcc_lo
	;; [unrolled: 3-line block ×3, first 2 shown]
	s_branch .LBB553_10
.LBB553_9:                              ;   in Loop: Header=BB553_10 Depth=2
	s_or_b32 exec_lo, exec_lo, s17
	s_wait_dscnt 0x0
	s_barrier_signal -1
	s_barrier_wait -1
	global_inv scope:SCOPE_SE
	ds_load_b128 v[45:48], v39
	ds_load_b128 v[49:52], v38
	ds_load_b128 v[53:56], v38 offset:256
	ds_load_b128 v[57:60], v39 offset:2048
	;; [unrolled: 1-line block ×10, first 2 shown]
	s_add_nc_u64 s[14:15], s[14:15], 8
	s_wait_alu 0xfffe
	v_cmp_gt_i64_e64 s17, s[8:9], s[14:15]
	s_and_b32 vcc_lo, exec_lo, s17
	s_wait_dscnt 0xa
	v_mul_f64_e32 v[2:3], v[47:48], v[51:52]
	v_mul_f64_e32 v[93:94], v[45:46], v[51:52]
	s_wait_dscnt 0x9
	v_mul_f64_e32 v[95:96], v[47:48], v[55:56]
	v_mul_f64_e32 v[97:98], v[45:46], v[55:56]
	;; [unrolled: 3-line block ×3, first 2 shown]
	v_mul_f64_e32 v[101:102], v[59:60], v[55:56]
	v_mul_f64_e32 v[55:56], v[57:58], v[55:56]
	s_wait_dscnt 0x5
	v_mul_f64_e32 v[103:104], v[63:64], v[71:72]
	v_mul_f64_e32 v[105:106], v[61:62], v[71:72]
	s_wait_dscnt 0x4
	v_mul_f64_e32 v[107:108], v[63:64], v[75:76]
	v_mul_f64_e32 v[109:110], v[61:62], v[75:76]
	;; [unrolled: 1-line block ×6, first 2 shown]
	s_wait_dscnt 0x2
	v_mul_f64_e32 v[119:120], v[79:80], v[83:84]
	v_mul_f64_e32 v[121:122], v[77:78], v[83:84]
	s_wait_dscnt 0x1
	v_mul_f64_e32 v[123:124], v[79:80], v[87:88]
	v_mul_f64_e32 v[125:126], v[77:78], v[87:88]
	;; [unrolled: 3-line block ×3, first 2 shown]
	v_mul_f64_e32 v[129:130], v[91:92], v[87:88]
	v_mul_f64_e32 v[87:88], v[89:90], v[87:88]
	v_fma_f64 v[2:3], v[45:46], v[49:50], -v[2:3]
	v_fma_f64 v[93:94], v[47:48], v[49:50], v[93:94]
	v_fma_f64 v[95:96], v[45:46], v[53:54], -v[95:96]
	v_fma_f64 v[97:98], v[47:48], v[53:54], v[97:98]
	;; [unrolled: 2-line block ×8, first 2 shown]
	ds_load_b128 v[45:48], v39 offset:48
	ds_load_b128 v[49:52], v38 offset:1536
	;; [unrolled: 1-line block ×4, first 2 shown]
	v_fma_f64 v[119:120], v[77:78], v[81:82], -v[119:120]
	v_fma_f64 v[121:122], v[79:80], v[81:82], v[121:122]
	v_fma_f64 v[77:78], v[77:78], v[85:86], -v[123:124]
	v_fma_f64 v[79:80], v[79:80], v[85:86], v[125:126]
	v_fma_f64 v[123:124], v[89:90], v[81:82], -v[127:128]
	v_fma_f64 v[81:82], v[91:92], v[81:82], v[83:84]
	v_fma_f64 v[83:84], v[89:90], v[85:86], -v[129:130]
	v_fma_f64 v[85:86], v[91:92], v[85:86], v[87:88]
	s_wait_dscnt 0x2
	v_mul_f64_e32 v[109:110], v[45:46], v[51:52]
	s_wait_dscnt 0x1
	v_mul_f64_e32 v[111:112], v[47:48], v[55:56]
	v_mul_f64_e32 v[113:114], v[45:46], v[55:56]
	v_add_f64_e32 v[2:3], v[30:31], v[2:3]
	v_add_f64_e32 v[71:72], v[93:94], v[32:33]
	;; [unrolled: 1-line block ×8, first 2 shown]
	v_mul_f64_e32 v[101:102], v[47:48], v[51:52]
	s_wait_dscnt 0x0
	v_mul_f64_e32 v[115:116], v[59:60], v[51:52]
	v_mul_f64_e32 v[51:52], v[57:58], v[51:52]
	;; [unrolled: 1-line block ×4, first 2 shown]
	ds_load_b128 v[18:21], v39 offset:64
	ds_load_b128 v[22:25], v38 offset:2048
	;; [unrolled: 1-line block ×4, first 2 shown]
	s_wait_dscnt 0x1
	v_mul_f64_e32 v[125:126], v[18:19], v[28:29]
	s_wait_dscnt 0x0
	v_mul_f64_e32 v[127:128], v[32:33], v[24:25]
	v_mul_f64_e32 v[129:130], v[32:33], v[28:29]
	v_fma_f64 v[109:110], v[47:48], v[49:50], v[109:110]
	v_fma_f64 v[111:112], v[45:46], v[53:54], -v[111:112]
	v_fma_f64 v[113:114], v[47:48], v[53:54], v[113:114]
	v_add_f64_e32 v[2:3], v[2:3], v[103:104]
	v_add_f64_e32 v[87:88], v[105:106], v[71:72]
	;; [unrolled: 1-line block ×8, first 2 shown]
	v_mul_f64_e32 v[103:104], v[20:21], v[24:25]
	v_mul_f64_e32 v[105:106], v[18:19], v[24:25]
	;; [unrolled: 1-line block ×5, first 2 shown]
	v_fma_f64 v[101:102], v[45:46], v[49:50], -v[101:102]
	v_fma_f64 v[115:116], v[57:58], v[49:50], -v[115:116]
	v_fma_f64 v[131:132], v[59:60], v[49:50], v[51:52]
	v_fma_f64 v[117:118], v[57:58], v[53:54], -v[117:118]
	v_fma_f64 v[133:134], v[59:60], v[53:54], v[55:56]
	ds_load_b128 v[61:64], v39 offset:80
	ds_load_b128 v[65:68], v38 offset:2560
	ds_load_b128 v[69:72], v38 offset:2816
	ds_load_b128 v[73:76], v39 offset:2128
	ds_load_b128 v[45:48], v39 offset:96
	ds_load_b128 v[49:52], v38 offset:3072
	ds_load_b128 v[53:56], v38 offset:3328
	ds_load_b128 v[57:60], v39 offset:2144
	v_add_f64_e32 v[2:3], v[2:3], v[119:120]
	v_add_f64_e32 v[87:88], v[121:122], v[87:88]
	;; [unrolled: 1-line block ×8, first 2 shown]
	s_wait_dscnt 0x6
	v_mul_f64_e32 v[91:92], v[63:64], v[67:68]
	v_mul_f64_e32 v[93:94], v[61:62], v[67:68]
	s_wait_dscnt 0x5
	v_mul_f64_e32 v[95:96], v[63:64], v[71:72]
	v_mul_f64_e32 v[97:98], v[61:62], v[71:72]
	;; [unrolled: 3-line block ×3, first 2 shown]
	v_mul_f64_e32 v[119:120], v[75:76], v[71:72]
	v_mul_f64_e32 v[71:72], v[73:74], v[71:72]
	v_fma_f64 v[103:104], v[18:19], v[22:23], -v[103:104]
	v_fma_f64 v[105:106], v[20:21], v[22:23], v[105:106]
	v_fma_f64 v[107:108], v[18:19], v[26:27], -v[107:108]
	v_fma_f64 v[121:122], v[20:21], v[26:27], v[125:126]
	;; [unrolled: 2-line block ×4, first 2 shown]
	ds_load_b128 v[18:21], v39 offset:112
	ds_load_b128 v[22:25], v38 offset:3584
	;; [unrolled: 1-line block ×4, first 2 shown]
	s_wait_loadcnt_dscnt 0x0
	s_barrier_signal -1
	s_barrier_wait -1
	global_inv scope:SCOPE_SE
	v_add_f64_e32 v[2:3], v[2:3], v[101:102]
	v_add_f64_e32 v[87:88], v[109:110], v[87:88]
	;; [unrolled: 1-line block ×8, first 2 shown]
	v_mul_f64_e32 v[101:102], v[47:48], v[51:52]
	v_mul_f64_e32 v[109:110], v[45:46], v[51:52]
	;; [unrolled: 1-line block ×8, first 2 shown]
	v_fma_f64 v[91:92], v[61:62], v[65:66], -v[91:92]
	v_fma_f64 v[93:94], v[63:64], v[65:66], v[93:94]
	v_fma_f64 v[61:62], v[61:62], v[69:70], -v[95:96]
	v_fma_f64 v[63:64], v[63:64], v[69:70], v[97:98]
	;; [unrolled: 2-line block ×4, first 2 shown]
	v_mul_f64_e32 v[97:98], v[18:19], v[28:29]
	v_mul_f64_e32 v[99:100], v[32:33], v[24:25]
	v_add_f64_e32 v[2:3], v[2:3], v[103:104]
	v_add_f64_e32 v[71:72], v[105:106], v[87:88]
	v_add_f64_e32 v[73:74], v[77:78], v[107:108]
	v_add_f64_e32 v[75:76], v[121:122], v[79:80]
	v_add_f64_e32 v[77:78], v[89:90], v[123:124]
	v_add_f64_e32 v[79:80], v[125:126], v[81:82]
	v_add_f64_e32 v[81:82], v[83:84], v[127:128]
	v_add_f64_e32 v[83:84], v[129:130], v[85:86]
	v_mul_f64_e32 v[85:86], v[20:21], v[24:25]
	v_mul_f64_e32 v[87:88], v[18:19], v[24:25]
	;; [unrolled: 1-line block ×6, first 2 shown]
	v_fma_f64 v[101:102], v[45:46], v[49:50], -v[101:102]
	v_fma_f64 v[105:106], v[47:48], v[49:50], v[109:110]
	v_fma_f64 v[45:46], v[45:46], v[53:54], -v[111:112]
	v_fma_f64 v[47:48], v[47:48], v[53:54], v[113:114]
	;; [unrolled: 2-line block ×4, first 2 shown]
	v_add_f64_e32 v[2:3], v[2:3], v[91:92]
	v_add_f64_e32 v[55:56], v[93:94], v[71:72]
	v_add_f64_e32 v[57:58], v[73:74], v[61:62]
	v_add_f64_e32 v[59:60], v[63:64], v[75:76]
	v_add_f64_e32 v[61:62], v[77:78], v[95:96]
	v_add_f64_e32 v[63:64], v[65:66], v[79:80]
	v_add_f64_e32 v[65:66], v[81:82], v[67:68]
	v_add_f64_e32 v[67:68], v[69:70], v[83:84]
	v_fma_f64 v[69:70], v[18:19], v[22:23], -v[85:86]
	v_fma_f64 v[71:72], v[20:21], v[22:23], v[87:88]
	v_fma_f64 v[18:19], v[18:19], v[26:27], -v[89:90]
	v_fma_f64 v[20:21], v[20:21], v[26:27], v[97:98]
	;; [unrolled: 2-line block ×4, first 2 shown]
	v_add_f64_e32 v[2:3], v[2:3], v[101:102]
	v_add_f64_e32 v[22:23], v[105:106], v[55:56]
	;; [unrolled: 1-line block ×16, first 2 shown]
	s_wait_alu 0xfffe
	s_cbranch_vccz .LBB553_21
.LBB553_10:                             ;   Parent Loop BB553_7 Depth=1
                                        ; =>  This Inner Loop Header: Depth=2
	s_mov_b32 s17, 0
	s_mov_b32 s23, s25
	s_and_saveexec_b32 s22, s0
	s_cbranch_execnz .LBB553_18
; %bb.11:                               ;   in Loop: Header=BB553_10 Depth=2
	s_or_b32 exec_lo, exec_lo, s22
	s_and_saveexec_b32 s22, s23
	s_delay_alu instid0(SALU_CYCLE_1)
	s_xor_b32 s22, exec_lo, s22
	s_cbranch_execnz .LBB553_19
.LBB553_12:                             ;   in Loop: Header=BB553_10 Depth=2
	s_or_b32 exec_lo, exec_lo, s22
	s_and_saveexec_b32 s22, s17
	s_cbranch_execz .LBB553_14
.LBB553_13:                             ;   in Loop: Header=BB553_10 Depth=2
	v_lshlrev_b64_e32 v[2:3], 4, v[16:17]
	s_delay_alu instid0(VALU_DEP_1) | instskip(SKIP_1) | instid1(VALU_DEP_2)
	v_add_co_u32 v2, vcc_lo, v41, v2
	s_wait_alu 0xfffd
	v_add_co_ci_u32_e64 v3, null, v42, v3, vcc_lo
	flat_load_b128 v[45:48], v[2:3]
	s_wait_loadcnt_dscnt 0x0
	ds_store_2addr_b64 v36, v[45:46], v[47:48] offset1:1
.LBB553_14:                             ;   in Loop: Header=BB553_10 Depth=2
	s_or_b32 exec_lo, exec_lo, s22
	s_wait_alu 0xfffe
	v_add_nc_u32_e32 v0, s14, v34
	s_delay_alu instid0(VALU_DEP_1) | instskip(SKIP_1) | instid1(SALU_CYCLE_1)
	v_cmp_le_u64_e32 vcc_lo, s[8:9], v[0:1]
	s_or_b32 s17, vcc_lo, s16
	s_and_saveexec_b32 s22, s17
	s_delay_alu instid0(SALU_CYCLE_1)
	s_xor_b32 s17, exec_lo, s22
; %bb.15:                               ;   in Loop: Header=BB553_10 Depth=2
	v_dual_mov_b32 v0, v1 :: v_dual_mov_b32 v3, v1
	v_mov_b32_e32 v2, v1
	ds_store_b128 v37, v[0:3]
; %bb.16:                               ;   in Loop: Header=BB553_10 Depth=2
	s_and_not1_saveexec_b32 s17, s17
	s_cbranch_execz .LBB553_9
; %bb.17:                               ;   in Loop: Header=BB553_10 Depth=2
	v_mad_co_u64_u32 v[2:3], null, s20, v0, 0
	s_delay_alu instid0(VALU_DEP_1) | instskip(NEXT) | instid1(VALU_DEP_1)
	v_mad_co_u64_u32 v[45:46], null, s21, v0, v[3:4]
	v_mov_b32_e32 v3, v45
	s_delay_alu instid0(VALU_DEP_1) | instskip(NEXT) | instid1(VALU_DEP_1)
	v_lshlrev_b64_e32 v[2:3], 4, v[2:3]
	v_add_co_u32 v2, vcc_lo, v43, v2
	s_wait_alu 0xfffd
	s_delay_alu instid0(VALU_DEP_2)
	v_add_co_ci_u32_e64 v3, null, v44, v3, vcc_lo
	flat_load_b128 v[45:48], v[2:3]
	s_wait_loadcnt_dscnt 0x0
	ds_store_2addr_b64 v37, v[45:46], v[47:48] offset1:1
	s_branch .LBB553_9
.LBB553_18:                             ;   in Loop: Header=BB553_10 Depth=2
	s_wait_alu 0xfffe
	v_add_nc_u32_e32 v0, s14, v35
	v_mov_b32_e32 v17, v1
	s_and_not1_b32 s23, s25, exec_lo
	s_mov_b32 s17, exec_lo
	s_delay_alu instid0(VALU_DEP_2) | instskip(SKIP_2) | instid1(SALU_CYCLE_1)
	v_cmp_le_u64_e32 vcc_lo, s[8:9], v[0:1]
	v_mov_b32_e32 v16, v0
	s_and_b32 s30, vcc_lo, exec_lo
	s_or_b32 s23, s23, s30
	s_or_b32 exec_lo, exec_lo, s22
	s_and_saveexec_b32 s22, s23
	s_delay_alu instid0(SALU_CYCLE_1)
	s_xor_b32 s22, exec_lo, s22
	s_cbranch_execz .LBB553_12
.LBB553_19:                             ;   in Loop: Header=BB553_10 Depth=2
	v_dual_mov_b32 v0, v1 :: v_dual_mov_b32 v3, v1
	v_mov_b32_e32 v2, v1
	s_and_not1_b32 s17, s17, exec_lo
	ds_store_b128 v36, v[0:3]
	s_or_b32 exec_lo, exec_lo, s22
	s_and_saveexec_b32 s22, s17
	s_cbranch_execnz .LBB553_13
	s_branch .LBB553_14
.LBB553_20:                             ;   in Loop: Header=BB553_7 Depth=1
	v_mov_b32_e32 v32, 0
	v_mov_b32_e32 v28, 0
	v_dual_mov_b32 v24, 0 :: v_dual_mov_b32 v33, 0
	v_dual_mov_b32 v26, 0 :: v_dual_mov_b32 v29, 0
	;; [unrolled: 1-line block ×3, first 2 shown]
	v_mov_b32_e32 v20, 0
	v_dual_mov_b32 v18, 0 :: v_dual_mov_b32 v27, 0
	v_mov_b32_e32 v23, 0
	v_mov_b32_e32 v21, 0
	;; [unrolled: 1-line block ×3, first 2 shown]
.LBB553_21:                             ;   in Loop: Header=BB553_7 Depth=1
	s_wait_loadcnt 0x0
	v_add_co_u32 v0, vcc_lo, v4, s10
	s_wait_alu 0xfffd
	v_add_co_ci_u32_e64 v41, null, s11, v5, vcc_lo
	s_delay_alu instid0(VALU_DEP_2) | instskip(SKIP_1) | instid1(VALU_DEP_2)
	v_add_co_u32 v42, vcc_lo, v0, v12
	s_wait_alu 0xfffd
	v_add_co_ci_u32_e64 v43, null, v41, v13, vcc_lo
	s_and_saveexec_b32 s14, s29
	s_cbranch_execz .LBB553_26
; %bb.22:                               ;   in Loop: Header=BB553_7 Depth=1
	v_mul_f64_e32 v[2:3], s[42:43], v[32:33]
	v_mul_f64_e32 v[4:5], s[40:41], v[32:33]
	s_and_b32 vcc_lo, exec_lo, s28
	s_mov_b32 s15, -1
	s_delay_alu instid0(VALU_DEP_2) | instskip(NEXT) | instid1(VALU_DEP_2)
	v_fma_f64 v[2:3], s[40:41], v[30:31], -v[2:3]
	v_fma_f64 v[4:5], s[42:43], v[30:31], v[4:5]
	s_wait_alu 0xfffe
	s_cbranch_vccz .LBB553_24
; %bb.23:                               ;   in Loop: Header=BB553_7 Depth=1
	v_lshlrev_b64_e32 v[30:31], 4, v[6:7]
	s_mov_b32 s15, 0
	s_delay_alu instid0(VALU_DEP_1) | instskip(SKIP_1) | instid1(VALU_DEP_2)
	v_add_co_u32 v44, vcc_lo, v42, v30
	s_wait_alu 0xfffd
	v_add_co_ci_u32_e64 v45, null, v43, v31, vcc_lo
	flat_load_b128 v[30:33], v[44:45]
	s_wait_loadcnt_dscnt 0x0
	v_mul_f64_e32 v[46:47], s[38:39], v[32:33]
	v_mul_f64_e32 v[32:33], s[36:37], v[32:33]
	s_delay_alu instid0(VALU_DEP_2) | instskip(NEXT) | instid1(VALU_DEP_2)
	v_fma_f64 v[46:47], s[36:37], v[30:31], -v[46:47]
	v_fma_f64 v[32:33], s[38:39], v[30:31], v[32:33]
	s_delay_alu instid0(VALU_DEP_2) | instskip(NEXT) | instid1(VALU_DEP_2)
	v_add_f64_e32 v[30:31], v[2:3], v[46:47]
	v_add_f64_e32 v[32:33], v[4:5], v[32:33]
	flat_store_b128 v[44:45], v[30:33]
.LBB553_24:                             ;   in Loop: Header=BB553_7 Depth=1
	s_wait_alu 0xfffe
	s_and_not1_b32 vcc_lo, exec_lo, s15
	s_wait_alu 0xfffe
	s_cbranch_vccnz .LBB553_26
; %bb.25:                               ;   in Loop: Header=BB553_7 Depth=1
	v_lshlrev_b64_e32 v[30:31], 4, v[6:7]
	s_delay_alu instid0(VALU_DEP_1) | instskip(SKIP_1) | instid1(VALU_DEP_2)
	v_add_co_u32 v30, vcc_lo, v42, v30
	s_wait_alu 0xfffd
	v_add_co_ci_u32_e64 v31, null, v43, v31, vcc_lo
	flat_store_b128 v[30:31], v[2:5]
.LBB553_26:                             ;   in Loop: Header=BB553_7 Depth=1
	s_wait_alu 0xfffe
	s_or_b32 exec_lo, exec_lo, s14
	s_and_saveexec_b32 s14, s33
	s_cbranch_execz .LBB553_31
; %bb.27:                               ;   in Loop: Header=BB553_7 Depth=1
	v_mul_f64_e32 v[2:3], s[42:43], v[28:29]
	v_mul_f64_e32 v[4:5], s[40:41], v[28:29]
	s_and_not1_b32 vcc_lo, exec_lo, s28
	s_mov_b32 s15, -1
	s_delay_alu instid0(VALU_DEP_2) | instskip(NEXT) | instid1(VALU_DEP_2)
	v_fma_f64 v[2:3], s[40:41], v[26:27], -v[2:3]
	v_fma_f64 v[4:5], s[42:43], v[26:27], v[4:5]
	s_wait_alu 0xfffe
	s_cbranch_vccnz .LBB553_29
; %bb.28:                               ;   in Loop: Header=BB553_7 Depth=1
	v_lshlrev_b64_e32 v[26:27], 4, v[8:9]
	s_mov_b32 s15, 0
	s_delay_alu instid0(VALU_DEP_1) | instskip(SKIP_1) | instid1(VALU_DEP_2)
	v_add_co_u32 v30, vcc_lo, v42, v26
	s_wait_alu 0xfffd
	v_add_co_ci_u32_e64 v31, null, v43, v27, vcc_lo
	flat_load_b128 v[26:29], v[30:31]
	s_wait_loadcnt_dscnt 0x0
	v_mul_f64_e32 v[32:33], s[38:39], v[28:29]
	v_mul_f64_e32 v[28:29], s[36:37], v[28:29]
	s_delay_alu instid0(VALU_DEP_2) | instskip(NEXT) | instid1(VALU_DEP_2)
	v_fma_f64 v[32:33], s[36:37], v[26:27], -v[32:33]
	v_fma_f64 v[28:29], s[38:39], v[26:27], v[28:29]
	s_delay_alu instid0(VALU_DEP_2) | instskip(NEXT) | instid1(VALU_DEP_2)
	v_add_f64_e32 v[26:27], v[2:3], v[32:33]
	v_add_f64_e32 v[28:29], v[4:5], v[28:29]
	flat_store_b128 v[30:31], v[26:29]
.LBB553_29:                             ;   in Loop: Header=BB553_7 Depth=1
	s_wait_alu 0xfffe
	s_and_not1_b32 vcc_lo, exec_lo, s15
	s_wait_alu 0xfffe
	s_cbranch_vccnz .LBB553_31
; %bb.30:                               ;   in Loop: Header=BB553_7 Depth=1
	v_lshlrev_b64_e32 v[26:27], 4, v[8:9]
	s_delay_alu instid0(VALU_DEP_1) | instskip(SKIP_1) | instid1(VALU_DEP_2)
	v_add_co_u32 v26, vcc_lo, v42, v26
	s_wait_alu 0xfffd
	v_add_co_ci_u32_e64 v27, null, v43, v27, vcc_lo
	flat_store_b128 v[26:27], v[2:5]
.LBB553_31:                             ;   in Loop: Header=BB553_7 Depth=1
	s_wait_alu 0xfffe
	s_or_b32 exec_lo, exec_lo, s14
	v_add_co_u32 v0, vcc_lo, v0, v14
	s_wait_alu 0xfffd
	v_add_co_ci_u32_e64 v26, null, v41, v15, vcc_lo
	s_and_saveexec_b32 s14, s1
	s_cbranch_execz .LBB553_36
; %bb.32:                               ;   in Loop: Header=BB553_7 Depth=1
	v_mul_f64_e32 v[2:3], s[42:43], v[24:25]
	v_mul_f64_e32 v[4:5], s[40:41], v[24:25]
	s_and_not1_b32 vcc_lo, exec_lo, s28
	s_mov_b32 s15, -1
	s_delay_alu instid0(VALU_DEP_2) | instskip(NEXT) | instid1(VALU_DEP_2)
	v_fma_f64 v[2:3], s[40:41], v[22:23], -v[2:3]
	v_fma_f64 v[4:5], s[42:43], v[22:23], v[4:5]
	v_lshlrev_b64_e32 v[22:23], 4, v[6:7]
	s_wait_alu 0xfffe
	s_cbranch_vccnz .LBB553_34
; %bb.33:                               ;   in Loop: Header=BB553_7 Depth=1
	s_delay_alu instid0(VALU_DEP_1) | instskip(SKIP_1) | instid1(VALU_DEP_2)
	v_add_co_u32 v24, vcc_lo, v0, v22
	s_wait_alu 0xfffd
	v_add_co_ci_u32_e64 v25, null, v26, v23, vcc_lo
	s_mov_b32 s15, 0
	flat_load_b128 v[27:30], v[24:25]
	s_wait_loadcnt_dscnt 0x0
	v_mul_f64_e32 v[31:32], s[38:39], v[29:30]
	v_mul_f64_e32 v[29:30], s[36:37], v[29:30]
	s_delay_alu instid0(VALU_DEP_2) | instskip(NEXT) | instid1(VALU_DEP_2)
	v_fma_f64 v[31:32], s[36:37], v[27:28], -v[31:32]
	v_fma_f64 v[29:30], s[38:39], v[27:28], v[29:30]
	s_delay_alu instid0(VALU_DEP_2) | instskip(NEXT) | instid1(VALU_DEP_2)
	v_add_f64_e32 v[27:28], v[2:3], v[31:32]
	v_add_f64_e32 v[29:30], v[4:5], v[29:30]
	flat_store_b128 v[24:25], v[27:30]
.LBB553_34:                             ;   in Loop: Header=BB553_7 Depth=1
	s_wait_alu 0xfffe
	s_and_not1_b32 vcc_lo, exec_lo, s15
	s_wait_alu 0xfffe
	s_cbranch_vccnz .LBB553_36
; %bb.35:                               ;   in Loop: Header=BB553_7 Depth=1
	v_add_co_u32 v22, vcc_lo, v0, v22
	s_wait_alu 0xfffd
	v_add_co_ci_u32_e64 v23, null, v26, v23, vcc_lo
	flat_store_b128 v[22:23], v[2:5]
.LBB553_36:                             ;   in Loop: Header=BB553_7 Depth=1
	s_wait_alu 0xfffe
	s_or_b32 exec_lo, exec_lo, s14
	s_and_saveexec_b32 s14, s34
	s_cbranch_execz .LBB553_6
; %bb.37:                               ;   in Loop: Header=BB553_7 Depth=1
	v_mul_f64_e32 v[2:3], s[42:43], v[18:19]
	v_mul_f64_e32 v[4:5], s[40:41], v[18:19]
	v_lshlrev_b64_e32 v[18:19], 4, v[8:9]
	s_and_not1_b32 vcc_lo, exec_lo, s28
	s_mov_b32 s15, -1
	s_delay_alu instid0(VALU_DEP_3) | instskip(NEXT) | instid1(VALU_DEP_3)
	v_fma_f64 v[2:3], s[40:41], v[20:21], -v[2:3]
	v_fma_f64 v[4:5], s[42:43], v[20:21], v[4:5]
	s_wait_alu 0xfffe
	s_cbranch_vccnz .LBB553_39
; %bb.38:                               ;   in Loop: Header=BB553_7 Depth=1
	v_add_co_u32 v24, vcc_lo, v0, v18
	s_wait_alu 0xfffd
	v_add_co_ci_u32_e64 v25, null, v26, v19, vcc_lo
	s_mov_b32 s15, 0
	flat_load_b128 v[20:23], v[24:25]
	s_wait_loadcnt_dscnt 0x0
	v_mul_f64_e32 v[27:28], s[38:39], v[22:23]
	v_mul_f64_e32 v[22:23], s[36:37], v[22:23]
	s_delay_alu instid0(VALU_DEP_2) | instskip(NEXT) | instid1(VALU_DEP_2)
	v_fma_f64 v[27:28], s[36:37], v[20:21], -v[27:28]
	v_fma_f64 v[22:23], s[38:39], v[20:21], v[22:23]
	s_delay_alu instid0(VALU_DEP_2) | instskip(NEXT) | instid1(VALU_DEP_2)
	v_add_f64_e32 v[20:21], v[2:3], v[27:28]
	v_add_f64_e32 v[22:23], v[4:5], v[22:23]
	flat_store_b128 v[24:25], v[20:23]
.LBB553_39:                             ;   in Loop: Header=BB553_7 Depth=1
	s_wait_alu 0xfffe
	s_and_not1_b32 vcc_lo, exec_lo, s15
	s_wait_alu 0xfffe
	s_cbranch_vccnz .LBB553_6
; %bb.40:                               ;   in Loop: Header=BB553_7 Depth=1
	v_add_co_u32 v18, vcc_lo, v0, v18
	s_wait_alu 0xfffd
	v_add_co_ci_u32_e64 v19, null, v26, v19, vcc_lo
	flat_store_b128 v[18:19], v[2:5]
	s_branch .LBB553_6
.LBB553_41:
.LBB553_42:
	s_nop 0
	s_sendmsg sendmsg(MSG_DEALLOC_VGPRS)
	s_endpgm
	.section	.rodata,"a",@progbits
	.p2align	6, 0x0
	.amdhsa_kernel _ZL29rocblas_internal_gemmt_kernelIlLi16ELi32ELi8ELc84ELc84ELc76ELb0ELb0E19rocblas_complex_numIdEPKS1_PKS3_PKPS1_EviT_T9_T10_S9_lSB_S9_lSA_T11_S9_li
		.amdhsa_group_segment_fixed_size 8192
		.amdhsa_private_segment_fixed_size 0
		.amdhsa_kernarg_size 108
		.amdhsa_user_sgpr_count 2
		.amdhsa_user_sgpr_dispatch_ptr 0
		.amdhsa_user_sgpr_queue_ptr 0
		.amdhsa_user_sgpr_kernarg_segment_ptr 1
		.amdhsa_user_sgpr_dispatch_id 0
		.amdhsa_user_sgpr_private_segment_size 0
		.amdhsa_wavefront_size32 1
		.amdhsa_uses_dynamic_stack 0
		.amdhsa_enable_private_segment 0
		.amdhsa_system_sgpr_workgroup_id_x 1
		.amdhsa_system_sgpr_workgroup_id_y 1
		.amdhsa_system_sgpr_workgroup_id_z 1
		.amdhsa_system_sgpr_workgroup_info 0
		.amdhsa_system_vgpr_workitem_id 1
		.amdhsa_next_free_vgpr 135
		.amdhsa_next_free_sgpr 44
		.amdhsa_reserve_vcc 1
		.amdhsa_float_round_mode_32 0
		.amdhsa_float_round_mode_16_64 0
		.amdhsa_float_denorm_mode_32 3
		.amdhsa_float_denorm_mode_16_64 3
		.amdhsa_fp16_overflow 0
		.amdhsa_workgroup_processor_mode 1
		.amdhsa_memory_ordered 1
		.amdhsa_forward_progress 1
		.amdhsa_inst_pref_size 29
		.amdhsa_round_robin_scheduling 0
		.amdhsa_exception_fp_ieee_invalid_op 0
		.amdhsa_exception_fp_denorm_src 0
		.amdhsa_exception_fp_ieee_div_zero 0
		.amdhsa_exception_fp_ieee_overflow 0
		.amdhsa_exception_fp_ieee_underflow 0
		.amdhsa_exception_fp_ieee_inexact 0
		.amdhsa_exception_int_div_zero 0
	.end_amdhsa_kernel
	.section	.text._ZL29rocblas_internal_gemmt_kernelIlLi16ELi32ELi8ELc84ELc84ELc76ELb0ELb0E19rocblas_complex_numIdEPKS1_PKS3_PKPS1_EviT_T9_T10_S9_lSB_S9_lSA_T11_S9_li,"axG",@progbits,_ZL29rocblas_internal_gemmt_kernelIlLi16ELi32ELi8ELc84ELc84ELc76ELb0ELb0E19rocblas_complex_numIdEPKS1_PKS3_PKPS1_EviT_T9_T10_S9_lSB_S9_lSA_T11_S9_li,comdat
.Lfunc_end553:
	.size	_ZL29rocblas_internal_gemmt_kernelIlLi16ELi32ELi8ELc84ELc84ELc76ELb0ELb0E19rocblas_complex_numIdEPKS1_PKS3_PKPS1_EviT_T9_T10_S9_lSB_S9_lSA_T11_S9_li, .Lfunc_end553-_ZL29rocblas_internal_gemmt_kernelIlLi16ELi32ELi8ELc84ELc84ELc76ELb0ELb0E19rocblas_complex_numIdEPKS1_PKS3_PKPS1_EviT_T9_T10_S9_lSB_S9_lSA_T11_S9_li
                                        ; -- End function
	.set _ZL29rocblas_internal_gemmt_kernelIlLi16ELi32ELi8ELc84ELc84ELc76ELb0ELb0E19rocblas_complex_numIdEPKS1_PKS3_PKPS1_EviT_T9_T10_S9_lSB_S9_lSA_T11_S9_li.num_vgpr, 135
	.set _ZL29rocblas_internal_gemmt_kernelIlLi16ELi32ELi8ELc84ELc84ELc76ELb0ELb0E19rocblas_complex_numIdEPKS1_PKS3_PKPS1_EviT_T9_T10_S9_lSB_S9_lSA_T11_S9_li.num_agpr, 0
	.set _ZL29rocblas_internal_gemmt_kernelIlLi16ELi32ELi8ELc84ELc84ELc76ELb0ELb0E19rocblas_complex_numIdEPKS1_PKS3_PKPS1_EviT_T9_T10_S9_lSB_S9_lSA_T11_S9_li.numbered_sgpr, 44
	.set _ZL29rocblas_internal_gemmt_kernelIlLi16ELi32ELi8ELc84ELc84ELc76ELb0ELb0E19rocblas_complex_numIdEPKS1_PKS3_PKPS1_EviT_T9_T10_S9_lSB_S9_lSA_T11_S9_li.num_named_barrier, 0
	.set _ZL29rocblas_internal_gemmt_kernelIlLi16ELi32ELi8ELc84ELc84ELc76ELb0ELb0E19rocblas_complex_numIdEPKS1_PKS3_PKPS1_EviT_T9_T10_S9_lSB_S9_lSA_T11_S9_li.private_seg_size, 0
	.set _ZL29rocblas_internal_gemmt_kernelIlLi16ELi32ELi8ELc84ELc84ELc76ELb0ELb0E19rocblas_complex_numIdEPKS1_PKS3_PKPS1_EviT_T9_T10_S9_lSB_S9_lSA_T11_S9_li.uses_vcc, 1
	.set _ZL29rocblas_internal_gemmt_kernelIlLi16ELi32ELi8ELc84ELc84ELc76ELb0ELb0E19rocblas_complex_numIdEPKS1_PKS3_PKPS1_EviT_T9_T10_S9_lSB_S9_lSA_T11_S9_li.uses_flat_scratch, 0
	.set _ZL29rocblas_internal_gemmt_kernelIlLi16ELi32ELi8ELc84ELc84ELc76ELb0ELb0E19rocblas_complex_numIdEPKS1_PKS3_PKPS1_EviT_T9_T10_S9_lSB_S9_lSA_T11_S9_li.has_dyn_sized_stack, 0
	.set _ZL29rocblas_internal_gemmt_kernelIlLi16ELi32ELi8ELc84ELc84ELc76ELb0ELb0E19rocblas_complex_numIdEPKS1_PKS3_PKPS1_EviT_T9_T10_S9_lSB_S9_lSA_T11_S9_li.has_recursion, 0
	.set _ZL29rocblas_internal_gemmt_kernelIlLi16ELi32ELi8ELc84ELc84ELc76ELb0ELb0E19rocblas_complex_numIdEPKS1_PKS3_PKPS1_EviT_T9_T10_S9_lSB_S9_lSA_T11_S9_li.has_indirect_call, 0
	.section	.AMDGPU.csdata,"",@progbits
; Kernel info:
; codeLenInByte = 3588
; TotalNumSgprs: 46
; NumVgprs: 135
; ScratchSize: 0
; MemoryBound: 0
; FloatMode: 240
; IeeeMode: 1
; LDSByteSize: 8192 bytes/workgroup (compile time only)
; SGPRBlocks: 0
; VGPRBlocks: 16
; NumSGPRsForWavesPerEU: 46
; NumVGPRsForWavesPerEU: 135
; Occupancy: 10
; WaveLimiterHint : 1
; COMPUTE_PGM_RSRC2:SCRATCH_EN: 0
; COMPUTE_PGM_RSRC2:USER_SGPR: 2
; COMPUTE_PGM_RSRC2:TRAP_HANDLER: 0
; COMPUTE_PGM_RSRC2:TGID_X_EN: 1
; COMPUTE_PGM_RSRC2:TGID_Y_EN: 1
; COMPUTE_PGM_RSRC2:TGID_Z_EN: 1
; COMPUTE_PGM_RSRC2:TIDIG_COMP_CNT: 1
	.section	.text._ZL29rocblas_internal_gemmt_kernelIlLi16ELi32ELi8ELc84ELc67ELc76ELb0ELb1E19rocblas_complex_numIdEPKS1_PKS3_PKPS1_EviT_T9_T10_S9_lSB_S9_lSA_T11_S9_li,"axG",@progbits,_ZL29rocblas_internal_gemmt_kernelIlLi16ELi32ELi8ELc84ELc67ELc76ELb0ELb1E19rocblas_complex_numIdEPKS1_PKS3_PKPS1_EviT_T9_T10_S9_lSB_S9_lSA_T11_S9_li,comdat
	.globl	_ZL29rocblas_internal_gemmt_kernelIlLi16ELi32ELi8ELc84ELc67ELc76ELb0ELb1E19rocblas_complex_numIdEPKS1_PKS3_PKPS1_EviT_T9_T10_S9_lSB_S9_lSA_T11_S9_li ; -- Begin function _ZL29rocblas_internal_gemmt_kernelIlLi16ELi32ELi8ELc84ELc67ELc76ELb0ELb1E19rocblas_complex_numIdEPKS1_PKS3_PKPS1_EviT_T9_T10_S9_lSB_S9_lSA_T11_S9_li
	.p2align	8
	.type	_ZL29rocblas_internal_gemmt_kernelIlLi16ELi32ELi8ELc84ELc67ELc76ELb0ELb1E19rocblas_complex_numIdEPKS1_PKS3_PKPS1_EviT_T9_T10_S9_lSB_S9_lSA_T11_S9_li,@function
_ZL29rocblas_internal_gemmt_kernelIlLi16ELi32ELi8ELc84ELc67ELc76ELb0ELb1E19rocblas_complex_numIdEPKS1_PKS3_PKPS1_EviT_T9_T10_S9_lSB_S9_lSA_T11_S9_li: ; @_ZL29rocblas_internal_gemmt_kernelIlLi16ELi32ELi8ELc84ELc67ELc76ELb0ELb1E19rocblas_complex_numIdEPKS1_PKS3_PKPS1_EviT_T9_T10_S9_lSB_S9_lSA_T11_S9_li
; %bb.0:
	s_clause 0x1
	s_load_b256 s[24:31], s[0:1], 0x48
	s_load_b512 s[8:23], s[0:1], 0x8
	s_wait_kmcnt 0x0
	s_load_b128 s[36:39], s[24:25], 0x0
	s_load_b128 s[40:43], s[10:11], 0x0
	s_wait_kmcnt 0x0
	v_cmp_eq_f64_e64 s3, s[36:37], 1.0
	v_cmp_eq_f64_e64 s2, s[38:39], 0
	s_and_b32 s3, s3, s2
	s_delay_alu instid0(SALU_CYCLE_1)
	s_and_not1_b32 vcc_lo, exec_lo, s3
	s_mov_b32 s3, -1
	s_cbranch_vccnz .LBB554_3
; %bb.1:
	s_cmp_lg_u64 s[8:9], 0
	s_cbranch_scc0 .LBB554_39
; %bb.2:
	v_cmp_neq_f64_e64 s3, s[40:41], 0
	v_cmp_neq_f64_e64 s4, s[42:43], 0
	s_or_b32 s3, s3, s4
.LBB554_3:
	s_delay_alu instid0(SALU_CYCLE_1)
	s_and_b32 vcc_lo, exec_lo, s3
	s_cbranch_vccz .LBB554_40
; %bb.4:
	s_load_b32 s24, s[0:1], 0x68
	s_lshr_b32 s6, ttmp7, 16
	s_wait_kmcnt 0x0
	s_cmp_ge_u32 s6, s24
	s_cbranch_scc1 .LBB554_40
; %bb.5:
	v_bfe_u32 v10, v0, 10, 10
	s_load_b32 s5, s[0:1], 0x0
	s_lshl_b32 s0, ttmp7, 5
	v_cmp_neq_f64_e64 s3, s[40:41], 0
	v_cmp_neq_f64_e64 s4, s[42:43], 0
	s_and_b32 s0, s0, 0x1fffe0
	v_cmp_neq_f64_e64 s10, s[36:37], 0
	v_add_nc_u32_e32 v11, s0, v10
	v_dual_mov_b32 v1, 0 :: v_dual_and_b32 v36, 7, v0
	s_lshl_b32 s7, ttmp9, 5
	v_lshl_add_u32 v41, v10, 7, 0x1000
	s_delay_alu instid0(VALU_DEP_3)
	v_mad_co_u64_u32 v[2:3], null, s28, v11, 0
	v_and_b32_e32 v9, 0x3ff, v0
	v_lshlrev_b32_e32 v6, 4, v36
	v_add_nc_u32_e32 v12, 16, v11
	s_ashr_i32 s1, s7, 31
	s_xor_b32 s2, s2, -1
	v_lshl_add_u32 v0, v10, 4, v9
	s_wait_alu 0xfffe
	s_mul_i32 s33, s14, s1
	v_mad_co_u64_u32 v[14:15], null, s28, v12, 0
	v_cmp_gt_i64_e64 s11, s[8:9], 0
	v_and_b32_e32 v4, 31, v0
	v_lshrrev_b32_e32 v37, 5, v0
	v_lshrrev_b32_e32 v0, 3, v0
	s_delay_alu instid0(VALU_DEP_3) | instskip(SKIP_1) | instid1(VALU_DEP_3)
	v_or_b32_e32 v7, s7, v4
	v_lshlrev_b32_e32 v8, 4, v4
	v_lshl_or_b32 v6, v0, 7, v6
	v_add_nc_u32_e32 v16, s0, v0
	v_mov_b32_e32 v0, v3
	v_mul_lo_u32 v13, s15, v7
	v_mad_co_u64_u32 v[4:5], null, s14, v7, 0
	v_add_nc_u32_e32 v39, 0x1000, v6
	v_add_nc_u32_e32 v6, s7, v9
	s_wait_kmcnt 0x0
	v_cmp_gt_i32_e64 s0, s5, v7
	v_cmp_le_i32_e64 s25, s5, v7
	v_lshl_or_b32 v38, v37, 9, v8
	v_mad_co_u64_u32 v[7:8], null, s29, v11, v[0:1]
	v_add_nc_u32_e32 v8, 16, v6
	v_mov_b32_e32 v0, v15
	s_or_b32 s14, s3, s4
	v_cmp_le_i32_e32 vcc_lo, v11, v6
	s_or_b32 s28, s10, s2
	v_cmp_le_i32_e64 s3, v11, v8
	v_mad_co_u64_u32 v[10:11], null, s29, v12, v[0:1]
	v_cmp_gt_i32_e64 s2, s5, v6
	v_add3_u32 v5, v5, s33, v13
	v_mov_b32_e32 v3, v7
	v_cmp_gt_i32_e64 s1, s5, v16
	v_cmp_gt_i32_e64 s4, s5, v8
	s_and_b32 s29, vcc_lo, s2
	v_mov_b32_e32 v15, v10
	v_cmp_le_i32_e32 vcc_lo, v12, v6
	v_cmp_le_i32_e64 s5, v12, v8
	v_lshlrev_b64_e32 v[10:11], 4, v[4:5]
	v_lshlrev_b64_e32 v[12:13], 4, v[2:3]
	;; [unrolled: 1-line block ×3, first 2 shown]
	v_lshlrev_b32_e32 v40, 4, v9
	v_ashrrev_i32_e32 v7, 31, v6
	v_ashrrev_i32_e32 v9, 31, v8
	v_lshlrev_b32_e32 v42, 4, v16
	s_and_b32 s33, s3, s4
	s_and_b32 s34, vcc_lo, s2
	s_and_b32 s35, s5, s4
	s_mov_b32 s7, 0
	s_wait_alu 0xfffe
	s_and_b32 s44, s14, s11
	s_lshl_b64 s[2:3], s[22:23], 4
	s_lshl_b64 s[4:5], s[16:17], 4
	;; [unrolled: 1-line block ×3, first 2 shown]
                                        ; implicit-def: $vgpr16_vgpr17
	s_branch .LBB554_7
.LBB554_6:                              ;   in Loop: Header=BB554_7 Depth=1
	s_wait_alu 0xfffe
	s_or_b32 exec_lo, exec_lo, s14
	s_add_co_i32 s6, s6, 0x10000
	s_wait_alu 0xfffe
	s_cmp_lt_u32 s6, s24
	s_cbranch_scc0 .LBB554_40
.LBB554_7:                              ; =>This Loop Header: Depth=1
                                        ;     Child Loop BB554_10 Depth 2
	s_lshl_b64 s[14:15], s[6:7], 3
	v_mov_b32_e32 v32, 0
	s_wait_alu 0xfffe
	s_add_nc_u64 s[16:17], s[26:27], s[14:15]
	v_mov_b32_e32 v33, 0
	global_load_b64 v[18:19], v1, s[16:17]
	s_and_not1_b32 vcc_lo, exec_lo, s44
	s_wait_alu 0xfffe
	s_cbranch_vccnz .LBB554_18
; %bb.8:                                ;   in Loop: Header=BB554_7 Depth=1
	s_add_nc_u64 s[16:17], s[12:13], s[14:15]
	s_add_nc_u64 s[14:15], s[18:19], s[14:15]
	s_clause 0x1
	global_load_b64 v[2:3], v1, s[16:17]
	global_load_b64 v[4:5], v1, s[14:15]
	v_mov_b32_e32 v20, 0
	v_mov_b32_e32 v26, 0
	;; [unrolled: 1-line block ×3, first 2 shown]
	v_dual_mov_b32 v34, 0 :: v_dual_mov_b32 v21, 0
	v_dual_mov_b32 v22, 0 :: v_dual_mov_b32 v27, 0
	;; [unrolled: 1-line block ×5, first 2 shown]
	v_mov_b32_e32 v25, 0
	v_mov_b32_e32 v29, 0
	;; [unrolled: 1-line block ×3, first 2 shown]
	s_mov_b64 s[14:15], 0
	s_wait_loadcnt 0x1
	v_add_co_u32 v0, vcc_lo, v2, s4
	s_wait_alu 0xfffd
	v_add_co_ci_u32_e64 v2, null, s5, v3, vcc_lo
	s_wait_loadcnt 0x0
	v_add_co_u32 v3, vcc_lo, v4, s2
	s_wait_alu 0xfffd
	v_add_co_ci_u32_e64 v4, null, s3, v5, vcc_lo
	v_add_co_u32 v43, vcc_lo, v0, v10
	s_wait_alu 0xfffd
	v_add_co_ci_u32_e64 v44, null, v2, v11, vcc_lo
	;; [unrolled: 3-line block ×3, first 2 shown]
	s_branch .LBB554_10
.LBB554_9:                              ;   in Loop: Header=BB554_10 Depth=2
	s_or_b32 exec_lo, exec_lo, s16
	ds_store_b128 v39, v[2:5]
	s_wait_dscnt 0x0
	s_barrier_signal -1
	s_barrier_wait -1
	global_inv scope:SCOPE_SE
	ds_load_b128 v[2:5], v41
	ds_load_b128 v[47:50], v40
	ds_load_b128 v[51:54], v40 offset:256
	ds_load_b128 v[55:58], v41 offset:2048
	;; [unrolled: 1-line block ×10, first 2 shown]
	s_add_nc_u64 s[14:15], s[14:15], 8
	s_wait_alu 0xfffe
	v_cmp_gt_i64_e64 s16, s[8:9], s[14:15]
	s_and_b32 vcc_lo, exec_lo, s16
	s_wait_dscnt 0xa
	v_mul_f64_e32 v[91:92], v[4:5], v[49:50]
	v_mul_f64_e32 v[93:94], v[2:3], v[49:50]
	s_wait_dscnt 0x9
	v_mul_f64_e32 v[95:96], v[4:5], v[53:54]
	v_mul_f64_e32 v[97:98], v[2:3], v[53:54]
	;; [unrolled: 3-line block ×3, first 2 shown]
	v_mul_f64_e32 v[101:102], v[57:58], v[53:54]
	v_mul_f64_e32 v[53:54], v[55:56], v[53:54]
	s_wait_dscnt 0x5
	v_mul_f64_e32 v[103:104], v[61:62], v[69:70]
	v_mul_f64_e32 v[105:106], v[59:60], v[69:70]
	s_wait_dscnt 0x4
	v_mul_f64_e32 v[107:108], v[61:62], v[73:74]
	v_mul_f64_e32 v[109:110], v[59:60], v[73:74]
	;; [unrolled: 1-line block ×6, first 2 shown]
	s_wait_dscnt 0x2
	v_mul_f64_e32 v[119:120], v[77:78], v[81:82]
	v_mul_f64_e32 v[121:122], v[75:76], v[81:82]
	s_wait_dscnt 0x1
	v_mul_f64_e32 v[123:124], v[77:78], v[85:86]
	v_mul_f64_e32 v[125:126], v[75:76], v[85:86]
	;; [unrolled: 3-line block ×3, first 2 shown]
	v_mul_f64_e32 v[129:130], v[89:90], v[85:86]
	v_mul_f64_e32 v[85:86], v[87:88], v[85:86]
	v_fma_f64 v[91:92], v[2:3], v[47:48], -v[91:92]
	v_fma_f64 v[93:94], v[4:5], v[47:48], v[93:94]
	v_fma_f64 v[95:96], v[2:3], v[51:52], -v[95:96]
	v_fma_f64 v[97:98], v[4:5], v[51:52], v[97:98]
	;; [unrolled: 2-line block ×8, first 2 shown]
	ds_load_b128 v[2:5], v41 offset:48
	ds_load_b128 v[47:50], v40 offset:1536
	ds_load_b128 v[51:54], v40 offset:1792
	ds_load_b128 v[55:58], v41 offset:2096
	v_fma_f64 v[119:120], v[75:76], v[79:80], -v[119:120]
	v_fma_f64 v[121:122], v[77:78], v[79:80], v[121:122]
	v_fma_f64 v[75:76], v[75:76], v[83:84], -v[123:124]
	v_fma_f64 v[77:78], v[77:78], v[83:84], v[125:126]
	;; [unrolled: 2-line block ×4, first 2 shown]
	s_wait_dscnt 0x2
	v_mul_f64_e32 v[109:110], v[2:3], v[49:50]
	s_wait_dscnt 0x1
	v_mul_f64_e32 v[111:112], v[4:5], v[53:54]
	v_mul_f64_e32 v[113:114], v[2:3], v[53:54]
	v_add_f64_e32 v[69:70], v[32:33], v[91:92]
	v_add_f64_e32 v[71:72], v[93:94], v[34:35]
	;; [unrolled: 1-line block ×8, first 2 shown]
	v_mul_f64_e32 v[101:102], v[4:5], v[49:50]
	s_wait_dscnt 0x0
	v_mul_f64_e32 v[115:116], v[57:58], v[49:50]
	v_mul_f64_e32 v[49:50], v[55:56], v[49:50]
	;; [unrolled: 1-line block ×4, first 2 shown]
	ds_load_b128 v[20:23], v41 offset:64
	ds_load_b128 v[24:27], v40 offset:2048
	;; [unrolled: 1-line block ×4, first 2 shown]
	s_wait_dscnt 0x1
	v_mul_f64_e32 v[125:126], v[20:21], v[30:31]
	s_wait_dscnt 0x0
	v_mul_f64_e32 v[127:128], v[34:35], v[26:27]
	v_mul_f64_e32 v[129:130], v[34:35], v[30:31]
	v_fma_f64 v[109:110], v[4:5], v[47:48], v[109:110]
	v_fma_f64 v[111:112], v[2:3], v[51:52], -v[111:112]
	v_fma_f64 v[113:114], v[4:5], v[51:52], v[113:114]
	v_add_f64_e32 v[85:86], v[69:70], v[103:104]
	v_add_f64_e32 v[87:88], v[105:106], v[71:72]
	;; [unrolled: 1-line block ×8, first 2 shown]
	v_mul_f64_e32 v[103:104], v[22:23], v[26:27]
	v_mul_f64_e32 v[105:106], v[20:21], v[26:27]
	;; [unrolled: 1-line block ×5, first 2 shown]
	v_fma_f64 v[101:102], v[2:3], v[47:48], -v[101:102]
	v_fma_f64 v[115:116], v[55:56], v[47:48], -v[115:116]
	v_fma_f64 v[131:132], v[57:58], v[47:48], v[49:50]
	v_fma_f64 v[117:118], v[55:56], v[51:52], -v[117:118]
	v_fma_f64 v[133:134], v[57:58], v[51:52], v[53:54]
	ds_load_b128 v[59:62], v41 offset:80
	ds_load_b128 v[63:66], v40 offset:2560
	;; [unrolled: 1-line block ×8, first 2 shown]
	v_add_f64_e32 v[85:86], v[85:86], v[119:120]
	v_add_f64_e32 v[87:88], v[121:122], v[87:88]
	;; [unrolled: 1-line block ×8, first 2 shown]
	s_wait_dscnt 0x6
	v_mul_f64_e32 v[91:92], v[61:62], v[65:66]
	v_mul_f64_e32 v[93:94], v[59:60], v[65:66]
	s_wait_dscnt 0x5
	v_mul_f64_e32 v[95:96], v[61:62], v[69:70]
	v_mul_f64_e32 v[97:98], v[59:60], v[69:70]
	;; [unrolled: 3-line block ×3, first 2 shown]
	v_mul_f64_e32 v[119:120], v[73:74], v[69:70]
	v_mul_f64_e32 v[69:70], v[71:72], v[69:70]
	v_fma_f64 v[103:104], v[20:21], v[24:25], -v[103:104]
	v_fma_f64 v[105:106], v[22:23], v[24:25], v[105:106]
	v_fma_f64 v[107:108], v[20:21], v[28:29], -v[107:108]
	v_fma_f64 v[121:122], v[22:23], v[28:29], v[125:126]
	;; [unrolled: 2-line block ×4, first 2 shown]
	ds_load_b128 v[20:23], v41 offset:112
	ds_load_b128 v[24:27], v40 offset:3584
	;; [unrolled: 1-line block ×4, first 2 shown]
	s_wait_loadcnt_dscnt 0x0
	s_barrier_signal -1
	s_barrier_wait -1
	global_inv scope:SCOPE_SE
	v_add_f64_e32 v[85:86], v[85:86], v[101:102]
	v_add_f64_e32 v[87:88], v[109:110], v[87:88]
	;; [unrolled: 1-line block ×8, first 2 shown]
	v_mul_f64_e32 v[101:102], v[4:5], v[49:50]
	v_mul_f64_e32 v[109:110], v[2:3], v[49:50]
	;; [unrolled: 1-line block ×8, first 2 shown]
	v_fma_f64 v[91:92], v[59:60], v[63:64], -v[91:92]
	v_fma_f64 v[93:94], v[61:62], v[63:64], v[93:94]
	v_fma_f64 v[59:60], v[59:60], v[67:68], -v[95:96]
	v_fma_f64 v[61:62], v[61:62], v[67:68], v[97:98]
	;; [unrolled: 2-line block ×4, first 2 shown]
	v_mul_f64_e32 v[97:98], v[20:21], v[30:31]
	v_mul_f64_e32 v[99:100], v[34:35], v[26:27]
	v_add_f64_e32 v[69:70], v[85:86], v[103:104]
	v_add_f64_e32 v[71:72], v[105:106], v[87:88]
	;; [unrolled: 1-line block ×8, first 2 shown]
	v_mul_f64_e32 v[85:86], v[22:23], v[26:27]
	v_mul_f64_e32 v[87:88], v[20:21], v[26:27]
	;; [unrolled: 1-line block ×6, first 2 shown]
	v_fma_f64 v[101:102], v[2:3], v[47:48], -v[101:102]
	v_fma_f64 v[105:106], v[4:5], v[47:48], v[109:110]
	v_fma_f64 v[2:3], v[2:3], v[51:52], -v[111:112]
	v_fma_f64 v[4:5], v[4:5], v[51:52], v[113:114]
	;; [unrolled: 2-line block ×4, first 2 shown]
	v_add_f64_e32 v[53:54], v[69:70], v[91:92]
	v_add_f64_e32 v[55:56], v[93:94], v[71:72]
	;; [unrolled: 1-line block ×8, first 2 shown]
	v_fma_f64 v[69:70], v[20:21], v[24:25], -v[85:86]
	v_fma_f64 v[71:72], v[22:23], v[24:25], v[87:88]
	v_fma_f64 v[20:21], v[20:21], v[28:29], -v[89:90]
	v_fma_f64 v[22:23], v[22:23], v[28:29], v[97:98]
	;; [unrolled: 2-line block ×4, first 2 shown]
	v_add_f64_e32 v[24:25], v[53:54], v[101:102]
	v_add_f64_e32 v[28:29], v[105:106], v[55:56]
	;; [unrolled: 1-line block ×16, first 2 shown]
	s_wait_alu 0xfffe
	s_cbranch_vccz .LBB554_19
.LBB554_10:                             ;   Parent Loop BB554_7 Depth=1
                                        ; =>  This Inner Loop Header: Depth=2
	s_mov_b32 s16, 0
	s_mov_b32 s22, s25
	s_and_saveexec_b32 s17, s0
	s_cbranch_execnz .LBB554_16
; %bb.11:                               ;   in Loop: Header=BB554_10 Depth=2
	s_or_b32 exec_lo, exec_lo, s17
	s_and_saveexec_b32 s17, s22
	s_delay_alu instid0(SALU_CYCLE_1)
	s_xor_b32 s17, exec_lo, s17
	s_cbranch_execnz .LBB554_17
.LBB554_12:                             ;   in Loop: Header=BB554_10 Depth=2
	s_or_b32 exec_lo, exec_lo, s17
	s_and_saveexec_b32 s17, s16
	s_cbranch_execz .LBB554_14
.LBB554_13:                             ;   in Loop: Header=BB554_10 Depth=2
	v_lshlrev_b64_e32 v[2:3], 4, v[16:17]
	s_delay_alu instid0(VALU_DEP_1) | instskip(SKIP_1) | instid1(VALU_DEP_2)
	v_add_co_u32 v2, vcc_lo, v43, v2
	s_wait_alu 0xfffd
	v_add_co_ci_u32_e64 v3, null, v44, v3, vcc_lo
	flat_load_b128 v[2:5], v[2:3]
	s_wait_loadcnt_dscnt 0x0
	ds_store_2addr_b64 v38, v[2:3], v[4:5] offset1:1
.LBB554_14:                             ;   in Loop: Header=BB554_10 Depth=2
	s_or_b32 exec_lo, exec_lo, s17
	s_wait_alu 0xfffe
	v_add_nc_u32_e32 v0, s14, v36
	v_mov_b32_e32 v2, 0
	v_dual_mov_b32 v3, 0 :: v_dual_mov_b32 v4, 0
	v_mov_b32_e32 v5, 0
	s_delay_alu instid0(VALU_DEP_4) | instskip(SKIP_1) | instid1(SALU_CYCLE_1)
	v_cmp_gt_u64_e32 vcc_lo, s[8:9], v[0:1]
	s_and_b32 s17, vcc_lo, s1
	s_and_saveexec_b32 s16, s17
	s_cbranch_execz .LBB554_9
; %bb.15:                               ;   in Loop: Header=BB554_10 Depth=2
	v_mad_co_u64_u32 v[2:3], null, s20, v0, 0
	s_delay_alu instid0(VALU_DEP_1) | instskip(NEXT) | instid1(VALU_DEP_1)
	v_mad_co_u64_u32 v[3:4], null, s21, v0, v[3:4]
	v_lshlrev_b64_e32 v[2:3], 4, v[2:3]
	s_delay_alu instid0(VALU_DEP_1) | instskip(SKIP_1) | instid1(VALU_DEP_2)
	v_add_co_u32 v2, vcc_lo, v45, v2
	s_wait_alu 0xfffd
	v_add_co_ci_u32_e64 v3, null, v46, v3, vcc_lo
	flat_load_b128 v[2:5], v[2:3]
	s_wait_loadcnt_dscnt 0x0
	v_xor_b32_e32 v5, 0x80000000, v5
	s_branch .LBB554_9
.LBB554_16:                             ;   in Loop: Header=BB554_10 Depth=2
	s_wait_alu 0xfffe
	v_add_nc_u32_e32 v0, s14, v37
	v_mov_b32_e32 v17, v1
	s_and_not1_b32 s22, s25, exec_lo
	s_mov_b32 s16, exec_lo
	s_delay_alu instid0(VALU_DEP_2) | instskip(SKIP_2) | instid1(SALU_CYCLE_1)
	v_cmp_le_u64_e32 vcc_lo, s[8:9], v[0:1]
	v_mov_b32_e32 v16, v0
	s_and_b32 s23, vcc_lo, exec_lo
	s_or_b32 s22, s22, s23
	s_or_b32 exec_lo, exec_lo, s17
	s_and_saveexec_b32 s17, s22
	s_delay_alu instid0(SALU_CYCLE_1)
	s_xor_b32 s17, exec_lo, s17
	s_cbranch_execz .LBB554_12
.LBB554_17:                             ;   in Loop: Header=BB554_10 Depth=2
	v_dual_mov_b32 v0, v1 :: v_dual_mov_b32 v3, v1
	v_mov_b32_e32 v2, v1
	s_and_not1_b32 s16, s16, exec_lo
	ds_store_b128 v38, v[0:3]
	s_or_b32 exec_lo, exec_lo, s17
	s_and_saveexec_b32 s17, s16
	s_cbranch_execnz .LBB554_13
	s_branch .LBB554_14
.LBB554_18:                             ;   in Loop: Header=BB554_7 Depth=1
	v_mov_b32_e32 v34, 0
	v_mov_b32_e32 v30, 0
	v_dual_mov_b32 v26, 0 :: v_dual_mov_b32 v35, 0
	v_dual_mov_b32 v28, 0 :: v_dual_mov_b32 v31, 0
	;; [unrolled: 1-line block ×3, first 2 shown]
	v_mov_b32_e32 v22, 0
	v_dual_mov_b32 v20, 0 :: v_dual_mov_b32 v29, 0
	v_mov_b32_e32 v25, 0
	v_mov_b32_e32 v23, 0
	;; [unrolled: 1-line block ×3, first 2 shown]
.LBB554_19:                             ;   in Loop: Header=BB554_7 Depth=1
	s_wait_loadcnt 0x0
	v_add_co_u32 v0, vcc_lo, v18, s10
	s_wait_alu 0xfffd
	v_add_co_ci_u32_e64 v18, null, s11, v19, vcc_lo
	s_delay_alu instid0(VALU_DEP_2) | instskip(SKIP_1) | instid1(VALU_DEP_2)
	v_add_co_u32 v19, vcc_lo, v0, v12
	s_wait_alu 0xfffd
	v_add_co_ci_u32_e64 v43, null, v18, v13, vcc_lo
	s_and_saveexec_b32 s14, s29
	s_cbranch_execz .LBB554_24
; %bb.20:                               ;   in Loop: Header=BB554_7 Depth=1
	v_mul_f64_e32 v[2:3], s[42:43], v[34:35]
	v_mul_f64_e32 v[4:5], s[40:41], v[34:35]
	s_and_b32 vcc_lo, exec_lo, s28
	s_mov_b32 s15, -1
	s_delay_alu instid0(VALU_DEP_2) | instskip(NEXT) | instid1(VALU_DEP_2)
	v_fma_f64 v[2:3], s[40:41], v[32:33], -v[2:3]
	v_fma_f64 v[4:5], s[42:43], v[32:33], v[4:5]
	s_wait_alu 0xfffe
	s_cbranch_vccz .LBB554_22
; %bb.21:                               ;   in Loop: Header=BB554_7 Depth=1
	v_lshlrev_b64_e32 v[32:33], 4, v[6:7]
	s_mov_b32 s15, 0
	s_delay_alu instid0(VALU_DEP_1) | instskip(SKIP_1) | instid1(VALU_DEP_2)
	v_add_co_u32 v44, vcc_lo, v19, v32
	s_wait_alu 0xfffd
	v_add_co_ci_u32_e64 v45, null, v43, v33, vcc_lo
	flat_load_b128 v[32:35], v[44:45]
	s_wait_loadcnt_dscnt 0x0
	v_mul_f64_e32 v[46:47], s[38:39], v[34:35]
	v_mul_f64_e32 v[34:35], s[36:37], v[34:35]
	s_delay_alu instid0(VALU_DEP_2) | instskip(NEXT) | instid1(VALU_DEP_2)
	v_fma_f64 v[46:47], s[36:37], v[32:33], -v[46:47]
	v_fma_f64 v[34:35], s[38:39], v[32:33], v[34:35]
	s_delay_alu instid0(VALU_DEP_2) | instskip(NEXT) | instid1(VALU_DEP_2)
	v_add_f64_e32 v[32:33], v[2:3], v[46:47]
	v_add_f64_e32 v[34:35], v[4:5], v[34:35]
	flat_store_b128 v[44:45], v[32:35]
.LBB554_22:                             ;   in Loop: Header=BB554_7 Depth=1
	s_wait_alu 0xfffe
	s_and_not1_b32 vcc_lo, exec_lo, s15
	s_wait_alu 0xfffe
	s_cbranch_vccnz .LBB554_24
; %bb.23:                               ;   in Loop: Header=BB554_7 Depth=1
	v_lshlrev_b64_e32 v[32:33], 4, v[6:7]
	s_delay_alu instid0(VALU_DEP_1) | instskip(SKIP_1) | instid1(VALU_DEP_2)
	v_add_co_u32 v32, vcc_lo, v19, v32
	s_wait_alu 0xfffd
	v_add_co_ci_u32_e64 v33, null, v43, v33, vcc_lo
	flat_store_b128 v[32:33], v[2:5]
.LBB554_24:                             ;   in Loop: Header=BB554_7 Depth=1
	s_wait_alu 0xfffe
	s_or_b32 exec_lo, exec_lo, s14
	s_and_saveexec_b32 s14, s33
	s_cbranch_execz .LBB554_29
; %bb.25:                               ;   in Loop: Header=BB554_7 Depth=1
	v_mul_f64_e32 v[2:3], s[42:43], v[30:31]
	v_mul_f64_e32 v[4:5], s[40:41], v[30:31]
	s_and_not1_b32 vcc_lo, exec_lo, s28
	s_mov_b32 s15, -1
	s_delay_alu instid0(VALU_DEP_2) | instskip(NEXT) | instid1(VALU_DEP_2)
	v_fma_f64 v[2:3], s[40:41], v[28:29], -v[2:3]
	v_fma_f64 v[4:5], s[42:43], v[28:29], v[4:5]
	s_wait_alu 0xfffe
	s_cbranch_vccnz .LBB554_27
; %bb.26:                               ;   in Loop: Header=BB554_7 Depth=1
	v_lshlrev_b64_e32 v[28:29], 4, v[8:9]
	s_mov_b32 s15, 0
	s_delay_alu instid0(VALU_DEP_1) | instskip(SKIP_1) | instid1(VALU_DEP_2)
	v_add_co_u32 v32, vcc_lo, v19, v28
	s_wait_alu 0xfffd
	v_add_co_ci_u32_e64 v33, null, v43, v29, vcc_lo
	flat_load_b128 v[28:31], v[32:33]
	s_wait_loadcnt_dscnt 0x0
	v_mul_f64_e32 v[34:35], s[38:39], v[30:31]
	v_mul_f64_e32 v[30:31], s[36:37], v[30:31]
	s_delay_alu instid0(VALU_DEP_2) | instskip(NEXT) | instid1(VALU_DEP_2)
	v_fma_f64 v[34:35], s[36:37], v[28:29], -v[34:35]
	v_fma_f64 v[30:31], s[38:39], v[28:29], v[30:31]
	s_delay_alu instid0(VALU_DEP_2) | instskip(NEXT) | instid1(VALU_DEP_2)
	v_add_f64_e32 v[28:29], v[2:3], v[34:35]
	v_add_f64_e32 v[30:31], v[4:5], v[30:31]
	flat_store_b128 v[32:33], v[28:31]
.LBB554_27:                             ;   in Loop: Header=BB554_7 Depth=1
	s_wait_alu 0xfffe
	s_and_not1_b32 vcc_lo, exec_lo, s15
	s_wait_alu 0xfffe
	s_cbranch_vccnz .LBB554_29
; %bb.28:                               ;   in Loop: Header=BB554_7 Depth=1
	v_lshlrev_b64_e32 v[28:29], 4, v[8:9]
	s_delay_alu instid0(VALU_DEP_1) | instskip(SKIP_1) | instid1(VALU_DEP_2)
	v_add_co_u32 v28, vcc_lo, v19, v28
	s_wait_alu 0xfffd
	v_add_co_ci_u32_e64 v29, null, v43, v29, vcc_lo
	flat_store_b128 v[28:29], v[2:5]
.LBB554_29:                             ;   in Loop: Header=BB554_7 Depth=1
	s_wait_alu 0xfffe
	s_or_b32 exec_lo, exec_lo, s14
	v_add_co_u32 v0, vcc_lo, v0, v14
	s_wait_alu 0xfffd
	v_add_co_ci_u32_e64 v28, null, v18, v15, vcc_lo
	s_and_saveexec_b32 s14, s34
	s_cbranch_execz .LBB554_34
; %bb.30:                               ;   in Loop: Header=BB554_7 Depth=1
	v_mul_f64_e32 v[2:3], s[42:43], v[26:27]
	v_mul_f64_e32 v[4:5], s[40:41], v[26:27]
	v_lshlrev_b64_e32 v[18:19], 4, v[6:7]
	s_and_not1_b32 vcc_lo, exec_lo, s28
	s_mov_b32 s15, -1
	s_delay_alu instid0(VALU_DEP_3) | instskip(NEXT) | instid1(VALU_DEP_3)
	v_fma_f64 v[2:3], s[40:41], v[24:25], -v[2:3]
	v_fma_f64 v[4:5], s[42:43], v[24:25], v[4:5]
	s_wait_alu 0xfffe
	s_cbranch_vccnz .LBB554_32
; %bb.31:                               ;   in Loop: Header=BB554_7 Depth=1
	v_add_co_u32 v29, vcc_lo, v0, v18
	s_wait_alu 0xfffd
	v_add_co_ci_u32_e64 v30, null, v28, v19, vcc_lo
	s_mov_b32 s15, 0
	flat_load_b128 v[24:27], v[29:30]
	s_wait_loadcnt_dscnt 0x0
	v_mul_f64_e32 v[31:32], s[38:39], v[26:27]
	v_mul_f64_e32 v[26:27], s[36:37], v[26:27]
	s_delay_alu instid0(VALU_DEP_2) | instskip(NEXT) | instid1(VALU_DEP_2)
	v_fma_f64 v[31:32], s[36:37], v[24:25], -v[31:32]
	v_fma_f64 v[26:27], s[38:39], v[24:25], v[26:27]
	s_delay_alu instid0(VALU_DEP_2) | instskip(NEXT) | instid1(VALU_DEP_2)
	v_add_f64_e32 v[24:25], v[2:3], v[31:32]
	v_add_f64_e32 v[26:27], v[4:5], v[26:27]
	flat_store_b128 v[29:30], v[24:27]
.LBB554_32:                             ;   in Loop: Header=BB554_7 Depth=1
	s_wait_alu 0xfffe
	s_and_not1_b32 vcc_lo, exec_lo, s15
	s_wait_alu 0xfffe
	s_cbranch_vccnz .LBB554_34
; %bb.33:                               ;   in Loop: Header=BB554_7 Depth=1
	v_add_co_u32 v18, vcc_lo, v0, v18
	s_wait_alu 0xfffd
	v_add_co_ci_u32_e64 v19, null, v28, v19, vcc_lo
	flat_store_b128 v[18:19], v[2:5]
.LBB554_34:                             ;   in Loop: Header=BB554_7 Depth=1
	s_wait_alu 0xfffe
	s_or_b32 exec_lo, exec_lo, s14
	s_and_saveexec_b32 s14, s35
	s_cbranch_execz .LBB554_6
; %bb.35:                               ;   in Loop: Header=BB554_7 Depth=1
	v_mul_f64_e32 v[2:3], s[42:43], v[20:21]
	v_mul_f64_e32 v[4:5], s[40:41], v[20:21]
	v_lshlrev_b64_e32 v[18:19], 4, v[8:9]
	s_and_not1_b32 vcc_lo, exec_lo, s28
	s_mov_b32 s15, -1
	s_delay_alu instid0(VALU_DEP_3) | instskip(NEXT) | instid1(VALU_DEP_3)
	v_fma_f64 v[2:3], s[40:41], v[22:23], -v[2:3]
	v_fma_f64 v[4:5], s[42:43], v[22:23], v[4:5]
	s_wait_alu 0xfffe
	s_cbranch_vccnz .LBB554_37
; %bb.36:                               ;   in Loop: Header=BB554_7 Depth=1
	v_add_co_u32 v24, vcc_lo, v0, v18
	s_wait_alu 0xfffd
	v_add_co_ci_u32_e64 v25, null, v28, v19, vcc_lo
	s_mov_b32 s15, 0
	flat_load_b128 v[20:23], v[24:25]
	s_wait_loadcnt_dscnt 0x0
	v_mul_f64_e32 v[26:27], s[38:39], v[22:23]
	v_mul_f64_e32 v[22:23], s[36:37], v[22:23]
	s_delay_alu instid0(VALU_DEP_2) | instskip(NEXT) | instid1(VALU_DEP_2)
	v_fma_f64 v[26:27], s[36:37], v[20:21], -v[26:27]
	v_fma_f64 v[22:23], s[38:39], v[20:21], v[22:23]
	s_delay_alu instid0(VALU_DEP_2) | instskip(NEXT) | instid1(VALU_DEP_2)
	v_add_f64_e32 v[20:21], v[2:3], v[26:27]
	v_add_f64_e32 v[22:23], v[4:5], v[22:23]
	flat_store_b128 v[24:25], v[20:23]
.LBB554_37:                             ;   in Loop: Header=BB554_7 Depth=1
	s_wait_alu 0xfffe
	s_and_not1_b32 vcc_lo, exec_lo, s15
	s_wait_alu 0xfffe
	s_cbranch_vccnz .LBB554_6
; %bb.38:                               ;   in Loop: Header=BB554_7 Depth=1
	v_add_co_u32 v18, vcc_lo, v0, v18
	s_wait_alu 0xfffd
	v_add_co_ci_u32_e64 v19, null, v28, v19, vcc_lo
	flat_store_b128 v[18:19], v[2:5]
	s_branch .LBB554_6
.LBB554_39:
.LBB554_40:
	s_nop 0
	s_sendmsg sendmsg(MSG_DEALLOC_VGPRS)
	s_endpgm
	.section	.rodata,"a",@progbits
	.p2align	6, 0x0
	.amdhsa_kernel _ZL29rocblas_internal_gemmt_kernelIlLi16ELi32ELi8ELc84ELc67ELc76ELb0ELb1E19rocblas_complex_numIdEPKS1_PKS3_PKPS1_EviT_T9_T10_S9_lSB_S9_lSA_T11_S9_li
		.amdhsa_group_segment_fixed_size 8192
		.amdhsa_private_segment_fixed_size 0
		.amdhsa_kernarg_size 108
		.amdhsa_user_sgpr_count 2
		.amdhsa_user_sgpr_dispatch_ptr 0
		.amdhsa_user_sgpr_queue_ptr 0
		.amdhsa_user_sgpr_kernarg_segment_ptr 1
		.amdhsa_user_sgpr_dispatch_id 0
		.amdhsa_user_sgpr_private_segment_size 0
		.amdhsa_wavefront_size32 1
		.amdhsa_uses_dynamic_stack 0
		.amdhsa_enable_private_segment 0
		.amdhsa_system_sgpr_workgroup_id_x 1
		.amdhsa_system_sgpr_workgroup_id_y 1
		.amdhsa_system_sgpr_workgroup_id_z 1
		.amdhsa_system_sgpr_workgroup_info 0
		.amdhsa_system_vgpr_workitem_id 1
		.amdhsa_next_free_vgpr 135
		.amdhsa_next_free_sgpr 45
		.amdhsa_reserve_vcc 1
		.amdhsa_float_round_mode_32 0
		.amdhsa_float_round_mode_16_64 0
		.amdhsa_float_denorm_mode_32 3
		.amdhsa_float_denorm_mode_16_64 3
		.amdhsa_fp16_overflow 0
		.amdhsa_workgroup_processor_mode 1
		.amdhsa_memory_ordered 1
		.amdhsa_forward_progress 1
		.amdhsa_inst_pref_size 28
		.amdhsa_round_robin_scheduling 0
		.amdhsa_exception_fp_ieee_invalid_op 0
		.amdhsa_exception_fp_denorm_src 0
		.amdhsa_exception_fp_ieee_div_zero 0
		.amdhsa_exception_fp_ieee_overflow 0
		.amdhsa_exception_fp_ieee_underflow 0
		.amdhsa_exception_fp_ieee_inexact 0
		.amdhsa_exception_int_div_zero 0
	.end_amdhsa_kernel
	.section	.text._ZL29rocblas_internal_gemmt_kernelIlLi16ELi32ELi8ELc84ELc67ELc76ELb0ELb1E19rocblas_complex_numIdEPKS1_PKS3_PKPS1_EviT_T9_T10_S9_lSB_S9_lSA_T11_S9_li,"axG",@progbits,_ZL29rocblas_internal_gemmt_kernelIlLi16ELi32ELi8ELc84ELc67ELc76ELb0ELb1E19rocblas_complex_numIdEPKS1_PKS3_PKPS1_EviT_T9_T10_S9_lSB_S9_lSA_T11_S9_li,comdat
.Lfunc_end554:
	.size	_ZL29rocblas_internal_gemmt_kernelIlLi16ELi32ELi8ELc84ELc67ELc76ELb0ELb1E19rocblas_complex_numIdEPKS1_PKS3_PKPS1_EviT_T9_T10_S9_lSB_S9_lSA_T11_S9_li, .Lfunc_end554-_ZL29rocblas_internal_gemmt_kernelIlLi16ELi32ELi8ELc84ELc67ELc76ELb0ELb1E19rocblas_complex_numIdEPKS1_PKS3_PKPS1_EviT_T9_T10_S9_lSB_S9_lSA_T11_S9_li
                                        ; -- End function
	.set _ZL29rocblas_internal_gemmt_kernelIlLi16ELi32ELi8ELc84ELc67ELc76ELb0ELb1E19rocblas_complex_numIdEPKS1_PKS3_PKPS1_EviT_T9_T10_S9_lSB_S9_lSA_T11_S9_li.num_vgpr, 135
	.set _ZL29rocblas_internal_gemmt_kernelIlLi16ELi32ELi8ELc84ELc67ELc76ELb0ELb1E19rocblas_complex_numIdEPKS1_PKS3_PKPS1_EviT_T9_T10_S9_lSB_S9_lSA_T11_S9_li.num_agpr, 0
	.set _ZL29rocblas_internal_gemmt_kernelIlLi16ELi32ELi8ELc84ELc67ELc76ELb0ELb1E19rocblas_complex_numIdEPKS1_PKS3_PKPS1_EviT_T9_T10_S9_lSB_S9_lSA_T11_S9_li.numbered_sgpr, 45
	.set _ZL29rocblas_internal_gemmt_kernelIlLi16ELi32ELi8ELc84ELc67ELc76ELb0ELb1E19rocblas_complex_numIdEPKS1_PKS3_PKPS1_EviT_T9_T10_S9_lSB_S9_lSA_T11_S9_li.num_named_barrier, 0
	.set _ZL29rocblas_internal_gemmt_kernelIlLi16ELi32ELi8ELc84ELc67ELc76ELb0ELb1E19rocblas_complex_numIdEPKS1_PKS3_PKPS1_EviT_T9_T10_S9_lSB_S9_lSA_T11_S9_li.private_seg_size, 0
	.set _ZL29rocblas_internal_gemmt_kernelIlLi16ELi32ELi8ELc84ELc67ELc76ELb0ELb1E19rocblas_complex_numIdEPKS1_PKS3_PKPS1_EviT_T9_T10_S9_lSB_S9_lSA_T11_S9_li.uses_vcc, 1
	.set _ZL29rocblas_internal_gemmt_kernelIlLi16ELi32ELi8ELc84ELc67ELc76ELb0ELb1E19rocblas_complex_numIdEPKS1_PKS3_PKPS1_EviT_T9_T10_S9_lSB_S9_lSA_T11_S9_li.uses_flat_scratch, 0
	.set _ZL29rocblas_internal_gemmt_kernelIlLi16ELi32ELi8ELc84ELc67ELc76ELb0ELb1E19rocblas_complex_numIdEPKS1_PKS3_PKPS1_EviT_T9_T10_S9_lSB_S9_lSA_T11_S9_li.has_dyn_sized_stack, 0
	.set _ZL29rocblas_internal_gemmt_kernelIlLi16ELi32ELi8ELc84ELc67ELc76ELb0ELb1E19rocblas_complex_numIdEPKS1_PKS3_PKPS1_EviT_T9_T10_S9_lSB_S9_lSA_T11_S9_li.has_recursion, 0
	.set _ZL29rocblas_internal_gemmt_kernelIlLi16ELi32ELi8ELc84ELc67ELc76ELb0ELb1E19rocblas_complex_numIdEPKS1_PKS3_PKPS1_EviT_T9_T10_S9_lSB_S9_lSA_T11_S9_li.has_indirect_call, 0
	.section	.AMDGPU.csdata,"",@progbits
; Kernel info:
; codeLenInByte = 3552
; TotalNumSgprs: 47
; NumVgprs: 135
; ScratchSize: 0
; MemoryBound: 1
; FloatMode: 240
; IeeeMode: 1
; LDSByteSize: 8192 bytes/workgroup (compile time only)
; SGPRBlocks: 0
; VGPRBlocks: 16
; NumSGPRsForWavesPerEU: 47
; NumVGPRsForWavesPerEU: 135
; Occupancy: 10
; WaveLimiterHint : 1
; COMPUTE_PGM_RSRC2:SCRATCH_EN: 0
; COMPUTE_PGM_RSRC2:USER_SGPR: 2
; COMPUTE_PGM_RSRC2:TRAP_HANDLER: 0
; COMPUTE_PGM_RSRC2:TGID_X_EN: 1
; COMPUTE_PGM_RSRC2:TGID_Y_EN: 1
; COMPUTE_PGM_RSRC2:TGID_Z_EN: 1
; COMPUTE_PGM_RSRC2:TIDIG_COMP_CNT: 1
	.section	.text._ZL29rocblas_internal_gemmt_kernelIlLi16ELi32ELi8ELc67ELc78ELc76ELb1ELb0E19rocblas_complex_numIdEPKS1_PKS3_PKPS1_EviT_T9_T10_S9_lSB_S9_lSA_T11_S9_li,"axG",@progbits,_ZL29rocblas_internal_gemmt_kernelIlLi16ELi32ELi8ELc67ELc78ELc76ELb1ELb0E19rocblas_complex_numIdEPKS1_PKS3_PKPS1_EviT_T9_T10_S9_lSB_S9_lSA_T11_S9_li,comdat
	.globl	_ZL29rocblas_internal_gemmt_kernelIlLi16ELi32ELi8ELc67ELc78ELc76ELb1ELb0E19rocblas_complex_numIdEPKS1_PKS3_PKPS1_EviT_T9_T10_S9_lSB_S9_lSA_T11_S9_li ; -- Begin function _ZL29rocblas_internal_gemmt_kernelIlLi16ELi32ELi8ELc67ELc78ELc76ELb1ELb0E19rocblas_complex_numIdEPKS1_PKS3_PKPS1_EviT_T9_T10_S9_lSB_S9_lSA_T11_S9_li
	.p2align	8
	.type	_ZL29rocblas_internal_gemmt_kernelIlLi16ELi32ELi8ELc67ELc78ELc76ELb1ELb0E19rocblas_complex_numIdEPKS1_PKS3_PKPS1_EviT_T9_T10_S9_lSB_S9_lSA_T11_S9_li,@function
_ZL29rocblas_internal_gemmt_kernelIlLi16ELi32ELi8ELc67ELc78ELc76ELb1ELb0E19rocblas_complex_numIdEPKS1_PKS3_PKPS1_EviT_T9_T10_S9_lSB_S9_lSA_T11_S9_li: ; @_ZL29rocblas_internal_gemmt_kernelIlLi16ELi32ELi8ELc67ELc78ELc76ELb1ELb0E19rocblas_complex_numIdEPKS1_PKS3_PKPS1_EviT_T9_T10_S9_lSB_S9_lSA_T11_S9_li
; %bb.0:
	s_clause 0x1
	s_load_b256 s[24:31], s[0:1], 0x48
	s_load_b512 s[8:23], s[0:1], 0x8
	s_wait_kmcnt 0x0
	s_load_b128 s[36:39], s[24:25], 0x0
	s_load_b128 s[40:43], s[10:11], 0x0
	s_wait_kmcnt 0x0
	v_cmp_eq_f64_e64 s3, s[36:37], 1.0
	v_cmp_eq_f64_e64 s2, s[38:39], 0
	s_and_b32 s3, s3, s2
	s_delay_alu instid0(SALU_CYCLE_1)
	s_and_not1_b32 vcc_lo, exec_lo, s3
	s_mov_b32 s3, -1
	s_cbranch_vccnz .LBB555_3
; %bb.1:
	s_cmp_lg_u64 s[8:9], 0
	s_cbranch_scc0 .LBB555_38
; %bb.2:
	v_cmp_neq_f64_e64 s3, s[40:41], 0
	v_cmp_neq_f64_e64 s4, s[42:43], 0
	s_or_b32 s3, s3, s4
.LBB555_3:
	s_delay_alu instid0(SALU_CYCLE_1)
	s_and_b32 vcc_lo, exec_lo, s3
	s_cbranch_vccz .LBB555_39
; %bb.4:
	s_load_b32 s24, s[0:1], 0x68
	s_lshr_b32 s6, ttmp7, 16
	s_wait_kmcnt 0x0
	s_cmp_ge_u32 s6, s24
	s_cbranch_scc1 .LBB555_39
; %bb.5:
	v_bfe_u32 v8, v0, 10, 10
	s_load_b32 s5, s[0:1], 0x0
	s_lshl_b32 s0, ttmp7, 5
	v_and_b32_e32 v7, 0x3ff, v0
	s_and_b32 s0, s0, 0x1fffe0
	v_cmp_neq_f64_e64 s7, s[36:37], 0
	v_add_nc_u32_e32 v12, s0, v8
	s_lshl_b32 s1, ttmp9, 5
	v_cmp_neq_f64_e64 s3, s[40:41], 0
	v_cmp_neq_f64_e64 s4, s[42:43], 0
	s_wait_alu 0xfffe
	s_ashr_i32 s11, s1, 31
	v_mad_co_u64_u32 v[4:5], null, s28, v12, 0
	v_and_b32_e32 v36, 7, v0
	v_lshl_add_u32 v0, v8, 4, v7
	v_add_nc_u32_e32 v14, 16, v12
	s_mul_i32 s11, s14, s11
	v_lshl_add_u32 v41, v8, 7, 0x1000
	v_cmp_gt_i64_e64 s10, s[8:9], 0
	v_lshrrev_b32_e32 v1, 3, v0
	v_and_b32_e32 v10, 31, v0
	v_lshrrev_b32_e32 v37, 5, v0
	v_mad_co_u64_u32 v[16:17], null, s28, v14, 0
	s_delay_alu instid0(VALU_DEP_4) | instskip(SKIP_3) | instid1(VALU_DEP_4)
	v_add_nc_u32_e32 v6, s0, v1
	v_lshlrev_b32_e32 v9, 4, v36
	v_or_b32_e32 v13, s1, v10
	v_lshlrev_b32_e32 v15, 4, v10
	v_mad_co_u64_u32 v[2:3], null, s20, v6, 0
	s_delay_alu instid0(VALU_DEP_4) | instskip(NEXT) | instid1(VALU_DEP_4)
	v_lshl_or_b32 v9, v1, 7, v9
	v_mad_co_u64_u32 v[10:11], null, s14, v13, 0
	s_wait_kmcnt 0x0
	v_cmp_gt_i32_e64 s0, s5, v13
	v_lshl_or_b32 v38, v37, 9, v15
	v_dual_mov_b32 v0, v3 :: v_dual_add_nc_u32 v39, 0x1000, v9
	v_mul_lo_u32 v3, s15, v13
	v_lshlrev_b32_e32 v40, 4, v7
	s_delay_alu instid0(VALU_DEP_3) | instskip(SKIP_1) | instid1(VALU_DEP_4)
	v_mad_co_u64_u32 v[0:1], null, s21, v6, v[0:1]
	v_mov_b32_e32 v1, v5
	v_add3_u32 v11, v11, s11, v3
	s_or_b32 s11, s3, s4
	s_delay_alu instid0(VALU_DEP_3) | instskip(NEXT) | instid1(VALU_DEP_3)
	v_mov_b32_e32 v3, v0
	v_mad_co_u64_u32 v[0:1], null, s29, v12, v[1:2]
	v_cmp_gt_i32_e32 vcc_lo, s5, v6
	v_add_nc_u32_e32 v6, s1, v7
	s_xor_b32 s1, s2, -1
	v_lshlrev_b64_e32 v[10:11], 4, v[10:11]
	s_wait_alu 0xfffe
	s_or_b32 s20, s7, s1
	s_mov_b32 s7, 0
	v_dual_mov_b32 v5, v0 :: v_dual_mov_b32 v0, v17
	v_add_nc_u32_e32 v8, 16, v6
	v_cmp_le_i32_e64 s1, v12, v6
	v_cmp_gt_i32_e64 s2, s5, v6
	v_ashrrev_i32_e32 v7, 31, v6
	v_mad_co_u64_u32 v[0:1], null, s29, v14, v[0:1]
	v_cmp_le_i32_e64 s3, v12, v8
	v_cmp_gt_i32_e64 s4, s5, v8
	s_and_b32 s21, s1, s2
	v_mov_b32_e32 v1, 0
	v_cmp_le_i32_e64 s1, v14, v6
	v_cmp_le_i32_e64 s5, v14, v8
	v_mov_b32_e32 v17, v0
	v_lshlrev_b64_e32 v[12:13], 4, v[2:3]
	v_lshlrev_b64_e32 v[14:15], 4, v[4:5]
	v_ashrrev_i32_e32 v9, 31, v8
	s_and_b32 s25, s3, s4
	v_lshlrev_b64_e32 v[16:17], 4, v[16:17]
	s_and_b32 s1, s1, s2
	s_and_b32 s28, s5, s4
	;; [unrolled: 1-line block ×3, first 2 shown]
	s_lshl_b64 s[2:3], s[22:23], 4
	s_lshl_b64 s[4:5], s[16:17], 4
	s_xor_b32 s16, vcc_lo, -1
	s_lshl_b64 s[10:11], s[30:31], 4
	s_branch .LBB555_7
.LBB555_6:                              ;   in Loop: Header=BB555_7 Depth=1
	s_wait_alu 0xfffe
	s_or_b32 exec_lo, exec_lo, s14
	s_add_co_i32 s6, s6, 0x10000
	s_delay_alu instid0(SALU_CYCLE_1)
	s_cmp_lt_u32 s6, s24
	s_cbranch_scc0 .LBB555_39
.LBB555_7:                              ; =>This Loop Header: Depth=1
                                        ;     Child Loop BB555_10 Depth 2
	s_lshl_b64 s[14:15], s[6:7], 3
	v_mov_b32_e32 v32, 0
	s_wait_alu 0xfffe
	s_add_nc_u64 s[22:23], s[26:27], s[14:15]
	v_mov_b32_e32 v28, 0
	global_load_b64 v[18:19], v1, s[22:23]
	v_mov_b32_e32 v24, 0
	v_dual_mov_b32 v22, 0 :: v_dual_mov_b32 v33, 0
	v_dual_mov_b32 v34, 0 :: v_dual_mov_b32 v29, 0
	;; [unrolled: 1-line block ×5, first 2 shown]
	v_mov_b32_e32 v31, 0
	v_mov_b32_e32 v27, 0
	;; [unrolled: 1-line block ×3, first 2 shown]
	s_and_not1_b32 vcc_lo, exec_lo, s29
	s_wait_alu 0xfffe
	s_cbranch_vccnz .LBB555_18
; %bb.8:                                ;   in Loop: Header=BB555_7 Depth=1
	s_add_nc_u64 s[22:23], s[12:13], s[14:15]
	s_add_nc_u64 s[14:15], s[18:19], s[14:15]
	s_clause 0x1
	global_load_b64 v[2:3], v1, s[22:23]
	global_load_b64 v[4:5], v1, s[14:15]
	v_mov_b32_e32 v20, 0
	v_mov_b32_e32 v26, 0
	;; [unrolled: 1-line block ×3, first 2 shown]
	v_dual_mov_b32 v34, 0 :: v_dual_mov_b32 v21, 0
	v_dual_mov_b32 v22, 0 :: v_dual_mov_b32 v27, 0
	;; [unrolled: 1-line block ×5, first 2 shown]
	v_mov_b32_e32 v25, 0
	v_mov_b32_e32 v29, 0
	;; [unrolled: 1-line block ×3, first 2 shown]
	s_mov_b64 s[14:15], 0
	s_wait_loadcnt 0x1
	v_add_co_u32 v0, vcc_lo, v2, s4
	s_wait_alu 0xfffd
	v_add_co_ci_u32_e64 v2, null, s5, v3, vcc_lo
	s_wait_loadcnt 0x0
	v_add_co_u32 v3, vcc_lo, v4, s2
	s_wait_alu 0xfffd
	v_add_co_ci_u32_e64 v4, null, s3, v5, vcc_lo
	v_add_co_u32 v42, vcc_lo, v0, v10
	s_wait_alu 0xfffd
	v_add_co_ci_u32_e64 v43, null, v2, v11, vcc_lo
	v_add_co_u32 v44, vcc_lo, v3, v12
	s_wait_alu 0xfffd
	v_add_co_ci_u32_e64 v45, null, v4, v13, vcc_lo
	s_branch .LBB555_10
.LBB555_9:                              ;   in Loop: Header=BB555_10 Depth=2
	s_or_b32 exec_lo, exec_lo, s17
	s_wait_dscnt 0x0
	s_barrier_signal -1
	s_barrier_wait -1
	global_inv scope:SCOPE_SE
	ds_load_b128 v[2:5], v41
	ds_load_b128 v[46:49], v40
	ds_load_b128 v[50:53], v40 offset:256
	ds_load_b128 v[54:57], v41 offset:2048
	;; [unrolled: 1-line block ×10, first 2 shown]
	s_add_nc_u64 s[14:15], s[14:15], 8
	s_wait_alu 0xfffe
	v_cmp_gt_i64_e64 s17, s[8:9], s[14:15]
	s_and_b32 vcc_lo, exec_lo, s17
	s_wait_dscnt 0xa
	v_mul_f64_e32 v[90:91], v[4:5], v[48:49]
	v_mul_f64_e32 v[92:93], v[2:3], v[48:49]
	s_wait_dscnt 0x9
	v_mul_f64_e32 v[94:95], v[4:5], v[52:53]
	v_mul_f64_e32 v[96:97], v[2:3], v[52:53]
	;; [unrolled: 3-line block ×3, first 2 shown]
	v_mul_f64_e32 v[100:101], v[56:57], v[52:53]
	v_mul_f64_e32 v[52:53], v[54:55], v[52:53]
	s_wait_dscnt 0x5
	v_mul_f64_e32 v[102:103], v[60:61], v[68:69]
	v_mul_f64_e32 v[104:105], v[58:59], v[68:69]
	s_wait_dscnt 0x4
	v_mul_f64_e32 v[106:107], v[60:61], v[72:73]
	v_mul_f64_e32 v[108:109], v[58:59], v[72:73]
	;; [unrolled: 1-line block ×6, first 2 shown]
	s_wait_dscnt 0x2
	v_mul_f64_e32 v[118:119], v[76:77], v[80:81]
	v_mul_f64_e32 v[120:121], v[74:75], v[80:81]
	s_wait_dscnt 0x1
	v_mul_f64_e32 v[122:123], v[76:77], v[84:85]
	v_mul_f64_e32 v[124:125], v[74:75], v[84:85]
	;; [unrolled: 3-line block ×3, first 2 shown]
	v_mul_f64_e32 v[128:129], v[88:89], v[84:85]
	v_mul_f64_e32 v[84:85], v[86:87], v[84:85]
	v_fma_f64 v[90:91], v[2:3], v[46:47], -v[90:91]
	v_fma_f64 v[92:93], v[4:5], v[46:47], v[92:93]
	v_fma_f64 v[94:95], v[2:3], v[50:51], -v[94:95]
	v_fma_f64 v[96:97], v[4:5], v[50:51], v[96:97]
	;; [unrolled: 2-line block ×8, first 2 shown]
	ds_load_b128 v[2:5], v41 offset:48
	ds_load_b128 v[46:49], v40 offset:1536
	;; [unrolled: 1-line block ×4, first 2 shown]
	v_fma_f64 v[118:119], v[74:75], v[78:79], -v[118:119]
	v_fma_f64 v[120:121], v[76:77], v[78:79], v[120:121]
	v_fma_f64 v[74:75], v[74:75], v[82:83], -v[122:123]
	v_fma_f64 v[76:77], v[76:77], v[82:83], v[124:125]
	;; [unrolled: 2-line block ×4, first 2 shown]
	s_wait_dscnt 0x2
	v_mul_f64_e32 v[108:109], v[2:3], v[48:49]
	s_wait_dscnt 0x1
	v_mul_f64_e32 v[110:111], v[4:5], v[52:53]
	v_mul_f64_e32 v[112:113], v[2:3], v[52:53]
	v_add_f64_e32 v[68:69], v[32:33], v[90:91]
	v_add_f64_e32 v[70:71], v[92:93], v[34:35]
	;; [unrolled: 1-line block ×8, first 2 shown]
	v_mul_f64_e32 v[100:101], v[4:5], v[48:49]
	s_wait_dscnt 0x0
	v_mul_f64_e32 v[114:115], v[56:57], v[48:49]
	v_mul_f64_e32 v[48:49], v[54:55], v[48:49]
	;; [unrolled: 1-line block ×4, first 2 shown]
	ds_load_b128 v[20:23], v41 offset:64
	ds_load_b128 v[24:27], v40 offset:2048
	;; [unrolled: 1-line block ×4, first 2 shown]
	s_wait_dscnt 0x1
	v_mul_f64_e32 v[124:125], v[20:21], v[30:31]
	s_wait_dscnt 0x0
	v_mul_f64_e32 v[126:127], v[34:35], v[26:27]
	v_mul_f64_e32 v[128:129], v[34:35], v[30:31]
	v_fma_f64 v[108:109], v[4:5], v[46:47], v[108:109]
	v_fma_f64 v[110:111], v[2:3], v[50:51], -v[110:111]
	v_fma_f64 v[112:113], v[4:5], v[50:51], v[112:113]
	v_add_f64_e32 v[84:85], v[68:69], v[102:103]
	v_add_f64_e32 v[86:87], v[104:105], v[70:71]
	;; [unrolled: 1-line block ×8, first 2 shown]
	v_mul_f64_e32 v[102:103], v[22:23], v[26:27]
	v_mul_f64_e32 v[104:105], v[20:21], v[26:27]
	;; [unrolled: 1-line block ×5, first 2 shown]
	v_fma_f64 v[100:101], v[2:3], v[46:47], -v[100:101]
	v_fma_f64 v[114:115], v[54:55], v[46:47], -v[114:115]
	v_fma_f64 v[130:131], v[56:57], v[46:47], v[48:49]
	v_fma_f64 v[116:117], v[54:55], v[50:51], -v[116:117]
	v_fma_f64 v[132:133], v[56:57], v[50:51], v[52:53]
	ds_load_b128 v[58:61], v41 offset:80
	ds_load_b128 v[62:65], v40 offset:2560
	;; [unrolled: 1-line block ×8, first 2 shown]
	v_add_f64_e32 v[84:85], v[84:85], v[118:119]
	v_add_f64_e32 v[86:87], v[120:121], v[86:87]
	;; [unrolled: 1-line block ×8, first 2 shown]
	s_wait_dscnt 0x6
	v_mul_f64_e32 v[90:91], v[60:61], v[64:65]
	v_mul_f64_e32 v[92:93], v[58:59], v[64:65]
	s_wait_dscnt 0x5
	v_mul_f64_e32 v[94:95], v[60:61], v[68:69]
	v_mul_f64_e32 v[96:97], v[58:59], v[68:69]
	;; [unrolled: 3-line block ×3, first 2 shown]
	v_mul_f64_e32 v[118:119], v[72:73], v[68:69]
	v_mul_f64_e32 v[68:69], v[70:71], v[68:69]
	v_fma_f64 v[102:103], v[20:21], v[24:25], -v[102:103]
	v_fma_f64 v[104:105], v[22:23], v[24:25], v[104:105]
	v_fma_f64 v[106:107], v[20:21], v[28:29], -v[106:107]
	v_fma_f64 v[120:121], v[22:23], v[28:29], v[124:125]
	;; [unrolled: 2-line block ×4, first 2 shown]
	ds_load_b128 v[20:23], v41 offset:112
	ds_load_b128 v[24:27], v40 offset:3584
	;; [unrolled: 1-line block ×4, first 2 shown]
	s_wait_loadcnt_dscnt 0x0
	s_barrier_signal -1
	s_barrier_wait -1
	global_inv scope:SCOPE_SE
	v_add_f64_e32 v[84:85], v[84:85], v[100:101]
	v_add_f64_e32 v[86:87], v[108:109], v[86:87]
	v_add_f64_e32 v[74:75], v[74:75], v[110:111]
	v_add_f64_e32 v[76:77], v[112:113], v[76:77]
	v_add_f64_e32 v[88:89], v[88:89], v[114:115]
	v_add_f64_e32 v[78:79], v[130:131], v[78:79]
	v_add_f64_e32 v[80:81], v[80:81], v[116:117]
	v_add_f64_e32 v[82:83], v[132:133], v[82:83]
	v_mul_f64_e32 v[100:101], v[4:5], v[48:49]
	v_mul_f64_e32 v[108:109], v[2:3], v[48:49]
	;; [unrolled: 1-line block ×8, first 2 shown]
	v_fma_f64 v[90:91], v[58:59], v[62:63], -v[90:91]
	v_fma_f64 v[92:93], v[60:61], v[62:63], v[92:93]
	v_fma_f64 v[58:59], v[58:59], v[66:67], -v[94:95]
	v_fma_f64 v[60:61], v[60:61], v[66:67], v[96:97]
	;; [unrolled: 2-line block ×4, first 2 shown]
	v_mul_f64_e32 v[96:97], v[20:21], v[30:31]
	v_mul_f64_e32 v[98:99], v[34:35], v[26:27]
	v_add_f64_e32 v[68:69], v[84:85], v[102:103]
	v_add_f64_e32 v[70:71], v[104:105], v[86:87]
	v_add_f64_e32 v[72:73], v[74:75], v[106:107]
	v_add_f64_e32 v[74:75], v[120:121], v[76:77]
	v_add_f64_e32 v[76:77], v[88:89], v[122:123]
	v_add_f64_e32 v[78:79], v[124:125], v[78:79]
	v_add_f64_e32 v[80:81], v[80:81], v[126:127]
	v_add_f64_e32 v[82:83], v[128:129], v[82:83]
	v_mul_f64_e32 v[84:85], v[22:23], v[26:27]
	v_mul_f64_e32 v[86:87], v[20:21], v[26:27]
	;; [unrolled: 1-line block ×6, first 2 shown]
	v_fma_f64 v[100:101], v[2:3], v[46:47], -v[100:101]
	v_fma_f64 v[104:105], v[4:5], v[46:47], v[108:109]
	v_fma_f64 v[2:3], v[2:3], v[50:51], -v[110:111]
	v_fma_f64 v[4:5], v[4:5], v[50:51], v[112:113]
	;; [unrolled: 2-line block ×4, first 2 shown]
	v_add_f64_e32 v[52:53], v[68:69], v[90:91]
	v_add_f64_e32 v[54:55], v[92:93], v[70:71]
	;; [unrolled: 1-line block ×8, first 2 shown]
	v_fma_f64 v[68:69], v[20:21], v[24:25], -v[84:85]
	v_fma_f64 v[70:71], v[22:23], v[24:25], v[86:87]
	v_fma_f64 v[20:21], v[20:21], v[28:29], -v[88:89]
	v_fma_f64 v[22:23], v[22:23], v[28:29], v[96:97]
	;; [unrolled: 2-line block ×4, first 2 shown]
	v_add_f64_e32 v[24:25], v[52:53], v[100:101]
	v_add_f64_e32 v[28:29], v[104:105], v[54:55]
	;; [unrolled: 1-line block ×16, first 2 shown]
	s_wait_alu 0xfffe
	s_cbranch_vccz .LBB555_18
.LBB555_10:                             ;   Parent Loop BB555_7 Depth=1
                                        ; =>  This Inner Loop Header: Depth=2
	v_mov_b32_e32 v2, 0
	v_dual_mov_b32 v3, 0 :: v_dual_mov_b32 v4, 0
	v_mov_b32_e32 v5, 0
	s_and_saveexec_b32 s17, s0
	s_cbranch_execz .LBB555_14
; %bb.11:                               ;   in Loop: Header=BB555_10 Depth=2
	v_mov_b32_e32 v4, 0
	v_mov_b32_e32 v2, 0
	s_wait_alu 0xfffe
	v_dual_mov_b32 v5, 0 :: v_dual_add_nc_u32 v0, s14, v37
	v_mov_b32_e32 v3, 0
	s_mov_b32 s22, exec_lo
	s_delay_alu instid0(VALU_DEP_2)
	v_cmpx_gt_u64_e64 s[8:9], v[0:1]
	s_cbranch_execz .LBB555_13
; %bb.12:                               ;   in Loop: Header=BB555_10 Depth=2
	v_lshlrev_b64_e32 v[2:3], 4, v[0:1]
	s_delay_alu instid0(VALU_DEP_1) | instskip(SKIP_1) | instid1(VALU_DEP_2)
	v_add_co_u32 v2, vcc_lo, v42, v2
	s_wait_alu 0xfffd
	v_add_co_ci_u32_e64 v3, null, v43, v3, vcc_lo
	flat_load_b128 v[2:5], v[2:3]
	s_wait_loadcnt_dscnt 0x0
	v_xor_b32_e32 v5, 0x80000000, v5
.LBB555_13:                             ;   in Loop: Header=BB555_10 Depth=2
	s_or_b32 exec_lo, exec_lo, s22
.LBB555_14:                             ;   in Loop: Header=BB555_10 Depth=2
	s_delay_alu instid0(SALU_CYCLE_1)
	s_or_b32 exec_lo, exec_lo, s17
	s_wait_alu 0xfffe
	v_add_nc_u32_e32 v0, s14, v36
	ds_store_b128 v38, v[2:5]
	v_cmp_le_u64_e32 vcc_lo, s[8:9], v[0:1]
	s_or_b32 s17, vcc_lo, s16
	s_delay_alu instid0(SALU_CYCLE_1) | instskip(NEXT) | instid1(SALU_CYCLE_1)
	s_and_saveexec_b32 s22, s17
	s_xor_b32 s17, exec_lo, s22
; %bb.15:                               ;   in Loop: Header=BB555_10 Depth=2
	v_dual_mov_b32 v0, v1 :: v_dual_mov_b32 v3, v1
	v_mov_b32_e32 v2, v1
	ds_store_b128 v39, v[0:3]
; %bb.16:                               ;   in Loop: Header=BB555_10 Depth=2
	s_and_not1_saveexec_b32 s17, s17
	s_cbranch_execz .LBB555_9
; %bb.17:                               ;   in Loop: Header=BB555_10 Depth=2
	v_lshlrev_b64_e32 v[2:3], 4, v[0:1]
	s_delay_alu instid0(VALU_DEP_1) | instskip(SKIP_1) | instid1(VALU_DEP_2)
	v_add_co_u32 v2, vcc_lo, v44, v2
	s_wait_alu 0xfffd
	v_add_co_ci_u32_e64 v3, null, v45, v3, vcc_lo
	flat_load_b128 v[2:5], v[2:3]
	s_wait_loadcnt_dscnt 0x0
	ds_store_2addr_b64 v39, v[2:3], v[4:5] offset1:1
	s_branch .LBB555_9
.LBB555_18:                             ;   in Loop: Header=BB555_7 Depth=1
	s_wait_loadcnt 0x0
	v_add_co_u32 v0, vcc_lo, v18, s10
	s_wait_alu 0xfffd
	v_add_co_ci_u32_e64 v18, null, s11, v19, vcc_lo
	s_delay_alu instid0(VALU_DEP_2) | instskip(SKIP_1) | instid1(VALU_DEP_2)
	v_add_co_u32 v19, vcc_lo, v0, v14
	s_wait_alu 0xfffd
	v_add_co_ci_u32_e64 v42, null, v18, v15, vcc_lo
	s_and_saveexec_b32 s14, s21
	s_cbranch_execz .LBB555_23
; %bb.19:                               ;   in Loop: Header=BB555_7 Depth=1
	v_mul_f64_e32 v[2:3], s[42:43], v[34:35]
	v_mul_f64_e32 v[4:5], s[40:41], v[34:35]
	s_and_b32 vcc_lo, exec_lo, s20
	s_mov_b32 s15, -1
	s_delay_alu instid0(VALU_DEP_2) | instskip(NEXT) | instid1(VALU_DEP_2)
	v_fma_f64 v[2:3], s[40:41], v[32:33], -v[2:3]
	v_fma_f64 v[4:5], s[42:43], v[32:33], v[4:5]
	s_wait_alu 0xfffe
	s_cbranch_vccz .LBB555_21
; %bb.20:                               ;   in Loop: Header=BB555_7 Depth=1
	v_lshlrev_b64_e32 v[32:33], 4, v[6:7]
	s_mov_b32 s15, 0
	s_delay_alu instid0(VALU_DEP_1) | instskip(SKIP_1) | instid1(VALU_DEP_2)
	v_add_co_u32 v43, vcc_lo, v19, v32
	s_wait_alu 0xfffd
	v_add_co_ci_u32_e64 v44, null, v42, v33, vcc_lo
	flat_load_b128 v[32:35], v[43:44]
	s_wait_loadcnt_dscnt 0x0
	v_mul_f64_e32 v[45:46], s[38:39], v[34:35]
	v_mul_f64_e32 v[34:35], s[36:37], v[34:35]
	s_delay_alu instid0(VALU_DEP_2) | instskip(NEXT) | instid1(VALU_DEP_2)
	v_fma_f64 v[45:46], s[36:37], v[32:33], -v[45:46]
	v_fma_f64 v[34:35], s[38:39], v[32:33], v[34:35]
	s_delay_alu instid0(VALU_DEP_2) | instskip(NEXT) | instid1(VALU_DEP_2)
	v_add_f64_e32 v[32:33], v[2:3], v[45:46]
	v_add_f64_e32 v[34:35], v[4:5], v[34:35]
	flat_store_b128 v[43:44], v[32:35]
.LBB555_21:                             ;   in Loop: Header=BB555_7 Depth=1
	s_wait_alu 0xfffe
	s_and_not1_b32 vcc_lo, exec_lo, s15
	s_wait_alu 0xfffe
	s_cbranch_vccnz .LBB555_23
; %bb.22:                               ;   in Loop: Header=BB555_7 Depth=1
	v_lshlrev_b64_e32 v[32:33], 4, v[6:7]
	s_delay_alu instid0(VALU_DEP_1) | instskip(SKIP_1) | instid1(VALU_DEP_2)
	v_add_co_u32 v32, vcc_lo, v19, v32
	s_wait_alu 0xfffd
	v_add_co_ci_u32_e64 v33, null, v42, v33, vcc_lo
	flat_store_b128 v[32:33], v[2:5]
.LBB555_23:                             ;   in Loop: Header=BB555_7 Depth=1
	s_wait_alu 0xfffe
	s_or_b32 exec_lo, exec_lo, s14
	s_and_saveexec_b32 s14, s25
	s_cbranch_execz .LBB555_28
; %bb.24:                               ;   in Loop: Header=BB555_7 Depth=1
	v_mul_f64_e32 v[2:3], s[42:43], v[30:31]
	v_mul_f64_e32 v[4:5], s[40:41], v[30:31]
	s_and_not1_b32 vcc_lo, exec_lo, s20
	s_mov_b32 s15, -1
	s_delay_alu instid0(VALU_DEP_2) | instskip(NEXT) | instid1(VALU_DEP_2)
	v_fma_f64 v[2:3], s[40:41], v[28:29], -v[2:3]
	v_fma_f64 v[4:5], s[42:43], v[28:29], v[4:5]
	s_wait_alu 0xfffe
	s_cbranch_vccnz .LBB555_26
; %bb.25:                               ;   in Loop: Header=BB555_7 Depth=1
	v_lshlrev_b64_e32 v[28:29], 4, v[8:9]
	s_mov_b32 s15, 0
	s_delay_alu instid0(VALU_DEP_1) | instskip(SKIP_1) | instid1(VALU_DEP_2)
	v_add_co_u32 v32, vcc_lo, v19, v28
	s_wait_alu 0xfffd
	v_add_co_ci_u32_e64 v33, null, v42, v29, vcc_lo
	flat_load_b128 v[28:31], v[32:33]
	s_wait_loadcnt_dscnt 0x0
	v_mul_f64_e32 v[34:35], s[38:39], v[30:31]
	v_mul_f64_e32 v[30:31], s[36:37], v[30:31]
	s_delay_alu instid0(VALU_DEP_2) | instskip(NEXT) | instid1(VALU_DEP_2)
	v_fma_f64 v[34:35], s[36:37], v[28:29], -v[34:35]
	v_fma_f64 v[30:31], s[38:39], v[28:29], v[30:31]
	s_delay_alu instid0(VALU_DEP_2) | instskip(NEXT) | instid1(VALU_DEP_2)
	v_add_f64_e32 v[28:29], v[2:3], v[34:35]
	v_add_f64_e32 v[30:31], v[4:5], v[30:31]
	flat_store_b128 v[32:33], v[28:31]
.LBB555_26:                             ;   in Loop: Header=BB555_7 Depth=1
	s_wait_alu 0xfffe
	s_and_not1_b32 vcc_lo, exec_lo, s15
	s_wait_alu 0xfffe
	s_cbranch_vccnz .LBB555_28
; %bb.27:                               ;   in Loop: Header=BB555_7 Depth=1
	v_lshlrev_b64_e32 v[28:29], 4, v[8:9]
	s_delay_alu instid0(VALU_DEP_1) | instskip(SKIP_1) | instid1(VALU_DEP_2)
	v_add_co_u32 v28, vcc_lo, v19, v28
	s_wait_alu 0xfffd
	v_add_co_ci_u32_e64 v29, null, v42, v29, vcc_lo
	flat_store_b128 v[28:29], v[2:5]
.LBB555_28:                             ;   in Loop: Header=BB555_7 Depth=1
	s_wait_alu 0xfffe
	s_or_b32 exec_lo, exec_lo, s14
	v_add_co_u32 v0, vcc_lo, v0, v16
	s_wait_alu 0xfffd
	v_add_co_ci_u32_e64 v28, null, v18, v17, vcc_lo
	s_and_saveexec_b32 s14, s1
	s_cbranch_execz .LBB555_33
; %bb.29:                               ;   in Loop: Header=BB555_7 Depth=1
	v_mul_f64_e32 v[2:3], s[42:43], v[26:27]
	v_mul_f64_e32 v[4:5], s[40:41], v[26:27]
	v_lshlrev_b64_e32 v[18:19], 4, v[6:7]
	s_and_not1_b32 vcc_lo, exec_lo, s20
	s_mov_b32 s15, -1
	s_delay_alu instid0(VALU_DEP_3) | instskip(NEXT) | instid1(VALU_DEP_3)
	v_fma_f64 v[2:3], s[40:41], v[24:25], -v[2:3]
	v_fma_f64 v[4:5], s[42:43], v[24:25], v[4:5]
	s_wait_alu 0xfffe
	s_cbranch_vccnz .LBB555_31
; %bb.30:                               ;   in Loop: Header=BB555_7 Depth=1
	v_add_co_u32 v29, vcc_lo, v0, v18
	s_wait_alu 0xfffd
	v_add_co_ci_u32_e64 v30, null, v28, v19, vcc_lo
	s_mov_b32 s15, 0
	flat_load_b128 v[24:27], v[29:30]
	s_wait_loadcnt_dscnt 0x0
	v_mul_f64_e32 v[31:32], s[38:39], v[26:27]
	v_mul_f64_e32 v[26:27], s[36:37], v[26:27]
	s_delay_alu instid0(VALU_DEP_2) | instskip(NEXT) | instid1(VALU_DEP_2)
	v_fma_f64 v[31:32], s[36:37], v[24:25], -v[31:32]
	v_fma_f64 v[26:27], s[38:39], v[24:25], v[26:27]
	s_delay_alu instid0(VALU_DEP_2) | instskip(NEXT) | instid1(VALU_DEP_2)
	v_add_f64_e32 v[24:25], v[2:3], v[31:32]
	v_add_f64_e32 v[26:27], v[4:5], v[26:27]
	flat_store_b128 v[29:30], v[24:27]
.LBB555_31:                             ;   in Loop: Header=BB555_7 Depth=1
	s_wait_alu 0xfffe
	s_and_not1_b32 vcc_lo, exec_lo, s15
	s_wait_alu 0xfffe
	s_cbranch_vccnz .LBB555_33
; %bb.32:                               ;   in Loop: Header=BB555_7 Depth=1
	v_add_co_u32 v18, vcc_lo, v0, v18
	s_wait_alu 0xfffd
	v_add_co_ci_u32_e64 v19, null, v28, v19, vcc_lo
	flat_store_b128 v[18:19], v[2:5]
.LBB555_33:                             ;   in Loop: Header=BB555_7 Depth=1
	s_wait_alu 0xfffe
	s_or_b32 exec_lo, exec_lo, s14
	s_and_saveexec_b32 s14, s28
	s_cbranch_execz .LBB555_6
; %bb.34:                               ;   in Loop: Header=BB555_7 Depth=1
	v_mul_f64_e32 v[2:3], s[42:43], v[20:21]
	v_mul_f64_e32 v[4:5], s[40:41], v[20:21]
	v_lshlrev_b64_e32 v[18:19], 4, v[8:9]
	s_and_not1_b32 vcc_lo, exec_lo, s20
	s_mov_b32 s15, -1
	s_delay_alu instid0(VALU_DEP_3) | instskip(NEXT) | instid1(VALU_DEP_3)
	v_fma_f64 v[2:3], s[40:41], v[22:23], -v[2:3]
	v_fma_f64 v[4:5], s[42:43], v[22:23], v[4:5]
	s_wait_alu 0xfffe
	s_cbranch_vccnz .LBB555_36
; %bb.35:                               ;   in Loop: Header=BB555_7 Depth=1
	v_add_co_u32 v24, vcc_lo, v0, v18
	s_wait_alu 0xfffd
	v_add_co_ci_u32_e64 v25, null, v28, v19, vcc_lo
	s_mov_b32 s15, 0
	flat_load_b128 v[20:23], v[24:25]
	s_wait_loadcnt_dscnt 0x0
	v_mul_f64_e32 v[26:27], s[38:39], v[22:23]
	v_mul_f64_e32 v[22:23], s[36:37], v[22:23]
	s_delay_alu instid0(VALU_DEP_2) | instskip(NEXT) | instid1(VALU_DEP_2)
	v_fma_f64 v[26:27], s[36:37], v[20:21], -v[26:27]
	v_fma_f64 v[22:23], s[38:39], v[20:21], v[22:23]
	s_delay_alu instid0(VALU_DEP_2) | instskip(NEXT) | instid1(VALU_DEP_2)
	v_add_f64_e32 v[20:21], v[2:3], v[26:27]
	v_add_f64_e32 v[22:23], v[4:5], v[22:23]
	flat_store_b128 v[24:25], v[20:23]
.LBB555_36:                             ;   in Loop: Header=BB555_7 Depth=1
	s_wait_alu 0xfffe
	s_and_not1_b32 vcc_lo, exec_lo, s15
	s_wait_alu 0xfffe
	s_cbranch_vccnz .LBB555_6
; %bb.37:                               ;   in Loop: Header=BB555_7 Depth=1
	v_add_co_u32 v18, vcc_lo, v0, v18
	s_wait_alu 0xfffd
	v_add_co_ci_u32_e64 v19, null, v28, v19, vcc_lo
	flat_store_b128 v[18:19], v[2:5]
	s_branch .LBB555_6
.LBB555_38:
.LBB555_39:
	s_nop 0
	s_sendmsg sendmsg(MSG_DEALLOC_VGPRS)
	s_endpgm
	.section	.rodata,"a",@progbits
	.p2align	6, 0x0
	.amdhsa_kernel _ZL29rocblas_internal_gemmt_kernelIlLi16ELi32ELi8ELc67ELc78ELc76ELb1ELb0E19rocblas_complex_numIdEPKS1_PKS3_PKPS1_EviT_T9_T10_S9_lSB_S9_lSA_T11_S9_li
		.amdhsa_group_segment_fixed_size 8192
		.amdhsa_private_segment_fixed_size 0
		.amdhsa_kernarg_size 108
		.amdhsa_user_sgpr_count 2
		.amdhsa_user_sgpr_dispatch_ptr 0
		.amdhsa_user_sgpr_queue_ptr 0
		.amdhsa_user_sgpr_kernarg_segment_ptr 1
		.amdhsa_user_sgpr_dispatch_id 0
		.amdhsa_user_sgpr_private_segment_size 0
		.amdhsa_wavefront_size32 1
		.amdhsa_uses_dynamic_stack 0
		.amdhsa_enable_private_segment 0
		.amdhsa_system_sgpr_workgroup_id_x 1
		.amdhsa_system_sgpr_workgroup_id_y 1
		.amdhsa_system_sgpr_workgroup_id_z 1
		.amdhsa_system_sgpr_workgroup_info 0
		.amdhsa_system_vgpr_workitem_id 1
		.amdhsa_next_free_vgpr 134
		.amdhsa_next_free_sgpr 44
		.amdhsa_reserve_vcc 1
		.amdhsa_float_round_mode_32 0
		.amdhsa_float_round_mode_16_64 0
		.amdhsa_float_denorm_mode_32 3
		.amdhsa_float_denorm_mode_16_64 3
		.amdhsa_fp16_overflow 0
		.amdhsa_workgroup_processor_mode 1
		.amdhsa_memory_ordered 1
		.amdhsa_forward_progress 1
		.amdhsa_inst_pref_size 28
		.amdhsa_round_robin_scheduling 0
		.amdhsa_exception_fp_ieee_invalid_op 0
		.amdhsa_exception_fp_denorm_src 0
		.amdhsa_exception_fp_ieee_div_zero 0
		.amdhsa_exception_fp_ieee_overflow 0
		.amdhsa_exception_fp_ieee_underflow 0
		.amdhsa_exception_fp_ieee_inexact 0
		.amdhsa_exception_int_div_zero 0
	.end_amdhsa_kernel
	.section	.text._ZL29rocblas_internal_gemmt_kernelIlLi16ELi32ELi8ELc67ELc78ELc76ELb1ELb0E19rocblas_complex_numIdEPKS1_PKS3_PKPS1_EviT_T9_T10_S9_lSB_S9_lSA_T11_S9_li,"axG",@progbits,_ZL29rocblas_internal_gemmt_kernelIlLi16ELi32ELi8ELc67ELc78ELc76ELb1ELb0E19rocblas_complex_numIdEPKS1_PKS3_PKPS1_EviT_T9_T10_S9_lSB_S9_lSA_T11_S9_li,comdat
.Lfunc_end555:
	.size	_ZL29rocblas_internal_gemmt_kernelIlLi16ELi32ELi8ELc67ELc78ELc76ELb1ELb0E19rocblas_complex_numIdEPKS1_PKS3_PKPS1_EviT_T9_T10_S9_lSB_S9_lSA_T11_S9_li, .Lfunc_end555-_ZL29rocblas_internal_gemmt_kernelIlLi16ELi32ELi8ELc67ELc78ELc76ELb1ELb0E19rocblas_complex_numIdEPKS1_PKS3_PKPS1_EviT_T9_T10_S9_lSB_S9_lSA_T11_S9_li
                                        ; -- End function
	.set _ZL29rocblas_internal_gemmt_kernelIlLi16ELi32ELi8ELc67ELc78ELc76ELb1ELb0E19rocblas_complex_numIdEPKS1_PKS3_PKPS1_EviT_T9_T10_S9_lSB_S9_lSA_T11_S9_li.num_vgpr, 134
	.set _ZL29rocblas_internal_gemmt_kernelIlLi16ELi32ELi8ELc67ELc78ELc76ELb1ELb0E19rocblas_complex_numIdEPKS1_PKS3_PKPS1_EviT_T9_T10_S9_lSB_S9_lSA_T11_S9_li.num_agpr, 0
	.set _ZL29rocblas_internal_gemmt_kernelIlLi16ELi32ELi8ELc67ELc78ELc76ELb1ELb0E19rocblas_complex_numIdEPKS1_PKS3_PKPS1_EviT_T9_T10_S9_lSB_S9_lSA_T11_S9_li.numbered_sgpr, 44
	.set _ZL29rocblas_internal_gemmt_kernelIlLi16ELi32ELi8ELc67ELc78ELc76ELb1ELb0E19rocblas_complex_numIdEPKS1_PKS3_PKPS1_EviT_T9_T10_S9_lSB_S9_lSA_T11_S9_li.num_named_barrier, 0
	.set _ZL29rocblas_internal_gemmt_kernelIlLi16ELi32ELi8ELc67ELc78ELc76ELb1ELb0E19rocblas_complex_numIdEPKS1_PKS3_PKPS1_EviT_T9_T10_S9_lSB_S9_lSA_T11_S9_li.private_seg_size, 0
	.set _ZL29rocblas_internal_gemmt_kernelIlLi16ELi32ELi8ELc67ELc78ELc76ELb1ELb0E19rocblas_complex_numIdEPKS1_PKS3_PKPS1_EviT_T9_T10_S9_lSB_S9_lSA_T11_S9_li.uses_vcc, 1
	.set _ZL29rocblas_internal_gemmt_kernelIlLi16ELi32ELi8ELc67ELc78ELc76ELb1ELb0E19rocblas_complex_numIdEPKS1_PKS3_PKPS1_EviT_T9_T10_S9_lSB_S9_lSA_T11_S9_li.uses_flat_scratch, 0
	.set _ZL29rocblas_internal_gemmt_kernelIlLi16ELi32ELi8ELc67ELc78ELc76ELb1ELb0E19rocblas_complex_numIdEPKS1_PKS3_PKPS1_EviT_T9_T10_S9_lSB_S9_lSA_T11_S9_li.has_dyn_sized_stack, 0
	.set _ZL29rocblas_internal_gemmt_kernelIlLi16ELi32ELi8ELc67ELc78ELc76ELb1ELb0E19rocblas_complex_numIdEPKS1_PKS3_PKPS1_EviT_T9_T10_S9_lSB_S9_lSA_T11_S9_li.has_recursion, 0
	.set _ZL29rocblas_internal_gemmt_kernelIlLi16ELi32ELi8ELc67ELc78ELc76ELb1ELb0E19rocblas_complex_numIdEPKS1_PKS3_PKPS1_EviT_T9_T10_S9_lSB_S9_lSA_T11_S9_li.has_indirect_call, 0
	.section	.AMDGPU.csdata,"",@progbits
; Kernel info:
; codeLenInByte = 3504
; TotalNumSgprs: 46
; NumVgprs: 134
; ScratchSize: 0
; MemoryBound: 1
; FloatMode: 240
; IeeeMode: 1
; LDSByteSize: 8192 bytes/workgroup (compile time only)
; SGPRBlocks: 0
; VGPRBlocks: 16
; NumSGPRsForWavesPerEU: 46
; NumVGPRsForWavesPerEU: 134
; Occupancy: 10
; WaveLimiterHint : 1
; COMPUTE_PGM_RSRC2:SCRATCH_EN: 0
; COMPUTE_PGM_RSRC2:USER_SGPR: 2
; COMPUTE_PGM_RSRC2:TRAP_HANDLER: 0
; COMPUTE_PGM_RSRC2:TGID_X_EN: 1
; COMPUTE_PGM_RSRC2:TGID_Y_EN: 1
; COMPUTE_PGM_RSRC2:TGID_Z_EN: 1
; COMPUTE_PGM_RSRC2:TIDIG_COMP_CNT: 1
	.section	.text._ZL29rocblas_internal_gemmt_kernelIlLi16ELi32ELi8ELc67ELc84ELc76ELb1ELb0E19rocblas_complex_numIdEPKS1_PKS3_PKPS1_EviT_T9_T10_S9_lSB_S9_lSA_T11_S9_li,"axG",@progbits,_ZL29rocblas_internal_gemmt_kernelIlLi16ELi32ELi8ELc67ELc84ELc76ELb1ELb0E19rocblas_complex_numIdEPKS1_PKS3_PKPS1_EviT_T9_T10_S9_lSB_S9_lSA_T11_S9_li,comdat
	.globl	_ZL29rocblas_internal_gemmt_kernelIlLi16ELi32ELi8ELc67ELc84ELc76ELb1ELb0E19rocblas_complex_numIdEPKS1_PKS3_PKPS1_EviT_T9_T10_S9_lSB_S9_lSA_T11_S9_li ; -- Begin function _ZL29rocblas_internal_gemmt_kernelIlLi16ELi32ELi8ELc67ELc84ELc76ELb1ELb0E19rocblas_complex_numIdEPKS1_PKS3_PKPS1_EviT_T9_T10_S9_lSB_S9_lSA_T11_S9_li
	.p2align	8
	.type	_ZL29rocblas_internal_gemmt_kernelIlLi16ELi32ELi8ELc67ELc84ELc76ELb1ELb0E19rocblas_complex_numIdEPKS1_PKS3_PKPS1_EviT_T9_T10_S9_lSB_S9_lSA_T11_S9_li,@function
_ZL29rocblas_internal_gemmt_kernelIlLi16ELi32ELi8ELc67ELc84ELc76ELb1ELb0E19rocblas_complex_numIdEPKS1_PKS3_PKPS1_EviT_T9_T10_S9_lSB_S9_lSA_T11_S9_li: ; @_ZL29rocblas_internal_gemmt_kernelIlLi16ELi32ELi8ELc67ELc84ELc76ELb1ELb0E19rocblas_complex_numIdEPKS1_PKS3_PKPS1_EviT_T9_T10_S9_lSB_S9_lSA_T11_S9_li
; %bb.0:
	s_clause 0x1
	s_load_b256 s[24:31], s[0:1], 0x48
	s_load_b512 s[8:23], s[0:1], 0x8
	s_wait_kmcnt 0x0
	s_load_b128 s[36:39], s[24:25], 0x0
	s_load_b128 s[40:43], s[10:11], 0x0
	s_wait_kmcnt 0x0
	v_cmp_eq_f64_e64 s3, s[36:37], 1.0
	v_cmp_eq_f64_e64 s2, s[38:39], 0
	s_and_b32 s3, s3, s2
	s_delay_alu instid0(SALU_CYCLE_1)
	s_and_not1_b32 vcc_lo, exec_lo, s3
	s_mov_b32 s3, -1
	s_cbranch_vccnz .LBB556_3
; %bb.1:
	s_cmp_lg_u64 s[8:9], 0
	s_cbranch_scc0 .LBB556_38
; %bb.2:
	v_cmp_neq_f64_e64 s3, s[40:41], 0
	v_cmp_neq_f64_e64 s4, s[42:43], 0
	s_or_b32 s3, s3, s4
.LBB556_3:
	s_delay_alu instid0(SALU_CYCLE_1)
	s_and_b32 vcc_lo, exec_lo, s3
	s_cbranch_vccz .LBB556_39
; %bb.4:
	s_load_b32 s24, s[0:1], 0x68
	s_lshr_b32 s6, ttmp7, 16
	s_wait_kmcnt 0x0
	s_cmp_ge_u32 s6, s24
	s_cbranch_scc1 .LBB556_39
; %bb.5:
	v_bfe_u32 v10, v0, 10, 10
	s_load_b32 s5, s[0:1], 0x0
	s_lshl_b32 s0, ttmp7, 5
	v_cmp_neq_f64_e64 s3, s[40:41], 0
	v_cmp_neq_f64_e64 s4, s[42:43], 0
	;; [unrolled: 1-line block ×3, first 2 shown]
	s_and_b32 s0, s0, 0x1fffe0
	v_dual_mov_b32 v1, 0 :: v_dual_and_b32 v34, 7, v0
	v_add_nc_u32_e32 v11, s0, v10
	s_lshl_b32 s1, ttmp9, 5
	v_lshl_add_u32 v39, v10, 7, 0x1000
	s_delay_alu instid0(VALU_DEP_3)
	v_lshlrev_b32_e32 v4, 4, v34
	s_wait_alu 0xfffe
	s_ashr_i32 s11, s1, 31
	v_mad_co_u64_u32 v[2:3], null, s28, v11, 0
	v_and_b32_e32 v9, 0x3ff, v0
	v_add_nc_u32_e32 v12, 16, v11
	s_mul_i32 s11, s14, s11
	v_cmp_gt_i64_e64 s10, s[8:9], 0
	s_delay_alu instid0(VALU_DEP_3) | instskip(NEXT) | instid1(VALU_DEP_3)
	v_lshl_add_u32 v0, v10, 4, v9
	v_mad_co_u64_u32 v[14:15], null, s28, v12, 0
	s_delay_alu instid0(VALU_DEP_2) | instskip(SKIP_2) | instid1(VALU_DEP_3)
	v_and_b32_e32 v5, 31, v0
	v_lshrrev_b32_e32 v35, 5, v0
	v_lshrrev_b32_e32 v0, 3, v0
	v_or_b32_e32 v6, s1, v5
	v_lshlrev_b32_e32 v7, 4, v5
	s_delay_alu instid0(VALU_DEP_3)
	v_add_nc_u32_e32 v16, s0, v0
	v_lshl_or_b32 v8, v0, 7, v4
	v_mov_b32_e32 v0, v3
	v_mul_lo_u32 v13, s15, v6
	v_mad_co_u64_u32 v[4:5], null, s14, v6, 0
	s_wait_kmcnt 0x0
	v_cmp_gt_i32_e64 s0, s5, v6
	v_add_nc_u32_e32 v6, s1, v9
	v_lshl_or_b32 v36, v35, 9, v7
	v_add_nc_u32_e32 v37, 0x1000, v8
	v_mad_co_u64_u32 v[7:8], null, s29, v11, v[0:1]
	s_delay_alu instid0(VALU_DEP_4)
	v_add_nc_u32_e32 v8, 16, v6
	v_mov_b32_e32 v0, v15
	s_xor_b32 s1, s2, -1
	v_add3_u32 v5, v5, s11, v13
	s_or_b32 s11, s3, s4
	s_wait_alu 0xfffe
	s_or_b32 s25, s7, s1
	v_cmp_le_i32_e64 s1, v11, v6
	v_cmp_le_i32_e64 s3, v11, v8
	v_mad_co_u64_u32 v[10:11], null, s29, v12, v[0:1]
	v_cmp_gt_i32_e64 s2, s5, v6
	v_mov_b32_e32 v3, v7
	v_cmp_gt_i32_e32 vcc_lo, s5, v16
	v_cmp_gt_i32_e64 s4, s5, v8
	v_lshlrev_b32_e32 v38, 4, v9
	s_and_b32 s28, s1, s2
	v_mov_b32_e32 v15, v10
	v_cmp_le_i32_e64 s1, v12, v6
	v_cmp_le_i32_e64 s5, v12, v8
	v_lshlrev_b64_e32 v[10:11], 4, v[4:5]
	v_lshlrev_b64_e32 v[12:13], 4, v[2:3]
	;; [unrolled: 1-line block ×3, first 2 shown]
	v_ashrrev_i32_e32 v7, 31, v6
	v_ashrrev_i32_e32 v9, 31, v8
	v_lshlrev_b32_e32 v40, 4, v16
	s_and_b32 s29, s3, s4
	s_and_b32 s1, s1, s2
	;; [unrolled: 1-line block ×3, first 2 shown]
	s_mov_b32 s7, 0
	s_and_b32 s34, s11, s10
	s_lshl_b64 s[2:3], s[22:23], 4
	s_lshl_b64 s[4:5], s[16:17], 4
	s_xor_b32 s16, vcc_lo, -1
	s_lshl_b64 s[10:11], s[30:31], 4
	s_branch .LBB556_7
.LBB556_6:                              ;   in Loop: Header=BB556_7 Depth=1
	s_wait_alu 0xfffe
	s_or_b32 exec_lo, exec_lo, s14
	s_add_co_i32 s6, s6, 0x10000
	s_delay_alu instid0(SALU_CYCLE_1)
	s_cmp_lt_u32 s6, s24
	s_cbranch_scc0 .LBB556_39
.LBB556_7:                              ; =>This Loop Header: Depth=1
                                        ;     Child Loop BB556_10 Depth 2
	s_lshl_b64 s[14:15], s[6:7], 3
	v_mov_b32_e32 v30, 0
	s_wait_alu 0xfffe
	s_add_nc_u64 s[22:23], s[26:27], s[14:15]
	v_mov_b32_e32 v26, 0
	global_load_b64 v[16:17], v1, s[22:23]
	v_mov_b32_e32 v22, 0
	v_dual_mov_b32 v20, 0 :: v_dual_mov_b32 v31, 0
	v_dual_mov_b32 v32, 0 :: v_dual_mov_b32 v27, 0
	;; [unrolled: 1-line block ×5, first 2 shown]
	v_mov_b32_e32 v29, 0
	v_mov_b32_e32 v25, 0
	;; [unrolled: 1-line block ×3, first 2 shown]
	s_and_not1_b32 vcc_lo, exec_lo, s34
	s_wait_alu 0xfffe
	s_cbranch_vccnz .LBB556_18
; %bb.8:                                ;   in Loop: Header=BB556_7 Depth=1
	s_add_nc_u64 s[22:23], s[12:13], s[14:15]
	s_add_nc_u64 s[14:15], s[18:19], s[14:15]
	s_clause 0x1
	global_load_b64 v[2:3], v1, s[22:23]
	global_load_b64 v[4:5], v1, s[14:15]
	v_mov_b32_e32 v18, 0
	v_mov_b32_e32 v24, 0
	;; [unrolled: 1-line block ×3, first 2 shown]
	v_dual_mov_b32 v32, 0 :: v_dual_mov_b32 v19, 0
	v_dual_mov_b32 v20, 0 :: v_dual_mov_b32 v25, 0
	;; [unrolled: 1-line block ×5, first 2 shown]
	v_mov_b32_e32 v23, 0
	v_mov_b32_e32 v27, 0
	;; [unrolled: 1-line block ×3, first 2 shown]
	s_mov_b64 s[14:15], 0
	s_wait_loadcnt 0x1
	v_add_co_u32 v0, vcc_lo, v2, s4
	s_wait_alu 0xfffd
	v_add_co_ci_u32_e64 v2, null, s5, v3, vcc_lo
	s_wait_loadcnt 0x0
	v_add_co_u32 v3, vcc_lo, v4, s2
	s_wait_alu 0xfffd
	v_add_co_ci_u32_e64 v4, null, s3, v5, vcc_lo
	v_add_co_u32 v41, vcc_lo, v0, v10
	s_wait_alu 0xfffd
	v_add_co_ci_u32_e64 v42, null, v2, v11, vcc_lo
	;; [unrolled: 3-line block ×3, first 2 shown]
	s_branch .LBB556_10
.LBB556_9:                              ;   in Loop: Header=BB556_10 Depth=2
	s_or_b32 exec_lo, exec_lo, s17
	s_wait_dscnt 0x0
	s_barrier_signal -1
	s_barrier_wait -1
	global_inv scope:SCOPE_SE
	ds_load_b128 v[2:5], v39
	ds_load_b128 v[45:48], v38
	ds_load_b128 v[49:52], v38 offset:256
	ds_load_b128 v[53:56], v39 offset:2048
	;; [unrolled: 1-line block ×10, first 2 shown]
	s_add_nc_u64 s[14:15], s[14:15], 8
	s_wait_alu 0xfffe
	v_cmp_gt_i64_e64 s17, s[8:9], s[14:15]
	s_and_b32 vcc_lo, exec_lo, s17
	s_wait_dscnt 0xa
	v_mul_f64_e32 v[89:90], v[4:5], v[47:48]
	v_mul_f64_e32 v[91:92], v[2:3], v[47:48]
	s_wait_dscnt 0x9
	v_mul_f64_e32 v[93:94], v[4:5], v[51:52]
	v_mul_f64_e32 v[95:96], v[2:3], v[51:52]
	;; [unrolled: 3-line block ×3, first 2 shown]
	v_mul_f64_e32 v[99:100], v[55:56], v[51:52]
	v_mul_f64_e32 v[51:52], v[53:54], v[51:52]
	s_wait_dscnt 0x5
	v_mul_f64_e32 v[101:102], v[59:60], v[67:68]
	v_mul_f64_e32 v[103:104], v[57:58], v[67:68]
	s_wait_dscnt 0x4
	v_mul_f64_e32 v[105:106], v[59:60], v[71:72]
	v_mul_f64_e32 v[107:108], v[57:58], v[71:72]
	;; [unrolled: 1-line block ×6, first 2 shown]
	s_wait_dscnt 0x2
	v_mul_f64_e32 v[117:118], v[75:76], v[79:80]
	v_mul_f64_e32 v[119:120], v[73:74], v[79:80]
	s_wait_dscnt 0x1
	v_mul_f64_e32 v[121:122], v[75:76], v[83:84]
	v_mul_f64_e32 v[123:124], v[73:74], v[83:84]
	;; [unrolled: 3-line block ×3, first 2 shown]
	v_mul_f64_e32 v[127:128], v[87:88], v[83:84]
	v_mul_f64_e32 v[83:84], v[85:86], v[83:84]
	v_fma_f64 v[89:90], v[2:3], v[45:46], -v[89:90]
	v_fma_f64 v[91:92], v[4:5], v[45:46], v[91:92]
	v_fma_f64 v[93:94], v[2:3], v[49:50], -v[93:94]
	v_fma_f64 v[95:96], v[4:5], v[49:50], v[95:96]
	;; [unrolled: 2-line block ×8, first 2 shown]
	ds_load_b128 v[2:5], v39 offset:48
	ds_load_b128 v[45:48], v38 offset:1536
	;; [unrolled: 1-line block ×4, first 2 shown]
	v_fma_f64 v[117:118], v[73:74], v[77:78], -v[117:118]
	v_fma_f64 v[119:120], v[75:76], v[77:78], v[119:120]
	v_fma_f64 v[73:74], v[73:74], v[81:82], -v[121:122]
	v_fma_f64 v[75:76], v[75:76], v[81:82], v[123:124]
	;; [unrolled: 2-line block ×4, first 2 shown]
	s_wait_dscnt 0x2
	v_mul_f64_e32 v[107:108], v[2:3], v[47:48]
	s_wait_dscnt 0x1
	v_mul_f64_e32 v[109:110], v[4:5], v[51:52]
	v_mul_f64_e32 v[111:112], v[2:3], v[51:52]
	v_add_f64_e32 v[67:68], v[30:31], v[89:90]
	v_add_f64_e32 v[69:70], v[91:92], v[32:33]
	;; [unrolled: 1-line block ×8, first 2 shown]
	v_mul_f64_e32 v[99:100], v[4:5], v[47:48]
	s_wait_dscnt 0x0
	v_mul_f64_e32 v[113:114], v[55:56], v[47:48]
	v_mul_f64_e32 v[47:48], v[53:54], v[47:48]
	;; [unrolled: 1-line block ×4, first 2 shown]
	ds_load_b128 v[18:21], v39 offset:64
	ds_load_b128 v[22:25], v38 offset:2048
	;; [unrolled: 1-line block ×4, first 2 shown]
	s_wait_dscnt 0x1
	v_mul_f64_e32 v[123:124], v[18:19], v[28:29]
	s_wait_dscnt 0x0
	v_mul_f64_e32 v[125:126], v[32:33], v[24:25]
	v_mul_f64_e32 v[127:128], v[32:33], v[28:29]
	v_fma_f64 v[107:108], v[4:5], v[45:46], v[107:108]
	v_fma_f64 v[109:110], v[2:3], v[49:50], -v[109:110]
	v_fma_f64 v[111:112], v[4:5], v[49:50], v[111:112]
	v_add_f64_e32 v[83:84], v[67:68], v[101:102]
	v_add_f64_e32 v[85:86], v[103:104], v[69:70]
	;; [unrolled: 1-line block ×8, first 2 shown]
	v_mul_f64_e32 v[101:102], v[20:21], v[24:25]
	v_mul_f64_e32 v[103:104], v[18:19], v[24:25]
	v_mul_f64_e32 v[105:106], v[20:21], v[28:29]
	v_mul_f64_e32 v[24:25], v[30:31], v[24:25]
	v_mul_f64_e32 v[28:29], v[30:31], v[28:29]
	v_fma_f64 v[99:100], v[2:3], v[45:46], -v[99:100]
	v_fma_f64 v[113:114], v[53:54], v[45:46], -v[113:114]
	v_fma_f64 v[129:130], v[55:56], v[45:46], v[47:48]
	v_fma_f64 v[115:116], v[53:54], v[49:50], -v[115:116]
	v_fma_f64 v[131:132], v[55:56], v[49:50], v[51:52]
	ds_load_b128 v[57:60], v39 offset:80
	ds_load_b128 v[61:64], v38 offset:2560
	ds_load_b128 v[65:68], v38 offset:2816
	ds_load_b128 v[69:72], v39 offset:2128
	ds_load_b128 v[2:5], v39 offset:96
	ds_load_b128 v[45:48], v38 offset:3072
	ds_load_b128 v[49:52], v38 offset:3328
	ds_load_b128 v[53:56], v39 offset:2144
	v_add_f64_e32 v[83:84], v[83:84], v[117:118]
	v_add_f64_e32 v[85:86], v[119:120], v[85:86]
	;; [unrolled: 1-line block ×8, first 2 shown]
	s_wait_dscnt 0x6
	v_mul_f64_e32 v[89:90], v[59:60], v[63:64]
	v_mul_f64_e32 v[91:92], v[57:58], v[63:64]
	s_wait_dscnt 0x5
	v_mul_f64_e32 v[93:94], v[59:60], v[67:68]
	v_mul_f64_e32 v[95:96], v[57:58], v[67:68]
	;; [unrolled: 3-line block ×3, first 2 shown]
	v_mul_f64_e32 v[117:118], v[71:72], v[67:68]
	v_mul_f64_e32 v[67:68], v[69:70], v[67:68]
	v_fma_f64 v[101:102], v[18:19], v[22:23], -v[101:102]
	v_fma_f64 v[103:104], v[20:21], v[22:23], v[103:104]
	v_fma_f64 v[105:106], v[18:19], v[26:27], -v[105:106]
	v_fma_f64 v[119:120], v[20:21], v[26:27], v[123:124]
	;; [unrolled: 2-line block ×4, first 2 shown]
	ds_load_b128 v[18:21], v39 offset:112
	ds_load_b128 v[22:25], v38 offset:3584
	;; [unrolled: 1-line block ×4, first 2 shown]
	s_wait_loadcnt_dscnt 0x0
	s_barrier_signal -1
	s_barrier_wait -1
	global_inv scope:SCOPE_SE
	v_add_f64_e32 v[83:84], v[83:84], v[99:100]
	v_add_f64_e32 v[85:86], v[107:108], v[85:86]
	;; [unrolled: 1-line block ×8, first 2 shown]
	v_mul_f64_e32 v[99:100], v[4:5], v[47:48]
	v_mul_f64_e32 v[107:108], v[2:3], v[47:48]
	;; [unrolled: 1-line block ×8, first 2 shown]
	v_fma_f64 v[89:90], v[57:58], v[61:62], -v[89:90]
	v_fma_f64 v[91:92], v[59:60], v[61:62], v[91:92]
	v_fma_f64 v[57:58], v[57:58], v[65:66], -v[93:94]
	v_fma_f64 v[59:60], v[59:60], v[65:66], v[95:96]
	;; [unrolled: 2-line block ×4, first 2 shown]
	v_mul_f64_e32 v[95:96], v[18:19], v[28:29]
	v_mul_f64_e32 v[97:98], v[32:33], v[24:25]
	v_add_f64_e32 v[67:68], v[83:84], v[101:102]
	v_add_f64_e32 v[69:70], v[103:104], v[85:86]
	;; [unrolled: 1-line block ×8, first 2 shown]
	v_mul_f64_e32 v[83:84], v[20:21], v[24:25]
	v_mul_f64_e32 v[85:86], v[18:19], v[24:25]
	;; [unrolled: 1-line block ×6, first 2 shown]
	v_fma_f64 v[99:100], v[2:3], v[45:46], -v[99:100]
	v_fma_f64 v[103:104], v[4:5], v[45:46], v[107:108]
	v_fma_f64 v[2:3], v[2:3], v[49:50], -v[109:110]
	v_fma_f64 v[4:5], v[4:5], v[49:50], v[111:112]
	;; [unrolled: 2-line block ×4, first 2 shown]
	v_add_f64_e32 v[51:52], v[67:68], v[89:90]
	v_add_f64_e32 v[53:54], v[91:92], v[69:70]
	;; [unrolled: 1-line block ×8, first 2 shown]
	v_fma_f64 v[67:68], v[18:19], v[22:23], -v[83:84]
	v_fma_f64 v[69:70], v[20:21], v[22:23], v[85:86]
	v_fma_f64 v[18:19], v[18:19], v[26:27], -v[87:88]
	v_fma_f64 v[20:21], v[20:21], v[26:27], v[95:96]
	v_fma_f64 v[71:72], v[30:31], v[22:23], -v[97:98]
	v_fma_f64 v[24:25], v[32:33], v[22:23], v[24:25]
	v_fma_f64 v[73:74], v[30:31], v[26:27], -v[101:102]
	v_fma_f64 v[75:76], v[32:33], v[26:27], v[28:29]
	v_add_f64_e32 v[22:23], v[51:52], v[99:100]
	v_add_f64_e32 v[26:27], v[103:104], v[53:54]
	;; [unrolled: 1-line block ×16, first 2 shown]
	s_wait_alu 0xfffe
	s_cbranch_vccz .LBB556_18
.LBB556_10:                             ;   Parent Loop BB556_7 Depth=1
                                        ; =>  This Inner Loop Header: Depth=2
	v_mov_b32_e32 v2, 0
	v_dual_mov_b32 v3, 0 :: v_dual_mov_b32 v4, 0
	v_mov_b32_e32 v5, 0
	s_and_saveexec_b32 s17, s0
	s_cbranch_execz .LBB556_14
; %bb.11:                               ;   in Loop: Header=BB556_10 Depth=2
	v_mov_b32_e32 v4, 0
	v_mov_b32_e32 v2, 0
	s_wait_alu 0xfffe
	v_dual_mov_b32 v5, 0 :: v_dual_add_nc_u32 v0, s14, v35
	v_mov_b32_e32 v3, 0
	s_mov_b32 s22, exec_lo
	s_delay_alu instid0(VALU_DEP_2)
	v_cmpx_gt_u64_e64 s[8:9], v[0:1]
	s_cbranch_execz .LBB556_13
; %bb.12:                               ;   in Loop: Header=BB556_10 Depth=2
	v_lshlrev_b64_e32 v[2:3], 4, v[0:1]
	s_delay_alu instid0(VALU_DEP_1) | instskip(SKIP_1) | instid1(VALU_DEP_2)
	v_add_co_u32 v2, vcc_lo, v41, v2
	s_wait_alu 0xfffd
	v_add_co_ci_u32_e64 v3, null, v42, v3, vcc_lo
	flat_load_b128 v[2:5], v[2:3]
	s_wait_loadcnt_dscnt 0x0
	v_xor_b32_e32 v5, 0x80000000, v5
.LBB556_13:                             ;   in Loop: Header=BB556_10 Depth=2
	s_or_b32 exec_lo, exec_lo, s22
.LBB556_14:                             ;   in Loop: Header=BB556_10 Depth=2
	s_delay_alu instid0(SALU_CYCLE_1)
	s_or_b32 exec_lo, exec_lo, s17
	s_wait_alu 0xfffe
	v_add_nc_u32_e32 v0, s14, v34
	ds_store_b128 v36, v[2:5]
	v_cmp_le_u64_e32 vcc_lo, s[8:9], v[0:1]
	s_or_b32 s17, vcc_lo, s16
	s_delay_alu instid0(SALU_CYCLE_1) | instskip(NEXT) | instid1(SALU_CYCLE_1)
	s_and_saveexec_b32 s22, s17
	s_xor_b32 s17, exec_lo, s22
; %bb.15:                               ;   in Loop: Header=BB556_10 Depth=2
	v_dual_mov_b32 v0, v1 :: v_dual_mov_b32 v3, v1
	v_mov_b32_e32 v2, v1
	ds_store_b128 v37, v[0:3]
; %bb.16:                               ;   in Loop: Header=BB556_10 Depth=2
	s_and_not1_saveexec_b32 s17, s17
	s_cbranch_execz .LBB556_9
; %bb.17:                               ;   in Loop: Header=BB556_10 Depth=2
	v_mad_co_u64_u32 v[2:3], null, s20, v0, 0
	s_delay_alu instid0(VALU_DEP_1) | instskip(NEXT) | instid1(VALU_DEP_1)
	v_mad_co_u64_u32 v[3:4], null, s21, v0, v[3:4]
	v_lshlrev_b64_e32 v[2:3], 4, v[2:3]
	s_delay_alu instid0(VALU_DEP_1) | instskip(SKIP_1) | instid1(VALU_DEP_2)
	v_add_co_u32 v2, vcc_lo, v43, v2
	s_wait_alu 0xfffd
	v_add_co_ci_u32_e64 v3, null, v44, v3, vcc_lo
	flat_load_b128 v[2:5], v[2:3]
	s_wait_loadcnt_dscnt 0x0
	ds_store_2addr_b64 v37, v[2:3], v[4:5] offset1:1
	s_branch .LBB556_9
.LBB556_18:                             ;   in Loop: Header=BB556_7 Depth=1
	s_wait_loadcnt 0x0
	v_add_co_u32 v0, vcc_lo, v16, s10
	s_wait_alu 0xfffd
	v_add_co_ci_u32_e64 v16, null, s11, v17, vcc_lo
	s_delay_alu instid0(VALU_DEP_2) | instskip(SKIP_1) | instid1(VALU_DEP_2)
	v_add_co_u32 v17, vcc_lo, v0, v12
	s_wait_alu 0xfffd
	v_add_co_ci_u32_e64 v41, null, v16, v13, vcc_lo
	s_and_saveexec_b32 s14, s28
	s_cbranch_execz .LBB556_23
; %bb.19:                               ;   in Loop: Header=BB556_7 Depth=1
	v_mul_f64_e32 v[2:3], s[42:43], v[32:33]
	v_mul_f64_e32 v[4:5], s[40:41], v[32:33]
	s_and_b32 vcc_lo, exec_lo, s25
	s_mov_b32 s15, -1
	s_delay_alu instid0(VALU_DEP_2) | instskip(NEXT) | instid1(VALU_DEP_2)
	v_fma_f64 v[2:3], s[40:41], v[30:31], -v[2:3]
	v_fma_f64 v[4:5], s[42:43], v[30:31], v[4:5]
	s_wait_alu 0xfffe
	s_cbranch_vccz .LBB556_21
; %bb.20:                               ;   in Loop: Header=BB556_7 Depth=1
	v_lshlrev_b64_e32 v[30:31], 4, v[6:7]
	s_mov_b32 s15, 0
	s_delay_alu instid0(VALU_DEP_1) | instskip(SKIP_1) | instid1(VALU_DEP_2)
	v_add_co_u32 v42, vcc_lo, v17, v30
	s_wait_alu 0xfffd
	v_add_co_ci_u32_e64 v43, null, v41, v31, vcc_lo
	flat_load_b128 v[30:33], v[42:43]
	s_wait_loadcnt_dscnt 0x0
	v_mul_f64_e32 v[44:45], s[38:39], v[32:33]
	v_mul_f64_e32 v[32:33], s[36:37], v[32:33]
	s_delay_alu instid0(VALU_DEP_2) | instskip(NEXT) | instid1(VALU_DEP_2)
	v_fma_f64 v[44:45], s[36:37], v[30:31], -v[44:45]
	v_fma_f64 v[32:33], s[38:39], v[30:31], v[32:33]
	s_delay_alu instid0(VALU_DEP_2) | instskip(NEXT) | instid1(VALU_DEP_2)
	v_add_f64_e32 v[30:31], v[2:3], v[44:45]
	v_add_f64_e32 v[32:33], v[4:5], v[32:33]
	flat_store_b128 v[42:43], v[30:33]
.LBB556_21:                             ;   in Loop: Header=BB556_7 Depth=1
	s_wait_alu 0xfffe
	s_and_not1_b32 vcc_lo, exec_lo, s15
	s_wait_alu 0xfffe
	s_cbranch_vccnz .LBB556_23
; %bb.22:                               ;   in Loop: Header=BB556_7 Depth=1
	v_lshlrev_b64_e32 v[30:31], 4, v[6:7]
	s_delay_alu instid0(VALU_DEP_1) | instskip(SKIP_1) | instid1(VALU_DEP_2)
	v_add_co_u32 v30, vcc_lo, v17, v30
	s_wait_alu 0xfffd
	v_add_co_ci_u32_e64 v31, null, v41, v31, vcc_lo
	flat_store_b128 v[30:31], v[2:5]
.LBB556_23:                             ;   in Loop: Header=BB556_7 Depth=1
	s_wait_alu 0xfffe
	s_or_b32 exec_lo, exec_lo, s14
	s_and_saveexec_b32 s14, s29
	s_cbranch_execz .LBB556_28
; %bb.24:                               ;   in Loop: Header=BB556_7 Depth=1
	v_mul_f64_e32 v[2:3], s[42:43], v[28:29]
	v_mul_f64_e32 v[4:5], s[40:41], v[28:29]
	s_and_not1_b32 vcc_lo, exec_lo, s25
	s_mov_b32 s15, -1
	s_delay_alu instid0(VALU_DEP_2) | instskip(NEXT) | instid1(VALU_DEP_2)
	v_fma_f64 v[2:3], s[40:41], v[26:27], -v[2:3]
	v_fma_f64 v[4:5], s[42:43], v[26:27], v[4:5]
	s_wait_alu 0xfffe
	s_cbranch_vccnz .LBB556_26
; %bb.25:                               ;   in Loop: Header=BB556_7 Depth=1
	v_lshlrev_b64_e32 v[26:27], 4, v[8:9]
	s_mov_b32 s15, 0
	s_delay_alu instid0(VALU_DEP_1) | instskip(SKIP_1) | instid1(VALU_DEP_2)
	v_add_co_u32 v30, vcc_lo, v17, v26
	s_wait_alu 0xfffd
	v_add_co_ci_u32_e64 v31, null, v41, v27, vcc_lo
	flat_load_b128 v[26:29], v[30:31]
	s_wait_loadcnt_dscnt 0x0
	v_mul_f64_e32 v[32:33], s[38:39], v[28:29]
	v_mul_f64_e32 v[28:29], s[36:37], v[28:29]
	s_delay_alu instid0(VALU_DEP_2) | instskip(NEXT) | instid1(VALU_DEP_2)
	v_fma_f64 v[32:33], s[36:37], v[26:27], -v[32:33]
	v_fma_f64 v[28:29], s[38:39], v[26:27], v[28:29]
	s_delay_alu instid0(VALU_DEP_2) | instskip(NEXT) | instid1(VALU_DEP_2)
	v_add_f64_e32 v[26:27], v[2:3], v[32:33]
	v_add_f64_e32 v[28:29], v[4:5], v[28:29]
	flat_store_b128 v[30:31], v[26:29]
.LBB556_26:                             ;   in Loop: Header=BB556_7 Depth=1
	s_wait_alu 0xfffe
	s_and_not1_b32 vcc_lo, exec_lo, s15
	s_wait_alu 0xfffe
	s_cbranch_vccnz .LBB556_28
; %bb.27:                               ;   in Loop: Header=BB556_7 Depth=1
	v_lshlrev_b64_e32 v[26:27], 4, v[8:9]
	s_delay_alu instid0(VALU_DEP_1) | instskip(SKIP_1) | instid1(VALU_DEP_2)
	v_add_co_u32 v26, vcc_lo, v17, v26
	s_wait_alu 0xfffd
	v_add_co_ci_u32_e64 v27, null, v41, v27, vcc_lo
	flat_store_b128 v[26:27], v[2:5]
.LBB556_28:                             ;   in Loop: Header=BB556_7 Depth=1
	s_wait_alu 0xfffe
	s_or_b32 exec_lo, exec_lo, s14
	v_add_co_u32 v0, vcc_lo, v0, v14
	s_wait_alu 0xfffd
	v_add_co_ci_u32_e64 v26, null, v16, v15, vcc_lo
	s_and_saveexec_b32 s14, s1
	s_cbranch_execz .LBB556_33
; %bb.29:                               ;   in Loop: Header=BB556_7 Depth=1
	v_mul_f64_e32 v[2:3], s[42:43], v[24:25]
	v_mul_f64_e32 v[4:5], s[40:41], v[24:25]
	v_lshlrev_b64_e32 v[16:17], 4, v[6:7]
	s_and_not1_b32 vcc_lo, exec_lo, s25
	s_mov_b32 s15, -1
	s_delay_alu instid0(VALU_DEP_3) | instskip(NEXT) | instid1(VALU_DEP_3)
	v_fma_f64 v[2:3], s[40:41], v[22:23], -v[2:3]
	v_fma_f64 v[4:5], s[42:43], v[22:23], v[4:5]
	s_wait_alu 0xfffe
	s_cbranch_vccnz .LBB556_31
; %bb.30:                               ;   in Loop: Header=BB556_7 Depth=1
	v_add_co_u32 v27, vcc_lo, v0, v16
	s_wait_alu 0xfffd
	v_add_co_ci_u32_e64 v28, null, v26, v17, vcc_lo
	s_mov_b32 s15, 0
	flat_load_b128 v[22:25], v[27:28]
	s_wait_loadcnt_dscnt 0x0
	v_mul_f64_e32 v[29:30], s[38:39], v[24:25]
	v_mul_f64_e32 v[24:25], s[36:37], v[24:25]
	s_delay_alu instid0(VALU_DEP_2) | instskip(NEXT) | instid1(VALU_DEP_2)
	v_fma_f64 v[29:30], s[36:37], v[22:23], -v[29:30]
	v_fma_f64 v[24:25], s[38:39], v[22:23], v[24:25]
	s_delay_alu instid0(VALU_DEP_2) | instskip(NEXT) | instid1(VALU_DEP_2)
	v_add_f64_e32 v[22:23], v[2:3], v[29:30]
	v_add_f64_e32 v[24:25], v[4:5], v[24:25]
	flat_store_b128 v[27:28], v[22:25]
.LBB556_31:                             ;   in Loop: Header=BB556_7 Depth=1
	s_wait_alu 0xfffe
	s_and_not1_b32 vcc_lo, exec_lo, s15
	s_wait_alu 0xfffe
	s_cbranch_vccnz .LBB556_33
; %bb.32:                               ;   in Loop: Header=BB556_7 Depth=1
	v_add_co_u32 v16, vcc_lo, v0, v16
	s_wait_alu 0xfffd
	v_add_co_ci_u32_e64 v17, null, v26, v17, vcc_lo
	flat_store_b128 v[16:17], v[2:5]
.LBB556_33:                             ;   in Loop: Header=BB556_7 Depth=1
	s_wait_alu 0xfffe
	s_or_b32 exec_lo, exec_lo, s14
	s_and_saveexec_b32 s14, s33
	s_cbranch_execz .LBB556_6
; %bb.34:                               ;   in Loop: Header=BB556_7 Depth=1
	v_mul_f64_e32 v[2:3], s[42:43], v[18:19]
	v_mul_f64_e32 v[4:5], s[40:41], v[18:19]
	v_lshlrev_b64_e32 v[16:17], 4, v[8:9]
	s_and_not1_b32 vcc_lo, exec_lo, s25
	s_mov_b32 s15, -1
	s_delay_alu instid0(VALU_DEP_3) | instskip(NEXT) | instid1(VALU_DEP_3)
	v_fma_f64 v[2:3], s[40:41], v[20:21], -v[2:3]
	v_fma_f64 v[4:5], s[42:43], v[20:21], v[4:5]
	s_wait_alu 0xfffe
	s_cbranch_vccnz .LBB556_36
; %bb.35:                               ;   in Loop: Header=BB556_7 Depth=1
	v_add_co_u32 v22, vcc_lo, v0, v16
	s_wait_alu 0xfffd
	v_add_co_ci_u32_e64 v23, null, v26, v17, vcc_lo
	s_mov_b32 s15, 0
	flat_load_b128 v[18:21], v[22:23]
	s_wait_loadcnt_dscnt 0x0
	v_mul_f64_e32 v[24:25], s[38:39], v[20:21]
	v_mul_f64_e32 v[20:21], s[36:37], v[20:21]
	s_delay_alu instid0(VALU_DEP_2) | instskip(NEXT) | instid1(VALU_DEP_2)
	v_fma_f64 v[24:25], s[36:37], v[18:19], -v[24:25]
	v_fma_f64 v[20:21], s[38:39], v[18:19], v[20:21]
	s_delay_alu instid0(VALU_DEP_2) | instskip(NEXT) | instid1(VALU_DEP_2)
	v_add_f64_e32 v[18:19], v[2:3], v[24:25]
	v_add_f64_e32 v[20:21], v[4:5], v[20:21]
	flat_store_b128 v[22:23], v[18:21]
.LBB556_36:                             ;   in Loop: Header=BB556_7 Depth=1
	s_wait_alu 0xfffe
	s_and_not1_b32 vcc_lo, exec_lo, s15
	s_wait_alu 0xfffe
	s_cbranch_vccnz .LBB556_6
; %bb.37:                               ;   in Loop: Header=BB556_7 Depth=1
	v_add_co_u32 v16, vcc_lo, v0, v16
	s_wait_alu 0xfffd
	v_add_co_ci_u32_e64 v17, null, v26, v17, vcc_lo
	flat_store_b128 v[16:17], v[2:5]
	s_branch .LBB556_6
.LBB556_38:
.LBB556_39:
	s_nop 0
	s_sendmsg sendmsg(MSG_DEALLOC_VGPRS)
	s_endpgm
	.section	.rodata,"a",@progbits
	.p2align	6, 0x0
	.amdhsa_kernel _ZL29rocblas_internal_gemmt_kernelIlLi16ELi32ELi8ELc67ELc84ELc76ELb1ELb0E19rocblas_complex_numIdEPKS1_PKS3_PKPS1_EviT_T9_T10_S9_lSB_S9_lSA_T11_S9_li
		.amdhsa_group_segment_fixed_size 8192
		.amdhsa_private_segment_fixed_size 0
		.amdhsa_kernarg_size 108
		.amdhsa_user_sgpr_count 2
		.amdhsa_user_sgpr_dispatch_ptr 0
		.amdhsa_user_sgpr_queue_ptr 0
		.amdhsa_user_sgpr_kernarg_segment_ptr 1
		.amdhsa_user_sgpr_dispatch_id 0
		.amdhsa_user_sgpr_private_segment_size 0
		.amdhsa_wavefront_size32 1
		.amdhsa_uses_dynamic_stack 0
		.amdhsa_enable_private_segment 0
		.amdhsa_system_sgpr_workgroup_id_x 1
		.amdhsa_system_sgpr_workgroup_id_y 1
		.amdhsa_system_sgpr_workgroup_id_z 1
		.amdhsa_system_sgpr_workgroup_info 0
		.amdhsa_system_vgpr_workitem_id 1
		.amdhsa_next_free_vgpr 133
		.amdhsa_next_free_sgpr 44
		.amdhsa_reserve_vcc 1
		.amdhsa_float_round_mode_32 0
		.amdhsa_float_round_mode_16_64 0
		.amdhsa_float_denorm_mode_32 3
		.amdhsa_float_denorm_mode_16_64 3
		.amdhsa_fp16_overflow 0
		.amdhsa_workgroup_processor_mode 1
		.amdhsa_memory_ordered 1
		.amdhsa_forward_progress 1
		.amdhsa_inst_pref_size 28
		.amdhsa_round_robin_scheduling 0
		.amdhsa_exception_fp_ieee_invalid_op 0
		.amdhsa_exception_fp_denorm_src 0
		.amdhsa_exception_fp_ieee_div_zero 0
		.amdhsa_exception_fp_ieee_overflow 0
		.amdhsa_exception_fp_ieee_underflow 0
		.amdhsa_exception_fp_ieee_inexact 0
		.amdhsa_exception_int_div_zero 0
	.end_amdhsa_kernel
	.section	.text._ZL29rocblas_internal_gemmt_kernelIlLi16ELi32ELi8ELc67ELc84ELc76ELb1ELb0E19rocblas_complex_numIdEPKS1_PKS3_PKPS1_EviT_T9_T10_S9_lSB_S9_lSA_T11_S9_li,"axG",@progbits,_ZL29rocblas_internal_gemmt_kernelIlLi16ELi32ELi8ELc67ELc84ELc76ELb1ELb0E19rocblas_complex_numIdEPKS1_PKS3_PKPS1_EviT_T9_T10_S9_lSB_S9_lSA_T11_S9_li,comdat
.Lfunc_end556:
	.size	_ZL29rocblas_internal_gemmt_kernelIlLi16ELi32ELi8ELc67ELc84ELc76ELb1ELb0E19rocblas_complex_numIdEPKS1_PKS3_PKPS1_EviT_T9_T10_S9_lSB_S9_lSA_T11_S9_li, .Lfunc_end556-_ZL29rocblas_internal_gemmt_kernelIlLi16ELi32ELi8ELc67ELc84ELc76ELb1ELb0E19rocblas_complex_numIdEPKS1_PKS3_PKPS1_EviT_T9_T10_S9_lSB_S9_lSA_T11_S9_li
                                        ; -- End function
	.set _ZL29rocblas_internal_gemmt_kernelIlLi16ELi32ELi8ELc67ELc84ELc76ELb1ELb0E19rocblas_complex_numIdEPKS1_PKS3_PKPS1_EviT_T9_T10_S9_lSB_S9_lSA_T11_S9_li.num_vgpr, 133
	.set _ZL29rocblas_internal_gemmt_kernelIlLi16ELi32ELi8ELc67ELc84ELc76ELb1ELb0E19rocblas_complex_numIdEPKS1_PKS3_PKPS1_EviT_T9_T10_S9_lSB_S9_lSA_T11_S9_li.num_agpr, 0
	.set _ZL29rocblas_internal_gemmt_kernelIlLi16ELi32ELi8ELc67ELc84ELc76ELb1ELb0E19rocblas_complex_numIdEPKS1_PKS3_PKPS1_EviT_T9_T10_S9_lSB_S9_lSA_T11_S9_li.numbered_sgpr, 44
	.set _ZL29rocblas_internal_gemmt_kernelIlLi16ELi32ELi8ELc67ELc84ELc76ELb1ELb0E19rocblas_complex_numIdEPKS1_PKS3_PKPS1_EviT_T9_T10_S9_lSB_S9_lSA_T11_S9_li.num_named_barrier, 0
	.set _ZL29rocblas_internal_gemmt_kernelIlLi16ELi32ELi8ELc67ELc84ELc76ELb1ELb0E19rocblas_complex_numIdEPKS1_PKS3_PKPS1_EviT_T9_T10_S9_lSB_S9_lSA_T11_S9_li.private_seg_size, 0
	.set _ZL29rocblas_internal_gemmt_kernelIlLi16ELi32ELi8ELc67ELc84ELc76ELb1ELb0E19rocblas_complex_numIdEPKS1_PKS3_PKPS1_EviT_T9_T10_S9_lSB_S9_lSA_T11_S9_li.uses_vcc, 1
	.set _ZL29rocblas_internal_gemmt_kernelIlLi16ELi32ELi8ELc67ELc84ELc76ELb1ELb0E19rocblas_complex_numIdEPKS1_PKS3_PKPS1_EviT_T9_T10_S9_lSB_S9_lSA_T11_S9_li.uses_flat_scratch, 0
	.set _ZL29rocblas_internal_gemmt_kernelIlLi16ELi32ELi8ELc67ELc84ELc76ELb1ELb0E19rocblas_complex_numIdEPKS1_PKS3_PKPS1_EviT_T9_T10_S9_lSB_S9_lSA_T11_S9_li.has_dyn_sized_stack, 0
	.set _ZL29rocblas_internal_gemmt_kernelIlLi16ELi32ELi8ELc67ELc84ELc76ELb1ELb0E19rocblas_complex_numIdEPKS1_PKS3_PKPS1_EviT_T9_T10_S9_lSB_S9_lSA_T11_S9_li.has_recursion, 0
	.set _ZL29rocblas_internal_gemmt_kernelIlLi16ELi32ELi8ELc67ELc84ELc76ELb1ELb0E19rocblas_complex_numIdEPKS1_PKS3_PKPS1_EviT_T9_T10_S9_lSB_S9_lSA_T11_S9_li.has_indirect_call, 0
	.section	.AMDGPU.csdata,"",@progbits
; Kernel info:
; codeLenInByte = 3504
; TotalNumSgprs: 46
; NumVgprs: 133
; ScratchSize: 0
; MemoryBound: 1
; FloatMode: 240
; IeeeMode: 1
; LDSByteSize: 8192 bytes/workgroup (compile time only)
; SGPRBlocks: 0
; VGPRBlocks: 16
; NumSGPRsForWavesPerEU: 46
; NumVGPRsForWavesPerEU: 133
; Occupancy: 10
; WaveLimiterHint : 1
; COMPUTE_PGM_RSRC2:SCRATCH_EN: 0
; COMPUTE_PGM_RSRC2:USER_SGPR: 2
; COMPUTE_PGM_RSRC2:TRAP_HANDLER: 0
; COMPUTE_PGM_RSRC2:TGID_X_EN: 1
; COMPUTE_PGM_RSRC2:TGID_Y_EN: 1
; COMPUTE_PGM_RSRC2:TGID_Z_EN: 1
; COMPUTE_PGM_RSRC2:TIDIG_COMP_CNT: 1
	.section	.text._ZL29rocblas_internal_gemmt_kernelIlLi16ELi32ELi8ELc67ELc67ELc76ELb1ELb1E19rocblas_complex_numIdEPKS1_PKS3_PKPS1_EviT_T9_T10_S9_lSB_S9_lSA_T11_S9_li,"axG",@progbits,_ZL29rocblas_internal_gemmt_kernelIlLi16ELi32ELi8ELc67ELc67ELc76ELb1ELb1E19rocblas_complex_numIdEPKS1_PKS3_PKPS1_EviT_T9_T10_S9_lSB_S9_lSA_T11_S9_li,comdat
	.globl	_ZL29rocblas_internal_gemmt_kernelIlLi16ELi32ELi8ELc67ELc67ELc76ELb1ELb1E19rocblas_complex_numIdEPKS1_PKS3_PKPS1_EviT_T9_T10_S9_lSB_S9_lSA_T11_S9_li ; -- Begin function _ZL29rocblas_internal_gemmt_kernelIlLi16ELi32ELi8ELc67ELc67ELc76ELb1ELb1E19rocblas_complex_numIdEPKS1_PKS3_PKPS1_EviT_T9_T10_S9_lSB_S9_lSA_T11_S9_li
	.p2align	8
	.type	_ZL29rocblas_internal_gemmt_kernelIlLi16ELi32ELi8ELc67ELc67ELc76ELb1ELb1E19rocblas_complex_numIdEPKS1_PKS3_PKPS1_EviT_T9_T10_S9_lSB_S9_lSA_T11_S9_li,@function
_ZL29rocblas_internal_gemmt_kernelIlLi16ELi32ELi8ELc67ELc67ELc76ELb1ELb1E19rocblas_complex_numIdEPKS1_PKS3_PKPS1_EviT_T9_T10_S9_lSB_S9_lSA_T11_S9_li: ; @_ZL29rocblas_internal_gemmt_kernelIlLi16ELi32ELi8ELc67ELc67ELc76ELb1ELb1E19rocblas_complex_numIdEPKS1_PKS3_PKPS1_EviT_T9_T10_S9_lSB_S9_lSA_T11_S9_li
; %bb.0:
	s_clause 0x1
	s_load_b256 s[24:31], s[0:1], 0x48
	s_load_b512 s[8:23], s[0:1], 0x8
	s_wait_kmcnt 0x0
	s_load_b128 s[36:39], s[24:25], 0x0
	s_load_b128 s[40:43], s[10:11], 0x0
	s_wait_kmcnt 0x0
	v_cmp_eq_f64_e64 s3, s[36:37], 1.0
	v_cmp_eq_f64_e64 s2, s[38:39], 0
	s_and_b32 s3, s3, s2
	s_delay_alu instid0(SALU_CYCLE_1)
	s_and_not1_b32 vcc_lo, exec_lo, s3
	s_mov_b32 s3, -1
	s_cbranch_vccnz .LBB557_3
; %bb.1:
	s_cmp_lg_u64 s[8:9], 0
	s_cbranch_scc0 .LBB557_36
; %bb.2:
	v_cmp_neq_f64_e64 s3, s[40:41], 0
	v_cmp_neq_f64_e64 s4, s[42:43], 0
	s_or_b32 s3, s3, s4
.LBB557_3:
	s_delay_alu instid0(SALU_CYCLE_1)
	s_and_b32 vcc_lo, exec_lo, s3
	s_cbranch_vccz .LBB557_37
; %bb.4:
	s_load_b32 s24, s[0:1], 0x68
	s_lshr_b32 s6, ttmp7, 16
	s_wait_kmcnt 0x0
	s_cmp_ge_u32 s6, s24
	s_cbranch_scc1 .LBB557_37
; %bb.5:
	v_and_b32_e32 v7, 0x3ff, v0
	v_bfe_u32 v8, v0, 10, 10
	v_dual_mov_b32 v9, 0 :: v_dual_and_b32 v38, 7, v0
	v_cmp_neq_f64_e64 s10, s[36:37], 0
	s_load_b32 s5, s[0:1], 0x0
	v_lshl_add_u32 v0, v8, 4, v7
	v_cmp_neq_f64_e64 s3, s[40:41], 0
	v_cmp_neq_f64_e64 s4, s[42:43], 0
	s_lshl_b32 s0, ttmp7, 5
	s_lshl_b32 s7, ttmp9, 5
	v_and_b32_e32 v3, 31, v0
	s_and_b32 s0, s0, 0x1fffe0
	v_lshlrev_b32_e32 v2, 4, v38
	v_add_nc_u32_e32 v11, s0, v8
	v_lshrrev_b32_e32 v4, 3, v0
	v_or_b32_e32 v5, s7, v3
	v_lshrrev_b32_e32 v39, 5, v0
	v_lshlrev_b32_e32 v6, 4, v3
	v_mad_co_u64_u32 v[0:1], null, s28, v11, 0
	v_add_nc_u32_e32 v20, s0, v4
	v_lshl_or_b32 v4, v4, 7, v2
	v_mad_co_u64_u32 v[2:3], null, s14, v5, 0
	v_add_nc_u32_e32 v13, 16, v11
	v_mul_lo_u32 v10, s15, v5
	s_wait_kmcnt 0x0
	v_cmp_gt_i32_e64 s0, s5, v5
	v_add_nc_u32_e32 v41, 0x1000, v4
	v_lshl_or_b32 v40, v39, 9, v6
	s_ashr_i32 s1, s7, 31
	v_mad_co_u64_u32 v[4:5], null, s29, v11, v[1:2]
	v_mad_co_u64_u32 v[5:6], null, s28, v13, 0
	s_wait_alu 0xfffe
	s_mul_i32 s25, s14, s1
	s_xor_b32 s2, s2, -1
	v_add3_u32 v3, v3, s25, v10
	v_cmp_gt_i64_e64 s11, s[8:9], 0
	s_delay_alu instid0(VALU_DEP_4)
	v_mov_b32_e32 v1, v4
	v_cmp_gt_i32_e64 s1, s5, v20
	v_mov_b32_e32 v4, v6
	v_add_nc_u32_e32 v10, s7, v7
	v_lshlrev_b32_e32 v42, 4, v7
	s_or_b32 s25, s10, s2
	v_lshlrev_b64_e32 v[14:15], 4, v[2:3]
	v_mad_co_u64_u32 v[6:7], null, s29, v13, v[4:5]
	v_add_nc_u32_e32 v12, 16, v10
	v_cmp_le_i32_e32 vcc_lo, v11, v10
	v_cmp_gt_i32_e64 s2, s5, v10
	s_or_b32 s14, s3, s4
	v_lshlrev_b64_e32 v[16:17], 4, v[0:1]
	v_cmp_le_i32_e64 s3, v11, v12
	v_cmp_gt_i32_e64 s4, s5, v12
	s_and_b32 s28, vcc_lo, s2
	v_cmp_le_i32_e32 vcc_lo, v13, v10
	v_cmp_le_i32_e64 s5, v13, v12
	v_lshlrev_b64_e32 v[18:19], 4, v[5:6]
	v_lshl_add_u32 v43, v8, 7, 0x1000
	v_ashrrev_i32_e32 v11, 31, v10
	v_ashrrev_i32_e32 v13, 31, v12
	v_lshlrev_b32_e32 v44, 4, v20
	s_and_b32 s29, s3, s4
	s_and_b32 s33, vcc_lo, s2
	s_and_b32 s34, s5, s4
	s_mov_b32 s7, 0
	s_wait_alu 0xfffe
	s_and_b32 s35, s14, s11
	s_lshl_b64 s[2:3], s[22:23], 4
	s_lshl_b64 s[4:5], s[16:17], 4
	;; [unrolled: 1-line block ×3, first 2 shown]
	s_branch .LBB557_7
.LBB557_6:                              ;   in Loop: Header=BB557_7 Depth=1
	s_wait_alu 0xfffe
	s_or_b32 exec_lo, exec_lo, s14
	s_add_co_i32 s6, s6, 0x10000
	s_wait_alu 0xfffe
	s_cmp_lt_u32 s6, s24
	s_cbranch_scc0 .LBB557_37
.LBB557_7:                              ; =>This Loop Header: Depth=1
                                        ;     Child Loop BB557_10 Depth 2
	s_lshl_b64 s[14:15], s[6:7], 3
	v_mov_b32_e32 v34, 0
	s_wait_alu 0xfffe
	s_add_nc_u64 s[16:17], s[26:27], s[14:15]
	v_mov_b32_e32 v30, 0
	global_load_b64 v[20:21], v9, s[16:17]
	v_mov_b32_e32 v26, 0
	v_dual_mov_b32 v24, 0 :: v_dual_mov_b32 v35, 0
	v_dual_mov_b32 v36, 0 :: v_dual_mov_b32 v31, 0
	v_dual_mov_b32 v32, 0 :: v_dual_mov_b32 v27, 0
	v_dual_mov_b32 v28, 0 :: v_dual_mov_b32 v25, 0
	v_dual_mov_b32 v22, 0 :: v_dual_mov_b32 v37, 0
	v_mov_b32_e32 v33, 0
	v_mov_b32_e32 v29, 0
	;; [unrolled: 1-line block ×3, first 2 shown]
	s_and_not1_b32 vcc_lo, exec_lo, s35
	s_wait_alu 0xfffe
	s_cbranch_vccnz .LBB557_16
; %bb.8:                                ;   in Loop: Header=BB557_7 Depth=1
	s_add_nc_u64 s[16:17], s[12:13], s[14:15]
	s_add_nc_u64 s[14:15], s[18:19], s[14:15]
	s_clause 0x1
	global_load_b64 v[0:1], v9, s[16:17]
	global_load_b64 v[2:3], v9, s[14:15]
	v_mov_b32_e32 v22, 0
	v_mov_b32_e32 v28, 0
	v_mov_b32_e32 v32, 0
	v_dual_mov_b32 v36, 0 :: v_dual_mov_b32 v23, 0
	v_dual_mov_b32 v24, 0 :: v_dual_mov_b32 v29, 0
	;; [unrolled: 1-line block ×5, first 2 shown]
	v_mov_b32_e32 v27, 0
	v_mov_b32_e32 v31, 0
	;; [unrolled: 1-line block ×3, first 2 shown]
	s_mov_b64 s[14:15], 0
	s_wait_loadcnt 0x1
	v_add_co_u32 v0, vcc_lo, v0, s4
	s_wait_alu 0xfffd
	v_add_co_ci_u32_e64 v1, null, s5, v1, vcc_lo
	s_wait_loadcnt 0x0
	v_add_co_u32 v2, vcc_lo, v2, s2
	s_wait_alu 0xfffd
	v_add_co_ci_u32_e64 v3, null, s3, v3, vcc_lo
	v_add_co_u32 v45, vcc_lo, v0, v14
	s_wait_alu 0xfffd
	v_add_co_ci_u32_e64 v46, null, v1, v15, vcc_lo
	;; [unrolled: 3-line block ×3, first 2 shown]
	s_branch .LBB557_10
.LBB557_9:                              ;   in Loop: Header=BB557_10 Depth=2
	s_or_b32 exec_lo, exec_lo, s16
	ds_store_b128 v41, v[4:7]
	s_wait_dscnt 0x0
	s_barrier_signal -1
	s_barrier_wait -1
	global_inv scope:SCOPE_SE
	ds_load_b128 v[0:3], v43
	ds_load_b128 v[4:7], v42
	ds_load_b128 v[49:52], v42 offset:256
	ds_load_b128 v[53:56], v43 offset:2048
	;; [unrolled: 1-line block ×10, first 2 shown]
	s_add_nc_u64 s[14:15], s[14:15], 8
	s_wait_alu 0xfffe
	v_cmp_gt_i64_e64 s16, s[8:9], s[14:15]
	s_and_b32 vcc_lo, exec_lo, s16
	s_wait_dscnt 0xa
	v_mul_f64_e32 v[89:90], v[2:3], v[6:7]
	v_mul_f64_e32 v[91:92], v[0:1], v[6:7]
	s_wait_dscnt 0x9
	v_mul_f64_e32 v[93:94], v[2:3], v[51:52]
	v_mul_f64_e32 v[95:96], v[0:1], v[51:52]
	;; [unrolled: 3-line block ×3, first 2 shown]
	v_mul_f64_e32 v[99:100], v[55:56], v[51:52]
	v_mul_f64_e32 v[51:52], v[53:54], v[51:52]
	s_wait_dscnt 0x5
	v_mul_f64_e32 v[101:102], v[59:60], v[67:68]
	v_mul_f64_e32 v[103:104], v[57:58], v[67:68]
	s_wait_dscnt 0x4
	v_mul_f64_e32 v[105:106], v[59:60], v[71:72]
	v_mul_f64_e32 v[107:108], v[57:58], v[71:72]
	;; [unrolled: 1-line block ×6, first 2 shown]
	s_wait_dscnt 0x2
	v_mul_f64_e32 v[117:118], v[75:76], v[79:80]
	v_mul_f64_e32 v[119:120], v[73:74], v[79:80]
	s_wait_dscnt 0x1
	v_mul_f64_e32 v[121:122], v[75:76], v[83:84]
	v_mul_f64_e32 v[123:124], v[73:74], v[83:84]
	;; [unrolled: 3-line block ×3, first 2 shown]
	v_mul_f64_e32 v[127:128], v[87:88], v[83:84]
	v_mul_f64_e32 v[83:84], v[85:86], v[83:84]
	v_fma_f64 v[89:90], v[0:1], v[4:5], -v[89:90]
	v_fma_f64 v[91:92], v[2:3], v[4:5], v[91:92]
	v_fma_f64 v[93:94], v[0:1], v[49:50], -v[93:94]
	v_fma_f64 v[95:96], v[2:3], v[49:50], v[95:96]
	;; [unrolled: 2-line block ×8, first 2 shown]
	ds_load_b128 v[0:3], v43 offset:48
	ds_load_b128 v[4:7], v42 offset:1536
	;; [unrolled: 1-line block ×4, first 2 shown]
	v_fma_f64 v[117:118], v[73:74], v[77:78], -v[117:118]
	v_fma_f64 v[119:120], v[75:76], v[77:78], v[119:120]
	v_fma_f64 v[73:74], v[73:74], v[81:82], -v[121:122]
	v_fma_f64 v[75:76], v[75:76], v[81:82], v[123:124]
	;; [unrolled: 2-line block ×4, first 2 shown]
	s_wait_dscnt 0x2
	v_mul_f64_e32 v[107:108], v[0:1], v[6:7]
	s_wait_dscnt 0x1
	v_mul_f64_e32 v[109:110], v[2:3], v[51:52]
	v_mul_f64_e32 v[111:112], v[0:1], v[51:52]
	v_add_f64_e32 v[67:68], v[34:35], v[89:90]
	v_add_f64_e32 v[69:70], v[91:92], v[36:37]
	;; [unrolled: 1-line block ×8, first 2 shown]
	v_mul_f64_e32 v[99:100], v[2:3], v[6:7]
	s_wait_dscnt 0x0
	v_mul_f64_e32 v[113:114], v[55:56], v[6:7]
	v_mul_f64_e32 v[6:7], v[53:54], v[6:7]
	;; [unrolled: 1-line block ×4, first 2 shown]
	ds_load_b128 v[22:25], v43 offset:64
	ds_load_b128 v[26:29], v42 offset:2048
	;; [unrolled: 1-line block ×4, first 2 shown]
	s_wait_dscnt 0x1
	v_mul_f64_e32 v[123:124], v[22:23], v[32:33]
	s_wait_dscnt 0x0
	v_mul_f64_e32 v[125:126], v[36:37], v[28:29]
	v_mul_f64_e32 v[127:128], v[36:37], v[32:33]
	v_fma_f64 v[107:108], v[2:3], v[4:5], v[107:108]
	v_fma_f64 v[109:110], v[0:1], v[49:50], -v[109:110]
	v_fma_f64 v[111:112], v[2:3], v[49:50], v[111:112]
	v_add_f64_e32 v[83:84], v[67:68], v[101:102]
	v_add_f64_e32 v[85:86], v[103:104], v[69:70]
	v_add_f64_e32 v[87:88], v[71:72], v[57:58]
	v_add_f64_e32 v[89:90], v[59:60], v[89:90]
	v_add_f64_e32 v[91:92], v[91:92], v[105:106]
	v_add_f64_e32 v[93:94], v[65:66], v[93:94]
	v_add_f64_e32 v[95:96], v[95:96], v[61:62]
	v_add_f64_e32 v[97:98], v[63:64], v[97:98]
	v_mul_f64_e32 v[101:102], v[24:25], v[28:29]
	v_mul_f64_e32 v[103:104], v[22:23], v[28:29]
	;; [unrolled: 1-line block ×5, first 2 shown]
	v_fma_f64 v[99:100], v[0:1], v[4:5], -v[99:100]
	v_fma_f64 v[113:114], v[53:54], v[4:5], -v[113:114]
	v_fma_f64 v[129:130], v[55:56], v[4:5], v[6:7]
	v_fma_f64 v[115:116], v[53:54], v[49:50], -v[115:116]
	v_fma_f64 v[131:132], v[55:56], v[49:50], v[51:52]
	ds_load_b128 v[57:60], v43 offset:80
	ds_load_b128 v[61:64], v42 offset:2560
	;; [unrolled: 1-line block ×8, first 2 shown]
	v_add_f64_e32 v[83:84], v[83:84], v[117:118]
	v_add_f64_e32 v[85:86], v[119:120], v[85:86]
	;; [unrolled: 1-line block ×8, first 2 shown]
	s_wait_dscnt 0x6
	v_mul_f64_e32 v[89:90], v[59:60], v[63:64]
	v_mul_f64_e32 v[91:92], v[57:58], v[63:64]
	s_wait_dscnt 0x5
	v_mul_f64_e32 v[93:94], v[59:60], v[67:68]
	v_mul_f64_e32 v[95:96], v[57:58], v[67:68]
	;; [unrolled: 3-line block ×3, first 2 shown]
	v_mul_f64_e32 v[117:118], v[71:72], v[67:68]
	v_mul_f64_e32 v[67:68], v[69:70], v[67:68]
	v_fma_f64 v[101:102], v[22:23], v[26:27], -v[101:102]
	v_fma_f64 v[103:104], v[24:25], v[26:27], v[103:104]
	v_fma_f64 v[105:106], v[22:23], v[30:31], -v[105:106]
	v_fma_f64 v[119:120], v[24:25], v[30:31], v[123:124]
	;; [unrolled: 2-line block ×4, first 2 shown]
	ds_load_b128 v[22:25], v43 offset:112
	ds_load_b128 v[26:29], v42 offset:3584
	;; [unrolled: 1-line block ×4, first 2 shown]
	s_wait_loadcnt_dscnt 0x0
	s_barrier_signal -1
	s_barrier_wait -1
	global_inv scope:SCOPE_SE
	v_add_f64_e32 v[83:84], v[83:84], v[99:100]
	v_add_f64_e32 v[85:86], v[107:108], v[85:86]
	;; [unrolled: 1-line block ×8, first 2 shown]
	v_mul_f64_e32 v[99:100], v[2:3], v[6:7]
	v_mul_f64_e32 v[107:108], v[0:1], v[6:7]
	;; [unrolled: 1-line block ×8, first 2 shown]
	v_fma_f64 v[89:90], v[57:58], v[61:62], -v[89:90]
	v_fma_f64 v[91:92], v[59:60], v[61:62], v[91:92]
	v_fma_f64 v[57:58], v[57:58], v[65:66], -v[93:94]
	v_fma_f64 v[59:60], v[59:60], v[65:66], v[95:96]
	;; [unrolled: 2-line block ×4, first 2 shown]
	v_mul_f64_e32 v[95:96], v[22:23], v[32:33]
	v_mul_f64_e32 v[97:98], v[36:37], v[28:29]
	v_add_f64_e32 v[67:68], v[83:84], v[101:102]
	v_add_f64_e32 v[69:70], v[103:104], v[85:86]
	;; [unrolled: 1-line block ×8, first 2 shown]
	v_mul_f64_e32 v[83:84], v[24:25], v[28:29]
	v_mul_f64_e32 v[85:86], v[22:23], v[28:29]
	;; [unrolled: 1-line block ×6, first 2 shown]
	v_fma_f64 v[99:100], v[0:1], v[4:5], -v[99:100]
	v_fma_f64 v[103:104], v[2:3], v[4:5], v[107:108]
	v_fma_f64 v[0:1], v[0:1], v[49:50], -v[109:110]
	v_fma_f64 v[2:3], v[2:3], v[49:50], v[111:112]
	;; [unrolled: 2-line block ×4, first 2 shown]
	v_add_f64_e32 v[51:52], v[67:68], v[89:90]
	v_add_f64_e32 v[53:54], v[91:92], v[69:70]
	;; [unrolled: 1-line block ×8, first 2 shown]
	v_fma_f64 v[67:68], v[22:23], v[26:27], -v[83:84]
	v_fma_f64 v[69:70], v[24:25], v[26:27], v[85:86]
	v_fma_f64 v[22:23], v[22:23], v[30:31], -v[87:88]
	v_fma_f64 v[24:25], v[24:25], v[30:31], v[95:96]
	;; [unrolled: 2-line block ×4, first 2 shown]
	v_add_f64_e32 v[26:27], v[51:52], v[99:100]
	v_add_f64_e32 v[30:31], v[103:104], v[53:54]
	v_add_f64_e32 v[0:1], v[55:56], v[0:1]
	v_add_f64_e32 v[2:3], v[2:3], v[57:58]
	v_add_f64_e32 v[51:52], v[59:60], v[105:106]
	v_add_f64_e32 v[4:5], v[4:5], v[61:62]
	v_add_f64_e32 v[6:7], v[63:64], v[6:7]
	v_add_f64_e32 v[49:50], v[49:50], v[65:66]
	v_add_f64_e32 v[34:35], v[26:27], v[67:68]
	v_add_f64_e32 v[36:37], v[69:70], v[30:31]
	v_add_f64_e32 v[30:31], v[0:1], v[22:23]
	v_add_f64_e32 v[32:33], v[24:25], v[2:3]
	v_add_f64_e32 v[26:27], v[51:52], v[71:72]
	v_add_f64_e32 v[28:29], v[28:29], v[4:5]
	v_add_f64_e32 v[24:25], v[6:7], v[73:74]
	v_add_f64_e32 v[22:23], v[75:76], v[49:50]
	s_wait_alu 0xfffe
	s_cbranch_vccz .LBB557_16
.LBB557_10:                             ;   Parent Loop BB557_7 Depth=1
                                        ; =>  This Inner Loop Header: Depth=2
	v_mov_b32_e32 v0, 0
	v_dual_mov_b32 v1, 0 :: v_dual_mov_b32 v2, 0
	v_mov_b32_e32 v3, 0
	s_and_saveexec_b32 s16, s0
	s_cbranch_execz .LBB557_14
; %bb.11:                               ;   in Loop: Header=BB557_10 Depth=2
	v_mov_b32_e32 v2, 0
	v_mov_b32_e32 v0, 0
	s_wait_alu 0xfffe
	v_dual_mov_b32 v3, 0 :: v_dual_add_nc_u32 v8, s14, v39
	v_mov_b32_e32 v1, 0
	s_mov_b32 s17, exec_lo
	s_delay_alu instid0(VALU_DEP_2)
	v_cmpx_gt_u64_e64 s[8:9], v[8:9]
	s_cbranch_execz .LBB557_13
; %bb.12:                               ;   in Loop: Header=BB557_10 Depth=2
	v_lshlrev_b64_e32 v[0:1], 4, v[8:9]
	s_delay_alu instid0(VALU_DEP_1) | instskip(SKIP_1) | instid1(VALU_DEP_2)
	v_add_co_u32 v0, vcc_lo, v45, v0
	s_wait_alu 0xfffd
	v_add_co_ci_u32_e64 v1, null, v46, v1, vcc_lo
	flat_load_b128 v[0:3], v[0:1]
	s_wait_loadcnt_dscnt 0x0
	v_xor_b32_e32 v3, 0x80000000, v3
.LBB557_13:                             ;   in Loop: Header=BB557_10 Depth=2
	s_or_b32 exec_lo, exec_lo, s17
.LBB557_14:                             ;   in Loop: Header=BB557_10 Depth=2
	s_delay_alu instid0(SALU_CYCLE_1)
	s_or_b32 exec_lo, exec_lo, s16
	s_wait_alu 0xfffe
	v_add_nc_u32_e32 v8, s14, v38
	v_mov_b32_e32 v4, 0
	v_dual_mov_b32 v5, 0 :: v_dual_mov_b32 v6, 0
	v_mov_b32_e32 v7, 0
	s_delay_alu instid0(VALU_DEP_4) | instskip(SKIP_2) | instid1(SALU_CYCLE_1)
	v_cmp_gt_u64_e32 vcc_lo, s[8:9], v[8:9]
	ds_store_b128 v40, v[0:3]
	s_and_b32 s17, vcc_lo, s1
	s_and_saveexec_b32 s16, s17
	s_cbranch_execz .LBB557_9
; %bb.15:                               ;   in Loop: Header=BB557_10 Depth=2
	v_mad_co_u64_u32 v[0:1], null, s20, v8, 0
	s_delay_alu instid0(VALU_DEP_1) | instskip(NEXT) | instid1(VALU_DEP_1)
	v_mad_co_u64_u32 v[1:2], null, s21, v8, v[1:2]
	v_lshlrev_b64_e32 v[0:1], 4, v[0:1]
	s_delay_alu instid0(VALU_DEP_1) | instskip(SKIP_1) | instid1(VALU_DEP_2)
	v_add_co_u32 v0, vcc_lo, v47, v0
	s_wait_alu 0xfffd
	v_add_co_ci_u32_e64 v1, null, v48, v1, vcc_lo
	flat_load_b128 v[4:7], v[0:1]
	s_wait_loadcnt_dscnt 0x0
	v_xor_b32_e32 v7, 0x80000000, v7
	s_branch .LBB557_9
.LBB557_16:                             ;   in Loop: Header=BB557_7 Depth=1
	s_wait_loadcnt 0x0
	v_add_co_u32 v4, vcc_lo, v20, s10
	s_wait_alu 0xfffd
	v_add_co_ci_u32_e64 v5, null, s11, v21, vcc_lo
	s_delay_alu instid0(VALU_DEP_2) | instskip(SKIP_1) | instid1(VALU_DEP_2)
	v_add_co_u32 v6, vcc_lo, v4, v16
	s_wait_alu 0xfffd
	v_add_co_ci_u32_e64 v7, null, v5, v17, vcc_lo
	s_and_saveexec_b32 s14, s28
	s_cbranch_execz .LBB557_21
; %bb.17:                               ;   in Loop: Header=BB557_7 Depth=1
	v_mul_f64_e32 v[0:1], s[42:43], v[36:37]
	v_mul_f64_e32 v[2:3], s[40:41], v[36:37]
	s_and_b32 vcc_lo, exec_lo, s25
	s_mov_b32 s15, -1
	s_delay_alu instid0(VALU_DEP_2) | instskip(NEXT) | instid1(VALU_DEP_2)
	v_fma_f64 v[0:1], s[40:41], v[34:35], -v[0:1]
	v_fma_f64 v[2:3], s[42:43], v[34:35], v[2:3]
	s_wait_alu 0xfffe
	s_cbranch_vccz .LBB557_19
; %bb.18:                               ;   in Loop: Header=BB557_7 Depth=1
	v_lshlrev_b64_e32 v[20:21], 4, v[10:11]
	s_mov_b32 s15, 0
	s_delay_alu instid0(VALU_DEP_1) | instskip(SKIP_1) | instid1(VALU_DEP_2)
	v_add_co_u32 v20, vcc_lo, v6, v20
	s_wait_alu 0xfffd
	v_add_co_ci_u32_e64 v21, null, v7, v21, vcc_lo
	flat_load_b128 v[34:37], v[20:21]
	s_wait_loadcnt_dscnt 0x0
	v_mul_f64_e32 v[45:46], s[38:39], v[36:37]
	v_mul_f64_e32 v[36:37], s[36:37], v[36:37]
	s_delay_alu instid0(VALU_DEP_2) | instskip(NEXT) | instid1(VALU_DEP_2)
	v_fma_f64 v[45:46], s[36:37], v[34:35], -v[45:46]
	v_fma_f64 v[36:37], s[38:39], v[34:35], v[36:37]
	s_delay_alu instid0(VALU_DEP_2) | instskip(NEXT) | instid1(VALU_DEP_2)
	v_add_f64_e32 v[34:35], v[0:1], v[45:46]
	v_add_f64_e32 v[36:37], v[2:3], v[36:37]
	flat_store_b128 v[20:21], v[34:37]
.LBB557_19:                             ;   in Loop: Header=BB557_7 Depth=1
	s_wait_alu 0xfffe
	s_and_not1_b32 vcc_lo, exec_lo, s15
	s_wait_alu 0xfffe
	s_cbranch_vccnz .LBB557_21
; %bb.20:                               ;   in Loop: Header=BB557_7 Depth=1
	v_lshlrev_b64_e32 v[20:21], 4, v[10:11]
	s_delay_alu instid0(VALU_DEP_1) | instskip(SKIP_1) | instid1(VALU_DEP_2)
	v_add_co_u32 v20, vcc_lo, v6, v20
	s_wait_alu 0xfffd
	v_add_co_ci_u32_e64 v21, null, v7, v21, vcc_lo
	flat_store_b128 v[20:21], v[0:3]
.LBB557_21:                             ;   in Loop: Header=BB557_7 Depth=1
	s_wait_alu 0xfffe
	s_or_b32 exec_lo, exec_lo, s14
	s_and_saveexec_b32 s14, s29
	s_cbranch_execz .LBB557_26
; %bb.22:                               ;   in Loop: Header=BB557_7 Depth=1
	v_mul_f64_e32 v[0:1], s[42:43], v[32:33]
	v_mul_f64_e32 v[2:3], s[40:41], v[32:33]
	s_and_not1_b32 vcc_lo, exec_lo, s25
	s_mov_b32 s15, -1
	s_delay_alu instid0(VALU_DEP_2) | instskip(NEXT) | instid1(VALU_DEP_2)
	v_fma_f64 v[0:1], s[40:41], v[30:31], -v[0:1]
	v_fma_f64 v[2:3], s[42:43], v[30:31], v[2:3]
	s_wait_alu 0xfffe
	s_cbranch_vccnz .LBB557_24
; %bb.23:                               ;   in Loop: Header=BB557_7 Depth=1
	v_lshlrev_b64_e32 v[20:21], 4, v[12:13]
	s_mov_b32 s15, 0
	s_delay_alu instid0(VALU_DEP_1) | instskip(SKIP_1) | instid1(VALU_DEP_2)
	v_add_co_u32 v20, vcc_lo, v6, v20
	s_wait_alu 0xfffd
	v_add_co_ci_u32_e64 v21, null, v7, v21, vcc_lo
	flat_load_b128 v[30:33], v[20:21]
	s_wait_loadcnt_dscnt 0x0
	v_mul_f64_e32 v[34:35], s[38:39], v[32:33]
	v_mul_f64_e32 v[32:33], s[36:37], v[32:33]
	s_delay_alu instid0(VALU_DEP_2) | instskip(NEXT) | instid1(VALU_DEP_2)
	v_fma_f64 v[34:35], s[36:37], v[30:31], -v[34:35]
	v_fma_f64 v[32:33], s[38:39], v[30:31], v[32:33]
	s_delay_alu instid0(VALU_DEP_2) | instskip(NEXT) | instid1(VALU_DEP_2)
	v_add_f64_e32 v[30:31], v[0:1], v[34:35]
	v_add_f64_e32 v[32:33], v[2:3], v[32:33]
	flat_store_b128 v[20:21], v[30:33]
.LBB557_24:                             ;   in Loop: Header=BB557_7 Depth=1
	s_wait_alu 0xfffe
	s_and_not1_b32 vcc_lo, exec_lo, s15
	s_wait_alu 0xfffe
	s_cbranch_vccnz .LBB557_26
; %bb.25:                               ;   in Loop: Header=BB557_7 Depth=1
	v_lshlrev_b64_e32 v[20:21], 4, v[12:13]
	s_delay_alu instid0(VALU_DEP_1) | instskip(SKIP_1) | instid1(VALU_DEP_2)
	v_add_co_u32 v6, vcc_lo, v6, v20
	s_wait_alu 0xfffd
	v_add_co_ci_u32_e64 v7, null, v7, v21, vcc_lo
	flat_store_b128 v[6:7], v[0:3]
.LBB557_26:                             ;   in Loop: Header=BB557_7 Depth=1
	s_wait_alu 0xfffe
	s_or_b32 exec_lo, exec_lo, s14
	v_add_co_u32 v6, vcc_lo, v4, v18
	s_wait_alu 0xfffd
	v_add_co_ci_u32_e64 v7, null, v5, v19, vcc_lo
	s_and_saveexec_b32 s14, s33
	s_cbranch_execz .LBB557_31
; %bb.27:                               ;   in Loop: Header=BB557_7 Depth=1
	v_mul_f64_e32 v[0:1], s[42:43], v[28:29]
	v_mul_f64_e32 v[2:3], s[40:41], v[28:29]
	v_lshlrev_b64_e32 v[4:5], 4, v[10:11]
	s_and_not1_b32 vcc_lo, exec_lo, s25
	s_mov_b32 s15, -1
	s_delay_alu instid0(VALU_DEP_3) | instskip(NEXT) | instid1(VALU_DEP_3)
	v_fma_f64 v[0:1], s[40:41], v[26:27], -v[0:1]
	v_fma_f64 v[2:3], s[42:43], v[26:27], v[2:3]
	s_wait_alu 0xfffe
	s_cbranch_vccnz .LBB557_29
; %bb.28:                               ;   in Loop: Header=BB557_7 Depth=1
	v_add_co_u32 v20, vcc_lo, v6, v4
	s_wait_alu 0xfffd
	v_add_co_ci_u32_e64 v21, null, v7, v5, vcc_lo
	s_mov_b32 s15, 0
	flat_load_b128 v[26:29], v[20:21]
	s_wait_loadcnt_dscnt 0x0
	v_mul_f64_e32 v[30:31], s[38:39], v[28:29]
	v_mul_f64_e32 v[28:29], s[36:37], v[28:29]
	s_delay_alu instid0(VALU_DEP_2) | instskip(NEXT) | instid1(VALU_DEP_2)
	v_fma_f64 v[30:31], s[36:37], v[26:27], -v[30:31]
	v_fma_f64 v[28:29], s[38:39], v[26:27], v[28:29]
	s_delay_alu instid0(VALU_DEP_2) | instskip(NEXT) | instid1(VALU_DEP_2)
	v_add_f64_e32 v[26:27], v[0:1], v[30:31]
	v_add_f64_e32 v[28:29], v[2:3], v[28:29]
	flat_store_b128 v[20:21], v[26:29]
.LBB557_29:                             ;   in Loop: Header=BB557_7 Depth=1
	s_wait_alu 0xfffe
	s_and_not1_b32 vcc_lo, exec_lo, s15
	s_wait_alu 0xfffe
	s_cbranch_vccnz .LBB557_31
; %bb.30:                               ;   in Loop: Header=BB557_7 Depth=1
	v_add_co_u32 v4, vcc_lo, v6, v4
	s_wait_alu 0xfffd
	v_add_co_ci_u32_e64 v5, null, v7, v5, vcc_lo
	flat_store_b128 v[4:5], v[0:3]
.LBB557_31:                             ;   in Loop: Header=BB557_7 Depth=1
	s_wait_alu 0xfffe
	s_or_b32 exec_lo, exec_lo, s14
	s_and_saveexec_b32 s14, s34
	s_cbranch_execz .LBB557_6
; %bb.32:                               ;   in Loop: Header=BB557_7 Depth=1
	v_mul_f64_e32 v[0:1], s[42:43], v[22:23]
	v_mul_f64_e32 v[2:3], s[40:41], v[22:23]
	v_lshlrev_b64_e32 v[4:5], 4, v[12:13]
	s_and_not1_b32 vcc_lo, exec_lo, s25
	s_mov_b32 s15, -1
	s_delay_alu instid0(VALU_DEP_3) | instskip(NEXT) | instid1(VALU_DEP_3)
	v_fma_f64 v[0:1], s[40:41], v[24:25], -v[0:1]
	v_fma_f64 v[2:3], s[42:43], v[24:25], v[2:3]
	s_wait_alu 0xfffe
	s_cbranch_vccnz .LBB557_34
; %bb.33:                               ;   in Loop: Header=BB557_7 Depth=1
	v_add_co_u32 v24, vcc_lo, v6, v4
	s_wait_alu 0xfffd
	v_add_co_ci_u32_e64 v25, null, v7, v5, vcc_lo
	s_mov_b32 s15, 0
	flat_load_b128 v[20:23], v[24:25]
	s_wait_loadcnt_dscnt 0x0
	v_mul_f64_e32 v[26:27], s[38:39], v[22:23]
	v_mul_f64_e32 v[22:23], s[36:37], v[22:23]
	s_delay_alu instid0(VALU_DEP_2) | instskip(NEXT) | instid1(VALU_DEP_2)
	v_fma_f64 v[26:27], s[36:37], v[20:21], -v[26:27]
	v_fma_f64 v[22:23], s[38:39], v[20:21], v[22:23]
	s_delay_alu instid0(VALU_DEP_2) | instskip(NEXT) | instid1(VALU_DEP_2)
	v_add_f64_e32 v[20:21], v[0:1], v[26:27]
	v_add_f64_e32 v[22:23], v[2:3], v[22:23]
	flat_store_b128 v[24:25], v[20:23]
.LBB557_34:                             ;   in Loop: Header=BB557_7 Depth=1
	s_wait_alu 0xfffe
	s_and_not1_b32 vcc_lo, exec_lo, s15
	s_wait_alu 0xfffe
	s_cbranch_vccnz .LBB557_6
; %bb.35:                               ;   in Loop: Header=BB557_7 Depth=1
	v_add_co_u32 v4, vcc_lo, v6, v4
	s_wait_alu 0xfffd
	v_add_co_ci_u32_e64 v5, null, v7, v5, vcc_lo
	flat_store_b128 v[4:5], v[0:3]
	s_branch .LBB557_6
.LBB557_36:
.LBB557_37:
	s_nop 0
	s_sendmsg sendmsg(MSG_DEALLOC_VGPRS)
	s_endpgm
	.section	.rodata,"a",@progbits
	.p2align	6, 0x0
	.amdhsa_kernel _ZL29rocblas_internal_gemmt_kernelIlLi16ELi32ELi8ELc67ELc67ELc76ELb1ELb1E19rocblas_complex_numIdEPKS1_PKS3_PKPS1_EviT_T9_T10_S9_lSB_S9_lSA_T11_S9_li
		.amdhsa_group_segment_fixed_size 8192
		.amdhsa_private_segment_fixed_size 0
		.amdhsa_kernarg_size 108
		.amdhsa_user_sgpr_count 2
		.amdhsa_user_sgpr_dispatch_ptr 0
		.amdhsa_user_sgpr_queue_ptr 0
		.amdhsa_user_sgpr_kernarg_segment_ptr 1
		.amdhsa_user_sgpr_dispatch_id 0
		.amdhsa_user_sgpr_private_segment_size 0
		.amdhsa_wavefront_size32 1
		.amdhsa_uses_dynamic_stack 0
		.amdhsa_enable_private_segment 0
		.amdhsa_system_sgpr_workgroup_id_x 1
		.amdhsa_system_sgpr_workgroup_id_y 1
		.amdhsa_system_sgpr_workgroup_id_z 1
		.amdhsa_system_sgpr_workgroup_info 0
		.amdhsa_system_vgpr_workitem_id 1
		.amdhsa_next_free_vgpr 133
		.amdhsa_next_free_sgpr 44
		.amdhsa_reserve_vcc 1
		.amdhsa_float_round_mode_32 0
		.amdhsa_float_round_mode_16_64 0
		.amdhsa_float_denorm_mode_32 3
		.amdhsa_float_denorm_mode_16_64 3
		.amdhsa_fp16_overflow 0
		.amdhsa_workgroup_processor_mode 1
		.amdhsa_memory_ordered 1
		.amdhsa_forward_progress 1
		.amdhsa_inst_pref_size 28
		.amdhsa_round_robin_scheduling 0
		.amdhsa_exception_fp_ieee_invalid_op 0
		.amdhsa_exception_fp_denorm_src 0
		.amdhsa_exception_fp_ieee_div_zero 0
		.amdhsa_exception_fp_ieee_overflow 0
		.amdhsa_exception_fp_ieee_underflow 0
		.amdhsa_exception_fp_ieee_inexact 0
		.amdhsa_exception_int_div_zero 0
	.end_amdhsa_kernel
	.section	.text._ZL29rocblas_internal_gemmt_kernelIlLi16ELi32ELi8ELc67ELc67ELc76ELb1ELb1E19rocblas_complex_numIdEPKS1_PKS3_PKPS1_EviT_T9_T10_S9_lSB_S9_lSA_T11_S9_li,"axG",@progbits,_ZL29rocblas_internal_gemmt_kernelIlLi16ELi32ELi8ELc67ELc67ELc76ELb1ELb1E19rocblas_complex_numIdEPKS1_PKS3_PKPS1_EviT_T9_T10_S9_lSB_S9_lSA_T11_S9_li,comdat
.Lfunc_end557:
	.size	_ZL29rocblas_internal_gemmt_kernelIlLi16ELi32ELi8ELc67ELc67ELc76ELb1ELb1E19rocblas_complex_numIdEPKS1_PKS3_PKPS1_EviT_T9_T10_S9_lSB_S9_lSA_T11_S9_li, .Lfunc_end557-_ZL29rocblas_internal_gemmt_kernelIlLi16ELi32ELi8ELc67ELc67ELc76ELb1ELb1E19rocblas_complex_numIdEPKS1_PKS3_PKPS1_EviT_T9_T10_S9_lSB_S9_lSA_T11_S9_li
                                        ; -- End function
	.set _ZL29rocblas_internal_gemmt_kernelIlLi16ELi32ELi8ELc67ELc67ELc76ELb1ELb1E19rocblas_complex_numIdEPKS1_PKS3_PKPS1_EviT_T9_T10_S9_lSB_S9_lSA_T11_S9_li.num_vgpr, 133
	.set _ZL29rocblas_internal_gemmt_kernelIlLi16ELi32ELi8ELc67ELc67ELc76ELb1ELb1E19rocblas_complex_numIdEPKS1_PKS3_PKPS1_EviT_T9_T10_S9_lSB_S9_lSA_T11_S9_li.num_agpr, 0
	.set _ZL29rocblas_internal_gemmt_kernelIlLi16ELi32ELi8ELc67ELc67ELc76ELb1ELb1E19rocblas_complex_numIdEPKS1_PKS3_PKPS1_EviT_T9_T10_S9_lSB_S9_lSA_T11_S9_li.numbered_sgpr, 44
	.set _ZL29rocblas_internal_gemmt_kernelIlLi16ELi32ELi8ELc67ELc67ELc76ELb1ELb1E19rocblas_complex_numIdEPKS1_PKS3_PKPS1_EviT_T9_T10_S9_lSB_S9_lSA_T11_S9_li.num_named_barrier, 0
	.set _ZL29rocblas_internal_gemmt_kernelIlLi16ELi32ELi8ELc67ELc67ELc76ELb1ELb1E19rocblas_complex_numIdEPKS1_PKS3_PKPS1_EviT_T9_T10_S9_lSB_S9_lSA_T11_S9_li.private_seg_size, 0
	.set _ZL29rocblas_internal_gemmt_kernelIlLi16ELi32ELi8ELc67ELc67ELc76ELb1ELb1E19rocblas_complex_numIdEPKS1_PKS3_PKPS1_EviT_T9_T10_S9_lSB_S9_lSA_T11_S9_li.uses_vcc, 1
	.set _ZL29rocblas_internal_gemmt_kernelIlLi16ELi32ELi8ELc67ELc67ELc76ELb1ELb1E19rocblas_complex_numIdEPKS1_PKS3_PKPS1_EviT_T9_T10_S9_lSB_S9_lSA_T11_S9_li.uses_flat_scratch, 0
	.set _ZL29rocblas_internal_gemmt_kernelIlLi16ELi32ELi8ELc67ELc67ELc76ELb1ELb1E19rocblas_complex_numIdEPKS1_PKS3_PKPS1_EviT_T9_T10_S9_lSB_S9_lSA_T11_S9_li.has_dyn_sized_stack, 0
	.set _ZL29rocblas_internal_gemmt_kernelIlLi16ELi32ELi8ELc67ELc67ELc76ELb1ELb1E19rocblas_complex_numIdEPKS1_PKS3_PKPS1_EviT_T9_T10_S9_lSB_S9_lSA_T11_S9_li.has_recursion, 0
	.set _ZL29rocblas_internal_gemmt_kernelIlLi16ELi32ELi8ELc67ELc67ELc76ELb1ELb1E19rocblas_complex_numIdEPKS1_PKS3_PKPS1_EviT_T9_T10_S9_lSB_S9_lSA_T11_S9_li.has_indirect_call, 0
	.section	.AMDGPU.csdata,"",@progbits
; Kernel info:
; codeLenInByte = 3468
; TotalNumSgprs: 46
; NumVgprs: 133
; ScratchSize: 0
; MemoryBound: 1
; FloatMode: 240
; IeeeMode: 1
; LDSByteSize: 8192 bytes/workgroup (compile time only)
; SGPRBlocks: 0
; VGPRBlocks: 16
; NumSGPRsForWavesPerEU: 46
; NumVGPRsForWavesPerEU: 133
; Occupancy: 10
; WaveLimiterHint : 1
; COMPUTE_PGM_RSRC2:SCRATCH_EN: 0
; COMPUTE_PGM_RSRC2:USER_SGPR: 2
; COMPUTE_PGM_RSRC2:TRAP_HANDLER: 0
; COMPUTE_PGM_RSRC2:TGID_X_EN: 1
; COMPUTE_PGM_RSRC2:TGID_Y_EN: 1
; COMPUTE_PGM_RSRC2:TGID_Z_EN: 1
; COMPUTE_PGM_RSRC2:TIDIG_COMP_CNT: 1
	.section	.text._ZL29rocblas_internal_gemmt_kernelIlLi16ELi32ELi8ELc78ELc78ELc85ELb0ELb0E19rocblas_complex_numIdES1_PKPKS1_PKPS1_EviT_T9_T10_S9_lSB_S9_lSA_T11_S9_li,"axG",@progbits,_ZL29rocblas_internal_gemmt_kernelIlLi16ELi32ELi8ELc78ELc78ELc85ELb0ELb0E19rocblas_complex_numIdES1_PKPKS1_PKPS1_EviT_T9_T10_S9_lSB_S9_lSA_T11_S9_li,comdat
	.globl	_ZL29rocblas_internal_gemmt_kernelIlLi16ELi32ELi8ELc78ELc78ELc85ELb0ELb0E19rocblas_complex_numIdES1_PKPKS1_PKPS1_EviT_T9_T10_S9_lSB_S9_lSA_T11_S9_li ; -- Begin function _ZL29rocblas_internal_gemmt_kernelIlLi16ELi32ELi8ELc78ELc78ELc85ELb0ELb0E19rocblas_complex_numIdES1_PKPKS1_PKPS1_EviT_T9_T10_S9_lSB_S9_lSA_T11_S9_li
	.p2align	8
	.type	_ZL29rocblas_internal_gemmt_kernelIlLi16ELi32ELi8ELc78ELc78ELc85ELb0ELb0E19rocblas_complex_numIdES1_PKPKS1_PKPS1_EviT_T9_T10_S9_lSB_S9_lSA_T11_S9_li,@function
_ZL29rocblas_internal_gemmt_kernelIlLi16ELi32ELi8ELc78ELc78ELc85ELb0ELb0E19rocblas_complex_numIdES1_PKPKS1_PKPS1_EviT_T9_T10_S9_lSB_S9_lSA_T11_S9_li: ; @_ZL29rocblas_internal_gemmt_kernelIlLi16ELi32ELi8ELc78ELc78ELc85ELb0ELb0E19rocblas_complex_numIdES1_PKPKS1_PKPS1_EviT_T9_T10_S9_lSB_S9_lSA_T11_S9_li
; %bb.0:
	s_clause 0x1
	s_load_b256 s[24:31], s[0:1], 0x48
	s_load_b512 s[8:23], s[0:1], 0x8
	s_wait_kmcnt 0x0
	v_cmp_eq_f64_e64 s3, s[26:27], 1.0
	v_cmp_eq_f64_e64 s2, s[28:29], 0
	s_and_b32 s3, s3, s2
	s_delay_alu instid0(SALU_CYCLE_1)
	s_and_not1_b32 vcc_lo, exec_lo, s3
	s_mov_b32 s3, -1
	s_cbranch_vccnz .LBB558_3
; %bb.1:
	s_cmp_lg_u64 s[8:9], 0
	s_cbranch_scc0 .LBB558_41
; %bb.2:
	v_cmp_neq_f64_e64 s3, s[10:11], 0
	v_cmp_neq_f64_e64 s4, s[12:13], 0
	s_or_b32 s3, s3, s4
.LBB558_3:
	s_delay_alu instid0(SALU_CYCLE_1)
	s_and_b32 vcc_lo, exec_lo, s3
	s_cbranch_vccz .LBB558_42
; %bb.4:
	s_load_b32 s33, s[0:1], 0x78
	s_lshr_b32 s34, ttmp7, 16
	s_wait_kmcnt 0x0
	s_cmp_ge_u32 s34, s33
	s_cbranch_scc1 .LBB558_42
; %bb.5:
	s_clause 0x1
	s_load_b128 s[4:7], s[0:1], 0x68
	s_load_b32 s37, s[0:1], 0x0
	v_and_b32_e32 v1, 0x3ff, v0
	v_bfe_u32 v7, v0, 10, 10
	s_lshl_b32 s1, ttmp7, 5
	v_cmp_neq_f64_e64 s3, s[10:11], 0
	s_and_b32 s1, s1, 0x1fffe0
	v_cmp_neq_f64_e64 s35, s[12:13], 0
	v_lshl_add_u32 v4, v7, 4, v1
	v_add_nc_u32_e32 v9, s1, v7
	v_cmp_neq_f64_e64 s36, s[26:27], 0
	s_lshl_b32 s0, ttmp9, 5
	v_cmp_gt_i64_e64 s39, s[8:9], 0
	v_lshrrev_b32_e32 v38, 5, v4
	v_add_nc_u32_e32 v11, 16, v9
	v_lshl_add_u32 v41, v7, 7, 0x1000
                                        ; implicit-def: $vgpr18_vgpr19
	s_wait_kmcnt 0x0
	v_mad_co_u64_u32 v[14:15], null, s4, v9, 0
	v_and_b32_e32 v36, 7, v0
	v_lshrrev_b32_e32 v0, 3, v4
	v_mad_co_u64_u32 v[16:17], null, s4, v11, 0
	v_and_b32_e32 v10, 31, v4
	s_delay_alu instid0(VALU_DEP_4) | instskip(NEXT) | instid1(VALU_DEP_4)
	v_lshlrev_b32_e32 v5, 4, v36
	v_add_nc_u32_e32 v8, s1, v0
	v_cmp_gt_i32_e64 s1, s37, v9
	s_lshl_b64 s[6:7], s[6:7], 4
	v_lshl_or_b32 v12, v0, 7, v5
	v_mad_co_u64_u32 v[2:3], null, s22, v8, 0
	s_delay_alu instid0(VALU_DEP_2) | instskip(NEXT) | instid1(VALU_DEP_2)
	v_add_nc_u32_e32 v40, 0x1000, v12
	v_dual_mov_b32 v0, v3 :: v_dual_lshlrev_b32 v37, 4, v1
	s_wait_alu 0xfffe
	v_add_nc_u32_e32 v6, s0, v1
	s_or_b32 s40, s3, s35
	s_delay_alu instid0(VALU_DEP_2)
	v_mad_co_u64_u32 v[0:1], null, s23, v8, v[0:1]
	v_mov_b32_e32 v1, v15
	s_xor_b32 s3, s2, -1
	s_mov_b32 s35, 0
	s_or_b32 s23, s36, s3
	v_cmp_gt_i32_e64 s3, s37, v11
	s_and_b32 s39, s40, s39
	v_mov_b32_e32 v3, v0
	v_mad_co_u64_u32 v[0:1], null, s5, v9, v[1:2]
	v_mov_b32_e32 v1, v17
	v_or_b32_e32 v4, s0, v10
	v_cmp_gt_i32_e32 vcc_lo, s37, v8
	v_lshlrev_b64_e32 v[12:13], 4, v[2:3]
	v_mov_b32_e32 v15, v0
	v_mad_co_u64_u32 v[0:1], null, s5, v11, v[1:2]
	v_cmp_le_i32_e64 s2, v6, v9
	v_add_nc_u32_e32 v8, 16, v6
	v_lshlrev_b32_e32 v10, 4, v10
	v_ashrrev_i32_e32 v5, 31, v4
	v_cmp_le_i32_e64 s4, v6, v11
	s_and_b32 s36, s1, s2
	v_mov_b32_e32 v17, v0
	v_cmp_le_i32_e64 s2, v8, v9
	v_cmp_le_i32_e64 s5, v8, v11
	v_lshl_or_b32 v39, v38, 9, v10
	v_lshlrev_b64_e32 v[10:11], 4, v[4:5]
	v_lshlrev_b64_e32 v[14:15], 4, v[14:15]
	;; [unrolled: 1-line block ×3, first 2 shown]
	v_cmp_gt_i32_e64 s0, s37, v4
	v_cmp_le_i32_e64 s22, s37, v4
	v_ashrrev_i32_e32 v7, 31, v6
	v_ashrrev_i32_e32 v9, 31, v8
	v_mov_b32_e32 v1, 0
	s_and_b32 s1, s1, s2
	s_and_b32 s37, s3, s4
	;; [unrolled: 1-line block ×3, first 2 shown]
	s_lshl_b64 s[2:3], s[24:25], 4
	s_lshl_b64 s[4:5], s[18:19], 4
	s_xor_b32 s24, vcc_lo, -1
	s_branch .LBB558_7
.LBB558_6:                              ;   in Loop: Header=BB558_7 Depth=1
	s_wait_alu 0xfffe
	s_or_b32 exec_lo, exec_lo, s18
	s_add_co_i32 s34, s34, 0x10000
	s_delay_alu instid0(SALU_CYCLE_1)
	s_cmp_lt_u32 s34, s33
	s_cbranch_scc0 .LBB558_42
.LBB558_7:                              ; =>This Loop Header: Depth=1
                                        ;     Child Loop BB558_10 Depth 2
	s_lshl_b64 s[18:19], s[34:35], 3
	v_mov_b32_e32 v32, 0
	s_wait_alu 0xfffe
	s_add_nc_u64 s[40:41], s[30:31], s[18:19]
	v_mov_b32_e32 v33, 0
	global_load_b64 v[4:5], v1, s[40:41]
	s_and_not1_b32 vcc_lo, exec_lo, s39
	s_wait_alu 0xfffe
	s_cbranch_vccnz .LBB558_20
; %bb.8:                                ;   in Loop: Header=BB558_7 Depth=1
	s_add_nc_u64 s[40:41], s[14:15], s[18:19]
	s_add_nc_u64 s[18:19], s[20:21], s[18:19]
	s_clause 0x1
	global_load_b64 v[2:3], v1, s[40:41]
	global_load_b64 v[42:43], v1, s[18:19]
	v_mov_b32_e32 v20, 0
	v_mov_b32_e32 v26, 0
	;; [unrolled: 1-line block ×3, first 2 shown]
	v_dual_mov_b32 v34, 0 :: v_dual_mov_b32 v21, 0
	v_dual_mov_b32 v22, 0 :: v_dual_mov_b32 v27, 0
	;; [unrolled: 1-line block ×5, first 2 shown]
	v_mov_b32_e32 v25, 0
	v_mov_b32_e32 v29, 0
	;; [unrolled: 1-line block ×3, first 2 shown]
	s_mov_b64 s[18:19], 0
	s_wait_loadcnt 0x1
	v_add_co_u32 v0, vcc_lo, v2, s4
	s_wait_alu 0xfffd
	v_add_co_ci_u32_e64 v2, null, s5, v3, vcc_lo
	s_wait_loadcnt 0x0
	v_add_co_u32 v3, vcc_lo, v42, s2
	s_wait_alu 0xfffd
	v_add_co_ci_u32_e64 v45, null, s3, v43, vcc_lo
	v_add_co_u32 v42, vcc_lo, v0, v10
	s_wait_alu 0xfffd
	v_add_co_ci_u32_e64 v43, null, v2, v11, vcc_lo
	;; [unrolled: 3-line block ×3, first 2 shown]
	s_branch .LBB558_10
.LBB558_9:                              ;   in Loop: Header=BB558_10 Depth=2
	s_or_b32 exec_lo, exec_lo, s25
	s_wait_dscnt 0x0
	s_barrier_signal -1
	s_barrier_wait -1
	global_inv scope:SCOPE_SE
	ds_load_b128 v[46:49], v41
	ds_load_b128 v[50:53], v37
	ds_load_b128 v[54:57], v37 offset:256
	ds_load_b128 v[58:61], v41 offset:2048
	;; [unrolled: 1-line block ×10, first 2 shown]
	s_add_nc_u64 s[18:19], s[18:19], 8
	s_wait_alu 0xfffe
	v_cmp_gt_i64_e64 s25, s[8:9], s[18:19]
	s_and_b32 vcc_lo, exec_lo, s25
	s_wait_dscnt 0xa
	v_mul_f64_e32 v[2:3], v[48:49], v[52:53]
	v_mul_f64_e32 v[94:95], v[46:47], v[52:53]
	s_wait_dscnt 0x9
	v_mul_f64_e32 v[96:97], v[48:49], v[56:57]
	v_mul_f64_e32 v[98:99], v[46:47], v[56:57]
	;; [unrolled: 3-line block ×3, first 2 shown]
	v_mul_f64_e32 v[102:103], v[60:61], v[56:57]
	v_mul_f64_e32 v[56:57], v[58:59], v[56:57]
	s_wait_dscnt 0x5
	v_mul_f64_e32 v[104:105], v[64:65], v[72:73]
	v_mul_f64_e32 v[106:107], v[62:63], v[72:73]
	s_wait_dscnt 0x4
	v_mul_f64_e32 v[108:109], v[64:65], v[76:77]
	v_mul_f64_e32 v[110:111], v[62:63], v[76:77]
	;; [unrolled: 1-line block ×6, first 2 shown]
	s_wait_dscnt 0x2
	v_mul_f64_e32 v[120:121], v[80:81], v[84:85]
	v_mul_f64_e32 v[122:123], v[78:79], v[84:85]
	s_wait_dscnt 0x1
	v_mul_f64_e32 v[124:125], v[80:81], v[88:89]
	v_mul_f64_e32 v[126:127], v[78:79], v[88:89]
	;; [unrolled: 3-line block ×3, first 2 shown]
	v_mul_f64_e32 v[130:131], v[92:93], v[88:89]
	v_mul_f64_e32 v[88:89], v[90:91], v[88:89]
	v_fma_f64 v[2:3], v[46:47], v[50:51], -v[2:3]
	v_fma_f64 v[94:95], v[48:49], v[50:51], v[94:95]
	v_fma_f64 v[96:97], v[46:47], v[54:55], -v[96:97]
	v_fma_f64 v[98:99], v[48:49], v[54:55], v[98:99]
	;; [unrolled: 2-line block ×8, first 2 shown]
	ds_load_b128 v[46:49], v41 offset:48
	ds_load_b128 v[50:53], v37 offset:1536
	;; [unrolled: 1-line block ×4, first 2 shown]
	v_fma_f64 v[120:121], v[78:79], v[82:83], -v[120:121]
	v_fma_f64 v[122:123], v[80:81], v[82:83], v[122:123]
	v_fma_f64 v[78:79], v[78:79], v[86:87], -v[124:125]
	v_fma_f64 v[80:81], v[80:81], v[86:87], v[126:127]
	;; [unrolled: 2-line block ×4, first 2 shown]
	s_wait_dscnt 0x2
	v_mul_f64_e32 v[110:111], v[46:47], v[52:53]
	s_wait_dscnt 0x1
	v_mul_f64_e32 v[112:113], v[48:49], v[56:57]
	v_mul_f64_e32 v[114:115], v[46:47], v[56:57]
	v_add_f64_e32 v[2:3], v[32:33], v[2:3]
	v_add_f64_e32 v[72:73], v[94:95], v[34:35]
	;; [unrolled: 1-line block ×8, first 2 shown]
	v_mul_f64_e32 v[102:103], v[48:49], v[52:53]
	s_wait_dscnt 0x0
	v_mul_f64_e32 v[116:117], v[60:61], v[52:53]
	v_mul_f64_e32 v[52:53], v[58:59], v[52:53]
	;; [unrolled: 1-line block ×4, first 2 shown]
	ds_load_b128 v[20:23], v41 offset:64
	ds_load_b128 v[24:27], v37 offset:2048
	;; [unrolled: 1-line block ×4, first 2 shown]
	s_wait_dscnt 0x1
	v_mul_f64_e32 v[126:127], v[20:21], v[30:31]
	s_wait_dscnt 0x0
	v_mul_f64_e32 v[128:129], v[34:35], v[26:27]
	v_mul_f64_e32 v[130:131], v[34:35], v[30:31]
	v_fma_f64 v[110:111], v[48:49], v[50:51], v[110:111]
	v_fma_f64 v[112:113], v[46:47], v[54:55], -v[112:113]
	v_fma_f64 v[114:115], v[48:49], v[54:55], v[114:115]
	v_add_f64_e32 v[2:3], v[2:3], v[104:105]
	v_add_f64_e32 v[88:89], v[106:107], v[72:73]
	;; [unrolled: 1-line block ×8, first 2 shown]
	v_mul_f64_e32 v[104:105], v[22:23], v[26:27]
	v_mul_f64_e32 v[106:107], v[20:21], v[26:27]
	;; [unrolled: 1-line block ×5, first 2 shown]
	v_fma_f64 v[102:103], v[46:47], v[50:51], -v[102:103]
	v_fma_f64 v[116:117], v[58:59], v[50:51], -v[116:117]
	v_fma_f64 v[132:133], v[60:61], v[50:51], v[52:53]
	v_fma_f64 v[118:119], v[58:59], v[54:55], -v[118:119]
	v_fma_f64 v[134:135], v[60:61], v[54:55], v[56:57]
	ds_load_b128 v[62:65], v41 offset:80
	ds_load_b128 v[66:69], v37 offset:2560
	;; [unrolled: 1-line block ×8, first 2 shown]
	v_add_f64_e32 v[2:3], v[2:3], v[120:121]
	v_add_f64_e32 v[88:89], v[122:123], v[88:89]
	;; [unrolled: 1-line block ×8, first 2 shown]
	s_wait_dscnt 0x6
	v_mul_f64_e32 v[92:93], v[64:65], v[68:69]
	v_mul_f64_e32 v[94:95], v[62:63], v[68:69]
	s_wait_dscnt 0x5
	v_mul_f64_e32 v[96:97], v[64:65], v[72:73]
	v_mul_f64_e32 v[98:99], v[62:63], v[72:73]
	;; [unrolled: 3-line block ×3, first 2 shown]
	v_mul_f64_e32 v[120:121], v[76:77], v[72:73]
	v_mul_f64_e32 v[72:73], v[74:75], v[72:73]
	v_fma_f64 v[104:105], v[20:21], v[24:25], -v[104:105]
	v_fma_f64 v[106:107], v[22:23], v[24:25], v[106:107]
	v_fma_f64 v[108:109], v[20:21], v[28:29], -v[108:109]
	v_fma_f64 v[122:123], v[22:23], v[28:29], v[126:127]
	;; [unrolled: 2-line block ×4, first 2 shown]
	ds_load_b128 v[20:23], v41 offset:112
	ds_load_b128 v[24:27], v37 offset:3584
	;; [unrolled: 1-line block ×4, first 2 shown]
	s_wait_loadcnt_dscnt 0x0
	s_barrier_signal -1
	s_barrier_wait -1
	global_inv scope:SCOPE_SE
	v_add_f64_e32 v[2:3], v[2:3], v[102:103]
	v_add_f64_e32 v[88:89], v[110:111], v[88:89]
	;; [unrolled: 1-line block ×8, first 2 shown]
	v_mul_f64_e32 v[102:103], v[48:49], v[52:53]
	v_mul_f64_e32 v[110:111], v[46:47], v[52:53]
	;; [unrolled: 1-line block ×8, first 2 shown]
	v_fma_f64 v[92:93], v[62:63], v[66:67], -v[92:93]
	v_fma_f64 v[94:95], v[64:65], v[66:67], v[94:95]
	v_fma_f64 v[62:63], v[62:63], v[70:71], -v[96:97]
	v_fma_f64 v[64:65], v[64:65], v[70:71], v[98:99]
	v_fma_f64 v[96:97], v[74:75], v[66:67], -v[100:101]
	v_fma_f64 v[66:67], v[76:77], v[66:67], v[68:69]
	v_fma_f64 v[68:69], v[74:75], v[70:71], -v[120:121]
	v_fma_f64 v[70:71], v[76:77], v[70:71], v[72:73]
	v_mul_f64_e32 v[98:99], v[20:21], v[30:31]
	v_mul_f64_e32 v[100:101], v[34:35], v[26:27]
	v_add_f64_e32 v[2:3], v[2:3], v[104:105]
	v_add_f64_e32 v[72:73], v[106:107], v[88:89]
	v_add_f64_e32 v[74:75], v[78:79], v[108:109]
	v_add_f64_e32 v[76:77], v[122:123], v[80:81]
	v_add_f64_e32 v[78:79], v[90:91], v[124:125]
	v_add_f64_e32 v[80:81], v[126:127], v[82:83]
	v_add_f64_e32 v[82:83], v[84:85], v[128:129]
	v_add_f64_e32 v[84:85], v[130:131], v[86:87]
	v_mul_f64_e32 v[86:87], v[22:23], v[26:27]
	v_mul_f64_e32 v[88:89], v[20:21], v[26:27]
	;; [unrolled: 1-line block ×6, first 2 shown]
	v_fma_f64 v[102:103], v[46:47], v[50:51], -v[102:103]
	v_fma_f64 v[106:107], v[48:49], v[50:51], v[110:111]
	v_fma_f64 v[46:47], v[46:47], v[54:55], -v[112:113]
	v_fma_f64 v[48:49], v[48:49], v[54:55], v[114:115]
	;; [unrolled: 2-line block ×4, first 2 shown]
	v_add_f64_e32 v[2:3], v[2:3], v[92:93]
	v_add_f64_e32 v[56:57], v[94:95], v[72:73]
	;; [unrolled: 1-line block ×8, first 2 shown]
	v_fma_f64 v[70:71], v[20:21], v[24:25], -v[86:87]
	v_fma_f64 v[72:73], v[22:23], v[24:25], v[88:89]
	v_fma_f64 v[20:21], v[20:21], v[28:29], -v[90:91]
	v_fma_f64 v[22:23], v[22:23], v[28:29], v[98:99]
	;; [unrolled: 2-line block ×4, first 2 shown]
	v_add_f64_e32 v[2:3], v[2:3], v[102:103]
	v_add_f64_e32 v[24:25], v[106:107], v[56:57]
	;; [unrolled: 1-line block ×16, first 2 shown]
	s_wait_alu 0xfffe
	s_cbranch_vccz .LBB558_21
.LBB558_10:                             ;   Parent Loop BB558_7 Depth=1
                                        ; =>  This Inner Loop Header: Depth=2
	s_mov_b32 s25, 0
	s_mov_b32 s41, s22
	s_and_saveexec_b32 s40, s0
	s_cbranch_execnz .LBB558_18
; %bb.11:                               ;   in Loop: Header=BB558_10 Depth=2
	s_or_b32 exec_lo, exec_lo, s40
	s_and_saveexec_b32 s40, s41
	s_delay_alu instid0(SALU_CYCLE_1)
	s_xor_b32 s40, exec_lo, s40
	s_cbranch_execnz .LBB558_19
.LBB558_12:                             ;   in Loop: Header=BB558_10 Depth=2
	s_or_b32 exec_lo, exec_lo, s40
	s_and_saveexec_b32 s40, s25
	s_cbranch_execz .LBB558_14
.LBB558_13:                             ;   in Loop: Header=BB558_10 Depth=2
	v_mul_lo_u32 v0, s17, v18
	v_mul_lo_u32 v46, s16, v19
	v_mad_co_u64_u32 v[2:3], null, s16, v18, 0
	s_delay_alu instid0(VALU_DEP_1) | instskip(NEXT) | instid1(VALU_DEP_1)
	v_add3_u32 v3, v3, v46, v0
	v_lshlrev_b64_e32 v[2:3], 4, v[2:3]
	s_delay_alu instid0(VALU_DEP_1) | instskip(SKIP_1) | instid1(VALU_DEP_2)
	v_add_co_u32 v2, vcc_lo, v42, v2
	s_wait_alu 0xfffd
	v_add_co_ci_u32_e64 v3, null, v43, v3, vcc_lo
	flat_load_b128 v[46:49], v[2:3]
	s_wait_loadcnt_dscnt 0x0
	ds_store_2addr_b64 v39, v[46:47], v[48:49] offset1:1
.LBB558_14:                             ;   in Loop: Header=BB558_10 Depth=2
	s_or_b32 exec_lo, exec_lo, s40
	s_wait_alu 0xfffe
	v_add_nc_u32_e32 v0, s18, v36
	s_delay_alu instid0(VALU_DEP_1) | instskip(SKIP_1) | instid1(SALU_CYCLE_1)
	v_cmp_le_u64_e32 vcc_lo, s[8:9], v[0:1]
	s_or_b32 s25, vcc_lo, s24
	s_and_saveexec_b32 s40, s25
	s_delay_alu instid0(SALU_CYCLE_1)
	s_xor_b32 s25, exec_lo, s40
; %bb.15:                               ;   in Loop: Header=BB558_10 Depth=2
	v_dual_mov_b32 v0, v1 :: v_dual_mov_b32 v3, v1
	v_mov_b32_e32 v2, v1
	ds_store_b128 v40, v[0:3]
; %bb.16:                               ;   in Loop: Header=BB558_10 Depth=2
	s_and_not1_saveexec_b32 s25, s25
	s_cbranch_execz .LBB558_9
; %bb.17:                               ;   in Loop: Header=BB558_10 Depth=2
	v_lshlrev_b64_e32 v[2:3], 4, v[0:1]
	s_delay_alu instid0(VALU_DEP_1) | instskip(SKIP_1) | instid1(VALU_DEP_2)
	v_add_co_u32 v2, vcc_lo, v44, v2
	s_wait_alu 0xfffd
	v_add_co_ci_u32_e64 v3, null, v45, v3, vcc_lo
	flat_load_b128 v[46:49], v[2:3]
	s_wait_loadcnt_dscnt 0x0
	ds_store_2addr_b64 v40, v[46:47], v[48:49] offset1:1
	s_branch .LBB558_9
.LBB558_18:                             ;   in Loop: Header=BB558_10 Depth=2
	s_wait_alu 0xfffe
	v_add_nc_u32_e32 v0, s18, v38
	v_mov_b32_e32 v19, v1
	s_and_not1_b32 s41, s22, exec_lo
	s_mov_b32 s25, exec_lo
	s_delay_alu instid0(VALU_DEP_2) | instskip(SKIP_2) | instid1(SALU_CYCLE_1)
	v_cmp_le_u64_e32 vcc_lo, s[8:9], v[0:1]
	v_mov_b32_e32 v18, v0
	s_and_b32 s42, vcc_lo, exec_lo
	s_or_b32 s41, s41, s42
	s_or_b32 exec_lo, exec_lo, s40
	s_and_saveexec_b32 s40, s41
	s_delay_alu instid0(SALU_CYCLE_1)
	s_xor_b32 s40, exec_lo, s40
	s_cbranch_execz .LBB558_12
.LBB558_19:                             ;   in Loop: Header=BB558_10 Depth=2
	v_dual_mov_b32 v0, v1 :: v_dual_mov_b32 v3, v1
	v_mov_b32_e32 v2, v1
	s_and_not1_b32 s25, s25, exec_lo
	ds_store_b128 v39, v[0:3]
	s_or_b32 exec_lo, exec_lo, s40
	s_and_saveexec_b32 s40, s25
	s_cbranch_execnz .LBB558_13
	s_branch .LBB558_14
.LBB558_20:                             ;   in Loop: Header=BB558_7 Depth=1
	v_mov_b32_e32 v34, 0
	v_mov_b32_e32 v30, 0
	v_dual_mov_b32 v26, 0 :: v_dual_mov_b32 v35, 0
	v_dual_mov_b32 v28, 0 :: v_dual_mov_b32 v31, 0
	;; [unrolled: 1-line block ×3, first 2 shown]
	v_mov_b32_e32 v22, 0
	v_dual_mov_b32 v20, 0 :: v_dual_mov_b32 v29, 0
	v_mov_b32_e32 v25, 0
	v_mov_b32_e32 v23, 0
	v_mov_b32_e32 v21, 0
.LBB558_21:                             ;   in Loop: Header=BB558_7 Depth=1
	s_wait_loadcnt 0x0
	v_add_co_u32 v0, vcc_lo, v4, s6
	s_wait_alu 0xfffd
	v_add_co_ci_u32_e64 v42, null, s7, v5, vcc_lo
	s_delay_alu instid0(VALU_DEP_2) | instskip(SKIP_1) | instid1(VALU_DEP_2)
	v_add_co_u32 v43, vcc_lo, v0, v14
	s_wait_alu 0xfffd
	v_add_co_ci_u32_e64 v44, null, v42, v15, vcc_lo
	s_wait_alu 0xfffe
	s_and_saveexec_b32 s18, s36
	s_cbranch_execz .LBB558_26
; %bb.22:                               ;   in Loop: Header=BB558_7 Depth=1
	v_mul_f64_e32 v[2:3], s[12:13], v[34:35]
	v_mul_f64_e32 v[4:5], s[10:11], v[34:35]
	s_and_b32 vcc_lo, exec_lo, s23
	s_mov_b32 s19, -1
	s_delay_alu instid0(VALU_DEP_2) | instskip(NEXT) | instid1(VALU_DEP_2)
	v_fma_f64 v[2:3], s[10:11], v[32:33], -v[2:3]
	v_fma_f64 v[4:5], s[12:13], v[32:33], v[4:5]
	s_wait_alu 0xfffe
	s_cbranch_vccz .LBB558_24
; %bb.23:                               ;   in Loop: Header=BB558_7 Depth=1
	v_lshlrev_b64_e32 v[32:33], 4, v[6:7]
	s_mov_b32 s19, 0
	s_delay_alu instid0(VALU_DEP_1) | instskip(SKIP_1) | instid1(VALU_DEP_2)
	v_add_co_u32 v45, vcc_lo, v43, v32
	s_wait_alu 0xfffd
	v_add_co_ci_u32_e64 v46, null, v44, v33, vcc_lo
	flat_load_b128 v[32:35], v[45:46]
	s_wait_loadcnt_dscnt 0x0
	v_mul_f64_e32 v[47:48], s[28:29], v[34:35]
	v_mul_f64_e32 v[34:35], s[26:27], v[34:35]
	s_delay_alu instid0(VALU_DEP_2) | instskip(NEXT) | instid1(VALU_DEP_2)
	v_fma_f64 v[47:48], s[26:27], v[32:33], -v[47:48]
	v_fma_f64 v[34:35], s[28:29], v[32:33], v[34:35]
	s_delay_alu instid0(VALU_DEP_2) | instskip(NEXT) | instid1(VALU_DEP_2)
	v_add_f64_e32 v[32:33], v[2:3], v[47:48]
	v_add_f64_e32 v[34:35], v[4:5], v[34:35]
	flat_store_b128 v[45:46], v[32:35]
.LBB558_24:                             ;   in Loop: Header=BB558_7 Depth=1
	s_wait_alu 0xfffe
	s_and_not1_b32 vcc_lo, exec_lo, s19
	s_wait_alu 0xfffe
	s_cbranch_vccnz .LBB558_26
; %bb.25:                               ;   in Loop: Header=BB558_7 Depth=1
	v_lshlrev_b64_e32 v[32:33], 4, v[6:7]
	s_delay_alu instid0(VALU_DEP_1) | instskip(SKIP_1) | instid1(VALU_DEP_2)
	v_add_co_u32 v32, vcc_lo, v43, v32
	s_wait_alu 0xfffd
	v_add_co_ci_u32_e64 v33, null, v44, v33, vcc_lo
	flat_store_b128 v[32:33], v[2:5]
.LBB558_26:                             ;   in Loop: Header=BB558_7 Depth=1
	s_wait_alu 0xfffe
	s_or_b32 exec_lo, exec_lo, s18
	s_and_saveexec_b32 s18, s1
	s_cbranch_execz .LBB558_31
; %bb.27:                               ;   in Loop: Header=BB558_7 Depth=1
	v_mul_f64_e32 v[2:3], s[12:13], v[30:31]
	v_mul_f64_e32 v[4:5], s[10:11], v[30:31]
	s_and_not1_b32 vcc_lo, exec_lo, s23
	s_mov_b32 s19, -1
	s_delay_alu instid0(VALU_DEP_2) | instskip(NEXT) | instid1(VALU_DEP_2)
	v_fma_f64 v[2:3], s[10:11], v[28:29], -v[2:3]
	v_fma_f64 v[4:5], s[12:13], v[28:29], v[4:5]
	s_wait_alu 0xfffe
	s_cbranch_vccnz .LBB558_29
; %bb.28:                               ;   in Loop: Header=BB558_7 Depth=1
	v_lshlrev_b64_e32 v[28:29], 4, v[8:9]
	s_mov_b32 s19, 0
	s_delay_alu instid0(VALU_DEP_1) | instskip(SKIP_1) | instid1(VALU_DEP_2)
	v_add_co_u32 v32, vcc_lo, v43, v28
	s_wait_alu 0xfffd
	v_add_co_ci_u32_e64 v33, null, v44, v29, vcc_lo
	flat_load_b128 v[28:31], v[32:33]
	s_wait_loadcnt_dscnt 0x0
	v_mul_f64_e32 v[34:35], s[28:29], v[30:31]
	v_mul_f64_e32 v[30:31], s[26:27], v[30:31]
	s_delay_alu instid0(VALU_DEP_2) | instskip(NEXT) | instid1(VALU_DEP_2)
	v_fma_f64 v[34:35], s[26:27], v[28:29], -v[34:35]
	v_fma_f64 v[30:31], s[28:29], v[28:29], v[30:31]
	s_delay_alu instid0(VALU_DEP_2) | instskip(NEXT) | instid1(VALU_DEP_2)
	v_add_f64_e32 v[28:29], v[2:3], v[34:35]
	v_add_f64_e32 v[30:31], v[4:5], v[30:31]
	flat_store_b128 v[32:33], v[28:31]
.LBB558_29:                             ;   in Loop: Header=BB558_7 Depth=1
	s_wait_alu 0xfffe
	s_and_not1_b32 vcc_lo, exec_lo, s19
	s_wait_alu 0xfffe
	s_cbranch_vccnz .LBB558_31
; %bb.30:                               ;   in Loop: Header=BB558_7 Depth=1
	v_lshlrev_b64_e32 v[28:29], 4, v[8:9]
	s_delay_alu instid0(VALU_DEP_1) | instskip(SKIP_1) | instid1(VALU_DEP_2)
	v_add_co_u32 v28, vcc_lo, v43, v28
	s_wait_alu 0xfffd
	v_add_co_ci_u32_e64 v29, null, v44, v29, vcc_lo
	flat_store_b128 v[28:29], v[2:5]
.LBB558_31:                             ;   in Loop: Header=BB558_7 Depth=1
	s_wait_alu 0xfffe
	s_or_b32 exec_lo, exec_lo, s18
	v_add_co_u32 v0, vcc_lo, v0, v16
	s_wait_alu 0xfffd
	v_add_co_ci_u32_e64 v28, null, v42, v17, vcc_lo
	s_and_saveexec_b32 s18, s37
	s_cbranch_execz .LBB558_36
; %bb.32:                               ;   in Loop: Header=BB558_7 Depth=1
	v_mul_f64_e32 v[2:3], s[12:13], v[26:27]
	v_mul_f64_e32 v[4:5], s[10:11], v[26:27]
	s_and_not1_b32 vcc_lo, exec_lo, s23
	s_mov_b32 s19, -1
	s_delay_alu instid0(VALU_DEP_2) | instskip(NEXT) | instid1(VALU_DEP_2)
	v_fma_f64 v[2:3], s[10:11], v[24:25], -v[2:3]
	v_fma_f64 v[4:5], s[12:13], v[24:25], v[4:5]
	v_lshlrev_b64_e32 v[24:25], 4, v[6:7]
	s_wait_alu 0xfffe
	s_cbranch_vccnz .LBB558_34
; %bb.33:                               ;   in Loop: Header=BB558_7 Depth=1
	s_delay_alu instid0(VALU_DEP_1) | instskip(SKIP_1) | instid1(VALU_DEP_2)
	v_add_co_u32 v26, vcc_lo, v0, v24
	s_wait_alu 0xfffd
	v_add_co_ci_u32_e64 v27, null, v28, v25, vcc_lo
	s_mov_b32 s19, 0
	flat_load_b128 v[29:32], v[26:27]
	s_wait_loadcnt_dscnt 0x0
	v_mul_f64_e32 v[33:34], s[28:29], v[31:32]
	v_mul_f64_e32 v[31:32], s[26:27], v[31:32]
	s_delay_alu instid0(VALU_DEP_2) | instskip(NEXT) | instid1(VALU_DEP_2)
	v_fma_f64 v[33:34], s[26:27], v[29:30], -v[33:34]
	v_fma_f64 v[31:32], s[28:29], v[29:30], v[31:32]
	s_delay_alu instid0(VALU_DEP_2) | instskip(NEXT) | instid1(VALU_DEP_2)
	v_add_f64_e32 v[29:30], v[2:3], v[33:34]
	v_add_f64_e32 v[31:32], v[4:5], v[31:32]
	flat_store_b128 v[26:27], v[29:32]
.LBB558_34:                             ;   in Loop: Header=BB558_7 Depth=1
	s_wait_alu 0xfffe
	s_and_not1_b32 vcc_lo, exec_lo, s19
	s_wait_alu 0xfffe
	s_cbranch_vccnz .LBB558_36
; %bb.35:                               ;   in Loop: Header=BB558_7 Depth=1
	v_add_co_u32 v24, vcc_lo, v0, v24
	s_wait_alu 0xfffd
	v_add_co_ci_u32_e64 v25, null, v28, v25, vcc_lo
	flat_store_b128 v[24:25], v[2:5]
.LBB558_36:                             ;   in Loop: Header=BB558_7 Depth=1
	s_wait_alu 0xfffe
	s_or_b32 exec_lo, exec_lo, s18
	s_and_saveexec_b32 s18, s38
	s_cbranch_execz .LBB558_6
; %bb.37:                               ;   in Loop: Header=BB558_7 Depth=1
	v_mul_f64_e32 v[2:3], s[12:13], v[20:21]
	v_mul_f64_e32 v[4:5], s[10:11], v[20:21]
	v_lshlrev_b64_e32 v[20:21], 4, v[8:9]
	s_and_not1_b32 vcc_lo, exec_lo, s23
	s_mov_b32 s19, -1
	s_delay_alu instid0(VALU_DEP_3) | instskip(NEXT) | instid1(VALU_DEP_3)
	v_fma_f64 v[2:3], s[10:11], v[22:23], -v[2:3]
	v_fma_f64 v[4:5], s[12:13], v[22:23], v[4:5]
	s_wait_alu 0xfffe
	s_cbranch_vccnz .LBB558_39
; %bb.38:                               ;   in Loop: Header=BB558_7 Depth=1
	v_add_co_u32 v26, vcc_lo, v0, v20
	s_wait_alu 0xfffd
	v_add_co_ci_u32_e64 v27, null, v28, v21, vcc_lo
	s_mov_b32 s19, 0
	flat_load_b128 v[22:25], v[26:27]
	s_wait_loadcnt_dscnt 0x0
	v_mul_f64_e32 v[29:30], s[28:29], v[24:25]
	v_mul_f64_e32 v[24:25], s[26:27], v[24:25]
	s_delay_alu instid0(VALU_DEP_2) | instskip(NEXT) | instid1(VALU_DEP_2)
	v_fma_f64 v[29:30], s[26:27], v[22:23], -v[29:30]
	v_fma_f64 v[24:25], s[28:29], v[22:23], v[24:25]
	s_delay_alu instid0(VALU_DEP_2) | instskip(NEXT) | instid1(VALU_DEP_2)
	v_add_f64_e32 v[22:23], v[2:3], v[29:30]
	v_add_f64_e32 v[24:25], v[4:5], v[24:25]
	flat_store_b128 v[26:27], v[22:25]
.LBB558_39:                             ;   in Loop: Header=BB558_7 Depth=1
	s_wait_alu 0xfffe
	s_and_not1_b32 vcc_lo, exec_lo, s19
	s_wait_alu 0xfffe
	s_cbranch_vccnz .LBB558_6
; %bb.40:                               ;   in Loop: Header=BB558_7 Depth=1
	v_add_co_u32 v20, vcc_lo, v0, v20
	s_wait_alu 0xfffd
	v_add_co_ci_u32_e64 v21, null, v28, v21, vcc_lo
	flat_store_b128 v[20:21], v[2:5]
	s_branch .LBB558_6
.LBB558_41:
.LBB558_42:
	s_nop 0
	s_sendmsg sendmsg(MSG_DEALLOC_VGPRS)
	s_endpgm
	.section	.rodata,"a",@progbits
	.p2align	6, 0x0
	.amdhsa_kernel _ZL29rocblas_internal_gemmt_kernelIlLi16ELi32ELi8ELc78ELc78ELc85ELb0ELb0E19rocblas_complex_numIdES1_PKPKS1_PKPS1_EviT_T9_T10_S9_lSB_S9_lSA_T11_S9_li
		.amdhsa_group_segment_fixed_size 8192
		.amdhsa_private_segment_fixed_size 0
		.amdhsa_kernarg_size 124
		.amdhsa_user_sgpr_count 2
		.amdhsa_user_sgpr_dispatch_ptr 0
		.amdhsa_user_sgpr_queue_ptr 0
		.amdhsa_user_sgpr_kernarg_segment_ptr 1
		.amdhsa_user_sgpr_dispatch_id 0
		.amdhsa_user_sgpr_private_segment_size 0
		.amdhsa_wavefront_size32 1
		.amdhsa_uses_dynamic_stack 0
		.amdhsa_enable_private_segment 0
		.amdhsa_system_sgpr_workgroup_id_x 1
		.amdhsa_system_sgpr_workgroup_id_y 1
		.amdhsa_system_sgpr_workgroup_id_z 1
		.amdhsa_system_sgpr_workgroup_info 0
		.amdhsa_system_vgpr_workitem_id 1
		.amdhsa_next_free_vgpr 136
		.amdhsa_next_free_sgpr 43
		.amdhsa_reserve_vcc 1
		.amdhsa_float_round_mode_32 0
		.amdhsa_float_round_mode_16_64 0
		.amdhsa_float_denorm_mode_32 3
		.amdhsa_float_denorm_mode_16_64 3
		.amdhsa_fp16_overflow 0
		.amdhsa_workgroup_processor_mode 1
		.amdhsa_memory_ordered 1
		.amdhsa_forward_progress 1
		.amdhsa_inst_pref_size 28
		.amdhsa_round_robin_scheduling 0
		.amdhsa_exception_fp_ieee_invalid_op 0
		.amdhsa_exception_fp_denorm_src 0
		.amdhsa_exception_fp_ieee_div_zero 0
		.amdhsa_exception_fp_ieee_overflow 0
		.amdhsa_exception_fp_ieee_underflow 0
		.amdhsa_exception_fp_ieee_inexact 0
		.amdhsa_exception_int_div_zero 0
	.end_amdhsa_kernel
	.section	.text._ZL29rocblas_internal_gemmt_kernelIlLi16ELi32ELi8ELc78ELc78ELc85ELb0ELb0E19rocblas_complex_numIdES1_PKPKS1_PKPS1_EviT_T9_T10_S9_lSB_S9_lSA_T11_S9_li,"axG",@progbits,_ZL29rocblas_internal_gemmt_kernelIlLi16ELi32ELi8ELc78ELc78ELc85ELb0ELb0E19rocblas_complex_numIdES1_PKPKS1_PKPS1_EviT_T9_T10_S9_lSB_S9_lSA_T11_S9_li,comdat
.Lfunc_end558:
	.size	_ZL29rocblas_internal_gemmt_kernelIlLi16ELi32ELi8ELc78ELc78ELc85ELb0ELb0E19rocblas_complex_numIdES1_PKPKS1_PKPS1_EviT_T9_T10_S9_lSB_S9_lSA_T11_S9_li, .Lfunc_end558-_ZL29rocblas_internal_gemmt_kernelIlLi16ELi32ELi8ELc78ELc78ELc85ELb0ELb0E19rocblas_complex_numIdES1_PKPKS1_PKPS1_EviT_T9_T10_S9_lSB_S9_lSA_T11_S9_li
                                        ; -- End function
	.set _ZL29rocblas_internal_gemmt_kernelIlLi16ELi32ELi8ELc78ELc78ELc85ELb0ELb0E19rocblas_complex_numIdES1_PKPKS1_PKPS1_EviT_T9_T10_S9_lSB_S9_lSA_T11_S9_li.num_vgpr, 136
	.set _ZL29rocblas_internal_gemmt_kernelIlLi16ELi32ELi8ELc78ELc78ELc85ELb0ELb0E19rocblas_complex_numIdES1_PKPKS1_PKPS1_EviT_T9_T10_S9_lSB_S9_lSA_T11_S9_li.num_agpr, 0
	.set _ZL29rocblas_internal_gemmt_kernelIlLi16ELi32ELi8ELc78ELc78ELc85ELb0ELb0E19rocblas_complex_numIdES1_PKPKS1_PKPS1_EviT_T9_T10_S9_lSB_S9_lSA_T11_S9_li.numbered_sgpr, 43
	.set _ZL29rocblas_internal_gemmt_kernelIlLi16ELi32ELi8ELc78ELc78ELc85ELb0ELb0E19rocblas_complex_numIdES1_PKPKS1_PKPS1_EviT_T9_T10_S9_lSB_S9_lSA_T11_S9_li.num_named_barrier, 0
	.set _ZL29rocblas_internal_gemmt_kernelIlLi16ELi32ELi8ELc78ELc78ELc85ELb0ELb0E19rocblas_complex_numIdES1_PKPKS1_PKPS1_EviT_T9_T10_S9_lSB_S9_lSA_T11_S9_li.private_seg_size, 0
	.set _ZL29rocblas_internal_gemmt_kernelIlLi16ELi32ELi8ELc78ELc78ELc85ELb0ELb0E19rocblas_complex_numIdES1_PKPKS1_PKPS1_EviT_T9_T10_S9_lSB_S9_lSA_T11_S9_li.uses_vcc, 1
	.set _ZL29rocblas_internal_gemmt_kernelIlLi16ELi32ELi8ELc78ELc78ELc85ELb0ELb0E19rocblas_complex_numIdES1_PKPKS1_PKPS1_EviT_T9_T10_S9_lSB_S9_lSA_T11_S9_li.uses_flat_scratch, 0
	.set _ZL29rocblas_internal_gemmt_kernelIlLi16ELi32ELi8ELc78ELc78ELc85ELb0ELb0E19rocblas_complex_numIdES1_PKPKS1_PKPS1_EviT_T9_T10_S9_lSB_S9_lSA_T11_S9_li.has_dyn_sized_stack, 0
	.set _ZL29rocblas_internal_gemmt_kernelIlLi16ELi32ELi8ELc78ELc78ELc85ELb0ELb0E19rocblas_complex_numIdES1_PKPKS1_PKPS1_EviT_T9_T10_S9_lSB_S9_lSA_T11_S9_li.has_recursion, 0
	.set _ZL29rocblas_internal_gemmt_kernelIlLi16ELi32ELi8ELc78ELc78ELc85ELb0ELb0E19rocblas_complex_numIdES1_PKPKS1_PKPS1_EviT_T9_T10_S9_lSB_S9_lSA_T11_S9_li.has_indirect_call, 0
	.section	.AMDGPU.csdata,"",@progbits
; Kernel info:
; codeLenInByte = 3580
; TotalNumSgprs: 45
; NumVgprs: 136
; ScratchSize: 0
; MemoryBound: 0
; FloatMode: 240
; IeeeMode: 1
; LDSByteSize: 8192 bytes/workgroup (compile time only)
; SGPRBlocks: 0
; VGPRBlocks: 16
; NumSGPRsForWavesPerEU: 45
; NumVGPRsForWavesPerEU: 136
; Occupancy: 10
; WaveLimiterHint : 1
; COMPUTE_PGM_RSRC2:SCRATCH_EN: 0
; COMPUTE_PGM_RSRC2:USER_SGPR: 2
; COMPUTE_PGM_RSRC2:TRAP_HANDLER: 0
; COMPUTE_PGM_RSRC2:TGID_X_EN: 1
; COMPUTE_PGM_RSRC2:TGID_Y_EN: 1
; COMPUTE_PGM_RSRC2:TGID_Z_EN: 1
; COMPUTE_PGM_RSRC2:TIDIG_COMP_CNT: 1
	.section	.text._ZL29rocblas_internal_gemmt_kernelIlLi16ELi32ELi8ELc78ELc84ELc85ELb0ELb0E19rocblas_complex_numIdES1_PKPKS1_PKPS1_EviT_T9_T10_S9_lSB_S9_lSA_T11_S9_li,"axG",@progbits,_ZL29rocblas_internal_gemmt_kernelIlLi16ELi32ELi8ELc78ELc84ELc85ELb0ELb0E19rocblas_complex_numIdES1_PKPKS1_PKPS1_EviT_T9_T10_S9_lSB_S9_lSA_T11_S9_li,comdat
	.globl	_ZL29rocblas_internal_gemmt_kernelIlLi16ELi32ELi8ELc78ELc84ELc85ELb0ELb0E19rocblas_complex_numIdES1_PKPKS1_PKPS1_EviT_T9_T10_S9_lSB_S9_lSA_T11_S9_li ; -- Begin function _ZL29rocblas_internal_gemmt_kernelIlLi16ELi32ELi8ELc78ELc84ELc85ELb0ELb0E19rocblas_complex_numIdES1_PKPKS1_PKPS1_EviT_T9_T10_S9_lSB_S9_lSA_T11_S9_li
	.p2align	8
	.type	_ZL29rocblas_internal_gemmt_kernelIlLi16ELi32ELi8ELc78ELc84ELc85ELb0ELb0E19rocblas_complex_numIdES1_PKPKS1_PKPS1_EviT_T9_T10_S9_lSB_S9_lSA_T11_S9_li,@function
_ZL29rocblas_internal_gemmt_kernelIlLi16ELi32ELi8ELc78ELc84ELc85ELb0ELb0E19rocblas_complex_numIdES1_PKPKS1_PKPS1_EviT_T9_T10_S9_lSB_S9_lSA_T11_S9_li: ; @_ZL29rocblas_internal_gemmt_kernelIlLi16ELi32ELi8ELc78ELc84ELc85ELb0ELb0E19rocblas_complex_numIdES1_PKPKS1_PKPS1_EviT_T9_T10_S9_lSB_S9_lSA_T11_S9_li
; %bb.0:
	s_clause 0x1
	s_load_b256 s[24:31], s[0:1], 0x48
	s_load_b512 s[8:23], s[0:1], 0x8
	s_wait_kmcnt 0x0
	v_cmp_eq_f64_e64 s3, s[26:27], 1.0
	v_cmp_eq_f64_e64 s2, s[28:29], 0
	s_and_b32 s3, s3, s2
	s_delay_alu instid0(SALU_CYCLE_1)
	s_and_not1_b32 vcc_lo, exec_lo, s3
	s_mov_b32 s3, -1
	s_cbranch_vccnz .LBB559_3
; %bb.1:
	s_cmp_lg_u64 s[8:9], 0
	s_cbranch_scc0 .LBB559_41
; %bb.2:
	v_cmp_neq_f64_e64 s3, s[10:11], 0
	v_cmp_neq_f64_e64 s4, s[12:13], 0
	s_or_b32 s3, s3, s4
.LBB559_3:
	s_delay_alu instid0(SALU_CYCLE_1)
	s_and_b32 vcc_lo, exec_lo, s3
	s_cbranch_vccz .LBB559_42
; %bb.4:
	s_load_b32 s33, s[0:1], 0x78
	s_lshr_b32 s34, ttmp7, 16
	s_wait_kmcnt 0x0
	s_cmp_ge_u32 s34, s33
	s_cbranch_scc1 .LBB559_42
; %bb.5:
	s_clause 0x1
	s_load_b128 s[4:7], s[0:1], 0x68
	s_load_b32 s39, s[0:1], 0x0
	v_dual_mov_b32 v1, 0 :: v_dual_and_b32 v2, 0x3ff, v0
	v_bfe_u32 v9, v0, 10, 10
	s_lshl_b32 s1, ttmp7, 5
	v_cmp_neq_f64_e64 s3, s[10:11], 0
	v_cmp_neq_f64_e64 s35, s[12:13], 0
	s_and_b32 s1, s1, 0x1fffe0
	v_and_b32_e32 v34, 7, v0
	v_lshl_add_u32 v0, v9, 4, v2
	v_add_nc_u32_e32 v12, s1, v9
	v_cmp_neq_f64_e64 s37, s[26:27], 0
	s_lshl_b32 s0, ttmp9, 5
	v_cmp_gt_i64_e64 s41, s[8:9], 0
	v_and_b32_e32 v4, 31, v0
	v_add_nc_u32_e32 v13, 16, v12
	v_lshrrev_b32_e32 v7, 3, v0
	s_wait_alu 0xfffe
	v_add_nc_u32_e32 v6, s0, v2
	v_lshrrev_b32_e32 v36, 5, v0
	v_lshlrev_b32_e32 v0, 4, v4
	s_wait_kmcnt 0x0
	v_mad_co_u64_u32 v[14:15], null, s4, v13, 0
	v_lshlrev_b32_e32 v35, 4, v2
	v_or_b32_e32 v2, s0, v4
	v_mad_co_u64_u32 v[4:5], null, s4, v12, 0
	v_lshlrev_b32_e32 v3, 4, v34
	v_add_nc_u32_e32 v16, s1, v7
	v_lshl_or_b32 v37, v36, 9, v0
	v_cmp_le_i32_e64 s4, v6, v13
	v_cmp_gt_i32_e64 s0, s39, v2
	v_cmp_le_i32_e64 s36, s39, v2
	v_mov_b32_e32 v0, v5
	v_lshl_or_b32 v7, v7, 7, v3
	v_ashrrev_i32_e32 v3, 31, v2
	v_cmp_gt_i32_e32 vcc_lo, s39, v16
	v_lshl_add_u32 v39, v9, 7, 0x1000
	v_lshlrev_b32_e32 v40, 4, v16
	v_add_nc_u32_e32 v38, 0x1000, v7
	v_mad_co_u64_u32 v[7:8], null, s5, v12, v[0:1]
	v_mov_b32_e32 v0, v15
	v_add_nc_u32_e32 v8, 16, v6
	s_lshl_b64 s[6:7], s[6:7], 4
	s_or_b32 s42, s3, s35
	s_xor_b32 s3, s2, -1
	v_mad_co_u64_u32 v[10:11], null, s5, v13, v[0:1]
	s_delay_alu instid0(VALU_DEP_4)
	v_mov_b32_e32 v5, v7
	s_or_b32 s37, s37, s3
	v_cmp_gt_i32_e64 s3, s39, v13
	v_cmp_le_i32_e64 s5, v8, v13
	v_ashrrev_i32_e32 v7, 31, v6
	v_ashrrev_i32_e32 v9, 31, v8
	v_mov_b32_e32 v15, v10
	v_cmp_gt_i32_e64 s1, s39, v12
	v_cmp_le_i32_e64 s2, v6, v12
	v_lshlrev_b64_e32 v[10:11], 4, v[2:3]
	s_and_b32 s39, s3, s4
	v_lshlrev_b64_e32 v[14:15], 4, v[14:15]
	s_and_b32 s40, s3, s5
	s_and_b32 s38, s1, s2
	v_cmp_le_i32_e64 s2, v8, v12
	v_lshlrev_b64_e32 v[12:13], 4, v[4:5]
	s_mov_b32 s35, 0
	s_and_b32 s41, s42, s41
	s_lshl_b64 s[4:5], s[18:19], 4
	s_and_b32 s1, s1, s2
	s_lshl_b64 s[2:3], s[24:25], 4
	s_xor_b32 s24, vcc_lo, -1
                                        ; implicit-def: $vgpr16_vgpr17
	s_branch .LBB559_7
.LBB559_6:                              ;   in Loop: Header=BB559_7 Depth=1
	s_wait_alu 0xfffe
	s_or_b32 exec_lo, exec_lo, s18
	s_add_co_i32 s34, s34, 0x10000
	s_delay_alu instid0(SALU_CYCLE_1)
	s_cmp_lt_u32 s34, s33
	s_cbranch_scc0 .LBB559_42
.LBB559_7:                              ; =>This Loop Header: Depth=1
                                        ;     Child Loop BB559_10 Depth 2
	s_lshl_b64 s[18:19], s[34:35], 3
	v_mov_b32_e32 v30, 0
	s_wait_alu 0xfffe
	s_add_nc_u64 s[42:43], s[30:31], s[18:19]
	v_mov_b32_e32 v31, 0
	global_load_b64 v[4:5], v1, s[42:43]
	s_and_not1_b32 vcc_lo, exec_lo, s41
	s_wait_alu 0xfffe
	s_cbranch_vccnz .LBB559_20
; %bb.8:                                ;   in Loop: Header=BB559_7 Depth=1
	s_add_nc_u64 s[42:43], s[14:15], s[18:19]
	s_add_nc_u64 s[18:19], s[20:21], s[18:19]
	s_clause 0x1
	global_load_b64 v[2:3], v1, s[42:43]
	global_load_b64 v[41:42], v1, s[18:19]
	v_mov_b32_e32 v18, 0
	v_mov_b32_e32 v24, 0
	;; [unrolled: 1-line block ×3, first 2 shown]
	v_dual_mov_b32 v32, 0 :: v_dual_mov_b32 v19, 0
	v_dual_mov_b32 v20, 0 :: v_dual_mov_b32 v25, 0
	;; [unrolled: 1-line block ×5, first 2 shown]
	v_mov_b32_e32 v23, 0
	v_mov_b32_e32 v27, 0
	;; [unrolled: 1-line block ×3, first 2 shown]
	s_mov_b64 s[18:19], 0
	s_wait_loadcnt 0x1
	v_add_co_u32 v0, vcc_lo, v2, s4
	s_wait_alu 0xfffd
	v_add_co_ci_u32_e64 v2, null, s5, v3, vcc_lo
	s_wait_loadcnt 0x0
	v_add_co_u32 v3, vcc_lo, v41, s2
	s_wait_alu 0xfffd
	v_add_co_ci_u32_e64 v44, null, s3, v42, vcc_lo
	v_add_co_u32 v41, vcc_lo, v0, v10
	s_wait_alu 0xfffd
	v_add_co_ci_u32_e64 v42, null, v2, v11, vcc_lo
	v_add_co_u32 v43, vcc_lo, v3, v40
	s_wait_alu 0xfffd
	v_add_co_ci_u32_e64 v44, null, 0, v44, vcc_lo
	s_branch .LBB559_10
.LBB559_9:                              ;   in Loop: Header=BB559_10 Depth=2
	s_or_b32 exec_lo, exec_lo, s25
	s_wait_dscnt 0x0
	s_barrier_signal -1
	s_barrier_wait -1
	global_inv scope:SCOPE_SE
	ds_load_b128 v[45:48], v39
	ds_load_b128 v[49:52], v35
	ds_load_b128 v[53:56], v35 offset:256
	ds_load_b128 v[57:60], v39 offset:2048
	;; [unrolled: 1-line block ×10, first 2 shown]
	s_add_nc_u64 s[18:19], s[18:19], 8
	s_wait_alu 0xfffe
	v_cmp_gt_i64_e64 s25, s[8:9], s[18:19]
	s_and_b32 vcc_lo, exec_lo, s25
	s_wait_dscnt 0xa
	v_mul_f64_e32 v[2:3], v[47:48], v[51:52]
	v_mul_f64_e32 v[93:94], v[45:46], v[51:52]
	s_wait_dscnt 0x9
	v_mul_f64_e32 v[95:96], v[47:48], v[55:56]
	v_mul_f64_e32 v[97:98], v[45:46], v[55:56]
	s_wait_dscnt 0x8
	v_mul_f64_e32 v[99:100], v[59:60], v[51:52]
	v_mul_f64_e32 v[51:52], v[57:58], v[51:52]
	v_mul_f64_e32 v[101:102], v[59:60], v[55:56]
	v_mul_f64_e32 v[55:56], v[57:58], v[55:56]
	s_wait_dscnt 0x5
	v_mul_f64_e32 v[103:104], v[63:64], v[71:72]
	v_mul_f64_e32 v[105:106], v[61:62], v[71:72]
	s_wait_dscnt 0x4
	v_mul_f64_e32 v[107:108], v[63:64], v[75:76]
	v_mul_f64_e32 v[109:110], v[61:62], v[75:76]
	;; [unrolled: 1-line block ×6, first 2 shown]
	s_wait_dscnt 0x2
	v_mul_f64_e32 v[119:120], v[79:80], v[83:84]
	v_mul_f64_e32 v[121:122], v[77:78], v[83:84]
	s_wait_dscnt 0x1
	v_mul_f64_e32 v[123:124], v[79:80], v[87:88]
	v_mul_f64_e32 v[125:126], v[77:78], v[87:88]
	;; [unrolled: 3-line block ×3, first 2 shown]
	v_mul_f64_e32 v[129:130], v[91:92], v[87:88]
	v_mul_f64_e32 v[87:88], v[89:90], v[87:88]
	v_fma_f64 v[2:3], v[45:46], v[49:50], -v[2:3]
	v_fma_f64 v[93:94], v[47:48], v[49:50], v[93:94]
	v_fma_f64 v[95:96], v[45:46], v[53:54], -v[95:96]
	v_fma_f64 v[97:98], v[47:48], v[53:54], v[97:98]
	;; [unrolled: 2-line block ×8, first 2 shown]
	ds_load_b128 v[45:48], v39 offset:48
	ds_load_b128 v[49:52], v35 offset:1536
	;; [unrolled: 1-line block ×4, first 2 shown]
	v_fma_f64 v[119:120], v[77:78], v[81:82], -v[119:120]
	v_fma_f64 v[121:122], v[79:80], v[81:82], v[121:122]
	v_fma_f64 v[77:78], v[77:78], v[85:86], -v[123:124]
	v_fma_f64 v[79:80], v[79:80], v[85:86], v[125:126]
	;; [unrolled: 2-line block ×4, first 2 shown]
	s_wait_dscnt 0x2
	v_mul_f64_e32 v[109:110], v[45:46], v[51:52]
	s_wait_dscnt 0x1
	v_mul_f64_e32 v[111:112], v[47:48], v[55:56]
	v_mul_f64_e32 v[113:114], v[45:46], v[55:56]
	v_add_f64_e32 v[2:3], v[30:31], v[2:3]
	v_add_f64_e32 v[71:72], v[93:94], v[32:33]
	;; [unrolled: 1-line block ×8, first 2 shown]
	v_mul_f64_e32 v[101:102], v[47:48], v[51:52]
	s_wait_dscnt 0x0
	v_mul_f64_e32 v[115:116], v[59:60], v[51:52]
	v_mul_f64_e32 v[51:52], v[57:58], v[51:52]
	;; [unrolled: 1-line block ×4, first 2 shown]
	ds_load_b128 v[18:21], v39 offset:64
	ds_load_b128 v[22:25], v35 offset:2048
	;; [unrolled: 1-line block ×4, first 2 shown]
	s_wait_dscnt 0x1
	v_mul_f64_e32 v[125:126], v[18:19], v[28:29]
	s_wait_dscnt 0x0
	v_mul_f64_e32 v[127:128], v[32:33], v[24:25]
	v_mul_f64_e32 v[129:130], v[32:33], v[28:29]
	v_fma_f64 v[109:110], v[47:48], v[49:50], v[109:110]
	v_fma_f64 v[111:112], v[45:46], v[53:54], -v[111:112]
	v_fma_f64 v[113:114], v[47:48], v[53:54], v[113:114]
	v_add_f64_e32 v[2:3], v[2:3], v[103:104]
	v_add_f64_e32 v[87:88], v[105:106], v[71:72]
	;; [unrolled: 1-line block ×8, first 2 shown]
	v_mul_f64_e32 v[103:104], v[20:21], v[24:25]
	v_mul_f64_e32 v[105:106], v[18:19], v[24:25]
	;; [unrolled: 1-line block ×5, first 2 shown]
	v_fma_f64 v[101:102], v[45:46], v[49:50], -v[101:102]
	v_fma_f64 v[115:116], v[57:58], v[49:50], -v[115:116]
	v_fma_f64 v[131:132], v[59:60], v[49:50], v[51:52]
	v_fma_f64 v[117:118], v[57:58], v[53:54], -v[117:118]
	v_fma_f64 v[133:134], v[59:60], v[53:54], v[55:56]
	ds_load_b128 v[61:64], v39 offset:80
	ds_load_b128 v[65:68], v35 offset:2560
	;; [unrolled: 1-line block ×8, first 2 shown]
	v_add_f64_e32 v[2:3], v[2:3], v[119:120]
	v_add_f64_e32 v[87:88], v[121:122], v[87:88]
	;; [unrolled: 1-line block ×8, first 2 shown]
	s_wait_dscnt 0x6
	v_mul_f64_e32 v[91:92], v[63:64], v[67:68]
	v_mul_f64_e32 v[93:94], v[61:62], v[67:68]
	s_wait_dscnt 0x5
	v_mul_f64_e32 v[95:96], v[63:64], v[71:72]
	v_mul_f64_e32 v[97:98], v[61:62], v[71:72]
	;; [unrolled: 3-line block ×3, first 2 shown]
	v_mul_f64_e32 v[119:120], v[75:76], v[71:72]
	v_mul_f64_e32 v[71:72], v[73:74], v[71:72]
	v_fma_f64 v[103:104], v[18:19], v[22:23], -v[103:104]
	v_fma_f64 v[105:106], v[20:21], v[22:23], v[105:106]
	v_fma_f64 v[107:108], v[18:19], v[26:27], -v[107:108]
	v_fma_f64 v[121:122], v[20:21], v[26:27], v[125:126]
	;; [unrolled: 2-line block ×4, first 2 shown]
	ds_load_b128 v[18:21], v39 offset:112
	ds_load_b128 v[22:25], v35 offset:3584
	;; [unrolled: 1-line block ×4, first 2 shown]
	s_wait_loadcnt_dscnt 0x0
	s_barrier_signal -1
	s_barrier_wait -1
	global_inv scope:SCOPE_SE
	v_add_f64_e32 v[2:3], v[2:3], v[101:102]
	v_add_f64_e32 v[87:88], v[109:110], v[87:88]
	;; [unrolled: 1-line block ×8, first 2 shown]
	v_mul_f64_e32 v[101:102], v[47:48], v[51:52]
	v_mul_f64_e32 v[109:110], v[45:46], v[51:52]
	;; [unrolled: 1-line block ×8, first 2 shown]
	v_fma_f64 v[91:92], v[61:62], v[65:66], -v[91:92]
	v_fma_f64 v[93:94], v[63:64], v[65:66], v[93:94]
	v_fma_f64 v[61:62], v[61:62], v[69:70], -v[95:96]
	v_fma_f64 v[63:64], v[63:64], v[69:70], v[97:98]
	;; [unrolled: 2-line block ×4, first 2 shown]
	v_mul_f64_e32 v[97:98], v[18:19], v[28:29]
	v_mul_f64_e32 v[99:100], v[32:33], v[24:25]
	v_add_f64_e32 v[2:3], v[2:3], v[103:104]
	v_add_f64_e32 v[71:72], v[105:106], v[87:88]
	;; [unrolled: 1-line block ×8, first 2 shown]
	v_mul_f64_e32 v[85:86], v[20:21], v[24:25]
	v_mul_f64_e32 v[87:88], v[18:19], v[24:25]
	;; [unrolled: 1-line block ×6, first 2 shown]
	v_fma_f64 v[101:102], v[45:46], v[49:50], -v[101:102]
	v_fma_f64 v[105:106], v[47:48], v[49:50], v[109:110]
	v_fma_f64 v[45:46], v[45:46], v[53:54], -v[111:112]
	v_fma_f64 v[47:48], v[47:48], v[53:54], v[113:114]
	;; [unrolled: 2-line block ×4, first 2 shown]
	v_add_f64_e32 v[2:3], v[2:3], v[91:92]
	v_add_f64_e32 v[55:56], v[93:94], v[71:72]
	;; [unrolled: 1-line block ×8, first 2 shown]
	v_fma_f64 v[69:70], v[18:19], v[22:23], -v[85:86]
	v_fma_f64 v[71:72], v[20:21], v[22:23], v[87:88]
	v_fma_f64 v[18:19], v[18:19], v[26:27], -v[89:90]
	v_fma_f64 v[20:21], v[20:21], v[26:27], v[97:98]
	;; [unrolled: 2-line block ×4, first 2 shown]
	v_add_f64_e32 v[2:3], v[2:3], v[101:102]
	v_add_f64_e32 v[22:23], v[105:106], v[55:56]
	;; [unrolled: 1-line block ×16, first 2 shown]
	s_wait_alu 0xfffe
	s_cbranch_vccz .LBB559_21
.LBB559_10:                             ;   Parent Loop BB559_7 Depth=1
                                        ; =>  This Inner Loop Header: Depth=2
	s_mov_b32 s25, 0
	s_mov_b32 s43, s36
	s_and_saveexec_b32 s42, s0
	s_cbranch_execnz .LBB559_18
; %bb.11:                               ;   in Loop: Header=BB559_10 Depth=2
	s_or_b32 exec_lo, exec_lo, s42
	s_and_saveexec_b32 s42, s43
	s_delay_alu instid0(SALU_CYCLE_1)
	s_xor_b32 s42, exec_lo, s42
	s_cbranch_execnz .LBB559_19
.LBB559_12:                             ;   in Loop: Header=BB559_10 Depth=2
	s_or_b32 exec_lo, exec_lo, s42
	s_and_saveexec_b32 s42, s25
	s_cbranch_execz .LBB559_14
.LBB559_13:                             ;   in Loop: Header=BB559_10 Depth=2
	v_mul_lo_u32 v0, s17, v16
	v_mul_lo_u32 v45, s16, v17
	v_mad_co_u64_u32 v[2:3], null, s16, v16, 0
	s_delay_alu instid0(VALU_DEP_1) | instskip(NEXT) | instid1(VALU_DEP_1)
	v_add3_u32 v3, v3, v45, v0
	v_lshlrev_b64_e32 v[2:3], 4, v[2:3]
	s_delay_alu instid0(VALU_DEP_1) | instskip(SKIP_1) | instid1(VALU_DEP_2)
	v_add_co_u32 v2, vcc_lo, v41, v2
	s_wait_alu 0xfffd
	v_add_co_ci_u32_e64 v3, null, v42, v3, vcc_lo
	flat_load_b128 v[45:48], v[2:3]
	s_wait_loadcnt_dscnt 0x0
	ds_store_2addr_b64 v37, v[45:46], v[47:48] offset1:1
.LBB559_14:                             ;   in Loop: Header=BB559_10 Depth=2
	s_or_b32 exec_lo, exec_lo, s42
	s_wait_alu 0xfffe
	v_add_nc_u32_e32 v0, s18, v34
	s_delay_alu instid0(VALU_DEP_1) | instskip(SKIP_1) | instid1(SALU_CYCLE_1)
	v_cmp_le_u64_e32 vcc_lo, s[8:9], v[0:1]
	s_or_b32 s25, vcc_lo, s24
	s_and_saveexec_b32 s42, s25
	s_delay_alu instid0(SALU_CYCLE_1)
	s_xor_b32 s25, exec_lo, s42
; %bb.15:                               ;   in Loop: Header=BB559_10 Depth=2
	v_dual_mov_b32 v0, v1 :: v_dual_mov_b32 v3, v1
	v_mov_b32_e32 v2, v1
	ds_store_b128 v38, v[0:3]
; %bb.16:                               ;   in Loop: Header=BB559_10 Depth=2
	s_and_not1_saveexec_b32 s25, s25
	s_cbranch_execz .LBB559_9
; %bb.17:                               ;   in Loop: Header=BB559_10 Depth=2
	v_mad_co_u64_u32 v[2:3], null, s22, v0, 0
	s_delay_alu instid0(VALU_DEP_1) | instskip(NEXT) | instid1(VALU_DEP_1)
	v_mad_co_u64_u32 v[45:46], null, s23, v0, v[3:4]
	v_mov_b32_e32 v3, v45
	s_delay_alu instid0(VALU_DEP_1) | instskip(NEXT) | instid1(VALU_DEP_1)
	v_lshlrev_b64_e32 v[2:3], 4, v[2:3]
	v_add_co_u32 v2, vcc_lo, v43, v2
	s_wait_alu 0xfffd
	s_delay_alu instid0(VALU_DEP_2)
	v_add_co_ci_u32_e64 v3, null, v44, v3, vcc_lo
	flat_load_b128 v[45:48], v[2:3]
	s_wait_loadcnt_dscnt 0x0
	ds_store_2addr_b64 v38, v[45:46], v[47:48] offset1:1
	s_branch .LBB559_9
.LBB559_18:                             ;   in Loop: Header=BB559_10 Depth=2
	s_wait_alu 0xfffe
	v_add_nc_u32_e32 v0, s18, v36
	v_mov_b32_e32 v17, v1
	s_and_not1_b32 s43, s36, exec_lo
	s_mov_b32 s25, exec_lo
	s_delay_alu instid0(VALU_DEP_2) | instskip(SKIP_2) | instid1(SALU_CYCLE_1)
	v_cmp_le_u64_e32 vcc_lo, s[8:9], v[0:1]
	v_mov_b32_e32 v16, v0
	s_and_b32 s44, vcc_lo, exec_lo
	s_or_b32 s43, s43, s44
	s_or_b32 exec_lo, exec_lo, s42
	s_and_saveexec_b32 s42, s43
	s_delay_alu instid0(SALU_CYCLE_1)
	s_xor_b32 s42, exec_lo, s42
	s_cbranch_execz .LBB559_12
.LBB559_19:                             ;   in Loop: Header=BB559_10 Depth=2
	v_dual_mov_b32 v0, v1 :: v_dual_mov_b32 v3, v1
	v_mov_b32_e32 v2, v1
	s_and_not1_b32 s25, s25, exec_lo
	ds_store_b128 v37, v[0:3]
	s_or_b32 exec_lo, exec_lo, s42
	s_and_saveexec_b32 s42, s25
	s_cbranch_execnz .LBB559_13
	s_branch .LBB559_14
.LBB559_20:                             ;   in Loop: Header=BB559_7 Depth=1
	v_mov_b32_e32 v32, 0
	v_mov_b32_e32 v28, 0
	v_dual_mov_b32 v24, 0 :: v_dual_mov_b32 v33, 0
	v_dual_mov_b32 v26, 0 :: v_dual_mov_b32 v29, 0
	;; [unrolled: 1-line block ×3, first 2 shown]
	v_mov_b32_e32 v20, 0
	v_dual_mov_b32 v18, 0 :: v_dual_mov_b32 v27, 0
	v_mov_b32_e32 v23, 0
	v_mov_b32_e32 v21, 0
	;; [unrolled: 1-line block ×3, first 2 shown]
.LBB559_21:                             ;   in Loop: Header=BB559_7 Depth=1
	s_wait_loadcnt 0x0
	v_add_co_u32 v0, vcc_lo, v4, s6
	s_wait_alu 0xfffd
	v_add_co_ci_u32_e64 v41, null, s7, v5, vcc_lo
	s_delay_alu instid0(VALU_DEP_2) | instskip(SKIP_1) | instid1(VALU_DEP_2)
	v_add_co_u32 v42, vcc_lo, v0, v12
	s_wait_alu 0xfffd
	v_add_co_ci_u32_e64 v43, null, v41, v13, vcc_lo
	s_wait_alu 0xfffe
	s_and_saveexec_b32 s18, s38
	s_cbranch_execz .LBB559_26
; %bb.22:                               ;   in Loop: Header=BB559_7 Depth=1
	v_mul_f64_e32 v[2:3], s[12:13], v[32:33]
	v_mul_f64_e32 v[4:5], s[10:11], v[32:33]
	s_and_b32 vcc_lo, exec_lo, s37
	s_mov_b32 s19, -1
	s_delay_alu instid0(VALU_DEP_2) | instskip(NEXT) | instid1(VALU_DEP_2)
	v_fma_f64 v[2:3], s[10:11], v[30:31], -v[2:3]
	v_fma_f64 v[4:5], s[12:13], v[30:31], v[4:5]
	s_wait_alu 0xfffe
	s_cbranch_vccz .LBB559_24
; %bb.23:                               ;   in Loop: Header=BB559_7 Depth=1
	v_lshlrev_b64_e32 v[30:31], 4, v[6:7]
	s_mov_b32 s19, 0
	s_delay_alu instid0(VALU_DEP_1) | instskip(SKIP_1) | instid1(VALU_DEP_2)
	v_add_co_u32 v44, vcc_lo, v42, v30
	s_wait_alu 0xfffd
	v_add_co_ci_u32_e64 v45, null, v43, v31, vcc_lo
	flat_load_b128 v[30:33], v[44:45]
	s_wait_loadcnt_dscnt 0x0
	v_mul_f64_e32 v[46:47], s[28:29], v[32:33]
	v_mul_f64_e32 v[32:33], s[26:27], v[32:33]
	s_delay_alu instid0(VALU_DEP_2) | instskip(NEXT) | instid1(VALU_DEP_2)
	v_fma_f64 v[46:47], s[26:27], v[30:31], -v[46:47]
	v_fma_f64 v[32:33], s[28:29], v[30:31], v[32:33]
	s_delay_alu instid0(VALU_DEP_2) | instskip(NEXT) | instid1(VALU_DEP_2)
	v_add_f64_e32 v[30:31], v[2:3], v[46:47]
	v_add_f64_e32 v[32:33], v[4:5], v[32:33]
	flat_store_b128 v[44:45], v[30:33]
.LBB559_24:                             ;   in Loop: Header=BB559_7 Depth=1
	s_wait_alu 0xfffe
	s_and_not1_b32 vcc_lo, exec_lo, s19
	s_wait_alu 0xfffe
	s_cbranch_vccnz .LBB559_26
; %bb.25:                               ;   in Loop: Header=BB559_7 Depth=1
	v_lshlrev_b64_e32 v[30:31], 4, v[6:7]
	s_delay_alu instid0(VALU_DEP_1) | instskip(SKIP_1) | instid1(VALU_DEP_2)
	v_add_co_u32 v30, vcc_lo, v42, v30
	s_wait_alu 0xfffd
	v_add_co_ci_u32_e64 v31, null, v43, v31, vcc_lo
	flat_store_b128 v[30:31], v[2:5]
.LBB559_26:                             ;   in Loop: Header=BB559_7 Depth=1
	s_wait_alu 0xfffe
	s_or_b32 exec_lo, exec_lo, s18
	s_and_saveexec_b32 s18, s1
	s_cbranch_execz .LBB559_31
; %bb.27:                               ;   in Loop: Header=BB559_7 Depth=1
	v_mul_f64_e32 v[2:3], s[12:13], v[28:29]
	v_mul_f64_e32 v[4:5], s[10:11], v[28:29]
	s_and_not1_b32 vcc_lo, exec_lo, s37
	s_mov_b32 s19, -1
	s_delay_alu instid0(VALU_DEP_2) | instskip(NEXT) | instid1(VALU_DEP_2)
	v_fma_f64 v[2:3], s[10:11], v[26:27], -v[2:3]
	v_fma_f64 v[4:5], s[12:13], v[26:27], v[4:5]
	s_wait_alu 0xfffe
	s_cbranch_vccnz .LBB559_29
; %bb.28:                               ;   in Loop: Header=BB559_7 Depth=1
	v_lshlrev_b64_e32 v[26:27], 4, v[8:9]
	s_mov_b32 s19, 0
	s_delay_alu instid0(VALU_DEP_1) | instskip(SKIP_1) | instid1(VALU_DEP_2)
	v_add_co_u32 v30, vcc_lo, v42, v26
	s_wait_alu 0xfffd
	v_add_co_ci_u32_e64 v31, null, v43, v27, vcc_lo
	flat_load_b128 v[26:29], v[30:31]
	s_wait_loadcnt_dscnt 0x0
	v_mul_f64_e32 v[32:33], s[28:29], v[28:29]
	v_mul_f64_e32 v[28:29], s[26:27], v[28:29]
	s_delay_alu instid0(VALU_DEP_2) | instskip(NEXT) | instid1(VALU_DEP_2)
	v_fma_f64 v[32:33], s[26:27], v[26:27], -v[32:33]
	v_fma_f64 v[28:29], s[28:29], v[26:27], v[28:29]
	s_delay_alu instid0(VALU_DEP_2) | instskip(NEXT) | instid1(VALU_DEP_2)
	v_add_f64_e32 v[26:27], v[2:3], v[32:33]
	v_add_f64_e32 v[28:29], v[4:5], v[28:29]
	flat_store_b128 v[30:31], v[26:29]
.LBB559_29:                             ;   in Loop: Header=BB559_7 Depth=1
	s_wait_alu 0xfffe
	s_and_not1_b32 vcc_lo, exec_lo, s19
	s_wait_alu 0xfffe
	s_cbranch_vccnz .LBB559_31
; %bb.30:                               ;   in Loop: Header=BB559_7 Depth=1
	v_lshlrev_b64_e32 v[26:27], 4, v[8:9]
	s_delay_alu instid0(VALU_DEP_1) | instskip(SKIP_1) | instid1(VALU_DEP_2)
	v_add_co_u32 v26, vcc_lo, v42, v26
	s_wait_alu 0xfffd
	v_add_co_ci_u32_e64 v27, null, v43, v27, vcc_lo
	flat_store_b128 v[26:27], v[2:5]
.LBB559_31:                             ;   in Loop: Header=BB559_7 Depth=1
	s_wait_alu 0xfffe
	s_or_b32 exec_lo, exec_lo, s18
	v_add_co_u32 v0, vcc_lo, v0, v14
	s_wait_alu 0xfffd
	v_add_co_ci_u32_e64 v26, null, v41, v15, vcc_lo
	s_and_saveexec_b32 s18, s39
	s_cbranch_execz .LBB559_36
; %bb.32:                               ;   in Loop: Header=BB559_7 Depth=1
	v_mul_f64_e32 v[2:3], s[12:13], v[24:25]
	v_mul_f64_e32 v[4:5], s[10:11], v[24:25]
	s_and_not1_b32 vcc_lo, exec_lo, s37
	s_mov_b32 s19, -1
	s_delay_alu instid0(VALU_DEP_2) | instskip(NEXT) | instid1(VALU_DEP_2)
	v_fma_f64 v[2:3], s[10:11], v[22:23], -v[2:3]
	v_fma_f64 v[4:5], s[12:13], v[22:23], v[4:5]
	v_lshlrev_b64_e32 v[22:23], 4, v[6:7]
	s_wait_alu 0xfffe
	s_cbranch_vccnz .LBB559_34
; %bb.33:                               ;   in Loop: Header=BB559_7 Depth=1
	s_delay_alu instid0(VALU_DEP_1) | instskip(SKIP_1) | instid1(VALU_DEP_2)
	v_add_co_u32 v24, vcc_lo, v0, v22
	s_wait_alu 0xfffd
	v_add_co_ci_u32_e64 v25, null, v26, v23, vcc_lo
	s_mov_b32 s19, 0
	flat_load_b128 v[27:30], v[24:25]
	s_wait_loadcnt_dscnt 0x0
	v_mul_f64_e32 v[31:32], s[28:29], v[29:30]
	v_mul_f64_e32 v[29:30], s[26:27], v[29:30]
	s_delay_alu instid0(VALU_DEP_2) | instskip(NEXT) | instid1(VALU_DEP_2)
	v_fma_f64 v[31:32], s[26:27], v[27:28], -v[31:32]
	v_fma_f64 v[29:30], s[28:29], v[27:28], v[29:30]
	s_delay_alu instid0(VALU_DEP_2) | instskip(NEXT) | instid1(VALU_DEP_2)
	v_add_f64_e32 v[27:28], v[2:3], v[31:32]
	v_add_f64_e32 v[29:30], v[4:5], v[29:30]
	flat_store_b128 v[24:25], v[27:30]
.LBB559_34:                             ;   in Loop: Header=BB559_7 Depth=1
	s_wait_alu 0xfffe
	s_and_not1_b32 vcc_lo, exec_lo, s19
	s_wait_alu 0xfffe
	s_cbranch_vccnz .LBB559_36
; %bb.35:                               ;   in Loop: Header=BB559_7 Depth=1
	v_add_co_u32 v22, vcc_lo, v0, v22
	s_wait_alu 0xfffd
	v_add_co_ci_u32_e64 v23, null, v26, v23, vcc_lo
	flat_store_b128 v[22:23], v[2:5]
.LBB559_36:                             ;   in Loop: Header=BB559_7 Depth=1
	s_wait_alu 0xfffe
	s_or_b32 exec_lo, exec_lo, s18
	s_and_saveexec_b32 s18, s40
	s_cbranch_execz .LBB559_6
; %bb.37:                               ;   in Loop: Header=BB559_7 Depth=1
	v_mul_f64_e32 v[2:3], s[12:13], v[18:19]
	v_mul_f64_e32 v[4:5], s[10:11], v[18:19]
	v_lshlrev_b64_e32 v[18:19], 4, v[8:9]
	s_and_not1_b32 vcc_lo, exec_lo, s37
	s_mov_b32 s19, -1
	s_delay_alu instid0(VALU_DEP_3) | instskip(NEXT) | instid1(VALU_DEP_3)
	v_fma_f64 v[2:3], s[10:11], v[20:21], -v[2:3]
	v_fma_f64 v[4:5], s[12:13], v[20:21], v[4:5]
	s_wait_alu 0xfffe
	s_cbranch_vccnz .LBB559_39
; %bb.38:                               ;   in Loop: Header=BB559_7 Depth=1
	v_add_co_u32 v24, vcc_lo, v0, v18
	s_wait_alu 0xfffd
	v_add_co_ci_u32_e64 v25, null, v26, v19, vcc_lo
	s_mov_b32 s19, 0
	flat_load_b128 v[20:23], v[24:25]
	s_wait_loadcnt_dscnt 0x0
	v_mul_f64_e32 v[27:28], s[28:29], v[22:23]
	v_mul_f64_e32 v[22:23], s[26:27], v[22:23]
	s_delay_alu instid0(VALU_DEP_2) | instskip(NEXT) | instid1(VALU_DEP_2)
	v_fma_f64 v[27:28], s[26:27], v[20:21], -v[27:28]
	v_fma_f64 v[22:23], s[28:29], v[20:21], v[22:23]
	s_delay_alu instid0(VALU_DEP_2) | instskip(NEXT) | instid1(VALU_DEP_2)
	v_add_f64_e32 v[20:21], v[2:3], v[27:28]
	v_add_f64_e32 v[22:23], v[4:5], v[22:23]
	flat_store_b128 v[24:25], v[20:23]
.LBB559_39:                             ;   in Loop: Header=BB559_7 Depth=1
	s_wait_alu 0xfffe
	s_and_not1_b32 vcc_lo, exec_lo, s19
	s_wait_alu 0xfffe
	s_cbranch_vccnz .LBB559_6
; %bb.40:                               ;   in Loop: Header=BB559_7 Depth=1
	v_add_co_u32 v18, vcc_lo, v0, v18
	s_wait_alu 0xfffd
	v_add_co_ci_u32_e64 v19, null, v26, v19, vcc_lo
	flat_store_b128 v[18:19], v[2:5]
	s_branch .LBB559_6
.LBB559_41:
.LBB559_42:
	s_nop 0
	s_sendmsg sendmsg(MSG_DEALLOC_VGPRS)
	s_endpgm
	.section	.rodata,"a",@progbits
	.p2align	6, 0x0
	.amdhsa_kernel _ZL29rocblas_internal_gemmt_kernelIlLi16ELi32ELi8ELc78ELc84ELc85ELb0ELb0E19rocblas_complex_numIdES1_PKPKS1_PKPS1_EviT_T9_T10_S9_lSB_S9_lSA_T11_S9_li
		.amdhsa_group_segment_fixed_size 8192
		.amdhsa_private_segment_fixed_size 0
		.amdhsa_kernarg_size 124
		.amdhsa_user_sgpr_count 2
		.amdhsa_user_sgpr_dispatch_ptr 0
		.amdhsa_user_sgpr_queue_ptr 0
		.amdhsa_user_sgpr_kernarg_segment_ptr 1
		.amdhsa_user_sgpr_dispatch_id 0
		.amdhsa_user_sgpr_private_segment_size 0
		.amdhsa_wavefront_size32 1
		.amdhsa_uses_dynamic_stack 0
		.amdhsa_enable_private_segment 0
		.amdhsa_system_sgpr_workgroup_id_x 1
		.amdhsa_system_sgpr_workgroup_id_y 1
		.amdhsa_system_sgpr_workgroup_id_z 1
		.amdhsa_system_sgpr_workgroup_info 0
		.amdhsa_system_vgpr_workitem_id 1
		.amdhsa_next_free_vgpr 135
		.amdhsa_next_free_sgpr 45
		.amdhsa_reserve_vcc 1
		.amdhsa_float_round_mode_32 0
		.amdhsa_float_round_mode_16_64 0
		.amdhsa_float_denorm_mode_32 3
		.amdhsa_float_denorm_mode_16_64 3
		.amdhsa_fp16_overflow 0
		.amdhsa_workgroup_processor_mode 1
		.amdhsa_memory_ordered 1
		.amdhsa_forward_progress 1
		.amdhsa_inst_pref_size 28
		.amdhsa_round_robin_scheduling 0
		.amdhsa_exception_fp_ieee_invalid_op 0
		.amdhsa_exception_fp_denorm_src 0
		.amdhsa_exception_fp_ieee_div_zero 0
		.amdhsa_exception_fp_ieee_overflow 0
		.amdhsa_exception_fp_ieee_underflow 0
		.amdhsa_exception_fp_ieee_inexact 0
		.amdhsa_exception_int_div_zero 0
	.end_amdhsa_kernel
	.section	.text._ZL29rocblas_internal_gemmt_kernelIlLi16ELi32ELi8ELc78ELc84ELc85ELb0ELb0E19rocblas_complex_numIdES1_PKPKS1_PKPS1_EviT_T9_T10_S9_lSB_S9_lSA_T11_S9_li,"axG",@progbits,_ZL29rocblas_internal_gemmt_kernelIlLi16ELi32ELi8ELc78ELc84ELc85ELb0ELb0E19rocblas_complex_numIdES1_PKPKS1_PKPS1_EviT_T9_T10_S9_lSB_S9_lSA_T11_S9_li,comdat
.Lfunc_end559:
	.size	_ZL29rocblas_internal_gemmt_kernelIlLi16ELi32ELi8ELc78ELc84ELc85ELb0ELb0E19rocblas_complex_numIdES1_PKPKS1_PKPS1_EviT_T9_T10_S9_lSB_S9_lSA_T11_S9_li, .Lfunc_end559-_ZL29rocblas_internal_gemmt_kernelIlLi16ELi32ELi8ELc78ELc84ELc85ELb0ELb0E19rocblas_complex_numIdES1_PKPKS1_PKPS1_EviT_T9_T10_S9_lSB_S9_lSA_T11_S9_li
                                        ; -- End function
	.set _ZL29rocblas_internal_gemmt_kernelIlLi16ELi32ELi8ELc78ELc84ELc85ELb0ELb0E19rocblas_complex_numIdES1_PKPKS1_PKPS1_EviT_T9_T10_S9_lSB_S9_lSA_T11_S9_li.num_vgpr, 135
	.set _ZL29rocblas_internal_gemmt_kernelIlLi16ELi32ELi8ELc78ELc84ELc85ELb0ELb0E19rocblas_complex_numIdES1_PKPKS1_PKPS1_EviT_T9_T10_S9_lSB_S9_lSA_T11_S9_li.num_agpr, 0
	.set _ZL29rocblas_internal_gemmt_kernelIlLi16ELi32ELi8ELc78ELc84ELc85ELb0ELb0E19rocblas_complex_numIdES1_PKPKS1_PKPS1_EviT_T9_T10_S9_lSB_S9_lSA_T11_S9_li.numbered_sgpr, 45
	.set _ZL29rocblas_internal_gemmt_kernelIlLi16ELi32ELi8ELc78ELc84ELc85ELb0ELb0E19rocblas_complex_numIdES1_PKPKS1_PKPS1_EviT_T9_T10_S9_lSB_S9_lSA_T11_S9_li.num_named_barrier, 0
	.set _ZL29rocblas_internal_gemmt_kernelIlLi16ELi32ELi8ELc78ELc84ELc85ELb0ELb0E19rocblas_complex_numIdES1_PKPKS1_PKPS1_EviT_T9_T10_S9_lSB_S9_lSA_T11_S9_li.private_seg_size, 0
	.set _ZL29rocblas_internal_gemmt_kernelIlLi16ELi32ELi8ELc78ELc84ELc85ELb0ELb0E19rocblas_complex_numIdES1_PKPKS1_PKPS1_EviT_T9_T10_S9_lSB_S9_lSA_T11_S9_li.uses_vcc, 1
	.set _ZL29rocblas_internal_gemmt_kernelIlLi16ELi32ELi8ELc78ELc84ELc85ELb0ELb0E19rocblas_complex_numIdES1_PKPKS1_PKPS1_EviT_T9_T10_S9_lSB_S9_lSA_T11_S9_li.uses_flat_scratch, 0
	.set _ZL29rocblas_internal_gemmt_kernelIlLi16ELi32ELi8ELc78ELc84ELc85ELb0ELb0E19rocblas_complex_numIdES1_PKPKS1_PKPS1_EviT_T9_T10_S9_lSB_S9_lSA_T11_S9_li.has_dyn_sized_stack, 0
	.set _ZL29rocblas_internal_gemmt_kernelIlLi16ELi32ELi8ELc78ELc84ELc85ELb0ELb0E19rocblas_complex_numIdES1_PKPKS1_PKPS1_EviT_T9_T10_S9_lSB_S9_lSA_T11_S9_li.has_recursion, 0
	.set _ZL29rocblas_internal_gemmt_kernelIlLi16ELi32ELi8ELc78ELc84ELc85ELb0ELb0E19rocblas_complex_numIdES1_PKPKS1_PKPS1_EviT_T9_T10_S9_lSB_S9_lSA_T11_S9_li.has_indirect_call, 0
	.section	.AMDGPU.csdata,"",@progbits
; Kernel info:
; codeLenInByte = 3576
; TotalNumSgprs: 47
; NumVgprs: 135
; ScratchSize: 0
; MemoryBound: 0
; FloatMode: 240
; IeeeMode: 1
; LDSByteSize: 8192 bytes/workgroup (compile time only)
; SGPRBlocks: 0
; VGPRBlocks: 16
; NumSGPRsForWavesPerEU: 47
; NumVGPRsForWavesPerEU: 135
; Occupancy: 10
; WaveLimiterHint : 1
; COMPUTE_PGM_RSRC2:SCRATCH_EN: 0
; COMPUTE_PGM_RSRC2:USER_SGPR: 2
; COMPUTE_PGM_RSRC2:TRAP_HANDLER: 0
; COMPUTE_PGM_RSRC2:TGID_X_EN: 1
; COMPUTE_PGM_RSRC2:TGID_Y_EN: 1
; COMPUTE_PGM_RSRC2:TGID_Z_EN: 1
; COMPUTE_PGM_RSRC2:TIDIG_COMP_CNT: 1
	.section	.text._ZL29rocblas_internal_gemmt_kernelIlLi16ELi32ELi8ELc78ELc67ELc85ELb0ELb1E19rocblas_complex_numIdES1_PKPKS1_PKPS1_EviT_T9_T10_S9_lSB_S9_lSA_T11_S9_li,"axG",@progbits,_ZL29rocblas_internal_gemmt_kernelIlLi16ELi32ELi8ELc78ELc67ELc85ELb0ELb1E19rocblas_complex_numIdES1_PKPKS1_PKPS1_EviT_T9_T10_S9_lSB_S9_lSA_T11_S9_li,comdat
	.globl	_ZL29rocblas_internal_gemmt_kernelIlLi16ELi32ELi8ELc78ELc67ELc85ELb0ELb1E19rocblas_complex_numIdES1_PKPKS1_PKPS1_EviT_T9_T10_S9_lSB_S9_lSA_T11_S9_li ; -- Begin function _ZL29rocblas_internal_gemmt_kernelIlLi16ELi32ELi8ELc78ELc67ELc85ELb0ELb1E19rocblas_complex_numIdES1_PKPKS1_PKPS1_EviT_T9_T10_S9_lSB_S9_lSA_T11_S9_li
	.p2align	8
	.type	_ZL29rocblas_internal_gemmt_kernelIlLi16ELi32ELi8ELc78ELc67ELc85ELb0ELb1E19rocblas_complex_numIdES1_PKPKS1_PKPS1_EviT_T9_T10_S9_lSB_S9_lSA_T11_S9_li,@function
_ZL29rocblas_internal_gemmt_kernelIlLi16ELi32ELi8ELc78ELc67ELc85ELb0ELb1E19rocblas_complex_numIdES1_PKPKS1_PKPS1_EviT_T9_T10_S9_lSB_S9_lSA_T11_S9_li: ; @_ZL29rocblas_internal_gemmt_kernelIlLi16ELi32ELi8ELc78ELc67ELc85ELb0ELb1E19rocblas_complex_numIdES1_PKPKS1_PKPS1_EviT_T9_T10_S9_lSB_S9_lSA_T11_S9_li
; %bb.0:
	s_clause 0x1
	s_load_b256 s[24:31], s[0:1], 0x48
	s_load_b512 s[8:23], s[0:1], 0x8
	s_wait_kmcnt 0x0
	v_cmp_eq_f64_e64 s3, s[26:27], 1.0
	v_cmp_eq_f64_e64 s2, s[28:29], 0
	s_and_b32 s3, s3, s2
	s_delay_alu instid0(SALU_CYCLE_1)
	s_and_not1_b32 vcc_lo, exec_lo, s3
	s_mov_b32 s3, -1
	s_cbranch_vccnz .LBB560_3
; %bb.1:
	s_cmp_lg_u64 s[8:9], 0
	s_cbranch_scc0 .LBB560_39
; %bb.2:
	v_cmp_neq_f64_e64 s3, s[10:11], 0
	v_cmp_neq_f64_e64 s4, s[12:13], 0
	s_or_b32 s3, s3, s4
.LBB560_3:
	s_delay_alu instid0(SALU_CYCLE_1)
	s_and_b32 vcc_lo, exec_lo, s3
	s_cbranch_vccz .LBB560_40
; %bb.4:
	s_load_b32 s33, s[0:1], 0x78
	s_lshr_b32 s34, ttmp7, 16
	s_wait_kmcnt 0x0
	s_cmp_ge_u32 s34, s33
	s_cbranch_scc1 .LBB560_40
; %bb.5:
	s_clause 0x1
	s_load_b128 s[4:7], s[0:1], 0x68
	s_load_b32 s39, s[0:1], 0x0
	v_dual_mov_b32 v1, 0 :: v_dual_and_b32 v2, 0x3ff, v0
	v_bfe_u32 v9, v0, 10, 10
	s_lshl_b32 s1, ttmp7, 5
	v_cmp_neq_f64_e64 s3, s[10:11], 0
	v_cmp_neq_f64_e64 s35, s[12:13], 0
	s_and_b32 s1, s1, 0x1fffe0
	v_and_b32_e32 v36, 7, v0
	v_lshl_add_u32 v0, v9, 4, v2
	v_add_nc_u32_e32 v12, s1, v9
	v_cmp_neq_f64_e64 s37, s[26:27], 0
	s_lshl_b32 s0, ttmp9, 5
	v_cmp_gt_i64_e64 s42, s[8:9], 0
	v_and_b32_e32 v4, 31, v0
	v_add_nc_u32_e32 v13, 16, v12
	v_lshrrev_b32_e32 v7, 3, v0
	s_wait_alu 0xfffe
	v_add_nc_u32_e32 v6, s0, v2
	v_lshrrev_b32_e32 v38, 5, v0
	v_lshlrev_b32_e32 v0, 4, v4
	s_wait_kmcnt 0x0
	v_mad_co_u64_u32 v[14:15], null, s4, v13, 0
	v_lshlrev_b32_e32 v37, 4, v2
	v_or_b32_e32 v2, s0, v4
	v_mad_co_u64_u32 v[4:5], null, s4, v12, 0
	v_lshlrev_b32_e32 v3, 4, v36
	v_add_nc_u32_e32 v16, s1, v7
	v_lshl_or_b32 v39, v38, 9, v0
	v_cmp_le_i32_e64 s4, v6, v13
	v_cmp_gt_i32_e64 s0, s39, v2
	v_cmp_le_i32_e64 s36, s39, v2
	v_mov_b32_e32 v0, v5
	v_lshl_or_b32 v7, v7, 7, v3
	v_ashrrev_i32_e32 v3, 31, v2
	v_cmp_gt_i32_e64 s1, s39, v16
	v_lshl_add_u32 v41, v9, 7, 0x1000
	v_lshlrev_b32_e32 v42, 4, v16
	v_add_nc_u32_e32 v40, 0x1000, v7
	v_mad_co_u64_u32 v[7:8], null, s5, v12, v[0:1]
	v_mov_b32_e32 v0, v15
	v_add_nc_u32_e32 v8, 16, v6
	s_lshl_b64 s[6:7], s[6:7], 4
	s_or_b32 s43, s3, s35
	s_xor_b32 s3, s2, -1
	v_mad_co_u64_u32 v[10:11], null, s5, v13, v[0:1]
	s_delay_alu instid0(VALU_DEP_4)
	v_mov_b32_e32 v5, v7
	s_or_b32 s37, s37, s3
	v_cmp_gt_i32_e64 s3, s39, v13
	v_cmp_le_i32_e64 s5, v8, v13
	v_ashrrev_i32_e32 v7, 31, v6
	v_ashrrev_i32_e32 v9, 31, v8
	v_mov_b32_e32 v15, v10
	v_cmp_gt_i32_e32 vcc_lo, s39, v12
	v_cmp_le_i32_e64 s2, v6, v12
	v_lshlrev_b64_e32 v[10:11], 4, v[2:3]
	s_and_b32 s40, s3, s4
	v_lshlrev_b64_e32 v[14:15], 4, v[14:15]
	s_and_b32 s41, s3, s5
	s_and_b32 s38, vcc_lo, s2
	v_cmp_le_i32_e64 s2, v8, v12
	v_lshlrev_b64_e32 v[12:13], 4, v[4:5]
	s_mov_b32 s35, 0
	s_and_b32 s42, s43, s42
	s_lshl_b64 s[4:5], s[18:19], 4
	s_and_b32 s39, vcc_lo, s2
	s_lshl_b64 s[2:3], s[24:25], 4
                                        ; implicit-def: $vgpr16_vgpr17
	s_branch .LBB560_7
.LBB560_6:                              ;   in Loop: Header=BB560_7 Depth=1
	s_wait_alu 0xfffe
	s_or_b32 exec_lo, exec_lo, s18
	s_add_co_i32 s34, s34, 0x10000
	s_delay_alu instid0(SALU_CYCLE_1)
	s_cmp_lt_u32 s34, s33
	s_cbranch_scc0 .LBB560_40
.LBB560_7:                              ; =>This Loop Header: Depth=1
                                        ;     Child Loop BB560_10 Depth 2
	s_lshl_b64 s[18:19], s[34:35], 3
	v_mov_b32_e32 v32, 0
	s_wait_alu 0xfffe
	s_add_nc_u64 s[24:25], s[30:31], s[18:19]
	v_mov_b32_e32 v33, 0
	global_load_b64 v[18:19], v1, s[24:25]
	s_and_not1_b32 vcc_lo, exec_lo, s42
	s_wait_alu 0xfffe
	s_cbranch_vccnz .LBB560_18
; %bb.8:                                ;   in Loop: Header=BB560_7 Depth=1
	s_add_nc_u64 s[24:25], s[14:15], s[18:19]
	s_add_nc_u64 s[18:19], s[20:21], s[18:19]
	s_clause 0x1
	global_load_b64 v[2:3], v1, s[24:25]
	global_load_b64 v[4:5], v1, s[18:19]
	v_mov_b32_e32 v20, 0
	v_mov_b32_e32 v26, 0
	;; [unrolled: 1-line block ×3, first 2 shown]
	v_dual_mov_b32 v34, 0 :: v_dual_mov_b32 v21, 0
	v_dual_mov_b32 v22, 0 :: v_dual_mov_b32 v27, 0
	;; [unrolled: 1-line block ×5, first 2 shown]
	v_mov_b32_e32 v25, 0
	v_mov_b32_e32 v29, 0
	v_mov_b32_e32 v33, 0
	s_mov_b64 s[18:19], 0
	s_wait_loadcnt 0x1
	v_add_co_u32 v0, vcc_lo, v2, s4
	s_wait_alu 0xfffd
	v_add_co_ci_u32_e64 v2, null, s5, v3, vcc_lo
	s_wait_loadcnt 0x0
	v_add_co_u32 v3, vcc_lo, v4, s2
	s_wait_alu 0xfffd
	v_add_co_ci_u32_e64 v4, null, s3, v5, vcc_lo
	v_add_co_u32 v43, vcc_lo, v0, v10
	s_wait_alu 0xfffd
	v_add_co_ci_u32_e64 v44, null, v2, v11, vcc_lo
	;; [unrolled: 3-line block ×3, first 2 shown]
	s_branch .LBB560_10
.LBB560_9:                              ;   in Loop: Header=BB560_10 Depth=2
	s_or_b32 exec_lo, exec_lo, s24
	ds_store_b128 v40, v[2:5]
	s_wait_dscnt 0x0
	s_barrier_signal -1
	s_barrier_wait -1
	global_inv scope:SCOPE_SE
	ds_load_b128 v[2:5], v41
	ds_load_b128 v[47:50], v37
	ds_load_b128 v[51:54], v37 offset:256
	ds_load_b128 v[55:58], v41 offset:2048
	;; [unrolled: 1-line block ×10, first 2 shown]
	s_add_nc_u64 s[18:19], s[18:19], 8
	s_wait_alu 0xfffe
	v_cmp_gt_i64_e64 s24, s[8:9], s[18:19]
	s_and_b32 vcc_lo, exec_lo, s24
	s_wait_dscnt 0xa
	v_mul_f64_e32 v[91:92], v[4:5], v[49:50]
	v_mul_f64_e32 v[93:94], v[2:3], v[49:50]
	s_wait_dscnt 0x9
	v_mul_f64_e32 v[95:96], v[4:5], v[53:54]
	v_mul_f64_e32 v[97:98], v[2:3], v[53:54]
	;; [unrolled: 3-line block ×3, first 2 shown]
	v_mul_f64_e32 v[101:102], v[57:58], v[53:54]
	v_mul_f64_e32 v[53:54], v[55:56], v[53:54]
	s_wait_dscnt 0x5
	v_mul_f64_e32 v[103:104], v[61:62], v[69:70]
	v_mul_f64_e32 v[105:106], v[59:60], v[69:70]
	s_wait_dscnt 0x4
	v_mul_f64_e32 v[107:108], v[61:62], v[73:74]
	v_mul_f64_e32 v[109:110], v[59:60], v[73:74]
	;; [unrolled: 1-line block ×6, first 2 shown]
	s_wait_dscnt 0x2
	v_mul_f64_e32 v[119:120], v[77:78], v[81:82]
	v_mul_f64_e32 v[121:122], v[75:76], v[81:82]
	s_wait_dscnt 0x1
	v_mul_f64_e32 v[123:124], v[77:78], v[85:86]
	v_mul_f64_e32 v[125:126], v[75:76], v[85:86]
	;; [unrolled: 3-line block ×3, first 2 shown]
	v_mul_f64_e32 v[129:130], v[89:90], v[85:86]
	v_mul_f64_e32 v[85:86], v[87:88], v[85:86]
	v_fma_f64 v[91:92], v[2:3], v[47:48], -v[91:92]
	v_fma_f64 v[93:94], v[4:5], v[47:48], v[93:94]
	v_fma_f64 v[95:96], v[2:3], v[51:52], -v[95:96]
	v_fma_f64 v[97:98], v[4:5], v[51:52], v[97:98]
	;; [unrolled: 2-line block ×8, first 2 shown]
	ds_load_b128 v[2:5], v41 offset:48
	ds_load_b128 v[47:50], v37 offset:1536
	;; [unrolled: 1-line block ×4, first 2 shown]
	v_fma_f64 v[119:120], v[75:76], v[79:80], -v[119:120]
	v_fma_f64 v[121:122], v[77:78], v[79:80], v[121:122]
	v_fma_f64 v[75:76], v[75:76], v[83:84], -v[123:124]
	v_fma_f64 v[77:78], v[77:78], v[83:84], v[125:126]
	;; [unrolled: 2-line block ×4, first 2 shown]
	s_wait_dscnt 0x2
	v_mul_f64_e32 v[109:110], v[2:3], v[49:50]
	s_wait_dscnt 0x1
	v_mul_f64_e32 v[111:112], v[4:5], v[53:54]
	v_mul_f64_e32 v[113:114], v[2:3], v[53:54]
	v_add_f64_e32 v[69:70], v[32:33], v[91:92]
	v_add_f64_e32 v[71:72], v[93:94], v[34:35]
	;; [unrolled: 1-line block ×8, first 2 shown]
	v_mul_f64_e32 v[101:102], v[4:5], v[49:50]
	s_wait_dscnt 0x0
	v_mul_f64_e32 v[115:116], v[57:58], v[49:50]
	v_mul_f64_e32 v[49:50], v[55:56], v[49:50]
	;; [unrolled: 1-line block ×4, first 2 shown]
	ds_load_b128 v[20:23], v41 offset:64
	ds_load_b128 v[24:27], v37 offset:2048
	;; [unrolled: 1-line block ×4, first 2 shown]
	s_wait_dscnt 0x1
	v_mul_f64_e32 v[125:126], v[20:21], v[30:31]
	s_wait_dscnt 0x0
	v_mul_f64_e32 v[127:128], v[34:35], v[26:27]
	v_mul_f64_e32 v[129:130], v[34:35], v[30:31]
	v_fma_f64 v[109:110], v[4:5], v[47:48], v[109:110]
	v_fma_f64 v[111:112], v[2:3], v[51:52], -v[111:112]
	v_fma_f64 v[113:114], v[4:5], v[51:52], v[113:114]
	v_add_f64_e32 v[85:86], v[69:70], v[103:104]
	v_add_f64_e32 v[87:88], v[105:106], v[71:72]
	;; [unrolled: 1-line block ×8, first 2 shown]
	v_mul_f64_e32 v[103:104], v[22:23], v[26:27]
	v_mul_f64_e32 v[105:106], v[20:21], v[26:27]
	;; [unrolled: 1-line block ×5, first 2 shown]
	v_fma_f64 v[101:102], v[2:3], v[47:48], -v[101:102]
	v_fma_f64 v[115:116], v[55:56], v[47:48], -v[115:116]
	v_fma_f64 v[131:132], v[57:58], v[47:48], v[49:50]
	v_fma_f64 v[117:118], v[55:56], v[51:52], -v[117:118]
	v_fma_f64 v[133:134], v[57:58], v[51:52], v[53:54]
	ds_load_b128 v[59:62], v41 offset:80
	ds_load_b128 v[63:66], v37 offset:2560
	;; [unrolled: 1-line block ×8, first 2 shown]
	v_add_f64_e32 v[85:86], v[85:86], v[119:120]
	v_add_f64_e32 v[87:88], v[121:122], v[87:88]
	v_add_f64_e32 v[75:76], v[89:90], v[75:76]
	v_add_f64_e32 v[77:78], v[77:78], v[91:92]
	v_add_f64_e32 v[89:90], v[93:94], v[123:124]
	v_add_f64_e32 v[79:80], v[79:80], v[95:96]
	v_add_f64_e32 v[81:82], v[97:98], v[81:82]
	v_add_f64_e32 v[83:84], v[83:84], v[99:100]
	s_wait_dscnt 0x6
	v_mul_f64_e32 v[91:92], v[61:62], v[65:66]
	v_mul_f64_e32 v[93:94], v[59:60], v[65:66]
	s_wait_dscnt 0x5
	v_mul_f64_e32 v[95:96], v[61:62], v[69:70]
	v_mul_f64_e32 v[97:98], v[59:60], v[69:70]
	;; [unrolled: 3-line block ×3, first 2 shown]
	v_mul_f64_e32 v[119:120], v[73:74], v[69:70]
	v_mul_f64_e32 v[69:70], v[71:72], v[69:70]
	v_fma_f64 v[103:104], v[20:21], v[24:25], -v[103:104]
	v_fma_f64 v[105:106], v[22:23], v[24:25], v[105:106]
	v_fma_f64 v[107:108], v[20:21], v[28:29], -v[107:108]
	v_fma_f64 v[121:122], v[22:23], v[28:29], v[125:126]
	;; [unrolled: 2-line block ×4, first 2 shown]
	ds_load_b128 v[20:23], v41 offset:112
	ds_load_b128 v[24:27], v37 offset:3584
	;; [unrolled: 1-line block ×4, first 2 shown]
	s_wait_loadcnt_dscnt 0x0
	s_barrier_signal -1
	s_barrier_wait -1
	global_inv scope:SCOPE_SE
	v_add_f64_e32 v[85:86], v[85:86], v[101:102]
	v_add_f64_e32 v[87:88], v[109:110], v[87:88]
	;; [unrolled: 1-line block ×8, first 2 shown]
	v_mul_f64_e32 v[101:102], v[4:5], v[49:50]
	v_mul_f64_e32 v[109:110], v[2:3], v[49:50]
	;; [unrolled: 1-line block ×8, first 2 shown]
	v_fma_f64 v[91:92], v[59:60], v[63:64], -v[91:92]
	v_fma_f64 v[93:94], v[61:62], v[63:64], v[93:94]
	v_fma_f64 v[59:60], v[59:60], v[67:68], -v[95:96]
	v_fma_f64 v[61:62], v[61:62], v[67:68], v[97:98]
	;; [unrolled: 2-line block ×4, first 2 shown]
	v_mul_f64_e32 v[97:98], v[20:21], v[30:31]
	v_mul_f64_e32 v[99:100], v[34:35], v[26:27]
	v_add_f64_e32 v[69:70], v[85:86], v[103:104]
	v_add_f64_e32 v[71:72], v[105:106], v[87:88]
	;; [unrolled: 1-line block ×8, first 2 shown]
	v_mul_f64_e32 v[85:86], v[22:23], v[26:27]
	v_mul_f64_e32 v[87:88], v[20:21], v[26:27]
	;; [unrolled: 1-line block ×6, first 2 shown]
	v_fma_f64 v[101:102], v[2:3], v[47:48], -v[101:102]
	v_fma_f64 v[105:106], v[4:5], v[47:48], v[109:110]
	v_fma_f64 v[2:3], v[2:3], v[51:52], -v[111:112]
	v_fma_f64 v[4:5], v[4:5], v[51:52], v[113:114]
	;; [unrolled: 2-line block ×4, first 2 shown]
	v_add_f64_e32 v[53:54], v[69:70], v[91:92]
	v_add_f64_e32 v[55:56], v[93:94], v[71:72]
	;; [unrolled: 1-line block ×8, first 2 shown]
	v_fma_f64 v[69:70], v[20:21], v[24:25], -v[85:86]
	v_fma_f64 v[71:72], v[22:23], v[24:25], v[87:88]
	v_fma_f64 v[20:21], v[20:21], v[28:29], -v[89:90]
	v_fma_f64 v[22:23], v[22:23], v[28:29], v[97:98]
	;; [unrolled: 2-line block ×4, first 2 shown]
	v_add_f64_e32 v[24:25], v[53:54], v[101:102]
	v_add_f64_e32 v[28:29], v[105:106], v[55:56]
	;; [unrolled: 1-line block ×16, first 2 shown]
	s_wait_alu 0xfffe
	s_cbranch_vccz .LBB560_19
.LBB560_10:                             ;   Parent Loop BB560_7 Depth=1
                                        ; =>  This Inner Loop Header: Depth=2
	s_mov_b32 s24, 0
	s_mov_b32 s43, s36
	s_and_saveexec_b32 s25, s0
	s_cbranch_execnz .LBB560_16
; %bb.11:                               ;   in Loop: Header=BB560_10 Depth=2
	s_or_b32 exec_lo, exec_lo, s25
	s_and_saveexec_b32 s25, s43
	s_delay_alu instid0(SALU_CYCLE_1)
	s_xor_b32 s25, exec_lo, s25
	s_cbranch_execnz .LBB560_17
.LBB560_12:                             ;   in Loop: Header=BB560_10 Depth=2
	s_or_b32 exec_lo, exec_lo, s25
	s_and_saveexec_b32 s25, s24
	s_cbranch_execz .LBB560_14
.LBB560_13:                             ;   in Loop: Header=BB560_10 Depth=2
	v_mul_lo_u32 v0, s17, v16
	v_mul_lo_u32 v4, s16, v17
	v_mad_co_u64_u32 v[2:3], null, s16, v16, 0
	s_delay_alu instid0(VALU_DEP_1) | instskip(NEXT) | instid1(VALU_DEP_1)
	v_add3_u32 v3, v3, v4, v0
	v_lshlrev_b64_e32 v[2:3], 4, v[2:3]
	s_delay_alu instid0(VALU_DEP_1) | instskip(SKIP_1) | instid1(VALU_DEP_2)
	v_add_co_u32 v2, vcc_lo, v43, v2
	s_wait_alu 0xfffd
	v_add_co_ci_u32_e64 v3, null, v44, v3, vcc_lo
	flat_load_b128 v[2:5], v[2:3]
	s_wait_loadcnt_dscnt 0x0
	ds_store_2addr_b64 v39, v[2:3], v[4:5] offset1:1
.LBB560_14:                             ;   in Loop: Header=BB560_10 Depth=2
	s_or_b32 exec_lo, exec_lo, s25
	s_wait_alu 0xfffe
	v_add_nc_u32_e32 v0, s18, v36
	v_mov_b32_e32 v2, 0
	v_dual_mov_b32 v3, 0 :: v_dual_mov_b32 v4, 0
	v_mov_b32_e32 v5, 0
	s_delay_alu instid0(VALU_DEP_4) | instskip(SKIP_1) | instid1(SALU_CYCLE_1)
	v_cmp_gt_u64_e32 vcc_lo, s[8:9], v[0:1]
	s_and_b32 s25, vcc_lo, s1
	s_and_saveexec_b32 s24, s25
	s_cbranch_execz .LBB560_9
; %bb.15:                               ;   in Loop: Header=BB560_10 Depth=2
	v_mad_co_u64_u32 v[2:3], null, s22, v0, 0
	s_delay_alu instid0(VALU_DEP_1) | instskip(NEXT) | instid1(VALU_DEP_1)
	v_mad_co_u64_u32 v[3:4], null, s23, v0, v[3:4]
	v_lshlrev_b64_e32 v[2:3], 4, v[2:3]
	s_delay_alu instid0(VALU_DEP_1) | instskip(SKIP_1) | instid1(VALU_DEP_2)
	v_add_co_u32 v2, vcc_lo, v45, v2
	s_wait_alu 0xfffd
	v_add_co_ci_u32_e64 v3, null, v46, v3, vcc_lo
	flat_load_b128 v[2:5], v[2:3]
	s_wait_loadcnt_dscnt 0x0
	v_xor_b32_e32 v5, 0x80000000, v5
	s_branch .LBB560_9
.LBB560_16:                             ;   in Loop: Header=BB560_10 Depth=2
	s_wait_alu 0xfffe
	v_add_nc_u32_e32 v0, s18, v38
	v_mov_b32_e32 v17, v1
	s_and_not1_b32 s43, s36, exec_lo
	s_mov_b32 s24, exec_lo
	s_delay_alu instid0(VALU_DEP_2) | instskip(SKIP_2) | instid1(SALU_CYCLE_1)
	v_cmp_le_u64_e32 vcc_lo, s[8:9], v[0:1]
	v_mov_b32_e32 v16, v0
	s_and_b32 s44, vcc_lo, exec_lo
	s_or_b32 s43, s43, s44
	s_or_b32 exec_lo, exec_lo, s25
	s_and_saveexec_b32 s25, s43
	s_delay_alu instid0(SALU_CYCLE_1)
	s_xor_b32 s25, exec_lo, s25
	s_cbranch_execz .LBB560_12
.LBB560_17:                             ;   in Loop: Header=BB560_10 Depth=2
	v_dual_mov_b32 v0, v1 :: v_dual_mov_b32 v3, v1
	v_mov_b32_e32 v2, v1
	s_and_not1_b32 s24, s24, exec_lo
	ds_store_b128 v39, v[0:3]
	s_or_b32 exec_lo, exec_lo, s25
	s_and_saveexec_b32 s25, s24
	s_cbranch_execnz .LBB560_13
	s_branch .LBB560_14
.LBB560_18:                             ;   in Loop: Header=BB560_7 Depth=1
	v_mov_b32_e32 v34, 0
	v_mov_b32_e32 v30, 0
	v_dual_mov_b32 v26, 0 :: v_dual_mov_b32 v35, 0
	v_dual_mov_b32 v28, 0 :: v_dual_mov_b32 v31, 0
	v_dual_mov_b32 v24, 0 :: v_dual_mov_b32 v27, 0
	v_mov_b32_e32 v22, 0
	v_dual_mov_b32 v20, 0 :: v_dual_mov_b32 v29, 0
	v_mov_b32_e32 v25, 0
	v_mov_b32_e32 v23, 0
	;; [unrolled: 1-line block ×3, first 2 shown]
.LBB560_19:                             ;   in Loop: Header=BB560_7 Depth=1
	s_wait_loadcnt 0x0
	v_add_co_u32 v0, vcc_lo, v18, s6
	s_wait_alu 0xfffd
	v_add_co_ci_u32_e64 v18, null, s7, v19, vcc_lo
	s_delay_alu instid0(VALU_DEP_2) | instskip(SKIP_1) | instid1(VALU_DEP_2)
	v_add_co_u32 v19, vcc_lo, v0, v12
	s_wait_alu 0xfffd
	v_add_co_ci_u32_e64 v43, null, v18, v13, vcc_lo
	s_wait_alu 0xfffe
	s_and_saveexec_b32 s18, s38
	s_cbranch_execz .LBB560_24
; %bb.20:                               ;   in Loop: Header=BB560_7 Depth=1
	v_mul_f64_e32 v[2:3], s[12:13], v[34:35]
	v_mul_f64_e32 v[4:5], s[10:11], v[34:35]
	s_and_b32 vcc_lo, exec_lo, s37
	s_mov_b32 s19, -1
	s_delay_alu instid0(VALU_DEP_2) | instskip(NEXT) | instid1(VALU_DEP_2)
	v_fma_f64 v[2:3], s[10:11], v[32:33], -v[2:3]
	v_fma_f64 v[4:5], s[12:13], v[32:33], v[4:5]
	s_wait_alu 0xfffe
	s_cbranch_vccz .LBB560_22
; %bb.21:                               ;   in Loop: Header=BB560_7 Depth=1
	v_lshlrev_b64_e32 v[32:33], 4, v[6:7]
	s_mov_b32 s19, 0
	s_delay_alu instid0(VALU_DEP_1) | instskip(SKIP_1) | instid1(VALU_DEP_2)
	v_add_co_u32 v44, vcc_lo, v19, v32
	s_wait_alu 0xfffd
	v_add_co_ci_u32_e64 v45, null, v43, v33, vcc_lo
	flat_load_b128 v[32:35], v[44:45]
	s_wait_loadcnt_dscnt 0x0
	v_mul_f64_e32 v[46:47], s[28:29], v[34:35]
	v_mul_f64_e32 v[34:35], s[26:27], v[34:35]
	s_delay_alu instid0(VALU_DEP_2) | instskip(NEXT) | instid1(VALU_DEP_2)
	v_fma_f64 v[46:47], s[26:27], v[32:33], -v[46:47]
	v_fma_f64 v[34:35], s[28:29], v[32:33], v[34:35]
	s_delay_alu instid0(VALU_DEP_2) | instskip(NEXT) | instid1(VALU_DEP_2)
	v_add_f64_e32 v[32:33], v[2:3], v[46:47]
	v_add_f64_e32 v[34:35], v[4:5], v[34:35]
	flat_store_b128 v[44:45], v[32:35]
.LBB560_22:                             ;   in Loop: Header=BB560_7 Depth=1
	s_wait_alu 0xfffe
	s_and_not1_b32 vcc_lo, exec_lo, s19
	s_wait_alu 0xfffe
	s_cbranch_vccnz .LBB560_24
; %bb.23:                               ;   in Loop: Header=BB560_7 Depth=1
	v_lshlrev_b64_e32 v[32:33], 4, v[6:7]
	s_delay_alu instid0(VALU_DEP_1) | instskip(SKIP_1) | instid1(VALU_DEP_2)
	v_add_co_u32 v32, vcc_lo, v19, v32
	s_wait_alu 0xfffd
	v_add_co_ci_u32_e64 v33, null, v43, v33, vcc_lo
	flat_store_b128 v[32:33], v[2:5]
.LBB560_24:                             ;   in Loop: Header=BB560_7 Depth=1
	s_wait_alu 0xfffe
	s_or_b32 exec_lo, exec_lo, s18
	s_and_saveexec_b32 s18, s39
	s_cbranch_execz .LBB560_29
; %bb.25:                               ;   in Loop: Header=BB560_7 Depth=1
	v_mul_f64_e32 v[2:3], s[12:13], v[30:31]
	v_mul_f64_e32 v[4:5], s[10:11], v[30:31]
	s_and_not1_b32 vcc_lo, exec_lo, s37
	s_mov_b32 s19, -1
	s_delay_alu instid0(VALU_DEP_2) | instskip(NEXT) | instid1(VALU_DEP_2)
	v_fma_f64 v[2:3], s[10:11], v[28:29], -v[2:3]
	v_fma_f64 v[4:5], s[12:13], v[28:29], v[4:5]
	s_wait_alu 0xfffe
	s_cbranch_vccnz .LBB560_27
; %bb.26:                               ;   in Loop: Header=BB560_7 Depth=1
	v_lshlrev_b64_e32 v[28:29], 4, v[8:9]
	s_mov_b32 s19, 0
	s_delay_alu instid0(VALU_DEP_1) | instskip(SKIP_1) | instid1(VALU_DEP_2)
	v_add_co_u32 v32, vcc_lo, v19, v28
	s_wait_alu 0xfffd
	v_add_co_ci_u32_e64 v33, null, v43, v29, vcc_lo
	flat_load_b128 v[28:31], v[32:33]
	s_wait_loadcnt_dscnt 0x0
	v_mul_f64_e32 v[34:35], s[28:29], v[30:31]
	v_mul_f64_e32 v[30:31], s[26:27], v[30:31]
	s_delay_alu instid0(VALU_DEP_2) | instskip(NEXT) | instid1(VALU_DEP_2)
	v_fma_f64 v[34:35], s[26:27], v[28:29], -v[34:35]
	v_fma_f64 v[30:31], s[28:29], v[28:29], v[30:31]
	s_delay_alu instid0(VALU_DEP_2) | instskip(NEXT) | instid1(VALU_DEP_2)
	v_add_f64_e32 v[28:29], v[2:3], v[34:35]
	v_add_f64_e32 v[30:31], v[4:5], v[30:31]
	flat_store_b128 v[32:33], v[28:31]
.LBB560_27:                             ;   in Loop: Header=BB560_7 Depth=1
	s_wait_alu 0xfffe
	s_and_not1_b32 vcc_lo, exec_lo, s19
	s_wait_alu 0xfffe
	s_cbranch_vccnz .LBB560_29
; %bb.28:                               ;   in Loop: Header=BB560_7 Depth=1
	v_lshlrev_b64_e32 v[28:29], 4, v[8:9]
	s_delay_alu instid0(VALU_DEP_1) | instskip(SKIP_1) | instid1(VALU_DEP_2)
	v_add_co_u32 v28, vcc_lo, v19, v28
	s_wait_alu 0xfffd
	v_add_co_ci_u32_e64 v29, null, v43, v29, vcc_lo
	flat_store_b128 v[28:29], v[2:5]
.LBB560_29:                             ;   in Loop: Header=BB560_7 Depth=1
	s_wait_alu 0xfffe
	s_or_b32 exec_lo, exec_lo, s18
	v_add_co_u32 v0, vcc_lo, v0, v14
	s_wait_alu 0xfffd
	v_add_co_ci_u32_e64 v28, null, v18, v15, vcc_lo
	s_and_saveexec_b32 s18, s40
	s_cbranch_execz .LBB560_34
; %bb.30:                               ;   in Loop: Header=BB560_7 Depth=1
	v_mul_f64_e32 v[2:3], s[12:13], v[26:27]
	v_mul_f64_e32 v[4:5], s[10:11], v[26:27]
	v_lshlrev_b64_e32 v[18:19], 4, v[6:7]
	s_and_not1_b32 vcc_lo, exec_lo, s37
	s_mov_b32 s19, -1
	s_delay_alu instid0(VALU_DEP_3) | instskip(NEXT) | instid1(VALU_DEP_3)
	v_fma_f64 v[2:3], s[10:11], v[24:25], -v[2:3]
	v_fma_f64 v[4:5], s[12:13], v[24:25], v[4:5]
	s_wait_alu 0xfffe
	s_cbranch_vccnz .LBB560_32
; %bb.31:                               ;   in Loop: Header=BB560_7 Depth=1
	v_add_co_u32 v29, vcc_lo, v0, v18
	s_wait_alu 0xfffd
	v_add_co_ci_u32_e64 v30, null, v28, v19, vcc_lo
	s_mov_b32 s19, 0
	flat_load_b128 v[24:27], v[29:30]
	s_wait_loadcnt_dscnt 0x0
	v_mul_f64_e32 v[31:32], s[28:29], v[26:27]
	v_mul_f64_e32 v[26:27], s[26:27], v[26:27]
	s_delay_alu instid0(VALU_DEP_2) | instskip(NEXT) | instid1(VALU_DEP_2)
	v_fma_f64 v[31:32], s[26:27], v[24:25], -v[31:32]
	v_fma_f64 v[26:27], s[28:29], v[24:25], v[26:27]
	s_delay_alu instid0(VALU_DEP_2) | instskip(NEXT) | instid1(VALU_DEP_2)
	v_add_f64_e32 v[24:25], v[2:3], v[31:32]
	v_add_f64_e32 v[26:27], v[4:5], v[26:27]
	flat_store_b128 v[29:30], v[24:27]
.LBB560_32:                             ;   in Loop: Header=BB560_7 Depth=1
	s_wait_alu 0xfffe
	s_and_not1_b32 vcc_lo, exec_lo, s19
	s_wait_alu 0xfffe
	s_cbranch_vccnz .LBB560_34
; %bb.33:                               ;   in Loop: Header=BB560_7 Depth=1
	v_add_co_u32 v18, vcc_lo, v0, v18
	s_wait_alu 0xfffd
	v_add_co_ci_u32_e64 v19, null, v28, v19, vcc_lo
	flat_store_b128 v[18:19], v[2:5]
.LBB560_34:                             ;   in Loop: Header=BB560_7 Depth=1
	s_wait_alu 0xfffe
	s_or_b32 exec_lo, exec_lo, s18
	s_and_saveexec_b32 s18, s41
	s_cbranch_execz .LBB560_6
; %bb.35:                               ;   in Loop: Header=BB560_7 Depth=1
	v_mul_f64_e32 v[2:3], s[12:13], v[20:21]
	v_mul_f64_e32 v[4:5], s[10:11], v[20:21]
	v_lshlrev_b64_e32 v[18:19], 4, v[8:9]
	s_and_not1_b32 vcc_lo, exec_lo, s37
	s_mov_b32 s19, -1
	s_delay_alu instid0(VALU_DEP_3) | instskip(NEXT) | instid1(VALU_DEP_3)
	v_fma_f64 v[2:3], s[10:11], v[22:23], -v[2:3]
	v_fma_f64 v[4:5], s[12:13], v[22:23], v[4:5]
	s_wait_alu 0xfffe
	s_cbranch_vccnz .LBB560_37
; %bb.36:                               ;   in Loop: Header=BB560_7 Depth=1
	v_add_co_u32 v24, vcc_lo, v0, v18
	s_wait_alu 0xfffd
	v_add_co_ci_u32_e64 v25, null, v28, v19, vcc_lo
	s_mov_b32 s19, 0
	flat_load_b128 v[20:23], v[24:25]
	s_wait_loadcnt_dscnt 0x0
	v_mul_f64_e32 v[26:27], s[28:29], v[22:23]
	v_mul_f64_e32 v[22:23], s[26:27], v[22:23]
	s_delay_alu instid0(VALU_DEP_2) | instskip(NEXT) | instid1(VALU_DEP_2)
	v_fma_f64 v[26:27], s[26:27], v[20:21], -v[26:27]
	v_fma_f64 v[22:23], s[28:29], v[20:21], v[22:23]
	s_delay_alu instid0(VALU_DEP_2) | instskip(NEXT) | instid1(VALU_DEP_2)
	v_add_f64_e32 v[20:21], v[2:3], v[26:27]
	v_add_f64_e32 v[22:23], v[4:5], v[22:23]
	flat_store_b128 v[24:25], v[20:23]
.LBB560_37:                             ;   in Loop: Header=BB560_7 Depth=1
	s_wait_alu 0xfffe
	s_and_not1_b32 vcc_lo, exec_lo, s19
	s_wait_alu 0xfffe
	s_cbranch_vccnz .LBB560_6
; %bb.38:                               ;   in Loop: Header=BB560_7 Depth=1
	v_add_co_u32 v18, vcc_lo, v0, v18
	s_wait_alu 0xfffd
	v_add_co_ci_u32_e64 v19, null, v28, v19, vcc_lo
	flat_store_b128 v[18:19], v[2:5]
	s_branch .LBB560_6
.LBB560_39:
.LBB560_40:
	s_nop 0
	s_sendmsg sendmsg(MSG_DEALLOC_VGPRS)
	s_endpgm
	.section	.rodata,"a",@progbits
	.p2align	6, 0x0
	.amdhsa_kernel _ZL29rocblas_internal_gemmt_kernelIlLi16ELi32ELi8ELc78ELc67ELc85ELb0ELb1E19rocblas_complex_numIdES1_PKPKS1_PKPS1_EviT_T9_T10_S9_lSB_S9_lSA_T11_S9_li
		.amdhsa_group_segment_fixed_size 8192
		.amdhsa_private_segment_fixed_size 0
		.amdhsa_kernarg_size 124
		.amdhsa_user_sgpr_count 2
		.amdhsa_user_sgpr_dispatch_ptr 0
		.amdhsa_user_sgpr_queue_ptr 0
		.amdhsa_user_sgpr_kernarg_segment_ptr 1
		.amdhsa_user_sgpr_dispatch_id 0
		.amdhsa_user_sgpr_private_segment_size 0
		.amdhsa_wavefront_size32 1
		.amdhsa_uses_dynamic_stack 0
		.amdhsa_enable_private_segment 0
		.amdhsa_system_sgpr_workgroup_id_x 1
		.amdhsa_system_sgpr_workgroup_id_y 1
		.amdhsa_system_sgpr_workgroup_id_z 1
		.amdhsa_system_sgpr_workgroup_info 0
		.amdhsa_system_vgpr_workitem_id 1
		.amdhsa_next_free_vgpr 135
		.amdhsa_next_free_sgpr 45
		.amdhsa_reserve_vcc 1
		.amdhsa_float_round_mode_32 0
		.amdhsa_float_round_mode_16_64 0
		.amdhsa_float_denorm_mode_32 3
		.amdhsa_float_denorm_mode_16_64 3
		.amdhsa_fp16_overflow 0
		.amdhsa_workgroup_processor_mode 1
		.amdhsa_memory_ordered 1
		.amdhsa_forward_progress 1
		.amdhsa_inst_pref_size 28
		.amdhsa_round_robin_scheduling 0
		.amdhsa_exception_fp_ieee_invalid_op 0
		.amdhsa_exception_fp_denorm_src 0
		.amdhsa_exception_fp_ieee_div_zero 0
		.amdhsa_exception_fp_ieee_overflow 0
		.amdhsa_exception_fp_ieee_underflow 0
		.amdhsa_exception_fp_ieee_inexact 0
		.amdhsa_exception_int_div_zero 0
	.end_amdhsa_kernel
	.section	.text._ZL29rocblas_internal_gemmt_kernelIlLi16ELi32ELi8ELc78ELc67ELc85ELb0ELb1E19rocblas_complex_numIdES1_PKPKS1_PKPS1_EviT_T9_T10_S9_lSB_S9_lSA_T11_S9_li,"axG",@progbits,_ZL29rocblas_internal_gemmt_kernelIlLi16ELi32ELi8ELc78ELc67ELc85ELb0ELb1E19rocblas_complex_numIdES1_PKPKS1_PKPS1_EviT_T9_T10_S9_lSB_S9_lSA_T11_S9_li,comdat
.Lfunc_end560:
	.size	_ZL29rocblas_internal_gemmt_kernelIlLi16ELi32ELi8ELc78ELc67ELc85ELb0ELb1E19rocblas_complex_numIdES1_PKPKS1_PKPS1_EviT_T9_T10_S9_lSB_S9_lSA_T11_S9_li, .Lfunc_end560-_ZL29rocblas_internal_gemmt_kernelIlLi16ELi32ELi8ELc78ELc67ELc85ELb0ELb1E19rocblas_complex_numIdES1_PKPKS1_PKPS1_EviT_T9_T10_S9_lSB_S9_lSA_T11_S9_li
                                        ; -- End function
	.set _ZL29rocblas_internal_gemmt_kernelIlLi16ELi32ELi8ELc78ELc67ELc85ELb0ELb1E19rocblas_complex_numIdES1_PKPKS1_PKPS1_EviT_T9_T10_S9_lSB_S9_lSA_T11_S9_li.num_vgpr, 135
	.set _ZL29rocblas_internal_gemmt_kernelIlLi16ELi32ELi8ELc78ELc67ELc85ELb0ELb1E19rocblas_complex_numIdES1_PKPKS1_PKPS1_EviT_T9_T10_S9_lSB_S9_lSA_T11_S9_li.num_agpr, 0
	.set _ZL29rocblas_internal_gemmt_kernelIlLi16ELi32ELi8ELc78ELc67ELc85ELb0ELb1E19rocblas_complex_numIdES1_PKPKS1_PKPS1_EviT_T9_T10_S9_lSB_S9_lSA_T11_S9_li.numbered_sgpr, 45
	.set _ZL29rocblas_internal_gemmt_kernelIlLi16ELi32ELi8ELc78ELc67ELc85ELb0ELb1E19rocblas_complex_numIdES1_PKPKS1_PKPS1_EviT_T9_T10_S9_lSB_S9_lSA_T11_S9_li.num_named_barrier, 0
	.set _ZL29rocblas_internal_gemmt_kernelIlLi16ELi32ELi8ELc78ELc67ELc85ELb0ELb1E19rocblas_complex_numIdES1_PKPKS1_PKPS1_EviT_T9_T10_S9_lSB_S9_lSA_T11_S9_li.private_seg_size, 0
	.set _ZL29rocblas_internal_gemmt_kernelIlLi16ELi32ELi8ELc78ELc67ELc85ELb0ELb1E19rocblas_complex_numIdES1_PKPKS1_PKPS1_EviT_T9_T10_S9_lSB_S9_lSA_T11_S9_li.uses_vcc, 1
	.set _ZL29rocblas_internal_gemmt_kernelIlLi16ELi32ELi8ELc78ELc67ELc85ELb0ELb1E19rocblas_complex_numIdES1_PKPKS1_PKPS1_EviT_T9_T10_S9_lSB_S9_lSA_T11_S9_li.uses_flat_scratch, 0
	.set _ZL29rocblas_internal_gemmt_kernelIlLi16ELi32ELi8ELc78ELc67ELc85ELb0ELb1E19rocblas_complex_numIdES1_PKPKS1_PKPS1_EviT_T9_T10_S9_lSB_S9_lSA_T11_S9_li.has_dyn_sized_stack, 0
	.set _ZL29rocblas_internal_gemmt_kernelIlLi16ELi32ELi8ELc78ELc67ELc85ELb0ELb1E19rocblas_complex_numIdES1_PKPKS1_PKPS1_EviT_T9_T10_S9_lSB_S9_lSA_T11_S9_li.has_recursion, 0
	.set _ZL29rocblas_internal_gemmt_kernelIlLi16ELi32ELi8ELc78ELc67ELc85ELb0ELb1E19rocblas_complex_numIdES1_PKPKS1_PKPS1_EviT_T9_T10_S9_lSB_S9_lSA_T11_S9_li.has_indirect_call, 0
	.section	.AMDGPU.csdata,"",@progbits
; Kernel info:
; codeLenInByte = 3552
; TotalNumSgprs: 47
; NumVgprs: 135
; ScratchSize: 0
; MemoryBound: 1
; FloatMode: 240
; IeeeMode: 1
; LDSByteSize: 8192 bytes/workgroup (compile time only)
; SGPRBlocks: 0
; VGPRBlocks: 16
; NumSGPRsForWavesPerEU: 47
; NumVGPRsForWavesPerEU: 135
; Occupancy: 10
; WaveLimiterHint : 1
; COMPUTE_PGM_RSRC2:SCRATCH_EN: 0
; COMPUTE_PGM_RSRC2:USER_SGPR: 2
; COMPUTE_PGM_RSRC2:TRAP_HANDLER: 0
; COMPUTE_PGM_RSRC2:TGID_X_EN: 1
; COMPUTE_PGM_RSRC2:TGID_Y_EN: 1
; COMPUTE_PGM_RSRC2:TGID_Z_EN: 1
; COMPUTE_PGM_RSRC2:TIDIG_COMP_CNT: 1
	.section	.text._ZL29rocblas_internal_gemmt_kernelIlLi16ELi32ELi8ELc84ELc78ELc85ELb0ELb0E19rocblas_complex_numIdES1_PKPKS1_PKPS1_EviT_T9_T10_S9_lSB_S9_lSA_T11_S9_li,"axG",@progbits,_ZL29rocblas_internal_gemmt_kernelIlLi16ELi32ELi8ELc84ELc78ELc85ELb0ELb0E19rocblas_complex_numIdES1_PKPKS1_PKPS1_EviT_T9_T10_S9_lSB_S9_lSA_T11_S9_li,comdat
	.globl	_ZL29rocblas_internal_gemmt_kernelIlLi16ELi32ELi8ELc84ELc78ELc85ELb0ELb0E19rocblas_complex_numIdES1_PKPKS1_PKPS1_EviT_T9_T10_S9_lSB_S9_lSA_T11_S9_li ; -- Begin function _ZL29rocblas_internal_gemmt_kernelIlLi16ELi32ELi8ELc84ELc78ELc85ELb0ELb0E19rocblas_complex_numIdES1_PKPKS1_PKPS1_EviT_T9_T10_S9_lSB_S9_lSA_T11_S9_li
	.p2align	8
	.type	_ZL29rocblas_internal_gemmt_kernelIlLi16ELi32ELi8ELc84ELc78ELc85ELb0ELb0E19rocblas_complex_numIdES1_PKPKS1_PKPS1_EviT_T9_T10_S9_lSB_S9_lSA_T11_S9_li,@function
_ZL29rocblas_internal_gemmt_kernelIlLi16ELi32ELi8ELc84ELc78ELc85ELb0ELb0E19rocblas_complex_numIdES1_PKPKS1_PKPS1_EviT_T9_T10_S9_lSB_S9_lSA_T11_S9_li: ; @_ZL29rocblas_internal_gemmt_kernelIlLi16ELi32ELi8ELc84ELc78ELc85ELb0ELb0E19rocblas_complex_numIdES1_PKPKS1_PKPS1_EviT_T9_T10_S9_lSB_S9_lSA_T11_S9_li
; %bb.0:
	s_clause 0x1
	s_load_b256 s[24:31], s[0:1], 0x48
	s_load_b512 s[8:23], s[0:1], 0x8
	s_wait_kmcnt 0x0
	v_cmp_eq_f64_e64 s3, s[26:27], 1.0
	v_cmp_eq_f64_e64 s2, s[28:29], 0
	s_and_b32 s3, s3, s2
	s_delay_alu instid0(SALU_CYCLE_1)
	s_and_not1_b32 vcc_lo, exec_lo, s3
	s_mov_b32 s3, -1
	s_cbranch_vccnz .LBB561_3
; %bb.1:
	s_cmp_lg_u64 s[8:9], 0
	s_cbranch_scc0 .LBB561_41
; %bb.2:
	v_cmp_neq_f64_e64 s3, s[10:11], 0
	v_cmp_neq_f64_e64 s4, s[12:13], 0
	s_or_b32 s3, s3, s4
.LBB561_3:
	s_delay_alu instid0(SALU_CYCLE_1)
	s_and_b32 vcc_lo, exec_lo, s3
	s_cbranch_vccz .LBB561_42
; %bb.4:
	s_load_b32 s33, s[0:1], 0x78
	s_lshr_b32 s34, ttmp7, 16
	s_wait_kmcnt 0x0
	s_cmp_ge_u32 s34, s33
	s_cbranch_scc1 .LBB561_42
; %bb.5:
	v_and_b32_e32 v6, 0x3ff, v0
	v_bfe_u32 v7, v0, 10, 10
	v_and_b32_e32 v36, 7, v0
	s_clause 0x1
	s_load_b128 s[4:7], s[0:1], 0x68
	s_load_b32 s37, s[0:1], 0x0
	s_lshl_b32 s0, ttmp7, 5
	v_cmp_neq_f64_e64 s3, s[10:11], 0
	v_lshl_add_u32 v1, v7, 4, v6
	s_and_b32 s0, s0, 0x1fffe0
	v_cmp_neq_f64_e64 s35, s[12:13], 0
	s_lshl_b32 s1, ttmp9, 5
	v_cmp_neq_f64_e64 s36, s[26:27], 0
	v_lshrrev_b32_e32 v0, 3, v1
	v_and_b32_e32 v4, 31, v1
	v_add_nc_u32_e32 v10, s0, v7
	v_lshrrev_b32_e32 v37, 5, v1
	s_ashr_i32 s38, s1, 31
	v_add_nc_u32_e32 v8, s0, v0
	v_or_b32_e32 v9, s1, v4
	s_mul_i32 s38, s16, s38
	v_cmp_gt_i64_e64 s39, s[8:9], 0
	v_lshl_add_u32 v41, v7, 7, 0x1000
	v_mad_co_u64_u32 v[2:3], null, s22, v8, 0
	v_lshlrev_b32_e32 v5, 4, v36
	s_wait_kmcnt 0x0
	v_mad_co_u64_u32 v[14:15], null, s4, v10, 0
	v_lshlrev_b32_e32 v11, 4, v4
	v_cmp_gt_i32_e64 s0, s37, v9
	v_lshl_or_b32 v12, v0, 7, v5
	v_mov_b32_e32 v0, v3
	v_mul_lo_u32 v3, s17, v9
	v_mad_co_u64_u32 v[4:5], null, s16, v9, 0
	v_cmp_le_i32_e64 s22, s37, v9
	s_delay_alu instid0(VALU_DEP_4) | instskip(SKIP_4) | instid1(VALU_DEP_3)
	v_mad_co_u64_u32 v[0:1], null, s23, v8, v[0:1]
	v_add_nc_u32_e32 v9, 16, v10
	v_add_nc_u32_e32 v39, 0x1000, v12
	s_lshl_b64 s[6:7], s[6:7], 4
	v_add3_u32 v5, v5, s38, v3
                                        ; implicit-def: $vgpr18_vgpr19
	v_mad_co_u64_u32 v[16:17], null, s4, v9, 0
	v_dual_mov_b32 v3, v0 :: v_dual_mov_b32 v0, v15
	v_lshlrev_b32_e32 v40, 4, v6
	v_add_nc_u32_e32 v6, s1, v6
	s_or_b32 s16, s3, s35
	s_xor_b32 s3, s2, -1
	v_mad_co_u64_u32 v[0:1], null, s5, v10, v[0:1]
	v_mov_b32_e32 v1, v17
	s_or_b32 s23, s36, s3
	v_cmp_gt_i32_e64 s3, s37, v9
	v_cmp_le_i32_e64 s4, v6, v9
	v_lshl_or_b32 v38, v37, 9, v11
	v_lshlrev_b64_e32 v[12:13], 4, v[2:3]
	v_mov_b32_e32 v15, v0
	v_mad_co_u64_u32 v[0:1], null, s5, v9, v[1:2]
	v_cmp_gt_i32_e32 vcc_lo, s37, v8
	v_dual_mov_b32 v1, 0 :: v_dual_add_nc_u32 v8, 16, v6
	v_cmp_gt_i32_e64 s1, s37, v10
	v_cmp_le_i32_e64 s2, v6, v10
	v_lshlrev_b64_e32 v[14:15], 4, v[14:15]
	v_mov_b32_e32 v17, v0
	v_cmp_le_i32_e64 s5, v8, v9
	v_ashrrev_i32_e32 v7, 31, v6
	s_and_b32 s36, s1, s2
	v_cmp_le_i32_e64 s2, v8, v10
	v_lshlrev_b64_e32 v[10:11], 4, v[4:5]
	v_lshlrev_b64_e32 v[16:17], 4, v[16:17]
	v_ashrrev_i32_e32 v9, 31, v8
	s_and_b32 s37, s3, s4
	s_and_b32 s1, s1, s2
	;; [unrolled: 1-line block ×3, first 2 shown]
	s_mov_b32 s35, 0
	s_wait_alu 0xfffe
	s_and_b32 s39, s16, s39
	s_lshl_b64 s[2:3], s[24:25], 4
	s_lshl_b64 s[4:5], s[18:19], 4
	s_xor_b32 s18, vcc_lo, -1
	s_branch .LBB561_7
.LBB561_6:                              ;   in Loop: Header=BB561_7 Depth=1
	s_wait_alu 0xfffe
	s_or_b32 exec_lo, exec_lo, s16
	s_add_co_i32 s34, s34, 0x10000
	s_delay_alu instid0(SALU_CYCLE_1)
	s_cmp_lt_u32 s34, s33
	s_cbranch_scc0 .LBB561_42
.LBB561_7:                              ; =>This Loop Header: Depth=1
                                        ;     Child Loop BB561_10 Depth 2
	s_lshl_b64 s[16:17], s[34:35], 3
	v_mov_b32_e32 v32, 0
	s_wait_alu 0xfffe
	s_add_nc_u64 s[24:25], s[30:31], s[16:17]
	v_mov_b32_e32 v33, 0
	global_load_b64 v[4:5], v1, s[24:25]
	s_and_not1_b32 vcc_lo, exec_lo, s39
	s_wait_alu 0xfffe
	s_cbranch_vccnz .LBB561_20
; %bb.8:                                ;   in Loop: Header=BB561_7 Depth=1
	s_add_nc_u64 s[24:25], s[14:15], s[16:17]
	s_add_nc_u64 s[16:17], s[20:21], s[16:17]
	s_clause 0x1
	global_load_b64 v[2:3], v1, s[24:25]
	global_load_b64 v[42:43], v1, s[16:17]
	v_mov_b32_e32 v20, 0
	v_mov_b32_e32 v26, 0
	;; [unrolled: 1-line block ×3, first 2 shown]
	v_dual_mov_b32 v34, 0 :: v_dual_mov_b32 v21, 0
	v_dual_mov_b32 v22, 0 :: v_dual_mov_b32 v27, 0
	;; [unrolled: 1-line block ×5, first 2 shown]
	v_mov_b32_e32 v25, 0
	v_mov_b32_e32 v29, 0
	;; [unrolled: 1-line block ×3, first 2 shown]
	s_mov_b64 s[16:17], 0
	s_wait_loadcnt 0x1
	v_add_co_u32 v0, vcc_lo, v2, s4
	s_wait_alu 0xfffd
	v_add_co_ci_u32_e64 v2, null, s5, v3, vcc_lo
	s_wait_loadcnt 0x0
	v_add_co_u32 v3, vcc_lo, v42, s2
	s_wait_alu 0xfffd
	v_add_co_ci_u32_e64 v45, null, s3, v43, vcc_lo
	v_add_co_u32 v42, vcc_lo, v0, v10
	s_wait_alu 0xfffd
	v_add_co_ci_u32_e64 v43, null, v2, v11, vcc_lo
	;; [unrolled: 3-line block ×3, first 2 shown]
	s_branch .LBB561_10
.LBB561_9:                              ;   in Loop: Header=BB561_10 Depth=2
	s_or_b32 exec_lo, exec_lo, s19
	s_wait_dscnt 0x0
	s_barrier_signal -1
	s_barrier_wait -1
	global_inv scope:SCOPE_SE
	ds_load_b128 v[46:49], v41
	ds_load_b128 v[50:53], v40
	ds_load_b128 v[54:57], v40 offset:256
	ds_load_b128 v[58:61], v41 offset:2048
	;; [unrolled: 1-line block ×10, first 2 shown]
	s_add_nc_u64 s[16:17], s[16:17], 8
	s_wait_alu 0xfffe
	v_cmp_gt_i64_e64 s19, s[8:9], s[16:17]
	s_and_b32 vcc_lo, exec_lo, s19
	s_wait_dscnt 0xa
	v_mul_f64_e32 v[2:3], v[48:49], v[52:53]
	v_mul_f64_e32 v[94:95], v[46:47], v[52:53]
	s_wait_dscnt 0x9
	v_mul_f64_e32 v[96:97], v[48:49], v[56:57]
	v_mul_f64_e32 v[98:99], v[46:47], v[56:57]
	;; [unrolled: 3-line block ×3, first 2 shown]
	v_mul_f64_e32 v[102:103], v[60:61], v[56:57]
	v_mul_f64_e32 v[56:57], v[58:59], v[56:57]
	s_wait_dscnt 0x5
	v_mul_f64_e32 v[104:105], v[64:65], v[72:73]
	v_mul_f64_e32 v[106:107], v[62:63], v[72:73]
	s_wait_dscnt 0x4
	v_mul_f64_e32 v[108:109], v[64:65], v[76:77]
	v_mul_f64_e32 v[110:111], v[62:63], v[76:77]
	;; [unrolled: 1-line block ×6, first 2 shown]
	s_wait_dscnt 0x2
	v_mul_f64_e32 v[120:121], v[80:81], v[84:85]
	v_mul_f64_e32 v[122:123], v[78:79], v[84:85]
	s_wait_dscnt 0x1
	v_mul_f64_e32 v[124:125], v[80:81], v[88:89]
	v_mul_f64_e32 v[126:127], v[78:79], v[88:89]
	;; [unrolled: 3-line block ×3, first 2 shown]
	v_mul_f64_e32 v[130:131], v[92:93], v[88:89]
	v_mul_f64_e32 v[88:89], v[90:91], v[88:89]
	v_fma_f64 v[2:3], v[46:47], v[50:51], -v[2:3]
	v_fma_f64 v[94:95], v[48:49], v[50:51], v[94:95]
	v_fma_f64 v[96:97], v[46:47], v[54:55], -v[96:97]
	v_fma_f64 v[98:99], v[48:49], v[54:55], v[98:99]
	;; [unrolled: 2-line block ×8, first 2 shown]
	ds_load_b128 v[46:49], v41 offset:48
	ds_load_b128 v[50:53], v40 offset:1536
	ds_load_b128 v[54:57], v40 offset:1792
	ds_load_b128 v[58:61], v41 offset:2096
	v_fma_f64 v[120:121], v[78:79], v[82:83], -v[120:121]
	v_fma_f64 v[122:123], v[80:81], v[82:83], v[122:123]
	v_fma_f64 v[78:79], v[78:79], v[86:87], -v[124:125]
	v_fma_f64 v[80:81], v[80:81], v[86:87], v[126:127]
	;; [unrolled: 2-line block ×4, first 2 shown]
	s_wait_dscnt 0x2
	v_mul_f64_e32 v[110:111], v[46:47], v[52:53]
	s_wait_dscnt 0x1
	v_mul_f64_e32 v[112:113], v[48:49], v[56:57]
	v_mul_f64_e32 v[114:115], v[46:47], v[56:57]
	v_add_f64_e32 v[2:3], v[32:33], v[2:3]
	v_add_f64_e32 v[72:73], v[94:95], v[34:35]
	;; [unrolled: 1-line block ×8, first 2 shown]
	v_mul_f64_e32 v[102:103], v[48:49], v[52:53]
	s_wait_dscnt 0x0
	v_mul_f64_e32 v[116:117], v[60:61], v[52:53]
	v_mul_f64_e32 v[52:53], v[58:59], v[52:53]
	;; [unrolled: 1-line block ×4, first 2 shown]
	ds_load_b128 v[20:23], v41 offset:64
	ds_load_b128 v[24:27], v40 offset:2048
	;; [unrolled: 1-line block ×4, first 2 shown]
	s_wait_dscnt 0x1
	v_mul_f64_e32 v[126:127], v[20:21], v[30:31]
	s_wait_dscnt 0x0
	v_mul_f64_e32 v[128:129], v[34:35], v[26:27]
	v_mul_f64_e32 v[130:131], v[34:35], v[30:31]
	v_fma_f64 v[110:111], v[48:49], v[50:51], v[110:111]
	v_fma_f64 v[112:113], v[46:47], v[54:55], -v[112:113]
	v_fma_f64 v[114:115], v[48:49], v[54:55], v[114:115]
	v_add_f64_e32 v[2:3], v[2:3], v[104:105]
	v_add_f64_e32 v[88:89], v[106:107], v[72:73]
	v_add_f64_e32 v[90:91], v[74:75], v[62:63]
	v_add_f64_e32 v[92:93], v[64:65], v[76:77]
	v_add_f64_e32 v[94:95], v[94:95], v[108:109]
	v_add_f64_e32 v[96:97], v[70:71], v[96:97]
	v_add_f64_e32 v[98:99], v[98:99], v[66:67]
	v_add_f64_e32 v[100:101], v[68:69], v[100:101]
	v_mul_f64_e32 v[104:105], v[22:23], v[26:27]
	v_mul_f64_e32 v[106:107], v[20:21], v[26:27]
	;; [unrolled: 1-line block ×5, first 2 shown]
	v_fma_f64 v[102:103], v[46:47], v[50:51], -v[102:103]
	v_fma_f64 v[116:117], v[58:59], v[50:51], -v[116:117]
	v_fma_f64 v[132:133], v[60:61], v[50:51], v[52:53]
	v_fma_f64 v[118:119], v[58:59], v[54:55], -v[118:119]
	v_fma_f64 v[134:135], v[60:61], v[54:55], v[56:57]
	ds_load_b128 v[62:65], v41 offset:80
	ds_load_b128 v[66:69], v40 offset:2560
	;; [unrolled: 1-line block ×8, first 2 shown]
	v_add_f64_e32 v[2:3], v[2:3], v[120:121]
	v_add_f64_e32 v[88:89], v[122:123], v[88:89]
	;; [unrolled: 1-line block ×8, first 2 shown]
	s_wait_dscnt 0x6
	v_mul_f64_e32 v[92:93], v[64:65], v[68:69]
	v_mul_f64_e32 v[94:95], v[62:63], v[68:69]
	s_wait_dscnt 0x5
	v_mul_f64_e32 v[96:97], v[64:65], v[72:73]
	v_mul_f64_e32 v[98:99], v[62:63], v[72:73]
	;; [unrolled: 3-line block ×3, first 2 shown]
	v_mul_f64_e32 v[120:121], v[76:77], v[72:73]
	v_mul_f64_e32 v[72:73], v[74:75], v[72:73]
	v_fma_f64 v[104:105], v[20:21], v[24:25], -v[104:105]
	v_fma_f64 v[106:107], v[22:23], v[24:25], v[106:107]
	v_fma_f64 v[108:109], v[20:21], v[28:29], -v[108:109]
	v_fma_f64 v[122:123], v[22:23], v[28:29], v[126:127]
	;; [unrolled: 2-line block ×4, first 2 shown]
	ds_load_b128 v[20:23], v41 offset:112
	ds_load_b128 v[24:27], v40 offset:3584
	;; [unrolled: 1-line block ×4, first 2 shown]
	s_wait_loadcnt_dscnt 0x0
	s_barrier_signal -1
	s_barrier_wait -1
	global_inv scope:SCOPE_SE
	v_add_f64_e32 v[2:3], v[2:3], v[102:103]
	v_add_f64_e32 v[88:89], v[110:111], v[88:89]
	;; [unrolled: 1-line block ×8, first 2 shown]
	v_mul_f64_e32 v[102:103], v[48:49], v[52:53]
	v_mul_f64_e32 v[110:111], v[46:47], v[52:53]
	;; [unrolled: 1-line block ×8, first 2 shown]
	v_fma_f64 v[92:93], v[62:63], v[66:67], -v[92:93]
	v_fma_f64 v[94:95], v[64:65], v[66:67], v[94:95]
	v_fma_f64 v[62:63], v[62:63], v[70:71], -v[96:97]
	v_fma_f64 v[64:65], v[64:65], v[70:71], v[98:99]
	;; [unrolled: 2-line block ×4, first 2 shown]
	v_mul_f64_e32 v[98:99], v[20:21], v[30:31]
	v_mul_f64_e32 v[100:101], v[34:35], v[26:27]
	v_add_f64_e32 v[2:3], v[2:3], v[104:105]
	v_add_f64_e32 v[72:73], v[106:107], v[88:89]
	;; [unrolled: 1-line block ×8, first 2 shown]
	v_mul_f64_e32 v[86:87], v[22:23], v[26:27]
	v_mul_f64_e32 v[88:89], v[20:21], v[26:27]
	;; [unrolled: 1-line block ×6, first 2 shown]
	v_fma_f64 v[102:103], v[46:47], v[50:51], -v[102:103]
	v_fma_f64 v[106:107], v[48:49], v[50:51], v[110:111]
	v_fma_f64 v[46:47], v[46:47], v[54:55], -v[112:113]
	v_fma_f64 v[48:49], v[48:49], v[54:55], v[114:115]
	;; [unrolled: 2-line block ×4, first 2 shown]
	v_add_f64_e32 v[2:3], v[2:3], v[92:93]
	v_add_f64_e32 v[56:57], v[94:95], v[72:73]
	;; [unrolled: 1-line block ×8, first 2 shown]
	v_fma_f64 v[70:71], v[20:21], v[24:25], -v[86:87]
	v_fma_f64 v[72:73], v[22:23], v[24:25], v[88:89]
	v_fma_f64 v[20:21], v[20:21], v[28:29], -v[90:91]
	v_fma_f64 v[22:23], v[22:23], v[28:29], v[98:99]
	;; [unrolled: 2-line block ×4, first 2 shown]
	v_add_f64_e32 v[2:3], v[2:3], v[102:103]
	v_add_f64_e32 v[24:25], v[106:107], v[56:57]
	;; [unrolled: 1-line block ×16, first 2 shown]
	s_wait_alu 0xfffe
	s_cbranch_vccz .LBB561_21
.LBB561_10:                             ;   Parent Loop BB561_7 Depth=1
                                        ; =>  This Inner Loop Header: Depth=2
	s_mov_b32 s19, 0
	s_mov_b32 s25, s22
	s_and_saveexec_b32 s24, s0
	s_cbranch_execnz .LBB561_18
; %bb.11:                               ;   in Loop: Header=BB561_10 Depth=2
	s_or_b32 exec_lo, exec_lo, s24
	s_and_saveexec_b32 s24, s25
	s_delay_alu instid0(SALU_CYCLE_1)
	s_xor_b32 s24, exec_lo, s24
	s_cbranch_execnz .LBB561_19
.LBB561_12:                             ;   in Loop: Header=BB561_10 Depth=2
	s_or_b32 exec_lo, exec_lo, s24
	s_and_saveexec_b32 s24, s19
	s_cbranch_execz .LBB561_14
.LBB561_13:                             ;   in Loop: Header=BB561_10 Depth=2
	v_lshlrev_b64_e32 v[2:3], 4, v[18:19]
	s_delay_alu instid0(VALU_DEP_1) | instskip(SKIP_1) | instid1(VALU_DEP_2)
	v_add_co_u32 v2, vcc_lo, v42, v2
	s_wait_alu 0xfffd
	v_add_co_ci_u32_e64 v3, null, v43, v3, vcc_lo
	flat_load_b128 v[46:49], v[2:3]
	s_wait_loadcnt_dscnt 0x0
	ds_store_2addr_b64 v38, v[46:47], v[48:49] offset1:1
.LBB561_14:                             ;   in Loop: Header=BB561_10 Depth=2
	s_or_b32 exec_lo, exec_lo, s24
	s_wait_alu 0xfffe
	v_add_nc_u32_e32 v0, s16, v36
	s_delay_alu instid0(VALU_DEP_1) | instskip(SKIP_1) | instid1(SALU_CYCLE_1)
	v_cmp_le_u64_e32 vcc_lo, s[8:9], v[0:1]
	s_or_b32 s19, vcc_lo, s18
	s_and_saveexec_b32 s24, s19
	s_delay_alu instid0(SALU_CYCLE_1)
	s_xor_b32 s19, exec_lo, s24
; %bb.15:                               ;   in Loop: Header=BB561_10 Depth=2
	v_dual_mov_b32 v0, v1 :: v_dual_mov_b32 v3, v1
	v_mov_b32_e32 v2, v1
	ds_store_b128 v39, v[0:3]
; %bb.16:                               ;   in Loop: Header=BB561_10 Depth=2
	s_and_not1_saveexec_b32 s19, s19
	s_cbranch_execz .LBB561_9
; %bb.17:                               ;   in Loop: Header=BB561_10 Depth=2
	v_lshlrev_b64_e32 v[2:3], 4, v[0:1]
	s_delay_alu instid0(VALU_DEP_1) | instskip(SKIP_1) | instid1(VALU_DEP_2)
	v_add_co_u32 v2, vcc_lo, v44, v2
	s_wait_alu 0xfffd
	v_add_co_ci_u32_e64 v3, null, v45, v3, vcc_lo
	flat_load_b128 v[46:49], v[2:3]
	s_wait_loadcnt_dscnt 0x0
	ds_store_2addr_b64 v39, v[46:47], v[48:49] offset1:1
	s_branch .LBB561_9
.LBB561_18:                             ;   in Loop: Header=BB561_10 Depth=2
	s_wait_alu 0xfffe
	v_add_nc_u32_e32 v0, s16, v37
	v_mov_b32_e32 v19, v1
	s_and_not1_b32 s25, s22, exec_lo
	s_mov_b32 s19, exec_lo
	s_delay_alu instid0(VALU_DEP_2) | instskip(SKIP_2) | instid1(SALU_CYCLE_1)
	v_cmp_le_u64_e32 vcc_lo, s[8:9], v[0:1]
	v_mov_b32_e32 v18, v0
	s_and_b32 s40, vcc_lo, exec_lo
	s_or_b32 s25, s25, s40
	s_or_b32 exec_lo, exec_lo, s24
	s_and_saveexec_b32 s24, s25
	s_delay_alu instid0(SALU_CYCLE_1)
	s_xor_b32 s24, exec_lo, s24
	s_cbranch_execz .LBB561_12
.LBB561_19:                             ;   in Loop: Header=BB561_10 Depth=2
	v_dual_mov_b32 v0, v1 :: v_dual_mov_b32 v3, v1
	v_mov_b32_e32 v2, v1
	s_and_not1_b32 s19, s19, exec_lo
	ds_store_b128 v38, v[0:3]
	s_or_b32 exec_lo, exec_lo, s24
	s_and_saveexec_b32 s24, s19
	s_cbranch_execnz .LBB561_13
	s_branch .LBB561_14
.LBB561_20:                             ;   in Loop: Header=BB561_7 Depth=1
	v_mov_b32_e32 v34, 0
	v_mov_b32_e32 v30, 0
	v_dual_mov_b32 v26, 0 :: v_dual_mov_b32 v35, 0
	v_dual_mov_b32 v28, 0 :: v_dual_mov_b32 v31, 0
	;; [unrolled: 1-line block ×3, first 2 shown]
	v_mov_b32_e32 v22, 0
	v_dual_mov_b32 v20, 0 :: v_dual_mov_b32 v29, 0
	v_mov_b32_e32 v25, 0
	v_mov_b32_e32 v23, 0
	;; [unrolled: 1-line block ×3, first 2 shown]
.LBB561_21:                             ;   in Loop: Header=BB561_7 Depth=1
	s_wait_loadcnt 0x0
	v_add_co_u32 v0, vcc_lo, v4, s6
	s_wait_alu 0xfffd
	v_add_co_ci_u32_e64 v42, null, s7, v5, vcc_lo
	s_delay_alu instid0(VALU_DEP_2) | instskip(SKIP_1) | instid1(VALU_DEP_2)
	v_add_co_u32 v43, vcc_lo, v0, v14
	s_wait_alu 0xfffd
	v_add_co_ci_u32_e64 v44, null, v42, v15, vcc_lo
	s_and_saveexec_b32 s16, s36
	s_cbranch_execz .LBB561_26
; %bb.22:                               ;   in Loop: Header=BB561_7 Depth=1
	v_mul_f64_e32 v[2:3], s[12:13], v[34:35]
	v_mul_f64_e32 v[4:5], s[10:11], v[34:35]
	s_and_b32 vcc_lo, exec_lo, s23
	s_mov_b32 s17, -1
	s_delay_alu instid0(VALU_DEP_2) | instskip(NEXT) | instid1(VALU_DEP_2)
	v_fma_f64 v[2:3], s[10:11], v[32:33], -v[2:3]
	v_fma_f64 v[4:5], s[12:13], v[32:33], v[4:5]
	s_wait_alu 0xfffe
	s_cbranch_vccz .LBB561_24
; %bb.23:                               ;   in Loop: Header=BB561_7 Depth=1
	v_lshlrev_b64_e32 v[32:33], 4, v[6:7]
	s_mov_b32 s17, 0
	s_delay_alu instid0(VALU_DEP_1) | instskip(SKIP_1) | instid1(VALU_DEP_2)
	v_add_co_u32 v45, vcc_lo, v43, v32
	s_wait_alu 0xfffd
	v_add_co_ci_u32_e64 v46, null, v44, v33, vcc_lo
	flat_load_b128 v[32:35], v[45:46]
	s_wait_loadcnt_dscnt 0x0
	v_mul_f64_e32 v[47:48], s[28:29], v[34:35]
	v_mul_f64_e32 v[34:35], s[26:27], v[34:35]
	s_delay_alu instid0(VALU_DEP_2) | instskip(NEXT) | instid1(VALU_DEP_2)
	v_fma_f64 v[47:48], s[26:27], v[32:33], -v[47:48]
	v_fma_f64 v[34:35], s[28:29], v[32:33], v[34:35]
	s_delay_alu instid0(VALU_DEP_2) | instskip(NEXT) | instid1(VALU_DEP_2)
	v_add_f64_e32 v[32:33], v[2:3], v[47:48]
	v_add_f64_e32 v[34:35], v[4:5], v[34:35]
	flat_store_b128 v[45:46], v[32:35]
.LBB561_24:                             ;   in Loop: Header=BB561_7 Depth=1
	s_wait_alu 0xfffe
	s_and_not1_b32 vcc_lo, exec_lo, s17
	s_wait_alu 0xfffe
	s_cbranch_vccnz .LBB561_26
; %bb.25:                               ;   in Loop: Header=BB561_7 Depth=1
	v_lshlrev_b64_e32 v[32:33], 4, v[6:7]
	s_delay_alu instid0(VALU_DEP_1) | instskip(SKIP_1) | instid1(VALU_DEP_2)
	v_add_co_u32 v32, vcc_lo, v43, v32
	s_wait_alu 0xfffd
	v_add_co_ci_u32_e64 v33, null, v44, v33, vcc_lo
	flat_store_b128 v[32:33], v[2:5]
.LBB561_26:                             ;   in Loop: Header=BB561_7 Depth=1
	s_wait_alu 0xfffe
	s_or_b32 exec_lo, exec_lo, s16
	s_and_saveexec_b32 s16, s1
	s_cbranch_execz .LBB561_31
; %bb.27:                               ;   in Loop: Header=BB561_7 Depth=1
	v_mul_f64_e32 v[2:3], s[12:13], v[30:31]
	v_mul_f64_e32 v[4:5], s[10:11], v[30:31]
	s_and_not1_b32 vcc_lo, exec_lo, s23
	s_mov_b32 s17, -1
	s_delay_alu instid0(VALU_DEP_2) | instskip(NEXT) | instid1(VALU_DEP_2)
	v_fma_f64 v[2:3], s[10:11], v[28:29], -v[2:3]
	v_fma_f64 v[4:5], s[12:13], v[28:29], v[4:5]
	s_wait_alu 0xfffe
	s_cbranch_vccnz .LBB561_29
; %bb.28:                               ;   in Loop: Header=BB561_7 Depth=1
	v_lshlrev_b64_e32 v[28:29], 4, v[8:9]
	s_mov_b32 s17, 0
	s_delay_alu instid0(VALU_DEP_1) | instskip(SKIP_1) | instid1(VALU_DEP_2)
	v_add_co_u32 v32, vcc_lo, v43, v28
	s_wait_alu 0xfffd
	v_add_co_ci_u32_e64 v33, null, v44, v29, vcc_lo
	flat_load_b128 v[28:31], v[32:33]
	s_wait_loadcnt_dscnt 0x0
	v_mul_f64_e32 v[34:35], s[28:29], v[30:31]
	v_mul_f64_e32 v[30:31], s[26:27], v[30:31]
	s_delay_alu instid0(VALU_DEP_2) | instskip(NEXT) | instid1(VALU_DEP_2)
	v_fma_f64 v[34:35], s[26:27], v[28:29], -v[34:35]
	v_fma_f64 v[30:31], s[28:29], v[28:29], v[30:31]
	s_delay_alu instid0(VALU_DEP_2) | instskip(NEXT) | instid1(VALU_DEP_2)
	v_add_f64_e32 v[28:29], v[2:3], v[34:35]
	v_add_f64_e32 v[30:31], v[4:5], v[30:31]
	flat_store_b128 v[32:33], v[28:31]
.LBB561_29:                             ;   in Loop: Header=BB561_7 Depth=1
	s_wait_alu 0xfffe
	s_and_not1_b32 vcc_lo, exec_lo, s17
	s_wait_alu 0xfffe
	s_cbranch_vccnz .LBB561_31
; %bb.30:                               ;   in Loop: Header=BB561_7 Depth=1
	v_lshlrev_b64_e32 v[28:29], 4, v[8:9]
	s_delay_alu instid0(VALU_DEP_1) | instskip(SKIP_1) | instid1(VALU_DEP_2)
	v_add_co_u32 v28, vcc_lo, v43, v28
	s_wait_alu 0xfffd
	v_add_co_ci_u32_e64 v29, null, v44, v29, vcc_lo
	flat_store_b128 v[28:29], v[2:5]
.LBB561_31:                             ;   in Loop: Header=BB561_7 Depth=1
	s_wait_alu 0xfffe
	s_or_b32 exec_lo, exec_lo, s16
	v_add_co_u32 v0, vcc_lo, v0, v16
	s_wait_alu 0xfffd
	v_add_co_ci_u32_e64 v28, null, v42, v17, vcc_lo
	s_and_saveexec_b32 s16, s37
	s_cbranch_execz .LBB561_36
; %bb.32:                               ;   in Loop: Header=BB561_7 Depth=1
	v_mul_f64_e32 v[2:3], s[12:13], v[26:27]
	v_mul_f64_e32 v[4:5], s[10:11], v[26:27]
	s_and_not1_b32 vcc_lo, exec_lo, s23
	s_mov_b32 s17, -1
	s_delay_alu instid0(VALU_DEP_2) | instskip(NEXT) | instid1(VALU_DEP_2)
	v_fma_f64 v[2:3], s[10:11], v[24:25], -v[2:3]
	v_fma_f64 v[4:5], s[12:13], v[24:25], v[4:5]
	v_lshlrev_b64_e32 v[24:25], 4, v[6:7]
	s_wait_alu 0xfffe
	s_cbranch_vccnz .LBB561_34
; %bb.33:                               ;   in Loop: Header=BB561_7 Depth=1
	s_delay_alu instid0(VALU_DEP_1) | instskip(SKIP_1) | instid1(VALU_DEP_2)
	v_add_co_u32 v26, vcc_lo, v0, v24
	s_wait_alu 0xfffd
	v_add_co_ci_u32_e64 v27, null, v28, v25, vcc_lo
	s_mov_b32 s17, 0
	flat_load_b128 v[29:32], v[26:27]
	s_wait_loadcnt_dscnt 0x0
	v_mul_f64_e32 v[33:34], s[28:29], v[31:32]
	v_mul_f64_e32 v[31:32], s[26:27], v[31:32]
	s_delay_alu instid0(VALU_DEP_2) | instskip(NEXT) | instid1(VALU_DEP_2)
	v_fma_f64 v[33:34], s[26:27], v[29:30], -v[33:34]
	v_fma_f64 v[31:32], s[28:29], v[29:30], v[31:32]
	s_delay_alu instid0(VALU_DEP_2) | instskip(NEXT) | instid1(VALU_DEP_2)
	v_add_f64_e32 v[29:30], v[2:3], v[33:34]
	v_add_f64_e32 v[31:32], v[4:5], v[31:32]
	flat_store_b128 v[26:27], v[29:32]
.LBB561_34:                             ;   in Loop: Header=BB561_7 Depth=1
	s_wait_alu 0xfffe
	s_and_not1_b32 vcc_lo, exec_lo, s17
	s_wait_alu 0xfffe
	s_cbranch_vccnz .LBB561_36
; %bb.35:                               ;   in Loop: Header=BB561_7 Depth=1
	v_add_co_u32 v24, vcc_lo, v0, v24
	s_wait_alu 0xfffd
	v_add_co_ci_u32_e64 v25, null, v28, v25, vcc_lo
	flat_store_b128 v[24:25], v[2:5]
.LBB561_36:                             ;   in Loop: Header=BB561_7 Depth=1
	s_wait_alu 0xfffe
	s_or_b32 exec_lo, exec_lo, s16
	s_and_saveexec_b32 s16, s38
	s_cbranch_execz .LBB561_6
; %bb.37:                               ;   in Loop: Header=BB561_7 Depth=1
	v_mul_f64_e32 v[2:3], s[12:13], v[20:21]
	v_mul_f64_e32 v[4:5], s[10:11], v[20:21]
	v_lshlrev_b64_e32 v[20:21], 4, v[8:9]
	s_and_not1_b32 vcc_lo, exec_lo, s23
	s_mov_b32 s17, -1
	s_delay_alu instid0(VALU_DEP_3) | instskip(NEXT) | instid1(VALU_DEP_3)
	v_fma_f64 v[2:3], s[10:11], v[22:23], -v[2:3]
	v_fma_f64 v[4:5], s[12:13], v[22:23], v[4:5]
	s_wait_alu 0xfffe
	s_cbranch_vccnz .LBB561_39
; %bb.38:                               ;   in Loop: Header=BB561_7 Depth=1
	v_add_co_u32 v26, vcc_lo, v0, v20
	s_wait_alu 0xfffd
	v_add_co_ci_u32_e64 v27, null, v28, v21, vcc_lo
	s_mov_b32 s17, 0
	flat_load_b128 v[22:25], v[26:27]
	s_wait_loadcnt_dscnt 0x0
	v_mul_f64_e32 v[29:30], s[28:29], v[24:25]
	v_mul_f64_e32 v[24:25], s[26:27], v[24:25]
	s_delay_alu instid0(VALU_DEP_2) | instskip(NEXT) | instid1(VALU_DEP_2)
	v_fma_f64 v[29:30], s[26:27], v[22:23], -v[29:30]
	v_fma_f64 v[24:25], s[28:29], v[22:23], v[24:25]
	s_delay_alu instid0(VALU_DEP_2) | instskip(NEXT) | instid1(VALU_DEP_2)
	v_add_f64_e32 v[22:23], v[2:3], v[29:30]
	v_add_f64_e32 v[24:25], v[4:5], v[24:25]
	flat_store_b128 v[26:27], v[22:25]
.LBB561_39:                             ;   in Loop: Header=BB561_7 Depth=1
	s_wait_alu 0xfffe
	s_and_not1_b32 vcc_lo, exec_lo, s17
	s_wait_alu 0xfffe
	s_cbranch_vccnz .LBB561_6
; %bb.40:                               ;   in Loop: Header=BB561_7 Depth=1
	v_add_co_u32 v20, vcc_lo, v0, v20
	s_wait_alu 0xfffd
	v_add_co_ci_u32_e64 v21, null, v28, v21, vcc_lo
	flat_store_b128 v[20:21], v[2:5]
	s_branch .LBB561_6
.LBB561_41:
.LBB561_42:
	s_nop 0
	s_sendmsg sendmsg(MSG_DEALLOC_VGPRS)
	s_endpgm
	.section	.rodata,"a",@progbits
	.p2align	6, 0x0
	.amdhsa_kernel _ZL29rocblas_internal_gemmt_kernelIlLi16ELi32ELi8ELc84ELc78ELc85ELb0ELb0E19rocblas_complex_numIdES1_PKPKS1_PKPS1_EviT_T9_T10_S9_lSB_S9_lSA_T11_S9_li
		.amdhsa_group_segment_fixed_size 8192
		.amdhsa_private_segment_fixed_size 0
		.amdhsa_kernarg_size 124
		.amdhsa_user_sgpr_count 2
		.amdhsa_user_sgpr_dispatch_ptr 0
		.amdhsa_user_sgpr_queue_ptr 0
		.amdhsa_user_sgpr_kernarg_segment_ptr 1
		.amdhsa_user_sgpr_dispatch_id 0
		.amdhsa_user_sgpr_private_segment_size 0
		.amdhsa_wavefront_size32 1
		.amdhsa_uses_dynamic_stack 0
		.amdhsa_enable_private_segment 0
		.amdhsa_system_sgpr_workgroup_id_x 1
		.amdhsa_system_sgpr_workgroup_id_y 1
		.amdhsa_system_sgpr_workgroup_id_z 1
		.amdhsa_system_sgpr_workgroup_info 0
		.amdhsa_system_vgpr_workitem_id 1
		.amdhsa_next_free_vgpr 136
		.amdhsa_next_free_sgpr 41
		.amdhsa_reserve_vcc 1
		.amdhsa_float_round_mode_32 0
		.amdhsa_float_round_mode_16_64 0
		.amdhsa_float_denorm_mode_32 3
		.amdhsa_float_denorm_mode_16_64 3
		.amdhsa_fp16_overflow 0
		.amdhsa_workgroup_processor_mode 1
		.amdhsa_memory_ordered 1
		.amdhsa_forward_progress 1
		.amdhsa_inst_pref_size 28
		.amdhsa_round_robin_scheduling 0
		.amdhsa_exception_fp_ieee_invalid_op 0
		.amdhsa_exception_fp_denorm_src 0
		.amdhsa_exception_fp_ieee_div_zero 0
		.amdhsa_exception_fp_ieee_overflow 0
		.amdhsa_exception_fp_ieee_underflow 0
		.amdhsa_exception_fp_ieee_inexact 0
		.amdhsa_exception_int_div_zero 0
	.end_amdhsa_kernel
	.section	.text._ZL29rocblas_internal_gemmt_kernelIlLi16ELi32ELi8ELc84ELc78ELc85ELb0ELb0E19rocblas_complex_numIdES1_PKPKS1_PKPS1_EviT_T9_T10_S9_lSB_S9_lSA_T11_S9_li,"axG",@progbits,_ZL29rocblas_internal_gemmt_kernelIlLi16ELi32ELi8ELc84ELc78ELc85ELb0ELb0E19rocblas_complex_numIdES1_PKPKS1_PKPS1_EviT_T9_T10_S9_lSB_S9_lSA_T11_S9_li,comdat
.Lfunc_end561:
	.size	_ZL29rocblas_internal_gemmt_kernelIlLi16ELi32ELi8ELc84ELc78ELc85ELb0ELb0E19rocblas_complex_numIdES1_PKPKS1_PKPS1_EviT_T9_T10_S9_lSB_S9_lSA_T11_S9_li, .Lfunc_end561-_ZL29rocblas_internal_gemmt_kernelIlLi16ELi32ELi8ELc84ELc78ELc85ELb0ELb0E19rocblas_complex_numIdES1_PKPKS1_PKPS1_EviT_T9_T10_S9_lSB_S9_lSA_T11_S9_li
                                        ; -- End function
	.set _ZL29rocblas_internal_gemmt_kernelIlLi16ELi32ELi8ELc84ELc78ELc85ELb0ELb0E19rocblas_complex_numIdES1_PKPKS1_PKPS1_EviT_T9_T10_S9_lSB_S9_lSA_T11_S9_li.num_vgpr, 136
	.set _ZL29rocblas_internal_gemmt_kernelIlLi16ELi32ELi8ELc84ELc78ELc85ELb0ELb0E19rocblas_complex_numIdES1_PKPKS1_PKPS1_EviT_T9_T10_S9_lSB_S9_lSA_T11_S9_li.num_agpr, 0
	.set _ZL29rocblas_internal_gemmt_kernelIlLi16ELi32ELi8ELc84ELc78ELc85ELb0ELb0E19rocblas_complex_numIdES1_PKPKS1_PKPS1_EviT_T9_T10_S9_lSB_S9_lSA_T11_S9_li.numbered_sgpr, 41
	.set _ZL29rocblas_internal_gemmt_kernelIlLi16ELi32ELi8ELc84ELc78ELc85ELb0ELb0E19rocblas_complex_numIdES1_PKPKS1_PKPS1_EviT_T9_T10_S9_lSB_S9_lSA_T11_S9_li.num_named_barrier, 0
	.set _ZL29rocblas_internal_gemmt_kernelIlLi16ELi32ELi8ELc84ELc78ELc85ELb0ELb0E19rocblas_complex_numIdES1_PKPKS1_PKPS1_EviT_T9_T10_S9_lSB_S9_lSA_T11_S9_li.private_seg_size, 0
	.set _ZL29rocblas_internal_gemmt_kernelIlLi16ELi32ELi8ELc84ELc78ELc85ELb0ELb0E19rocblas_complex_numIdES1_PKPKS1_PKPS1_EviT_T9_T10_S9_lSB_S9_lSA_T11_S9_li.uses_vcc, 1
	.set _ZL29rocblas_internal_gemmt_kernelIlLi16ELi32ELi8ELc84ELc78ELc85ELb0ELb0E19rocblas_complex_numIdES1_PKPKS1_PKPS1_EviT_T9_T10_S9_lSB_S9_lSA_T11_S9_li.uses_flat_scratch, 0
	.set _ZL29rocblas_internal_gemmt_kernelIlLi16ELi32ELi8ELc84ELc78ELc85ELb0ELb0E19rocblas_complex_numIdES1_PKPKS1_PKPS1_EviT_T9_T10_S9_lSB_S9_lSA_T11_S9_li.has_dyn_sized_stack, 0
	.set _ZL29rocblas_internal_gemmt_kernelIlLi16ELi32ELi8ELc84ELc78ELc85ELb0ELb0E19rocblas_complex_numIdES1_PKPKS1_PKPS1_EviT_T9_T10_S9_lSB_S9_lSA_T11_S9_li.has_recursion, 0
	.set _ZL29rocblas_internal_gemmt_kernelIlLi16ELi32ELi8ELc84ELc78ELc85ELb0ELb0E19rocblas_complex_numIdES1_PKPKS1_PKPS1_EviT_T9_T10_S9_lSB_S9_lSA_T11_S9_li.has_indirect_call, 0
	.section	.AMDGPU.csdata,"",@progbits
; Kernel info:
; codeLenInByte = 3560
; TotalNumSgprs: 43
; NumVgprs: 136
; ScratchSize: 0
; MemoryBound: 0
; FloatMode: 240
; IeeeMode: 1
; LDSByteSize: 8192 bytes/workgroup (compile time only)
; SGPRBlocks: 0
; VGPRBlocks: 16
; NumSGPRsForWavesPerEU: 43
; NumVGPRsForWavesPerEU: 136
; Occupancy: 10
; WaveLimiterHint : 1
; COMPUTE_PGM_RSRC2:SCRATCH_EN: 0
; COMPUTE_PGM_RSRC2:USER_SGPR: 2
; COMPUTE_PGM_RSRC2:TRAP_HANDLER: 0
; COMPUTE_PGM_RSRC2:TGID_X_EN: 1
; COMPUTE_PGM_RSRC2:TGID_Y_EN: 1
; COMPUTE_PGM_RSRC2:TGID_Z_EN: 1
; COMPUTE_PGM_RSRC2:TIDIG_COMP_CNT: 1
	.section	.text._ZL29rocblas_internal_gemmt_kernelIlLi16ELi32ELi8ELc84ELc84ELc85ELb0ELb0E19rocblas_complex_numIdES1_PKPKS1_PKPS1_EviT_T9_T10_S9_lSB_S9_lSA_T11_S9_li,"axG",@progbits,_ZL29rocblas_internal_gemmt_kernelIlLi16ELi32ELi8ELc84ELc84ELc85ELb0ELb0E19rocblas_complex_numIdES1_PKPKS1_PKPS1_EviT_T9_T10_S9_lSB_S9_lSA_T11_S9_li,comdat
	.globl	_ZL29rocblas_internal_gemmt_kernelIlLi16ELi32ELi8ELc84ELc84ELc85ELb0ELb0E19rocblas_complex_numIdES1_PKPKS1_PKPS1_EviT_T9_T10_S9_lSB_S9_lSA_T11_S9_li ; -- Begin function _ZL29rocblas_internal_gemmt_kernelIlLi16ELi32ELi8ELc84ELc84ELc85ELb0ELb0E19rocblas_complex_numIdES1_PKPKS1_PKPS1_EviT_T9_T10_S9_lSB_S9_lSA_T11_S9_li
	.p2align	8
	.type	_ZL29rocblas_internal_gemmt_kernelIlLi16ELi32ELi8ELc84ELc84ELc85ELb0ELb0E19rocblas_complex_numIdES1_PKPKS1_PKPS1_EviT_T9_T10_S9_lSB_S9_lSA_T11_S9_li,@function
_ZL29rocblas_internal_gemmt_kernelIlLi16ELi32ELi8ELc84ELc84ELc85ELb0ELb0E19rocblas_complex_numIdES1_PKPKS1_PKPS1_EviT_T9_T10_S9_lSB_S9_lSA_T11_S9_li: ; @_ZL29rocblas_internal_gemmt_kernelIlLi16ELi32ELi8ELc84ELc84ELc85ELb0ELb0E19rocblas_complex_numIdES1_PKPKS1_PKPS1_EviT_T9_T10_S9_lSB_S9_lSA_T11_S9_li
; %bb.0:
	s_clause 0x1
	s_load_b256 s[24:31], s[0:1], 0x48
	s_load_b512 s[8:23], s[0:1], 0x8
	s_wait_kmcnt 0x0
	v_cmp_eq_f64_e64 s3, s[26:27], 1.0
	v_cmp_eq_f64_e64 s2, s[28:29], 0
	s_and_b32 s3, s3, s2
	s_delay_alu instid0(SALU_CYCLE_1)
	s_and_not1_b32 vcc_lo, exec_lo, s3
	s_mov_b32 s3, -1
	s_cbranch_vccnz .LBB562_3
; %bb.1:
	s_cmp_lg_u64 s[8:9], 0
	s_cbranch_scc0 .LBB562_41
; %bb.2:
	v_cmp_neq_f64_e64 s3, s[10:11], 0
	v_cmp_neq_f64_e64 s4, s[12:13], 0
	s_or_b32 s3, s3, s4
.LBB562_3:
	s_delay_alu instid0(SALU_CYCLE_1)
	s_and_b32 vcc_lo, exec_lo, s3
	s_cbranch_vccz .LBB562_42
; %bb.4:
	s_load_b32 s33, s[0:1], 0x78
	s_lshr_b32 s34, ttmp7, 16
	s_wait_kmcnt 0x0
	s_cmp_ge_u32 s34, s33
	s_cbranch_scc1 .LBB562_42
; %bb.5:
	s_clause 0x1
	s_load_b128 s[4:7], s[0:1], 0x68
	s_load_b32 s39, s[0:1], 0x0
	v_dual_mov_b32 v1, 0 :: v_dual_and_b32 v6, 0x3ff, v0
	v_bfe_u32 v9, v0, 10, 10
	v_cmp_neq_f64_e64 s3, s[10:11], 0
	v_cmp_neq_f64_e64 s35, s[12:13], 0
	v_and_b32_e32 v34, 7, v0
	s_lshl_b32 s0, ttmp7, 5
	v_lshl_add_u32 v0, v9, 4, v6
	s_and_b32 s0, s0, 0x1fffe0
	v_cmp_neq_f64_e64 s37, s[26:27], 0
	v_lshlrev_b32_e32 v2, 4, v34
	v_add_nc_u32_e32 v12, s0, v9
	v_lshrrev_b32_e32 v4, 3, v0
	s_lshl_b32 s1, ttmp9, 5
	v_lshrrev_b32_e32 v36, 5, v0
	s_wait_alu 0xfffe
	s_ashr_i32 s36, s1, 31
	v_add_nc_u32_e32 v13, 16, v12
	v_add_nc_u32_e32 v16, s0, v4
	v_lshl_or_b32 v8, v4, 7, v2
	s_wait_kmcnt 0x0
	v_mad_co_u64_u32 v[4:5], null, s4, v12, 0
	v_and_b32_e32 v3, 31, v0
	v_mad_co_u64_u32 v[14:15], null, s4, v13, 0
	s_mul_i32 s38, s16, s36
	v_lshlrev_b32_e32 v35, 4, v6
	v_or_b32_e32 v0, s1, v3
	v_lshlrev_b32_e32 v7, 4, v3
	v_add_nc_u32_e32 v38, 0x1000, v8
	v_add_nc_u32_e32 v6, s1, v6
	v_cmp_gt_i32_e64 s1, s39, v12
	v_mul_lo_u32 v10, s17, v0
	v_mad_co_u64_u32 v[2:3], null, s16, v0, 0
	v_cmp_gt_i32_e64 s0, s39, v0
	v_cmp_le_i32_e64 s36, s39, v0
	v_mov_b32_e32 v0, v5
	v_lshl_or_b32 v37, v36, 9, v7
	v_cmp_gt_i64_e64 s41, s[8:9], 0
	v_cmp_gt_i32_e32 vcc_lo, s39, v16
	v_add3_u32 v3, v3, s38, v10
	v_mad_co_u64_u32 v[7:8], null, s5, v12, v[0:1]
	v_mov_b32_e32 v0, v15
	s_or_b32 s16, s3, s35
	s_xor_b32 s3, s2, -1
	v_cmp_le_i32_e64 s2, v6, v12
	v_add_nc_u32_e32 v8, 16, v6
	v_mad_co_u64_u32 v[10:11], null, s5, v13, v[0:1]
	v_mov_b32_e32 v5, v7
	s_or_b32 s37, s37, s3
	s_and_b32 s38, s1, s2
	v_cmp_le_i32_e64 s2, v8, v12
	v_cmp_gt_i32_e64 s3, s39, v13
	v_cmp_le_i32_e64 s4, v6, v13
	v_mov_b32_e32 v15, v10
	v_cmp_le_i32_e64 s5, v8, v13
	v_lshlrev_b64_e32 v[10:11], 4, v[2:3]
	v_lshlrev_b64_e32 v[12:13], 4, v[4:5]
	v_lshl_add_u32 v39, v9, 7, 0x1000
	v_lshlrev_b64_e32 v[14:15], 4, v[14:15]
	v_ashrrev_i32_e32 v7, 31, v6
	v_ashrrev_i32_e32 v9, 31, v8
	v_lshlrev_b32_e32 v40, 4, v16
	s_and_b32 s1, s1, s2
	s_and_b32 s39, s3, s4
	;; [unrolled: 1-line block ×3, first 2 shown]
	s_mov_b32 s35, 0
	s_wait_alu 0xfffe
	s_and_b32 s41, s16, s41
	s_lshl_b64 s[2:3], s[24:25], 4
	s_lshl_b64 s[4:5], s[18:19], 4
	s_xor_b32 s18, vcc_lo, -1
	s_lshl_b64 s[6:7], s[6:7], 4
                                        ; implicit-def: $vgpr16_vgpr17
	s_branch .LBB562_7
.LBB562_6:                              ;   in Loop: Header=BB562_7 Depth=1
	s_wait_alu 0xfffe
	s_or_b32 exec_lo, exec_lo, s16
	s_add_co_i32 s34, s34, 0x10000
	s_delay_alu instid0(SALU_CYCLE_1)
	s_cmp_lt_u32 s34, s33
	s_cbranch_scc0 .LBB562_42
.LBB562_7:                              ; =>This Loop Header: Depth=1
                                        ;     Child Loop BB562_10 Depth 2
	s_lshl_b64 s[16:17], s[34:35], 3
	v_mov_b32_e32 v30, 0
	s_wait_alu 0xfffe
	s_add_nc_u64 s[24:25], s[30:31], s[16:17]
	v_mov_b32_e32 v31, 0
	global_load_b64 v[4:5], v1, s[24:25]
	s_and_not1_b32 vcc_lo, exec_lo, s41
	s_wait_alu 0xfffe
	s_cbranch_vccnz .LBB562_20
; %bb.8:                                ;   in Loop: Header=BB562_7 Depth=1
	s_add_nc_u64 s[24:25], s[14:15], s[16:17]
	s_add_nc_u64 s[16:17], s[20:21], s[16:17]
	s_clause 0x1
	global_load_b64 v[2:3], v1, s[24:25]
	global_load_b64 v[41:42], v1, s[16:17]
	v_mov_b32_e32 v18, 0
	v_mov_b32_e32 v24, 0
	;; [unrolled: 1-line block ×3, first 2 shown]
	v_dual_mov_b32 v32, 0 :: v_dual_mov_b32 v19, 0
	v_dual_mov_b32 v20, 0 :: v_dual_mov_b32 v25, 0
	;; [unrolled: 1-line block ×5, first 2 shown]
	v_mov_b32_e32 v23, 0
	v_mov_b32_e32 v27, 0
	v_mov_b32_e32 v31, 0
	s_mov_b64 s[16:17], 0
	s_wait_loadcnt 0x1
	v_add_co_u32 v0, vcc_lo, v2, s4
	s_wait_alu 0xfffd
	v_add_co_ci_u32_e64 v2, null, s5, v3, vcc_lo
	s_wait_loadcnt 0x0
	v_add_co_u32 v3, vcc_lo, v41, s2
	s_wait_alu 0xfffd
	v_add_co_ci_u32_e64 v44, null, s3, v42, vcc_lo
	v_add_co_u32 v41, vcc_lo, v0, v10
	s_wait_alu 0xfffd
	v_add_co_ci_u32_e64 v42, null, v2, v11, vcc_lo
	;; [unrolled: 3-line block ×3, first 2 shown]
	s_branch .LBB562_10
.LBB562_9:                              ;   in Loop: Header=BB562_10 Depth=2
	s_or_b32 exec_lo, exec_lo, s19
	s_wait_dscnt 0x0
	s_barrier_signal -1
	s_barrier_wait -1
	global_inv scope:SCOPE_SE
	ds_load_b128 v[45:48], v39
	ds_load_b128 v[49:52], v35
	ds_load_b128 v[53:56], v35 offset:256
	ds_load_b128 v[57:60], v39 offset:2048
	;; [unrolled: 1-line block ×10, first 2 shown]
	s_add_nc_u64 s[16:17], s[16:17], 8
	s_wait_alu 0xfffe
	v_cmp_gt_i64_e64 s19, s[8:9], s[16:17]
	s_and_b32 vcc_lo, exec_lo, s19
	s_wait_dscnt 0xa
	v_mul_f64_e32 v[2:3], v[47:48], v[51:52]
	v_mul_f64_e32 v[93:94], v[45:46], v[51:52]
	s_wait_dscnt 0x9
	v_mul_f64_e32 v[95:96], v[47:48], v[55:56]
	v_mul_f64_e32 v[97:98], v[45:46], v[55:56]
	s_wait_dscnt 0x8
	v_mul_f64_e32 v[99:100], v[59:60], v[51:52]
	v_mul_f64_e32 v[51:52], v[57:58], v[51:52]
	v_mul_f64_e32 v[101:102], v[59:60], v[55:56]
	v_mul_f64_e32 v[55:56], v[57:58], v[55:56]
	s_wait_dscnt 0x5
	v_mul_f64_e32 v[103:104], v[63:64], v[71:72]
	v_mul_f64_e32 v[105:106], v[61:62], v[71:72]
	s_wait_dscnt 0x4
	v_mul_f64_e32 v[107:108], v[63:64], v[75:76]
	v_mul_f64_e32 v[109:110], v[61:62], v[75:76]
	;; [unrolled: 1-line block ×6, first 2 shown]
	s_wait_dscnt 0x2
	v_mul_f64_e32 v[119:120], v[79:80], v[83:84]
	v_mul_f64_e32 v[121:122], v[77:78], v[83:84]
	s_wait_dscnt 0x1
	v_mul_f64_e32 v[123:124], v[79:80], v[87:88]
	v_mul_f64_e32 v[125:126], v[77:78], v[87:88]
	;; [unrolled: 3-line block ×3, first 2 shown]
	v_mul_f64_e32 v[129:130], v[91:92], v[87:88]
	v_mul_f64_e32 v[87:88], v[89:90], v[87:88]
	v_fma_f64 v[2:3], v[45:46], v[49:50], -v[2:3]
	v_fma_f64 v[93:94], v[47:48], v[49:50], v[93:94]
	v_fma_f64 v[95:96], v[45:46], v[53:54], -v[95:96]
	v_fma_f64 v[97:98], v[47:48], v[53:54], v[97:98]
	;; [unrolled: 2-line block ×8, first 2 shown]
	ds_load_b128 v[45:48], v39 offset:48
	ds_load_b128 v[49:52], v35 offset:1536
	;; [unrolled: 1-line block ×4, first 2 shown]
	v_fma_f64 v[119:120], v[77:78], v[81:82], -v[119:120]
	v_fma_f64 v[121:122], v[79:80], v[81:82], v[121:122]
	v_fma_f64 v[77:78], v[77:78], v[85:86], -v[123:124]
	v_fma_f64 v[79:80], v[79:80], v[85:86], v[125:126]
	;; [unrolled: 2-line block ×4, first 2 shown]
	s_wait_dscnt 0x2
	v_mul_f64_e32 v[109:110], v[45:46], v[51:52]
	s_wait_dscnt 0x1
	v_mul_f64_e32 v[111:112], v[47:48], v[55:56]
	v_mul_f64_e32 v[113:114], v[45:46], v[55:56]
	v_add_f64_e32 v[2:3], v[30:31], v[2:3]
	v_add_f64_e32 v[71:72], v[93:94], v[32:33]
	;; [unrolled: 1-line block ×8, first 2 shown]
	v_mul_f64_e32 v[101:102], v[47:48], v[51:52]
	s_wait_dscnt 0x0
	v_mul_f64_e32 v[115:116], v[59:60], v[51:52]
	v_mul_f64_e32 v[51:52], v[57:58], v[51:52]
	;; [unrolled: 1-line block ×4, first 2 shown]
	ds_load_b128 v[18:21], v39 offset:64
	ds_load_b128 v[22:25], v35 offset:2048
	;; [unrolled: 1-line block ×4, first 2 shown]
	s_wait_dscnt 0x1
	v_mul_f64_e32 v[125:126], v[18:19], v[28:29]
	s_wait_dscnt 0x0
	v_mul_f64_e32 v[127:128], v[32:33], v[24:25]
	v_mul_f64_e32 v[129:130], v[32:33], v[28:29]
	v_fma_f64 v[109:110], v[47:48], v[49:50], v[109:110]
	v_fma_f64 v[111:112], v[45:46], v[53:54], -v[111:112]
	v_fma_f64 v[113:114], v[47:48], v[53:54], v[113:114]
	v_add_f64_e32 v[2:3], v[2:3], v[103:104]
	v_add_f64_e32 v[87:88], v[105:106], v[71:72]
	;; [unrolled: 1-line block ×8, first 2 shown]
	v_mul_f64_e32 v[103:104], v[20:21], v[24:25]
	v_mul_f64_e32 v[105:106], v[18:19], v[24:25]
	;; [unrolled: 1-line block ×5, first 2 shown]
	v_fma_f64 v[101:102], v[45:46], v[49:50], -v[101:102]
	v_fma_f64 v[115:116], v[57:58], v[49:50], -v[115:116]
	v_fma_f64 v[131:132], v[59:60], v[49:50], v[51:52]
	v_fma_f64 v[117:118], v[57:58], v[53:54], -v[117:118]
	v_fma_f64 v[133:134], v[59:60], v[53:54], v[55:56]
	ds_load_b128 v[61:64], v39 offset:80
	ds_load_b128 v[65:68], v35 offset:2560
	;; [unrolled: 1-line block ×8, first 2 shown]
	v_add_f64_e32 v[2:3], v[2:3], v[119:120]
	v_add_f64_e32 v[87:88], v[121:122], v[87:88]
	;; [unrolled: 1-line block ×8, first 2 shown]
	s_wait_dscnt 0x6
	v_mul_f64_e32 v[91:92], v[63:64], v[67:68]
	v_mul_f64_e32 v[93:94], v[61:62], v[67:68]
	s_wait_dscnt 0x5
	v_mul_f64_e32 v[95:96], v[63:64], v[71:72]
	v_mul_f64_e32 v[97:98], v[61:62], v[71:72]
	;; [unrolled: 3-line block ×3, first 2 shown]
	v_mul_f64_e32 v[119:120], v[75:76], v[71:72]
	v_mul_f64_e32 v[71:72], v[73:74], v[71:72]
	v_fma_f64 v[103:104], v[18:19], v[22:23], -v[103:104]
	v_fma_f64 v[105:106], v[20:21], v[22:23], v[105:106]
	v_fma_f64 v[107:108], v[18:19], v[26:27], -v[107:108]
	v_fma_f64 v[121:122], v[20:21], v[26:27], v[125:126]
	;; [unrolled: 2-line block ×4, first 2 shown]
	ds_load_b128 v[18:21], v39 offset:112
	ds_load_b128 v[22:25], v35 offset:3584
	;; [unrolled: 1-line block ×4, first 2 shown]
	s_wait_loadcnt_dscnt 0x0
	s_barrier_signal -1
	s_barrier_wait -1
	global_inv scope:SCOPE_SE
	v_add_f64_e32 v[2:3], v[2:3], v[101:102]
	v_add_f64_e32 v[87:88], v[109:110], v[87:88]
	;; [unrolled: 1-line block ×8, first 2 shown]
	v_mul_f64_e32 v[101:102], v[47:48], v[51:52]
	v_mul_f64_e32 v[109:110], v[45:46], v[51:52]
	;; [unrolled: 1-line block ×8, first 2 shown]
	v_fma_f64 v[91:92], v[61:62], v[65:66], -v[91:92]
	v_fma_f64 v[93:94], v[63:64], v[65:66], v[93:94]
	v_fma_f64 v[61:62], v[61:62], v[69:70], -v[95:96]
	v_fma_f64 v[63:64], v[63:64], v[69:70], v[97:98]
	;; [unrolled: 2-line block ×4, first 2 shown]
	v_mul_f64_e32 v[97:98], v[18:19], v[28:29]
	v_mul_f64_e32 v[99:100], v[32:33], v[24:25]
	v_add_f64_e32 v[2:3], v[2:3], v[103:104]
	v_add_f64_e32 v[71:72], v[105:106], v[87:88]
	;; [unrolled: 1-line block ×8, first 2 shown]
	v_mul_f64_e32 v[85:86], v[20:21], v[24:25]
	v_mul_f64_e32 v[87:88], v[18:19], v[24:25]
	;; [unrolled: 1-line block ×6, first 2 shown]
	v_fma_f64 v[101:102], v[45:46], v[49:50], -v[101:102]
	v_fma_f64 v[105:106], v[47:48], v[49:50], v[109:110]
	v_fma_f64 v[45:46], v[45:46], v[53:54], -v[111:112]
	v_fma_f64 v[47:48], v[47:48], v[53:54], v[113:114]
	;; [unrolled: 2-line block ×4, first 2 shown]
	v_add_f64_e32 v[2:3], v[2:3], v[91:92]
	v_add_f64_e32 v[55:56], v[93:94], v[71:72]
	;; [unrolled: 1-line block ×8, first 2 shown]
	v_fma_f64 v[69:70], v[18:19], v[22:23], -v[85:86]
	v_fma_f64 v[71:72], v[20:21], v[22:23], v[87:88]
	v_fma_f64 v[18:19], v[18:19], v[26:27], -v[89:90]
	v_fma_f64 v[20:21], v[20:21], v[26:27], v[97:98]
	;; [unrolled: 2-line block ×4, first 2 shown]
	v_add_f64_e32 v[2:3], v[2:3], v[101:102]
	v_add_f64_e32 v[22:23], v[105:106], v[55:56]
	v_add_f64_e32 v[26:27], v[57:58], v[45:46]
	v_add_f64_e32 v[28:29], v[47:48], v[59:60]
	v_add_f64_e32 v[45:46], v[61:62], v[107:108]
	v_add_f64_e32 v[47:48], v[49:50], v[63:64]
	v_add_f64_e32 v[49:50], v[65:66], v[51:52]
	v_add_f64_e32 v[51:52], v[53:54], v[67:68]
	v_add_f64_e32 v[30:31], v[2:3], v[69:70]
	v_add_f64_e32 v[32:33], v[71:72], v[22:23]
	v_add_f64_e32 v[26:27], v[26:27], v[18:19]
	v_add_f64_e32 v[28:29], v[20:21], v[28:29]
	v_add_f64_e32 v[22:23], v[45:46], v[73:74]
	v_add_f64_e32 v[24:25], v[24:25], v[47:48]
	v_add_f64_e32 v[20:21], v[49:50], v[75:76]
	v_add_f64_e32 v[18:19], v[77:78], v[51:52]
	s_wait_alu 0xfffe
	s_cbranch_vccz .LBB562_21
.LBB562_10:                             ;   Parent Loop BB562_7 Depth=1
                                        ; =>  This Inner Loop Header: Depth=2
	s_mov_b32 s19, 0
	s_mov_b32 s25, s36
	s_and_saveexec_b32 s24, s0
	s_cbranch_execnz .LBB562_18
; %bb.11:                               ;   in Loop: Header=BB562_10 Depth=2
	s_or_b32 exec_lo, exec_lo, s24
	s_and_saveexec_b32 s24, s25
	s_delay_alu instid0(SALU_CYCLE_1)
	s_xor_b32 s24, exec_lo, s24
	s_cbranch_execnz .LBB562_19
.LBB562_12:                             ;   in Loop: Header=BB562_10 Depth=2
	s_or_b32 exec_lo, exec_lo, s24
	s_and_saveexec_b32 s24, s19
	s_cbranch_execz .LBB562_14
.LBB562_13:                             ;   in Loop: Header=BB562_10 Depth=2
	v_lshlrev_b64_e32 v[2:3], 4, v[16:17]
	s_delay_alu instid0(VALU_DEP_1) | instskip(SKIP_1) | instid1(VALU_DEP_2)
	v_add_co_u32 v2, vcc_lo, v41, v2
	s_wait_alu 0xfffd
	v_add_co_ci_u32_e64 v3, null, v42, v3, vcc_lo
	flat_load_b128 v[45:48], v[2:3]
	s_wait_loadcnt_dscnt 0x0
	ds_store_2addr_b64 v37, v[45:46], v[47:48] offset1:1
.LBB562_14:                             ;   in Loop: Header=BB562_10 Depth=2
	s_or_b32 exec_lo, exec_lo, s24
	s_wait_alu 0xfffe
	v_add_nc_u32_e32 v0, s16, v34
	s_delay_alu instid0(VALU_DEP_1) | instskip(SKIP_1) | instid1(SALU_CYCLE_1)
	v_cmp_le_u64_e32 vcc_lo, s[8:9], v[0:1]
	s_or_b32 s19, vcc_lo, s18
	s_and_saveexec_b32 s24, s19
	s_delay_alu instid0(SALU_CYCLE_1)
	s_xor_b32 s19, exec_lo, s24
; %bb.15:                               ;   in Loop: Header=BB562_10 Depth=2
	v_dual_mov_b32 v0, v1 :: v_dual_mov_b32 v3, v1
	v_mov_b32_e32 v2, v1
	ds_store_b128 v38, v[0:3]
; %bb.16:                               ;   in Loop: Header=BB562_10 Depth=2
	s_and_not1_saveexec_b32 s19, s19
	s_cbranch_execz .LBB562_9
; %bb.17:                               ;   in Loop: Header=BB562_10 Depth=2
	v_mad_co_u64_u32 v[2:3], null, s22, v0, 0
	s_delay_alu instid0(VALU_DEP_1) | instskip(NEXT) | instid1(VALU_DEP_1)
	v_mad_co_u64_u32 v[45:46], null, s23, v0, v[3:4]
	v_mov_b32_e32 v3, v45
	s_delay_alu instid0(VALU_DEP_1) | instskip(NEXT) | instid1(VALU_DEP_1)
	v_lshlrev_b64_e32 v[2:3], 4, v[2:3]
	v_add_co_u32 v2, vcc_lo, v43, v2
	s_wait_alu 0xfffd
	s_delay_alu instid0(VALU_DEP_2)
	v_add_co_ci_u32_e64 v3, null, v44, v3, vcc_lo
	flat_load_b128 v[45:48], v[2:3]
	s_wait_loadcnt_dscnt 0x0
	ds_store_2addr_b64 v38, v[45:46], v[47:48] offset1:1
	s_branch .LBB562_9
.LBB562_18:                             ;   in Loop: Header=BB562_10 Depth=2
	s_wait_alu 0xfffe
	v_add_nc_u32_e32 v0, s16, v36
	v_mov_b32_e32 v17, v1
	s_and_not1_b32 s25, s36, exec_lo
	s_mov_b32 s19, exec_lo
	s_delay_alu instid0(VALU_DEP_2) | instskip(SKIP_2) | instid1(SALU_CYCLE_1)
	v_cmp_le_u64_e32 vcc_lo, s[8:9], v[0:1]
	v_mov_b32_e32 v16, v0
	s_and_b32 s42, vcc_lo, exec_lo
	s_or_b32 s25, s25, s42
	s_or_b32 exec_lo, exec_lo, s24
	s_and_saveexec_b32 s24, s25
	s_delay_alu instid0(SALU_CYCLE_1)
	s_xor_b32 s24, exec_lo, s24
	s_cbranch_execz .LBB562_12
.LBB562_19:                             ;   in Loop: Header=BB562_10 Depth=2
	v_dual_mov_b32 v0, v1 :: v_dual_mov_b32 v3, v1
	v_mov_b32_e32 v2, v1
	s_and_not1_b32 s19, s19, exec_lo
	ds_store_b128 v37, v[0:3]
	s_or_b32 exec_lo, exec_lo, s24
	s_and_saveexec_b32 s24, s19
	s_cbranch_execnz .LBB562_13
	s_branch .LBB562_14
.LBB562_20:                             ;   in Loop: Header=BB562_7 Depth=1
	v_mov_b32_e32 v32, 0
	v_mov_b32_e32 v28, 0
	v_dual_mov_b32 v24, 0 :: v_dual_mov_b32 v33, 0
	v_dual_mov_b32 v26, 0 :: v_dual_mov_b32 v29, 0
	;; [unrolled: 1-line block ×3, first 2 shown]
	v_mov_b32_e32 v20, 0
	v_dual_mov_b32 v18, 0 :: v_dual_mov_b32 v27, 0
	v_mov_b32_e32 v23, 0
	v_mov_b32_e32 v21, 0
	;; [unrolled: 1-line block ×3, first 2 shown]
.LBB562_21:                             ;   in Loop: Header=BB562_7 Depth=1
	s_wait_loadcnt 0x0
	v_add_co_u32 v0, vcc_lo, v4, s6
	s_wait_alu 0xfffd
	v_add_co_ci_u32_e64 v41, null, s7, v5, vcc_lo
	s_delay_alu instid0(VALU_DEP_2) | instskip(SKIP_1) | instid1(VALU_DEP_2)
	v_add_co_u32 v42, vcc_lo, v0, v12
	s_wait_alu 0xfffd
	v_add_co_ci_u32_e64 v43, null, v41, v13, vcc_lo
	s_and_saveexec_b32 s16, s38
	s_cbranch_execz .LBB562_26
; %bb.22:                               ;   in Loop: Header=BB562_7 Depth=1
	v_mul_f64_e32 v[2:3], s[12:13], v[32:33]
	v_mul_f64_e32 v[4:5], s[10:11], v[32:33]
	s_and_b32 vcc_lo, exec_lo, s37
	s_mov_b32 s17, -1
	s_delay_alu instid0(VALU_DEP_2) | instskip(NEXT) | instid1(VALU_DEP_2)
	v_fma_f64 v[2:3], s[10:11], v[30:31], -v[2:3]
	v_fma_f64 v[4:5], s[12:13], v[30:31], v[4:5]
	s_wait_alu 0xfffe
	s_cbranch_vccz .LBB562_24
; %bb.23:                               ;   in Loop: Header=BB562_7 Depth=1
	v_lshlrev_b64_e32 v[30:31], 4, v[6:7]
	s_mov_b32 s17, 0
	s_delay_alu instid0(VALU_DEP_1) | instskip(SKIP_1) | instid1(VALU_DEP_2)
	v_add_co_u32 v44, vcc_lo, v42, v30
	s_wait_alu 0xfffd
	v_add_co_ci_u32_e64 v45, null, v43, v31, vcc_lo
	flat_load_b128 v[30:33], v[44:45]
	s_wait_loadcnt_dscnt 0x0
	v_mul_f64_e32 v[46:47], s[28:29], v[32:33]
	v_mul_f64_e32 v[32:33], s[26:27], v[32:33]
	s_delay_alu instid0(VALU_DEP_2) | instskip(NEXT) | instid1(VALU_DEP_2)
	v_fma_f64 v[46:47], s[26:27], v[30:31], -v[46:47]
	v_fma_f64 v[32:33], s[28:29], v[30:31], v[32:33]
	s_delay_alu instid0(VALU_DEP_2) | instskip(NEXT) | instid1(VALU_DEP_2)
	v_add_f64_e32 v[30:31], v[2:3], v[46:47]
	v_add_f64_e32 v[32:33], v[4:5], v[32:33]
	flat_store_b128 v[44:45], v[30:33]
.LBB562_24:                             ;   in Loop: Header=BB562_7 Depth=1
	s_wait_alu 0xfffe
	s_and_not1_b32 vcc_lo, exec_lo, s17
	s_wait_alu 0xfffe
	s_cbranch_vccnz .LBB562_26
; %bb.25:                               ;   in Loop: Header=BB562_7 Depth=1
	v_lshlrev_b64_e32 v[30:31], 4, v[6:7]
	s_delay_alu instid0(VALU_DEP_1) | instskip(SKIP_1) | instid1(VALU_DEP_2)
	v_add_co_u32 v30, vcc_lo, v42, v30
	s_wait_alu 0xfffd
	v_add_co_ci_u32_e64 v31, null, v43, v31, vcc_lo
	flat_store_b128 v[30:31], v[2:5]
.LBB562_26:                             ;   in Loop: Header=BB562_7 Depth=1
	s_wait_alu 0xfffe
	s_or_b32 exec_lo, exec_lo, s16
	s_and_saveexec_b32 s16, s1
	s_cbranch_execz .LBB562_31
; %bb.27:                               ;   in Loop: Header=BB562_7 Depth=1
	v_mul_f64_e32 v[2:3], s[12:13], v[28:29]
	v_mul_f64_e32 v[4:5], s[10:11], v[28:29]
	s_and_not1_b32 vcc_lo, exec_lo, s37
	s_mov_b32 s17, -1
	s_delay_alu instid0(VALU_DEP_2) | instskip(NEXT) | instid1(VALU_DEP_2)
	v_fma_f64 v[2:3], s[10:11], v[26:27], -v[2:3]
	v_fma_f64 v[4:5], s[12:13], v[26:27], v[4:5]
	s_wait_alu 0xfffe
	s_cbranch_vccnz .LBB562_29
; %bb.28:                               ;   in Loop: Header=BB562_7 Depth=1
	v_lshlrev_b64_e32 v[26:27], 4, v[8:9]
	s_mov_b32 s17, 0
	s_delay_alu instid0(VALU_DEP_1) | instskip(SKIP_1) | instid1(VALU_DEP_2)
	v_add_co_u32 v30, vcc_lo, v42, v26
	s_wait_alu 0xfffd
	v_add_co_ci_u32_e64 v31, null, v43, v27, vcc_lo
	flat_load_b128 v[26:29], v[30:31]
	s_wait_loadcnt_dscnt 0x0
	v_mul_f64_e32 v[32:33], s[28:29], v[28:29]
	v_mul_f64_e32 v[28:29], s[26:27], v[28:29]
	s_delay_alu instid0(VALU_DEP_2) | instskip(NEXT) | instid1(VALU_DEP_2)
	v_fma_f64 v[32:33], s[26:27], v[26:27], -v[32:33]
	v_fma_f64 v[28:29], s[28:29], v[26:27], v[28:29]
	s_delay_alu instid0(VALU_DEP_2) | instskip(NEXT) | instid1(VALU_DEP_2)
	v_add_f64_e32 v[26:27], v[2:3], v[32:33]
	v_add_f64_e32 v[28:29], v[4:5], v[28:29]
	flat_store_b128 v[30:31], v[26:29]
.LBB562_29:                             ;   in Loop: Header=BB562_7 Depth=1
	s_wait_alu 0xfffe
	s_and_not1_b32 vcc_lo, exec_lo, s17
	s_wait_alu 0xfffe
	s_cbranch_vccnz .LBB562_31
; %bb.30:                               ;   in Loop: Header=BB562_7 Depth=1
	v_lshlrev_b64_e32 v[26:27], 4, v[8:9]
	s_delay_alu instid0(VALU_DEP_1) | instskip(SKIP_1) | instid1(VALU_DEP_2)
	v_add_co_u32 v26, vcc_lo, v42, v26
	s_wait_alu 0xfffd
	v_add_co_ci_u32_e64 v27, null, v43, v27, vcc_lo
	flat_store_b128 v[26:27], v[2:5]
.LBB562_31:                             ;   in Loop: Header=BB562_7 Depth=1
	s_wait_alu 0xfffe
	s_or_b32 exec_lo, exec_lo, s16
	v_add_co_u32 v0, vcc_lo, v0, v14
	s_wait_alu 0xfffd
	v_add_co_ci_u32_e64 v26, null, v41, v15, vcc_lo
	s_and_saveexec_b32 s16, s39
	s_cbranch_execz .LBB562_36
; %bb.32:                               ;   in Loop: Header=BB562_7 Depth=1
	v_mul_f64_e32 v[2:3], s[12:13], v[24:25]
	v_mul_f64_e32 v[4:5], s[10:11], v[24:25]
	s_and_not1_b32 vcc_lo, exec_lo, s37
	s_mov_b32 s17, -1
	s_delay_alu instid0(VALU_DEP_2) | instskip(NEXT) | instid1(VALU_DEP_2)
	v_fma_f64 v[2:3], s[10:11], v[22:23], -v[2:3]
	v_fma_f64 v[4:5], s[12:13], v[22:23], v[4:5]
	v_lshlrev_b64_e32 v[22:23], 4, v[6:7]
	s_wait_alu 0xfffe
	s_cbranch_vccnz .LBB562_34
; %bb.33:                               ;   in Loop: Header=BB562_7 Depth=1
	s_delay_alu instid0(VALU_DEP_1) | instskip(SKIP_1) | instid1(VALU_DEP_2)
	v_add_co_u32 v24, vcc_lo, v0, v22
	s_wait_alu 0xfffd
	v_add_co_ci_u32_e64 v25, null, v26, v23, vcc_lo
	s_mov_b32 s17, 0
	flat_load_b128 v[27:30], v[24:25]
	s_wait_loadcnt_dscnt 0x0
	v_mul_f64_e32 v[31:32], s[28:29], v[29:30]
	v_mul_f64_e32 v[29:30], s[26:27], v[29:30]
	s_delay_alu instid0(VALU_DEP_2) | instskip(NEXT) | instid1(VALU_DEP_2)
	v_fma_f64 v[31:32], s[26:27], v[27:28], -v[31:32]
	v_fma_f64 v[29:30], s[28:29], v[27:28], v[29:30]
	s_delay_alu instid0(VALU_DEP_2) | instskip(NEXT) | instid1(VALU_DEP_2)
	v_add_f64_e32 v[27:28], v[2:3], v[31:32]
	v_add_f64_e32 v[29:30], v[4:5], v[29:30]
	flat_store_b128 v[24:25], v[27:30]
.LBB562_34:                             ;   in Loop: Header=BB562_7 Depth=1
	s_wait_alu 0xfffe
	s_and_not1_b32 vcc_lo, exec_lo, s17
	s_wait_alu 0xfffe
	s_cbranch_vccnz .LBB562_36
; %bb.35:                               ;   in Loop: Header=BB562_7 Depth=1
	v_add_co_u32 v22, vcc_lo, v0, v22
	s_wait_alu 0xfffd
	v_add_co_ci_u32_e64 v23, null, v26, v23, vcc_lo
	flat_store_b128 v[22:23], v[2:5]
.LBB562_36:                             ;   in Loop: Header=BB562_7 Depth=1
	s_wait_alu 0xfffe
	s_or_b32 exec_lo, exec_lo, s16
	s_and_saveexec_b32 s16, s40
	s_cbranch_execz .LBB562_6
; %bb.37:                               ;   in Loop: Header=BB562_7 Depth=1
	v_mul_f64_e32 v[2:3], s[12:13], v[18:19]
	v_mul_f64_e32 v[4:5], s[10:11], v[18:19]
	v_lshlrev_b64_e32 v[18:19], 4, v[8:9]
	s_and_not1_b32 vcc_lo, exec_lo, s37
	s_mov_b32 s17, -1
	s_delay_alu instid0(VALU_DEP_3) | instskip(NEXT) | instid1(VALU_DEP_3)
	v_fma_f64 v[2:3], s[10:11], v[20:21], -v[2:3]
	v_fma_f64 v[4:5], s[12:13], v[20:21], v[4:5]
	s_wait_alu 0xfffe
	s_cbranch_vccnz .LBB562_39
; %bb.38:                               ;   in Loop: Header=BB562_7 Depth=1
	v_add_co_u32 v24, vcc_lo, v0, v18
	s_wait_alu 0xfffd
	v_add_co_ci_u32_e64 v25, null, v26, v19, vcc_lo
	s_mov_b32 s17, 0
	flat_load_b128 v[20:23], v[24:25]
	s_wait_loadcnt_dscnt 0x0
	v_mul_f64_e32 v[27:28], s[28:29], v[22:23]
	v_mul_f64_e32 v[22:23], s[26:27], v[22:23]
	s_delay_alu instid0(VALU_DEP_2) | instskip(NEXT) | instid1(VALU_DEP_2)
	v_fma_f64 v[27:28], s[26:27], v[20:21], -v[27:28]
	v_fma_f64 v[22:23], s[28:29], v[20:21], v[22:23]
	s_delay_alu instid0(VALU_DEP_2) | instskip(NEXT) | instid1(VALU_DEP_2)
	v_add_f64_e32 v[20:21], v[2:3], v[27:28]
	v_add_f64_e32 v[22:23], v[4:5], v[22:23]
	flat_store_b128 v[24:25], v[20:23]
.LBB562_39:                             ;   in Loop: Header=BB562_7 Depth=1
	s_wait_alu 0xfffe
	s_and_not1_b32 vcc_lo, exec_lo, s17
	s_wait_alu 0xfffe
	s_cbranch_vccnz .LBB562_6
; %bb.40:                               ;   in Loop: Header=BB562_7 Depth=1
	v_add_co_u32 v18, vcc_lo, v0, v18
	s_wait_alu 0xfffd
	v_add_co_ci_u32_e64 v19, null, v26, v19, vcc_lo
	flat_store_b128 v[18:19], v[2:5]
	s_branch .LBB562_6
.LBB562_41:
.LBB562_42:
	s_nop 0
	s_sendmsg sendmsg(MSG_DEALLOC_VGPRS)
	s_endpgm
	.section	.rodata,"a",@progbits
	.p2align	6, 0x0
	.amdhsa_kernel _ZL29rocblas_internal_gemmt_kernelIlLi16ELi32ELi8ELc84ELc84ELc85ELb0ELb0E19rocblas_complex_numIdES1_PKPKS1_PKPS1_EviT_T9_T10_S9_lSB_S9_lSA_T11_S9_li
		.amdhsa_group_segment_fixed_size 8192
		.amdhsa_private_segment_fixed_size 0
		.amdhsa_kernarg_size 124
		.amdhsa_user_sgpr_count 2
		.amdhsa_user_sgpr_dispatch_ptr 0
		.amdhsa_user_sgpr_queue_ptr 0
		.amdhsa_user_sgpr_kernarg_segment_ptr 1
		.amdhsa_user_sgpr_dispatch_id 0
		.amdhsa_user_sgpr_private_segment_size 0
		.amdhsa_wavefront_size32 1
		.amdhsa_uses_dynamic_stack 0
		.amdhsa_enable_private_segment 0
		.amdhsa_system_sgpr_workgroup_id_x 1
		.amdhsa_system_sgpr_workgroup_id_y 1
		.amdhsa_system_sgpr_workgroup_id_z 1
		.amdhsa_system_sgpr_workgroup_info 0
		.amdhsa_system_vgpr_workitem_id 1
		.amdhsa_next_free_vgpr 135
		.amdhsa_next_free_sgpr 43
		.amdhsa_reserve_vcc 1
		.amdhsa_float_round_mode_32 0
		.amdhsa_float_round_mode_16_64 0
		.amdhsa_float_denorm_mode_32 3
		.amdhsa_float_denorm_mode_16_64 3
		.amdhsa_fp16_overflow 0
		.amdhsa_workgroup_processor_mode 1
		.amdhsa_memory_ordered 1
		.amdhsa_forward_progress 1
		.amdhsa_inst_pref_size 28
		.amdhsa_round_robin_scheduling 0
		.amdhsa_exception_fp_ieee_invalid_op 0
		.amdhsa_exception_fp_denorm_src 0
		.amdhsa_exception_fp_ieee_div_zero 0
		.amdhsa_exception_fp_ieee_overflow 0
		.amdhsa_exception_fp_ieee_underflow 0
		.amdhsa_exception_fp_ieee_inexact 0
		.amdhsa_exception_int_div_zero 0
	.end_amdhsa_kernel
	.section	.text._ZL29rocblas_internal_gemmt_kernelIlLi16ELi32ELi8ELc84ELc84ELc85ELb0ELb0E19rocblas_complex_numIdES1_PKPKS1_PKPS1_EviT_T9_T10_S9_lSB_S9_lSA_T11_S9_li,"axG",@progbits,_ZL29rocblas_internal_gemmt_kernelIlLi16ELi32ELi8ELc84ELc84ELc85ELb0ELb0E19rocblas_complex_numIdES1_PKPKS1_PKPS1_EviT_T9_T10_S9_lSB_S9_lSA_T11_S9_li,comdat
.Lfunc_end562:
	.size	_ZL29rocblas_internal_gemmt_kernelIlLi16ELi32ELi8ELc84ELc84ELc85ELb0ELb0E19rocblas_complex_numIdES1_PKPKS1_PKPS1_EviT_T9_T10_S9_lSB_S9_lSA_T11_S9_li, .Lfunc_end562-_ZL29rocblas_internal_gemmt_kernelIlLi16ELi32ELi8ELc84ELc84ELc85ELb0ELb0E19rocblas_complex_numIdES1_PKPKS1_PKPS1_EviT_T9_T10_S9_lSB_S9_lSA_T11_S9_li
                                        ; -- End function
	.set _ZL29rocblas_internal_gemmt_kernelIlLi16ELi32ELi8ELc84ELc84ELc85ELb0ELb0E19rocblas_complex_numIdES1_PKPKS1_PKPS1_EviT_T9_T10_S9_lSB_S9_lSA_T11_S9_li.num_vgpr, 135
	.set _ZL29rocblas_internal_gemmt_kernelIlLi16ELi32ELi8ELc84ELc84ELc85ELb0ELb0E19rocblas_complex_numIdES1_PKPKS1_PKPS1_EviT_T9_T10_S9_lSB_S9_lSA_T11_S9_li.num_agpr, 0
	.set _ZL29rocblas_internal_gemmt_kernelIlLi16ELi32ELi8ELc84ELc84ELc85ELb0ELb0E19rocblas_complex_numIdES1_PKPKS1_PKPS1_EviT_T9_T10_S9_lSB_S9_lSA_T11_S9_li.numbered_sgpr, 43
	.set _ZL29rocblas_internal_gemmt_kernelIlLi16ELi32ELi8ELc84ELc84ELc85ELb0ELb0E19rocblas_complex_numIdES1_PKPKS1_PKPS1_EviT_T9_T10_S9_lSB_S9_lSA_T11_S9_li.num_named_barrier, 0
	.set _ZL29rocblas_internal_gemmt_kernelIlLi16ELi32ELi8ELc84ELc84ELc85ELb0ELb0E19rocblas_complex_numIdES1_PKPKS1_PKPS1_EviT_T9_T10_S9_lSB_S9_lSA_T11_S9_li.private_seg_size, 0
	.set _ZL29rocblas_internal_gemmt_kernelIlLi16ELi32ELi8ELc84ELc84ELc85ELb0ELb0E19rocblas_complex_numIdES1_PKPKS1_PKPS1_EviT_T9_T10_S9_lSB_S9_lSA_T11_S9_li.uses_vcc, 1
	.set _ZL29rocblas_internal_gemmt_kernelIlLi16ELi32ELi8ELc84ELc84ELc85ELb0ELb0E19rocblas_complex_numIdES1_PKPKS1_PKPS1_EviT_T9_T10_S9_lSB_S9_lSA_T11_S9_li.uses_flat_scratch, 0
	.set _ZL29rocblas_internal_gemmt_kernelIlLi16ELi32ELi8ELc84ELc84ELc85ELb0ELb0E19rocblas_complex_numIdES1_PKPKS1_PKPS1_EviT_T9_T10_S9_lSB_S9_lSA_T11_S9_li.has_dyn_sized_stack, 0
	.set _ZL29rocblas_internal_gemmt_kernelIlLi16ELi32ELi8ELc84ELc84ELc85ELb0ELb0E19rocblas_complex_numIdES1_PKPKS1_PKPS1_EviT_T9_T10_S9_lSB_S9_lSA_T11_S9_li.has_recursion, 0
	.set _ZL29rocblas_internal_gemmt_kernelIlLi16ELi32ELi8ELc84ELc84ELc85ELb0ELb0E19rocblas_complex_numIdES1_PKPKS1_PKPS1_EviT_T9_T10_S9_lSB_S9_lSA_T11_S9_li.has_indirect_call, 0
	.section	.AMDGPU.csdata,"",@progbits
; Kernel info:
; codeLenInByte = 3564
; TotalNumSgprs: 45
; NumVgprs: 135
; ScratchSize: 0
; MemoryBound: 0
; FloatMode: 240
; IeeeMode: 1
; LDSByteSize: 8192 bytes/workgroup (compile time only)
; SGPRBlocks: 0
; VGPRBlocks: 16
; NumSGPRsForWavesPerEU: 45
; NumVGPRsForWavesPerEU: 135
; Occupancy: 10
; WaveLimiterHint : 1
; COMPUTE_PGM_RSRC2:SCRATCH_EN: 0
; COMPUTE_PGM_RSRC2:USER_SGPR: 2
; COMPUTE_PGM_RSRC2:TRAP_HANDLER: 0
; COMPUTE_PGM_RSRC2:TGID_X_EN: 1
; COMPUTE_PGM_RSRC2:TGID_Y_EN: 1
; COMPUTE_PGM_RSRC2:TGID_Z_EN: 1
; COMPUTE_PGM_RSRC2:TIDIG_COMP_CNT: 1
	.section	.text._ZL29rocblas_internal_gemmt_kernelIlLi16ELi32ELi8ELc84ELc67ELc85ELb0ELb1E19rocblas_complex_numIdES1_PKPKS1_PKPS1_EviT_T9_T10_S9_lSB_S9_lSA_T11_S9_li,"axG",@progbits,_ZL29rocblas_internal_gemmt_kernelIlLi16ELi32ELi8ELc84ELc67ELc85ELb0ELb1E19rocblas_complex_numIdES1_PKPKS1_PKPS1_EviT_T9_T10_S9_lSB_S9_lSA_T11_S9_li,comdat
	.globl	_ZL29rocblas_internal_gemmt_kernelIlLi16ELi32ELi8ELc84ELc67ELc85ELb0ELb1E19rocblas_complex_numIdES1_PKPKS1_PKPS1_EviT_T9_T10_S9_lSB_S9_lSA_T11_S9_li ; -- Begin function _ZL29rocblas_internal_gemmt_kernelIlLi16ELi32ELi8ELc84ELc67ELc85ELb0ELb1E19rocblas_complex_numIdES1_PKPKS1_PKPS1_EviT_T9_T10_S9_lSB_S9_lSA_T11_S9_li
	.p2align	8
	.type	_ZL29rocblas_internal_gemmt_kernelIlLi16ELi32ELi8ELc84ELc67ELc85ELb0ELb1E19rocblas_complex_numIdES1_PKPKS1_PKPS1_EviT_T9_T10_S9_lSB_S9_lSA_T11_S9_li,@function
_ZL29rocblas_internal_gemmt_kernelIlLi16ELi32ELi8ELc84ELc67ELc85ELb0ELb1E19rocblas_complex_numIdES1_PKPKS1_PKPS1_EviT_T9_T10_S9_lSB_S9_lSA_T11_S9_li: ; @_ZL29rocblas_internal_gemmt_kernelIlLi16ELi32ELi8ELc84ELc67ELc85ELb0ELb1E19rocblas_complex_numIdES1_PKPKS1_PKPS1_EviT_T9_T10_S9_lSB_S9_lSA_T11_S9_li
; %bb.0:
	s_clause 0x1
	s_load_b256 s[24:31], s[0:1], 0x48
	s_load_b512 s[8:23], s[0:1], 0x8
	s_wait_kmcnt 0x0
	v_cmp_eq_f64_e64 s3, s[26:27], 1.0
	v_cmp_eq_f64_e64 s2, s[28:29], 0
	s_and_b32 s3, s3, s2
	s_delay_alu instid0(SALU_CYCLE_1)
	s_and_not1_b32 vcc_lo, exec_lo, s3
	s_mov_b32 s3, -1
	s_cbranch_vccnz .LBB563_3
; %bb.1:
	s_cmp_lg_u64 s[8:9], 0
	s_cbranch_scc0 .LBB563_39
; %bb.2:
	v_cmp_neq_f64_e64 s3, s[10:11], 0
	v_cmp_neq_f64_e64 s4, s[12:13], 0
	s_or_b32 s3, s3, s4
.LBB563_3:
	s_delay_alu instid0(SALU_CYCLE_1)
	s_and_b32 vcc_lo, exec_lo, s3
	s_cbranch_vccz .LBB563_40
; %bb.4:
	s_load_b32 s33, s[0:1], 0x78
	s_lshr_b32 s34, ttmp7, 16
	s_wait_kmcnt 0x0
	s_cmp_ge_u32 s34, s33
	s_cbranch_scc1 .LBB563_40
; %bb.5:
	s_clause 0x1
	s_load_b128 s[4:7], s[0:1], 0x68
	s_load_b32 s39, s[0:1], 0x0
	v_dual_mov_b32 v1, 0 :: v_dual_and_b32 v6, 0x3ff, v0
	v_bfe_u32 v9, v0, 10, 10
	v_cmp_neq_f64_e64 s3, s[10:11], 0
	v_cmp_neq_f64_e64 s35, s[12:13], 0
	v_and_b32_e32 v36, 7, v0
	s_lshl_b32 s0, ttmp7, 5
	v_lshl_add_u32 v0, v9, 4, v6
	s_and_b32 s0, s0, 0x1fffe0
	v_cmp_neq_f64_e64 s38, s[26:27], 0
	v_lshlrev_b32_e32 v2, 4, v36
	v_add_nc_u32_e32 v12, s0, v9
	v_lshrrev_b32_e32 v4, 3, v0
	s_lshl_b32 s37, ttmp9, 5
	v_lshrrev_b32_e32 v38, 5, v0
	s_ashr_i32 s1, s37, 31
	v_add_nc_u32_e32 v13, 16, v12
	v_add_nc_u32_e32 v16, s0, v4
	v_lshl_or_b32 v8, v4, 7, v2
	s_wait_kmcnt 0x0
	v_mad_co_u64_u32 v[4:5], null, s4, v12, 0
	v_and_b32_e32 v3, 31, v0
	v_mad_co_u64_u32 v[14:15], null, s4, v13, 0
	v_lshlrev_b32_e32 v37, 4, v6
	v_add_nc_u32_e32 v40, 0x1000, v8
	s_delay_alu instid0(VALU_DEP_4)
	v_or_b32_e32 v0, s37, v3
	v_lshlrev_b32_e32 v7, 4, v3
	s_wait_alu 0xfffe
	s_mul_i32 s40, s16, s1
	v_add_nc_u32_e32 v6, s37, v6
	v_cmp_gt_i32_e32 vcc_lo, s39, v12
	v_mul_lo_u32 v10, s17, v0
	v_mad_co_u64_u32 v[2:3], null, s16, v0, 0
	v_cmp_gt_i32_e64 s0, s39, v0
	v_cmp_le_i32_e64 s36, s39, v0
	v_mov_b32_e32 v0, v5
	v_lshl_or_b32 v39, v38, 9, v7
	v_cmp_gt_i64_e64 s42, s[8:9], 0
	v_cmp_le_i32_e64 s4, v6, v13
	v_add3_u32 v3, v3, s40, v10
	v_mad_co_u64_u32 v[7:8], null, s5, v12, v[0:1]
	v_mov_b32_e32 v0, v15
	s_or_b32 s16, s3, s35
	s_xor_b32 s3, s2, -1
	v_cmp_le_i32_e64 s2, v6, v12
	v_add_nc_u32_e32 v8, 16, v6
	v_mad_co_u64_u32 v[10:11], null, s5, v13, v[0:1]
	v_mov_b32_e32 v5, v7
	s_or_b32 s37, s38, s3
	s_and_b32 s38, vcc_lo, s2
	v_cmp_le_i32_e64 s2, v8, v12
	v_cmp_gt_i32_e64 s3, s39, v13
	v_cmp_le_i32_e64 s5, v8, v13
	v_mov_b32_e32 v15, v10
	v_lshlrev_b64_e32 v[10:11], 4, v[2:3]
	v_lshlrev_b64_e32 v[12:13], 4, v[4:5]
	v_cmp_gt_i32_e64 s1, s39, v16
	v_lshl_add_u32 v41, v9, 7, 0x1000
	v_lshlrev_b64_e32 v[14:15], 4, v[14:15]
	v_ashrrev_i32_e32 v7, 31, v6
	v_ashrrev_i32_e32 v9, 31, v8
	v_lshlrev_b32_e32 v42, 4, v16
	s_and_b32 s39, vcc_lo, s2
	s_and_b32 s40, s3, s4
	s_and_b32 s41, s3, s5
	s_mov_b32 s35, 0
	s_wait_alu 0xfffe
	s_and_b32 s42, s16, s42
	s_lshl_b64 s[2:3], s[24:25], 4
	s_lshl_b64 s[4:5], s[18:19], 4
	;; [unrolled: 1-line block ×3, first 2 shown]
                                        ; implicit-def: $vgpr16_vgpr17
	s_branch .LBB563_7
.LBB563_6:                              ;   in Loop: Header=BB563_7 Depth=1
	s_wait_alu 0xfffe
	s_or_b32 exec_lo, exec_lo, s16
	s_add_co_i32 s34, s34, 0x10000
	s_delay_alu instid0(SALU_CYCLE_1)
	s_cmp_lt_u32 s34, s33
	s_cbranch_scc0 .LBB563_40
.LBB563_7:                              ; =>This Loop Header: Depth=1
                                        ;     Child Loop BB563_10 Depth 2
	s_lshl_b64 s[16:17], s[34:35], 3
	v_mov_b32_e32 v32, 0
	s_wait_alu 0xfffe
	s_add_nc_u64 s[18:19], s[30:31], s[16:17]
	v_mov_b32_e32 v33, 0
	global_load_b64 v[18:19], v1, s[18:19]
	s_and_not1_b32 vcc_lo, exec_lo, s42
	s_wait_alu 0xfffe
	s_cbranch_vccnz .LBB563_18
; %bb.8:                                ;   in Loop: Header=BB563_7 Depth=1
	s_add_nc_u64 s[18:19], s[14:15], s[16:17]
	s_add_nc_u64 s[16:17], s[20:21], s[16:17]
	s_clause 0x1
	global_load_b64 v[2:3], v1, s[18:19]
	global_load_b64 v[4:5], v1, s[16:17]
	v_mov_b32_e32 v20, 0
	v_mov_b32_e32 v26, 0
	v_mov_b32_e32 v30, 0
	v_dual_mov_b32 v34, 0 :: v_dual_mov_b32 v21, 0
	v_dual_mov_b32 v22, 0 :: v_dual_mov_b32 v27, 0
	;; [unrolled: 1-line block ×5, first 2 shown]
	v_mov_b32_e32 v25, 0
	v_mov_b32_e32 v29, 0
	;; [unrolled: 1-line block ×3, first 2 shown]
	s_mov_b64 s[16:17], 0
	s_wait_loadcnt 0x1
	v_add_co_u32 v0, vcc_lo, v2, s4
	s_wait_alu 0xfffd
	v_add_co_ci_u32_e64 v2, null, s5, v3, vcc_lo
	s_wait_loadcnt 0x0
	v_add_co_u32 v3, vcc_lo, v4, s2
	s_wait_alu 0xfffd
	v_add_co_ci_u32_e64 v4, null, s3, v5, vcc_lo
	v_add_co_u32 v43, vcc_lo, v0, v10
	s_wait_alu 0xfffd
	v_add_co_ci_u32_e64 v44, null, v2, v11, vcc_lo
	v_add_co_u32 v45, vcc_lo, v3, v42
	s_wait_alu 0xfffd
	v_add_co_ci_u32_e64 v46, null, 0, v4, vcc_lo
	s_branch .LBB563_10
.LBB563_9:                              ;   in Loop: Header=BB563_10 Depth=2
	s_or_b32 exec_lo, exec_lo, s18
	ds_store_b128 v40, v[2:5]
	s_wait_dscnt 0x0
	s_barrier_signal -1
	s_barrier_wait -1
	global_inv scope:SCOPE_SE
	ds_load_b128 v[2:5], v41
	ds_load_b128 v[47:50], v37
	ds_load_b128 v[51:54], v37 offset:256
	ds_load_b128 v[55:58], v41 offset:2048
	;; [unrolled: 1-line block ×10, first 2 shown]
	s_add_nc_u64 s[16:17], s[16:17], 8
	s_wait_alu 0xfffe
	v_cmp_gt_i64_e64 s18, s[8:9], s[16:17]
	s_and_b32 vcc_lo, exec_lo, s18
	s_wait_dscnt 0xa
	v_mul_f64_e32 v[91:92], v[4:5], v[49:50]
	v_mul_f64_e32 v[93:94], v[2:3], v[49:50]
	s_wait_dscnt 0x9
	v_mul_f64_e32 v[95:96], v[4:5], v[53:54]
	v_mul_f64_e32 v[97:98], v[2:3], v[53:54]
	;; [unrolled: 3-line block ×3, first 2 shown]
	v_mul_f64_e32 v[101:102], v[57:58], v[53:54]
	v_mul_f64_e32 v[53:54], v[55:56], v[53:54]
	s_wait_dscnt 0x5
	v_mul_f64_e32 v[103:104], v[61:62], v[69:70]
	v_mul_f64_e32 v[105:106], v[59:60], v[69:70]
	s_wait_dscnt 0x4
	v_mul_f64_e32 v[107:108], v[61:62], v[73:74]
	v_mul_f64_e32 v[109:110], v[59:60], v[73:74]
	v_mul_f64_e32 v[111:112], v[65:66], v[69:70]
	v_mul_f64_e32 v[69:70], v[63:64], v[69:70]
	v_mul_f64_e32 v[113:114], v[65:66], v[73:74]
	v_mul_f64_e32 v[73:74], v[63:64], v[73:74]
	s_wait_dscnt 0x2
	v_mul_f64_e32 v[119:120], v[77:78], v[81:82]
	v_mul_f64_e32 v[121:122], v[75:76], v[81:82]
	s_wait_dscnt 0x1
	v_mul_f64_e32 v[123:124], v[77:78], v[85:86]
	v_mul_f64_e32 v[125:126], v[75:76], v[85:86]
	;; [unrolled: 3-line block ×3, first 2 shown]
	v_mul_f64_e32 v[129:130], v[89:90], v[85:86]
	v_mul_f64_e32 v[85:86], v[87:88], v[85:86]
	v_fma_f64 v[91:92], v[2:3], v[47:48], -v[91:92]
	v_fma_f64 v[93:94], v[4:5], v[47:48], v[93:94]
	v_fma_f64 v[95:96], v[2:3], v[51:52], -v[95:96]
	v_fma_f64 v[97:98], v[4:5], v[51:52], v[97:98]
	;; [unrolled: 2-line block ×8, first 2 shown]
	ds_load_b128 v[2:5], v41 offset:48
	ds_load_b128 v[47:50], v37 offset:1536
	;; [unrolled: 1-line block ×4, first 2 shown]
	v_fma_f64 v[119:120], v[75:76], v[79:80], -v[119:120]
	v_fma_f64 v[121:122], v[77:78], v[79:80], v[121:122]
	v_fma_f64 v[75:76], v[75:76], v[83:84], -v[123:124]
	v_fma_f64 v[77:78], v[77:78], v[83:84], v[125:126]
	;; [unrolled: 2-line block ×4, first 2 shown]
	s_wait_dscnt 0x2
	v_mul_f64_e32 v[109:110], v[2:3], v[49:50]
	s_wait_dscnt 0x1
	v_mul_f64_e32 v[111:112], v[4:5], v[53:54]
	v_mul_f64_e32 v[113:114], v[2:3], v[53:54]
	v_add_f64_e32 v[69:70], v[32:33], v[91:92]
	v_add_f64_e32 v[71:72], v[93:94], v[34:35]
	;; [unrolled: 1-line block ×8, first 2 shown]
	v_mul_f64_e32 v[101:102], v[4:5], v[49:50]
	s_wait_dscnt 0x0
	v_mul_f64_e32 v[115:116], v[57:58], v[49:50]
	v_mul_f64_e32 v[49:50], v[55:56], v[49:50]
	;; [unrolled: 1-line block ×4, first 2 shown]
	ds_load_b128 v[20:23], v41 offset:64
	ds_load_b128 v[24:27], v37 offset:2048
	;; [unrolled: 1-line block ×4, first 2 shown]
	s_wait_dscnt 0x1
	v_mul_f64_e32 v[125:126], v[20:21], v[30:31]
	s_wait_dscnt 0x0
	v_mul_f64_e32 v[127:128], v[34:35], v[26:27]
	v_mul_f64_e32 v[129:130], v[34:35], v[30:31]
	v_fma_f64 v[109:110], v[4:5], v[47:48], v[109:110]
	v_fma_f64 v[111:112], v[2:3], v[51:52], -v[111:112]
	v_fma_f64 v[113:114], v[4:5], v[51:52], v[113:114]
	v_add_f64_e32 v[85:86], v[69:70], v[103:104]
	v_add_f64_e32 v[87:88], v[105:106], v[71:72]
	;; [unrolled: 1-line block ×8, first 2 shown]
	v_mul_f64_e32 v[103:104], v[22:23], v[26:27]
	v_mul_f64_e32 v[105:106], v[20:21], v[26:27]
	;; [unrolled: 1-line block ×5, first 2 shown]
	v_fma_f64 v[101:102], v[2:3], v[47:48], -v[101:102]
	v_fma_f64 v[115:116], v[55:56], v[47:48], -v[115:116]
	v_fma_f64 v[131:132], v[57:58], v[47:48], v[49:50]
	v_fma_f64 v[117:118], v[55:56], v[51:52], -v[117:118]
	v_fma_f64 v[133:134], v[57:58], v[51:52], v[53:54]
	ds_load_b128 v[59:62], v41 offset:80
	ds_load_b128 v[63:66], v37 offset:2560
	;; [unrolled: 1-line block ×8, first 2 shown]
	v_add_f64_e32 v[85:86], v[85:86], v[119:120]
	v_add_f64_e32 v[87:88], v[121:122], v[87:88]
	;; [unrolled: 1-line block ×8, first 2 shown]
	s_wait_dscnt 0x6
	v_mul_f64_e32 v[91:92], v[61:62], v[65:66]
	v_mul_f64_e32 v[93:94], v[59:60], v[65:66]
	s_wait_dscnt 0x5
	v_mul_f64_e32 v[95:96], v[61:62], v[69:70]
	v_mul_f64_e32 v[97:98], v[59:60], v[69:70]
	;; [unrolled: 3-line block ×3, first 2 shown]
	v_mul_f64_e32 v[119:120], v[73:74], v[69:70]
	v_mul_f64_e32 v[69:70], v[71:72], v[69:70]
	v_fma_f64 v[103:104], v[20:21], v[24:25], -v[103:104]
	v_fma_f64 v[105:106], v[22:23], v[24:25], v[105:106]
	v_fma_f64 v[107:108], v[20:21], v[28:29], -v[107:108]
	v_fma_f64 v[121:122], v[22:23], v[28:29], v[125:126]
	;; [unrolled: 2-line block ×4, first 2 shown]
	ds_load_b128 v[20:23], v41 offset:112
	ds_load_b128 v[24:27], v37 offset:3584
	;; [unrolled: 1-line block ×4, first 2 shown]
	s_wait_loadcnt_dscnt 0x0
	s_barrier_signal -1
	s_barrier_wait -1
	global_inv scope:SCOPE_SE
	v_add_f64_e32 v[85:86], v[85:86], v[101:102]
	v_add_f64_e32 v[87:88], v[109:110], v[87:88]
	;; [unrolled: 1-line block ×8, first 2 shown]
	v_mul_f64_e32 v[101:102], v[4:5], v[49:50]
	v_mul_f64_e32 v[109:110], v[2:3], v[49:50]
	;; [unrolled: 1-line block ×8, first 2 shown]
	v_fma_f64 v[91:92], v[59:60], v[63:64], -v[91:92]
	v_fma_f64 v[93:94], v[61:62], v[63:64], v[93:94]
	v_fma_f64 v[59:60], v[59:60], v[67:68], -v[95:96]
	v_fma_f64 v[61:62], v[61:62], v[67:68], v[97:98]
	;; [unrolled: 2-line block ×4, first 2 shown]
	v_mul_f64_e32 v[97:98], v[20:21], v[30:31]
	v_mul_f64_e32 v[99:100], v[34:35], v[26:27]
	v_add_f64_e32 v[69:70], v[85:86], v[103:104]
	v_add_f64_e32 v[71:72], v[105:106], v[87:88]
	;; [unrolled: 1-line block ×8, first 2 shown]
	v_mul_f64_e32 v[85:86], v[22:23], v[26:27]
	v_mul_f64_e32 v[87:88], v[20:21], v[26:27]
	;; [unrolled: 1-line block ×6, first 2 shown]
	v_fma_f64 v[101:102], v[2:3], v[47:48], -v[101:102]
	v_fma_f64 v[105:106], v[4:5], v[47:48], v[109:110]
	v_fma_f64 v[2:3], v[2:3], v[51:52], -v[111:112]
	v_fma_f64 v[4:5], v[4:5], v[51:52], v[113:114]
	;; [unrolled: 2-line block ×4, first 2 shown]
	v_add_f64_e32 v[53:54], v[69:70], v[91:92]
	v_add_f64_e32 v[55:56], v[93:94], v[71:72]
	;; [unrolled: 1-line block ×8, first 2 shown]
	v_fma_f64 v[69:70], v[20:21], v[24:25], -v[85:86]
	v_fma_f64 v[71:72], v[22:23], v[24:25], v[87:88]
	v_fma_f64 v[20:21], v[20:21], v[28:29], -v[89:90]
	v_fma_f64 v[22:23], v[22:23], v[28:29], v[97:98]
	;; [unrolled: 2-line block ×4, first 2 shown]
	v_add_f64_e32 v[24:25], v[53:54], v[101:102]
	v_add_f64_e32 v[28:29], v[105:106], v[55:56]
	;; [unrolled: 1-line block ×16, first 2 shown]
	s_wait_alu 0xfffe
	s_cbranch_vccz .LBB563_19
.LBB563_10:                             ;   Parent Loop BB563_7 Depth=1
                                        ; =>  This Inner Loop Header: Depth=2
	s_mov_b32 s18, 0
	s_mov_b32 s24, s36
	s_and_saveexec_b32 s19, s0
	s_cbranch_execnz .LBB563_16
; %bb.11:                               ;   in Loop: Header=BB563_10 Depth=2
	s_or_b32 exec_lo, exec_lo, s19
	s_and_saveexec_b32 s19, s24
	s_delay_alu instid0(SALU_CYCLE_1)
	s_xor_b32 s19, exec_lo, s19
	s_cbranch_execnz .LBB563_17
.LBB563_12:                             ;   in Loop: Header=BB563_10 Depth=2
	s_or_b32 exec_lo, exec_lo, s19
	s_and_saveexec_b32 s19, s18
	s_cbranch_execz .LBB563_14
.LBB563_13:                             ;   in Loop: Header=BB563_10 Depth=2
	v_lshlrev_b64_e32 v[2:3], 4, v[16:17]
	s_delay_alu instid0(VALU_DEP_1) | instskip(SKIP_1) | instid1(VALU_DEP_2)
	v_add_co_u32 v2, vcc_lo, v43, v2
	s_wait_alu 0xfffd
	v_add_co_ci_u32_e64 v3, null, v44, v3, vcc_lo
	flat_load_b128 v[2:5], v[2:3]
	s_wait_loadcnt_dscnt 0x0
	ds_store_2addr_b64 v39, v[2:3], v[4:5] offset1:1
.LBB563_14:                             ;   in Loop: Header=BB563_10 Depth=2
	s_or_b32 exec_lo, exec_lo, s19
	s_wait_alu 0xfffe
	v_add_nc_u32_e32 v0, s16, v36
	v_mov_b32_e32 v2, 0
	v_dual_mov_b32 v3, 0 :: v_dual_mov_b32 v4, 0
	v_mov_b32_e32 v5, 0
	s_delay_alu instid0(VALU_DEP_4) | instskip(SKIP_1) | instid1(SALU_CYCLE_1)
	v_cmp_gt_u64_e32 vcc_lo, s[8:9], v[0:1]
	s_and_b32 s19, vcc_lo, s1
	s_and_saveexec_b32 s18, s19
	s_cbranch_execz .LBB563_9
; %bb.15:                               ;   in Loop: Header=BB563_10 Depth=2
	v_mad_co_u64_u32 v[2:3], null, s22, v0, 0
	s_delay_alu instid0(VALU_DEP_1) | instskip(NEXT) | instid1(VALU_DEP_1)
	v_mad_co_u64_u32 v[3:4], null, s23, v0, v[3:4]
	v_lshlrev_b64_e32 v[2:3], 4, v[2:3]
	s_delay_alu instid0(VALU_DEP_1) | instskip(SKIP_1) | instid1(VALU_DEP_2)
	v_add_co_u32 v2, vcc_lo, v45, v2
	s_wait_alu 0xfffd
	v_add_co_ci_u32_e64 v3, null, v46, v3, vcc_lo
	flat_load_b128 v[2:5], v[2:3]
	s_wait_loadcnt_dscnt 0x0
	v_xor_b32_e32 v5, 0x80000000, v5
	s_branch .LBB563_9
.LBB563_16:                             ;   in Loop: Header=BB563_10 Depth=2
	s_wait_alu 0xfffe
	v_add_nc_u32_e32 v0, s16, v38
	v_mov_b32_e32 v17, v1
	s_and_not1_b32 s24, s36, exec_lo
	s_mov_b32 s18, exec_lo
	s_delay_alu instid0(VALU_DEP_2) | instskip(SKIP_2) | instid1(SALU_CYCLE_1)
	v_cmp_le_u64_e32 vcc_lo, s[8:9], v[0:1]
	v_mov_b32_e32 v16, v0
	s_and_b32 s25, vcc_lo, exec_lo
	s_or_b32 s24, s24, s25
	s_or_b32 exec_lo, exec_lo, s19
	s_and_saveexec_b32 s19, s24
	s_delay_alu instid0(SALU_CYCLE_1)
	s_xor_b32 s19, exec_lo, s19
	s_cbranch_execz .LBB563_12
.LBB563_17:                             ;   in Loop: Header=BB563_10 Depth=2
	v_dual_mov_b32 v0, v1 :: v_dual_mov_b32 v3, v1
	v_mov_b32_e32 v2, v1
	s_and_not1_b32 s18, s18, exec_lo
	ds_store_b128 v39, v[0:3]
	s_or_b32 exec_lo, exec_lo, s19
	s_and_saveexec_b32 s19, s18
	s_cbranch_execnz .LBB563_13
	s_branch .LBB563_14
.LBB563_18:                             ;   in Loop: Header=BB563_7 Depth=1
	v_mov_b32_e32 v34, 0
	v_mov_b32_e32 v30, 0
	v_dual_mov_b32 v26, 0 :: v_dual_mov_b32 v35, 0
	v_dual_mov_b32 v28, 0 :: v_dual_mov_b32 v31, 0
	;; [unrolled: 1-line block ×3, first 2 shown]
	v_mov_b32_e32 v22, 0
	v_dual_mov_b32 v20, 0 :: v_dual_mov_b32 v29, 0
	v_mov_b32_e32 v25, 0
	v_mov_b32_e32 v23, 0
	;; [unrolled: 1-line block ×3, first 2 shown]
.LBB563_19:                             ;   in Loop: Header=BB563_7 Depth=1
	s_wait_loadcnt 0x0
	v_add_co_u32 v0, vcc_lo, v18, s6
	s_wait_alu 0xfffd
	v_add_co_ci_u32_e64 v18, null, s7, v19, vcc_lo
	s_delay_alu instid0(VALU_DEP_2) | instskip(SKIP_1) | instid1(VALU_DEP_2)
	v_add_co_u32 v19, vcc_lo, v0, v12
	s_wait_alu 0xfffd
	v_add_co_ci_u32_e64 v43, null, v18, v13, vcc_lo
	s_and_saveexec_b32 s16, s38
	s_cbranch_execz .LBB563_24
; %bb.20:                               ;   in Loop: Header=BB563_7 Depth=1
	v_mul_f64_e32 v[2:3], s[12:13], v[34:35]
	v_mul_f64_e32 v[4:5], s[10:11], v[34:35]
	s_and_b32 vcc_lo, exec_lo, s37
	s_mov_b32 s17, -1
	s_delay_alu instid0(VALU_DEP_2) | instskip(NEXT) | instid1(VALU_DEP_2)
	v_fma_f64 v[2:3], s[10:11], v[32:33], -v[2:3]
	v_fma_f64 v[4:5], s[12:13], v[32:33], v[4:5]
	s_wait_alu 0xfffe
	s_cbranch_vccz .LBB563_22
; %bb.21:                               ;   in Loop: Header=BB563_7 Depth=1
	v_lshlrev_b64_e32 v[32:33], 4, v[6:7]
	s_mov_b32 s17, 0
	s_delay_alu instid0(VALU_DEP_1) | instskip(SKIP_1) | instid1(VALU_DEP_2)
	v_add_co_u32 v44, vcc_lo, v19, v32
	s_wait_alu 0xfffd
	v_add_co_ci_u32_e64 v45, null, v43, v33, vcc_lo
	flat_load_b128 v[32:35], v[44:45]
	s_wait_loadcnt_dscnt 0x0
	v_mul_f64_e32 v[46:47], s[28:29], v[34:35]
	v_mul_f64_e32 v[34:35], s[26:27], v[34:35]
	s_delay_alu instid0(VALU_DEP_2) | instskip(NEXT) | instid1(VALU_DEP_2)
	v_fma_f64 v[46:47], s[26:27], v[32:33], -v[46:47]
	v_fma_f64 v[34:35], s[28:29], v[32:33], v[34:35]
	s_delay_alu instid0(VALU_DEP_2) | instskip(NEXT) | instid1(VALU_DEP_2)
	v_add_f64_e32 v[32:33], v[2:3], v[46:47]
	v_add_f64_e32 v[34:35], v[4:5], v[34:35]
	flat_store_b128 v[44:45], v[32:35]
.LBB563_22:                             ;   in Loop: Header=BB563_7 Depth=1
	s_wait_alu 0xfffe
	s_and_not1_b32 vcc_lo, exec_lo, s17
	s_wait_alu 0xfffe
	s_cbranch_vccnz .LBB563_24
; %bb.23:                               ;   in Loop: Header=BB563_7 Depth=1
	v_lshlrev_b64_e32 v[32:33], 4, v[6:7]
	s_delay_alu instid0(VALU_DEP_1) | instskip(SKIP_1) | instid1(VALU_DEP_2)
	v_add_co_u32 v32, vcc_lo, v19, v32
	s_wait_alu 0xfffd
	v_add_co_ci_u32_e64 v33, null, v43, v33, vcc_lo
	flat_store_b128 v[32:33], v[2:5]
.LBB563_24:                             ;   in Loop: Header=BB563_7 Depth=1
	s_wait_alu 0xfffe
	s_or_b32 exec_lo, exec_lo, s16
	s_and_saveexec_b32 s16, s39
	s_cbranch_execz .LBB563_29
; %bb.25:                               ;   in Loop: Header=BB563_7 Depth=1
	v_mul_f64_e32 v[2:3], s[12:13], v[30:31]
	v_mul_f64_e32 v[4:5], s[10:11], v[30:31]
	s_and_not1_b32 vcc_lo, exec_lo, s37
	s_mov_b32 s17, -1
	s_delay_alu instid0(VALU_DEP_2) | instskip(NEXT) | instid1(VALU_DEP_2)
	v_fma_f64 v[2:3], s[10:11], v[28:29], -v[2:3]
	v_fma_f64 v[4:5], s[12:13], v[28:29], v[4:5]
	s_wait_alu 0xfffe
	s_cbranch_vccnz .LBB563_27
; %bb.26:                               ;   in Loop: Header=BB563_7 Depth=1
	v_lshlrev_b64_e32 v[28:29], 4, v[8:9]
	s_mov_b32 s17, 0
	s_delay_alu instid0(VALU_DEP_1) | instskip(SKIP_1) | instid1(VALU_DEP_2)
	v_add_co_u32 v32, vcc_lo, v19, v28
	s_wait_alu 0xfffd
	v_add_co_ci_u32_e64 v33, null, v43, v29, vcc_lo
	flat_load_b128 v[28:31], v[32:33]
	s_wait_loadcnt_dscnt 0x0
	v_mul_f64_e32 v[34:35], s[28:29], v[30:31]
	v_mul_f64_e32 v[30:31], s[26:27], v[30:31]
	s_delay_alu instid0(VALU_DEP_2) | instskip(NEXT) | instid1(VALU_DEP_2)
	v_fma_f64 v[34:35], s[26:27], v[28:29], -v[34:35]
	v_fma_f64 v[30:31], s[28:29], v[28:29], v[30:31]
	s_delay_alu instid0(VALU_DEP_2) | instskip(NEXT) | instid1(VALU_DEP_2)
	v_add_f64_e32 v[28:29], v[2:3], v[34:35]
	v_add_f64_e32 v[30:31], v[4:5], v[30:31]
	flat_store_b128 v[32:33], v[28:31]
.LBB563_27:                             ;   in Loop: Header=BB563_7 Depth=1
	s_wait_alu 0xfffe
	s_and_not1_b32 vcc_lo, exec_lo, s17
	s_wait_alu 0xfffe
	s_cbranch_vccnz .LBB563_29
; %bb.28:                               ;   in Loop: Header=BB563_7 Depth=1
	v_lshlrev_b64_e32 v[28:29], 4, v[8:9]
	s_delay_alu instid0(VALU_DEP_1) | instskip(SKIP_1) | instid1(VALU_DEP_2)
	v_add_co_u32 v28, vcc_lo, v19, v28
	s_wait_alu 0xfffd
	v_add_co_ci_u32_e64 v29, null, v43, v29, vcc_lo
	flat_store_b128 v[28:29], v[2:5]
.LBB563_29:                             ;   in Loop: Header=BB563_7 Depth=1
	s_wait_alu 0xfffe
	s_or_b32 exec_lo, exec_lo, s16
	v_add_co_u32 v0, vcc_lo, v0, v14
	s_wait_alu 0xfffd
	v_add_co_ci_u32_e64 v28, null, v18, v15, vcc_lo
	s_and_saveexec_b32 s16, s40
	s_cbranch_execz .LBB563_34
; %bb.30:                               ;   in Loop: Header=BB563_7 Depth=1
	v_mul_f64_e32 v[2:3], s[12:13], v[26:27]
	v_mul_f64_e32 v[4:5], s[10:11], v[26:27]
	v_lshlrev_b64_e32 v[18:19], 4, v[6:7]
	s_and_not1_b32 vcc_lo, exec_lo, s37
	s_mov_b32 s17, -1
	s_delay_alu instid0(VALU_DEP_3) | instskip(NEXT) | instid1(VALU_DEP_3)
	v_fma_f64 v[2:3], s[10:11], v[24:25], -v[2:3]
	v_fma_f64 v[4:5], s[12:13], v[24:25], v[4:5]
	s_wait_alu 0xfffe
	s_cbranch_vccnz .LBB563_32
; %bb.31:                               ;   in Loop: Header=BB563_7 Depth=1
	v_add_co_u32 v29, vcc_lo, v0, v18
	s_wait_alu 0xfffd
	v_add_co_ci_u32_e64 v30, null, v28, v19, vcc_lo
	s_mov_b32 s17, 0
	flat_load_b128 v[24:27], v[29:30]
	s_wait_loadcnt_dscnt 0x0
	v_mul_f64_e32 v[31:32], s[28:29], v[26:27]
	v_mul_f64_e32 v[26:27], s[26:27], v[26:27]
	s_delay_alu instid0(VALU_DEP_2) | instskip(NEXT) | instid1(VALU_DEP_2)
	v_fma_f64 v[31:32], s[26:27], v[24:25], -v[31:32]
	v_fma_f64 v[26:27], s[28:29], v[24:25], v[26:27]
	s_delay_alu instid0(VALU_DEP_2) | instskip(NEXT) | instid1(VALU_DEP_2)
	v_add_f64_e32 v[24:25], v[2:3], v[31:32]
	v_add_f64_e32 v[26:27], v[4:5], v[26:27]
	flat_store_b128 v[29:30], v[24:27]
.LBB563_32:                             ;   in Loop: Header=BB563_7 Depth=1
	s_wait_alu 0xfffe
	s_and_not1_b32 vcc_lo, exec_lo, s17
	s_wait_alu 0xfffe
	s_cbranch_vccnz .LBB563_34
; %bb.33:                               ;   in Loop: Header=BB563_7 Depth=1
	v_add_co_u32 v18, vcc_lo, v0, v18
	s_wait_alu 0xfffd
	v_add_co_ci_u32_e64 v19, null, v28, v19, vcc_lo
	flat_store_b128 v[18:19], v[2:5]
.LBB563_34:                             ;   in Loop: Header=BB563_7 Depth=1
	s_wait_alu 0xfffe
	s_or_b32 exec_lo, exec_lo, s16
	s_and_saveexec_b32 s16, s41
	s_cbranch_execz .LBB563_6
; %bb.35:                               ;   in Loop: Header=BB563_7 Depth=1
	v_mul_f64_e32 v[2:3], s[12:13], v[20:21]
	v_mul_f64_e32 v[4:5], s[10:11], v[20:21]
	v_lshlrev_b64_e32 v[18:19], 4, v[8:9]
	s_and_not1_b32 vcc_lo, exec_lo, s37
	s_mov_b32 s17, -1
	s_delay_alu instid0(VALU_DEP_3) | instskip(NEXT) | instid1(VALU_DEP_3)
	v_fma_f64 v[2:3], s[10:11], v[22:23], -v[2:3]
	v_fma_f64 v[4:5], s[12:13], v[22:23], v[4:5]
	s_wait_alu 0xfffe
	s_cbranch_vccnz .LBB563_37
; %bb.36:                               ;   in Loop: Header=BB563_7 Depth=1
	v_add_co_u32 v24, vcc_lo, v0, v18
	s_wait_alu 0xfffd
	v_add_co_ci_u32_e64 v25, null, v28, v19, vcc_lo
	s_mov_b32 s17, 0
	flat_load_b128 v[20:23], v[24:25]
	s_wait_loadcnt_dscnt 0x0
	v_mul_f64_e32 v[26:27], s[28:29], v[22:23]
	v_mul_f64_e32 v[22:23], s[26:27], v[22:23]
	s_delay_alu instid0(VALU_DEP_2) | instskip(NEXT) | instid1(VALU_DEP_2)
	v_fma_f64 v[26:27], s[26:27], v[20:21], -v[26:27]
	v_fma_f64 v[22:23], s[28:29], v[20:21], v[22:23]
	s_delay_alu instid0(VALU_DEP_2) | instskip(NEXT) | instid1(VALU_DEP_2)
	v_add_f64_e32 v[20:21], v[2:3], v[26:27]
	v_add_f64_e32 v[22:23], v[4:5], v[22:23]
	flat_store_b128 v[24:25], v[20:23]
.LBB563_37:                             ;   in Loop: Header=BB563_7 Depth=1
	s_wait_alu 0xfffe
	s_and_not1_b32 vcc_lo, exec_lo, s17
	s_wait_alu 0xfffe
	s_cbranch_vccnz .LBB563_6
; %bb.38:                               ;   in Loop: Header=BB563_7 Depth=1
	v_add_co_u32 v18, vcc_lo, v0, v18
	s_wait_alu 0xfffd
	v_add_co_ci_u32_e64 v19, null, v28, v19, vcc_lo
	flat_store_b128 v[18:19], v[2:5]
	s_branch .LBB563_6
.LBB563_39:
.LBB563_40:
	s_nop 0
	s_sendmsg sendmsg(MSG_DEALLOC_VGPRS)
	s_endpgm
	.section	.rodata,"a",@progbits
	.p2align	6, 0x0
	.amdhsa_kernel _ZL29rocblas_internal_gemmt_kernelIlLi16ELi32ELi8ELc84ELc67ELc85ELb0ELb1E19rocblas_complex_numIdES1_PKPKS1_PKPS1_EviT_T9_T10_S9_lSB_S9_lSA_T11_S9_li
		.amdhsa_group_segment_fixed_size 8192
		.amdhsa_private_segment_fixed_size 0
		.amdhsa_kernarg_size 124
		.amdhsa_user_sgpr_count 2
		.amdhsa_user_sgpr_dispatch_ptr 0
		.amdhsa_user_sgpr_queue_ptr 0
		.amdhsa_user_sgpr_kernarg_segment_ptr 1
		.amdhsa_user_sgpr_dispatch_id 0
		.amdhsa_user_sgpr_private_segment_size 0
		.amdhsa_wavefront_size32 1
		.amdhsa_uses_dynamic_stack 0
		.amdhsa_enable_private_segment 0
		.amdhsa_system_sgpr_workgroup_id_x 1
		.amdhsa_system_sgpr_workgroup_id_y 1
		.amdhsa_system_sgpr_workgroup_id_z 1
		.amdhsa_system_sgpr_workgroup_info 0
		.amdhsa_system_vgpr_workitem_id 1
		.amdhsa_next_free_vgpr 135
		.amdhsa_next_free_sgpr 43
		.amdhsa_reserve_vcc 1
		.amdhsa_float_round_mode_32 0
		.amdhsa_float_round_mode_16_64 0
		.amdhsa_float_denorm_mode_32 3
		.amdhsa_float_denorm_mode_16_64 3
		.amdhsa_fp16_overflow 0
		.amdhsa_workgroup_processor_mode 1
		.amdhsa_memory_ordered 1
		.amdhsa_forward_progress 1
		.amdhsa_inst_pref_size 28
		.amdhsa_round_robin_scheduling 0
		.amdhsa_exception_fp_ieee_invalid_op 0
		.amdhsa_exception_fp_denorm_src 0
		.amdhsa_exception_fp_ieee_div_zero 0
		.amdhsa_exception_fp_ieee_overflow 0
		.amdhsa_exception_fp_ieee_underflow 0
		.amdhsa_exception_fp_ieee_inexact 0
		.amdhsa_exception_int_div_zero 0
	.end_amdhsa_kernel
	.section	.text._ZL29rocblas_internal_gemmt_kernelIlLi16ELi32ELi8ELc84ELc67ELc85ELb0ELb1E19rocblas_complex_numIdES1_PKPKS1_PKPS1_EviT_T9_T10_S9_lSB_S9_lSA_T11_S9_li,"axG",@progbits,_ZL29rocblas_internal_gemmt_kernelIlLi16ELi32ELi8ELc84ELc67ELc85ELb0ELb1E19rocblas_complex_numIdES1_PKPKS1_PKPS1_EviT_T9_T10_S9_lSB_S9_lSA_T11_S9_li,comdat
.Lfunc_end563:
	.size	_ZL29rocblas_internal_gemmt_kernelIlLi16ELi32ELi8ELc84ELc67ELc85ELb0ELb1E19rocblas_complex_numIdES1_PKPKS1_PKPS1_EviT_T9_T10_S9_lSB_S9_lSA_T11_S9_li, .Lfunc_end563-_ZL29rocblas_internal_gemmt_kernelIlLi16ELi32ELi8ELc84ELc67ELc85ELb0ELb1E19rocblas_complex_numIdES1_PKPKS1_PKPS1_EviT_T9_T10_S9_lSB_S9_lSA_T11_S9_li
                                        ; -- End function
	.set _ZL29rocblas_internal_gemmt_kernelIlLi16ELi32ELi8ELc84ELc67ELc85ELb0ELb1E19rocblas_complex_numIdES1_PKPKS1_PKPS1_EviT_T9_T10_S9_lSB_S9_lSA_T11_S9_li.num_vgpr, 135
	.set _ZL29rocblas_internal_gemmt_kernelIlLi16ELi32ELi8ELc84ELc67ELc85ELb0ELb1E19rocblas_complex_numIdES1_PKPKS1_PKPS1_EviT_T9_T10_S9_lSB_S9_lSA_T11_S9_li.num_agpr, 0
	.set _ZL29rocblas_internal_gemmt_kernelIlLi16ELi32ELi8ELc84ELc67ELc85ELb0ELb1E19rocblas_complex_numIdES1_PKPKS1_PKPS1_EviT_T9_T10_S9_lSB_S9_lSA_T11_S9_li.numbered_sgpr, 43
	.set _ZL29rocblas_internal_gemmt_kernelIlLi16ELi32ELi8ELc84ELc67ELc85ELb0ELb1E19rocblas_complex_numIdES1_PKPKS1_PKPS1_EviT_T9_T10_S9_lSB_S9_lSA_T11_S9_li.num_named_barrier, 0
	.set _ZL29rocblas_internal_gemmt_kernelIlLi16ELi32ELi8ELc84ELc67ELc85ELb0ELb1E19rocblas_complex_numIdES1_PKPKS1_PKPS1_EviT_T9_T10_S9_lSB_S9_lSA_T11_S9_li.private_seg_size, 0
	.set _ZL29rocblas_internal_gemmt_kernelIlLi16ELi32ELi8ELc84ELc67ELc85ELb0ELb1E19rocblas_complex_numIdES1_PKPKS1_PKPS1_EviT_T9_T10_S9_lSB_S9_lSA_T11_S9_li.uses_vcc, 1
	.set _ZL29rocblas_internal_gemmt_kernelIlLi16ELi32ELi8ELc84ELc67ELc85ELb0ELb1E19rocblas_complex_numIdES1_PKPKS1_PKPS1_EviT_T9_T10_S9_lSB_S9_lSA_T11_S9_li.uses_flat_scratch, 0
	.set _ZL29rocblas_internal_gemmt_kernelIlLi16ELi32ELi8ELc84ELc67ELc85ELb0ELb1E19rocblas_complex_numIdES1_PKPKS1_PKPS1_EviT_T9_T10_S9_lSB_S9_lSA_T11_S9_li.has_dyn_sized_stack, 0
	.set _ZL29rocblas_internal_gemmt_kernelIlLi16ELi32ELi8ELc84ELc67ELc85ELb0ELb1E19rocblas_complex_numIdES1_PKPKS1_PKPS1_EviT_T9_T10_S9_lSB_S9_lSA_T11_S9_li.has_recursion, 0
	.set _ZL29rocblas_internal_gemmt_kernelIlLi16ELi32ELi8ELc84ELc67ELc85ELb0ELb1E19rocblas_complex_numIdES1_PKPKS1_PKPS1_EviT_T9_T10_S9_lSB_S9_lSA_T11_S9_li.has_indirect_call, 0
	.section	.AMDGPU.csdata,"",@progbits
; Kernel info:
; codeLenInByte = 3544
; TotalNumSgprs: 45
; NumVgprs: 135
; ScratchSize: 0
; MemoryBound: 1
; FloatMode: 240
; IeeeMode: 1
; LDSByteSize: 8192 bytes/workgroup (compile time only)
; SGPRBlocks: 0
; VGPRBlocks: 16
; NumSGPRsForWavesPerEU: 45
; NumVGPRsForWavesPerEU: 135
; Occupancy: 10
; WaveLimiterHint : 1
; COMPUTE_PGM_RSRC2:SCRATCH_EN: 0
; COMPUTE_PGM_RSRC2:USER_SGPR: 2
; COMPUTE_PGM_RSRC2:TRAP_HANDLER: 0
; COMPUTE_PGM_RSRC2:TGID_X_EN: 1
; COMPUTE_PGM_RSRC2:TGID_Y_EN: 1
; COMPUTE_PGM_RSRC2:TGID_Z_EN: 1
; COMPUTE_PGM_RSRC2:TIDIG_COMP_CNT: 1
	.section	.text._ZL29rocblas_internal_gemmt_kernelIlLi16ELi32ELi8ELc67ELc78ELc85ELb1ELb0E19rocblas_complex_numIdES1_PKPKS1_PKPS1_EviT_T9_T10_S9_lSB_S9_lSA_T11_S9_li,"axG",@progbits,_ZL29rocblas_internal_gemmt_kernelIlLi16ELi32ELi8ELc67ELc78ELc85ELb1ELb0E19rocblas_complex_numIdES1_PKPKS1_PKPS1_EviT_T9_T10_S9_lSB_S9_lSA_T11_S9_li,comdat
	.globl	_ZL29rocblas_internal_gemmt_kernelIlLi16ELi32ELi8ELc67ELc78ELc85ELb1ELb0E19rocblas_complex_numIdES1_PKPKS1_PKPS1_EviT_T9_T10_S9_lSB_S9_lSA_T11_S9_li ; -- Begin function _ZL29rocblas_internal_gemmt_kernelIlLi16ELi32ELi8ELc67ELc78ELc85ELb1ELb0E19rocblas_complex_numIdES1_PKPKS1_PKPS1_EviT_T9_T10_S9_lSB_S9_lSA_T11_S9_li
	.p2align	8
	.type	_ZL29rocblas_internal_gemmt_kernelIlLi16ELi32ELi8ELc67ELc78ELc85ELb1ELb0E19rocblas_complex_numIdES1_PKPKS1_PKPS1_EviT_T9_T10_S9_lSB_S9_lSA_T11_S9_li,@function
_ZL29rocblas_internal_gemmt_kernelIlLi16ELi32ELi8ELc67ELc78ELc85ELb1ELb0E19rocblas_complex_numIdES1_PKPKS1_PKPS1_EviT_T9_T10_S9_lSB_S9_lSA_T11_S9_li: ; @_ZL29rocblas_internal_gemmt_kernelIlLi16ELi32ELi8ELc67ELc78ELc85ELb1ELb0E19rocblas_complex_numIdES1_PKPKS1_PKPS1_EviT_T9_T10_S9_lSB_S9_lSA_T11_S9_li
; %bb.0:
	s_clause 0x1
	s_load_b256 s[24:31], s[0:1], 0x48
	s_load_b512 s[8:23], s[0:1], 0x8
	s_wait_kmcnt 0x0
	v_cmp_eq_f64_e64 s3, s[26:27], 1.0
	v_cmp_eq_f64_e64 s2, s[28:29], 0
	s_and_b32 s3, s3, s2
	s_delay_alu instid0(SALU_CYCLE_1)
	s_and_not1_b32 vcc_lo, exec_lo, s3
	s_mov_b32 s3, -1
	s_cbranch_vccnz .LBB564_3
; %bb.1:
	s_cmp_lg_u64 s[8:9], 0
	s_cbranch_scc0 .LBB564_38
; %bb.2:
	v_cmp_neq_f64_e64 s3, s[10:11], 0
	v_cmp_neq_f64_e64 s4, s[12:13], 0
	s_or_b32 s3, s3, s4
.LBB564_3:
	s_delay_alu instid0(SALU_CYCLE_1)
	s_and_b32 vcc_lo, exec_lo, s3
	s_cbranch_vccz .LBB564_39
; %bb.4:
	s_load_b32 s33, s[0:1], 0x78
	s_lshr_b32 s34, ttmp7, 16
	s_wait_kmcnt 0x0
	s_cmp_ge_u32 s34, s33
	s_cbranch_scc1 .LBB564_39
; %bb.5:
	s_clause 0x1
	s_load_b128 s[4:7], s[0:1], 0x68
	s_load_b32 s36, s[0:1], 0x0
	v_bfe_u32 v7, v0, 10, 10
	s_lshl_b32 s0, ttmp7, 5
	v_and_b32_e32 v6, 0x3ff, v0
	s_and_b32 s0, s0, 0x1fffe0
	v_cmp_neq_f64_e64 s3, s[10:11], 0
	v_add_nc_u32_e32 v9, s0, v7
	v_cmp_neq_f64_e64 s35, s[12:13], 0
	s_lshl_b32 s1, ttmp9, 5
	v_cmp_neq_f64_e64 s37, s[26:27], 0
	s_wait_alu 0xfffe
	s_ashr_i32 s39, s1, 31
	v_add_nc_u32_e32 v11, 16, v9
	s_mul_i32 s39, s16, s39
	v_cmp_gt_i64_e64 s38, s[8:9], 0
	v_lshl_add_u32 v41, v7, 7, 0x1000
	s_wait_kmcnt 0x0
	v_mad_co_u64_u32 v[16:17], null, s4, v11, 0
	v_and_b32_e32 v36, 7, v0
	v_lshl_add_u32 v0, v7, 4, v6
	s_lshl_b64 s[6:7], s[6:7], 4
	s_delay_alu instid0(VALU_DEP_1) | instskip(SKIP_2) | instid1(VALU_DEP_3)
	v_lshrrev_b32_e32 v1, 3, v0
	v_and_b32_e32 v4, 31, v0
	v_lshrrev_b32_e32 v37, 5, v0
	v_add_nc_u32_e32 v8, s0, v1
	s_delay_alu instid0(VALU_DEP_3) | instskip(SKIP_1) | instid1(VALU_DEP_3)
	v_or_b32_e32 v10, s1, v4
	v_lshlrev_b32_e32 v12, 4, v4
	v_mad_co_u64_u32 v[2:3], null, s22, v8, 0
	s_delay_alu instid0(VALU_DEP_3) | instskip(NEXT) | instid1(VALU_DEP_2)
	v_cmp_gt_i32_e64 s0, s36, v10
	v_mov_b32_e32 v0, v3
	v_mad_co_u64_u32 v[14:15], null, s4, v9, 0
	v_lshlrev_b32_e32 v5, 4, v36
	v_mul_lo_u32 v3, s17, v10
	s_delay_alu instid0(VALU_DEP_2)
	v_lshl_or_b32 v13, v1, 7, v5
	v_mad_co_u64_u32 v[4:5], null, s16, v10, 0
	v_mad_co_u64_u32 v[0:1], null, s23, v8, v[0:1]
	s_or_b32 s16, s3, s35
	s_xor_b32 s3, s2, -1
	v_add_nc_u32_e32 v39, 0x1000, v13
	s_or_b32 s22, s37, s3
	v_add3_u32 v5, v5, s39, v3
	v_cmp_gt_i32_e64 s3, s36, v11
	v_dual_mov_b32 v3, v0 :: v_dual_mov_b32 v0, v15
	v_lshlrev_b32_e32 v40, 4, v6
	v_add_nc_u32_e32 v6, s1, v6
	v_cmp_gt_i32_e64 s1, s36, v9
	s_mov_b32 s35, 0
	v_mad_co_u64_u32 v[0:1], null, s5, v9, v[0:1]
	v_mov_b32_e32 v1, v17
	v_cmp_le_i32_e64 s2, v6, v9
	v_cmp_le_i32_e64 s4, v6, v11
	v_ashrrev_i32_e32 v7, 31, v6
	s_wait_alu 0xfffe
	s_and_b32 s38, s16, s38
	v_mov_b32_e32 v15, v0
	v_mad_co_u64_u32 v[0:1], null, s5, v11, v[1:2]
	v_cmp_gt_i32_e32 vcc_lo, s36, v8
	v_add_nc_u32_e32 v8, 16, v6
	s_and_b32 s23, s1, s2
	v_mov_b32_e32 v1, 0
	v_lshl_or_b32 v38, v37, 9, v12
	v_lshlrev_b64_e32 v[12:13], 4, v[2:3]
	v_mov_b32_e32 v17, v0
	v_cmp_le_i32_e64 s2, v8, v9
	v_cmp_le_i32_e64 s5, v8, v11
	v_lshlrev_b64_e32 v[10:11], 4, v[4:5]
	v_lshlrev_b64_e32 v[14:15], 4, v[14:15]
	;; [unrolled: 1-line block ×3, first 2 shown]
	v_ashrrev_i32_e32 v9, 31, v8
	s_and_b32 s1, s1, s2
	s_and_b32 s36, s3, s4
	;; [unrolled: 1-line block ×3, first 2 shown]
	s_lshl_b64 s[2:3], s[24:25], 4
	s_lshl_b64 s[4:5], s[18:19], 4
	s_xor_b32 s18, vcc_lo, -1
	s_branch .LBB564_7
.LBB564_6:                              ;   in Loop: Header=BB564_7 Depth=1
	s_wait_alu 0xfffe
	s_or_b32 exec_lo, exec_lo, s16
	s_add_co_i32 s34, s34, 0x10000
	s_delay_alu instid0(SALU_CYCLE_1)
	s_cmp_lt_u32 s34, s33
	s_cbranch_scc0 .LBB564_39
.LBB564_7:                              ; =>This Loop Header: Depth=1
                                        ;     Child Loop BB564_10 Depth 2
	s_lshl_b64 s[16:17], s[34:35], 3
	v_mov_b32_e32 v32, 0
	s_wait_alu 0xfffe
	s_add_nc_u64 s[24:25], s[30:31], s[16:17]
	v_mov_b32_e32 v28, 0
	global_load_b64 v[18:19], v1, s[24:25]
	v_mov_b32_e32 v24, 0
	v_dual_mov_b32 v22, 0 :: v_dual_mov_b32 v33, 0
	v_dual_mov_b32 v34, 0 :: v_dual_mov_b32 v29, 0
	;; [unrolled: 1-line block ×5, first 2 shown]
	v_mov_b32_e32 v31, 0
	v_mov_b32_e32 v27, 0
	;; [unrolled: 1-line block ×3, first 2 shown]
	s_and_not1_b32 vcc_lo, exec_lo, s38
	s_wait_alu 0xfffe
	s_cbranch_vccnz .LBB564_18
; %bb.8:                                ;   in Loop: Header=BB564_7 Depth=1
	s_add_nc_u64 s[24:25], s[14:15], s[16:17]
	s_add_nc_u64 s[16:17], s[20:21], s[16:17]
	s_clause 0x1
	global_load_b64 v[2:3], v1, s[24:25]
	global_load_b64 v[4:5], v1, s[16:17]
	v_mov_b32_e32 v20, 0
	v_mov_b32_e32 v26, 0
	;; [unrolled: 1-line block ×3, first 2 shown]
	v_dual_mov_b32 v34, 0 :: v_dual_mov_b32 v21, 0
	v_dual_mov_b32 v22, 0 :: v_dual_mov_b32 v27, 0
	;; [unrolled: 1-line block ×5, first 2 shown]
	v_mov_b32_e32 v25, 0
	v_mov_b32_e32 v29, 0
	;; [unrolled: 1-line block ×3, first 2 shown]
	s_mov_b64 s[16:17], 0
	s_wait_loadcnt 0x1
	v_add_co_u32 v0, vcc_lo, v2, s4
	s_wait_alu 0xfffd
	v_add_co_ci_u32_e64 v2, null, s5, v3, vcc_lo
	s_wait_loadcnt 0x0
	v_add_co_u32 v3, vcc_lo, v4, s2
	s_wait_alu 0xfffd
	v_add_co_ci_u32_e64 v4, null, s3, v5, vcc_lo
	v_add_co_u32 v42, vcc_lo, v0, v10
	s_wait_alu 0xfffd
	v_add_co_ci_u32_e64 v43, null, v2, v11, vcc_lo
	;; [unrolled: 3-line block ×3, first 2 shown]
	s_branch .LBB564_10
.LBB564_9:                              ;   in Loop: Header=BB564_10 Depth=2
	s_or_b32 exec_lo, exec_lo, s19
	s_wait_dscnt 0x0
	s_barrier_signal -1
	s_barrier_wait -1
	global_inv scope:SCOPE_SE
	ds_load_b128 v[2:5], v41
	ds_load_b128 v[46:49], v40
	ds_load_b128 v[50:53], v40 offset:256
	ds_load_b128 v[54:57], v41 offset:2048
	;; [unrolled: 1-line block ×10, first 2 shown]
	s_add_nc_u64 s[16:17], s[16:17], 8
	s_wait_alu 0xfffe
	v_cmp_gt_i64_e64 s19, s[8:9], s[16:17]
	s_and_b32 vcc_lo, exec_lo, s19
	s_wait_dscnt 0xa
	v_mul_f64_e32 v[90:91], v[4:5], v[48:49]
	v_mul_f64_e32 v[92:93], v[2:3], v[48:49]
	s_wait_dscnt 0x9
	v_mul_f64_e32 v[94:95], v[4:5], v[52:53]
	v_mul_f64_e32 v[96:97], v[2:3], v[52:53]
	;; [unrolled: 3-line block ×3, first 2 shown]
	v_mul_f64_e32 v[100:101], v[56:57], v[52:53]
	v_mul_f64_e32 v[52:53], v[54:55], v[52:53]
	s_wait_dscnt 0x5
	v_mul_f64_e32 v[102:103], v[60:61], v[68:69]
	v_mul_f64_e32 v[104:105], v[58:59], v[68:69]
	s_wait_dscnt 0x4
	v_mul_f64_e32 v[106:107], v[60:61], v[72:73]
	v_mul_f64_e32 v[108:109], v[58:59], v[72:73]
	;; [unrolled: 1-line block ×6, first 2 shown]
	s_wait_dscnt 0x2
	v_mul_f64_e32 v[118:119], v[76:77], v[80:81]
	v_mul_f64_e32 v[120:121], v[74:75], v[80:81]
	s_wait_dscnt 0x1
	v_mul_f64_e32 v[122:123], v[76:77], v[84:85]
	v_mul_f64_e32 v[124:125], v[74:75], v[84:85]
	;; [unrolled: 3-line block ×3, first 2 shown]
	v_mul_f64_e32 v[128:129], v[88:89], v[84:85]
	v_mul_f64_e32 v[84:85], v[86:87], v[84:85]
	v_fma_f64 v[90:91], v[2:3], v[46:47], -v[90:91]
	v_fma_f64 v[92:93], v[4:5], v[46:47], v[92:93]
	v_fma_f64 v[94:95], v[2:3], v[50:51], -v[94:95]
	v_fma_f64 v[96:97], v[4:5], v[50:51], v[96:97]
	;; [unrolled: 2-line block ×8, first 2 shown]
	ds_load_b128 v[2:5], v41 offset:48
	ds_load_b128 v[46:49], v40 offset:1536
	;; [unrolled: 1-line block ×4, first 2 shown]
	v_fma_f64 v[118:119], v[74:75], v[78:79], -v[118:119]
	v_fma_f64 v[120:121], v[76:77], v[78:79], v[120:121]
	v_fma_f64 v[74:75], v[74:75], v[82:83], -v[122:123]
	v_fma_f64 v[76:77], v[76:77], v[82:83], v[124:125]
	;; [unrolled: 2-line block ×4, first 2 shown]
	s_wait_dscnt 0x2
	v_mul_f64_e32 v[108:109], v[2:3], v[48:49]
	s_wait_dscnt 0x1
	v_mul_f64_e32 v[110:111], v[4:5], v[52:53]
	v_mul_f64_e32 v[112:113], v[2:3], v[52:53]
	v_add_f64_e32 v[68:69], v[32:33], v[90:91]
	v_add_f64_e32 v[70:71], v[92:93], v[34:35]
	;; [unrolled: 1-line block ×8, first 2 shown]
	v_mul_f64_e32 v[100:101], v[4:5], v[48:49]
	s_wait_dscnt 0x0
	v_mul_f64_e32 v[114:115], v[56:57], v[48:49]
	v_mul_f64_e32 v[48:49], v[54:55], v[48:49]
	;; [unrolled: 1-line block ×4, first 2 shown]
	ds_load_b128 v[20:23], v41 offset:64
	ds_load_b128 v[24:27], v40 offset:2048
	;; [unrolled: 1-line block ×4, first 2 shown]
	s_wait_dscnt 0x1
	v_mul_f64_e32 v[124:125], v[20:21], v[30:31]
	s_wait_dscnt 0x0
	v_mul_f64_e32 v[126:127], v[34:35], v[26:27]
	v_mul_f64_e32 v[128:129], v[34:35], v[30:31]
	v_fma_f64 v[108:109], v[4:5], v[46:47], v[108:109]
	v_fma_f64 v[110:111], v[2:3], v[50:51], -v[110:111]
	v_fma_f64 v[112:113], v[4:5], v[50:51], v[112:113]
	v_add_f64_e32 v[84:85], v[68:69], v[102:103]
	v_add_f64_e32 v[86:87], v[104:105], v[70:71]
	;; [unrolled: 1-line block ×8, first 2 shown]
	v_mul_f64_e32 v[102:103], v[22:23], v[26:27]
	v_mul_f64_e32 v[104:105], v[20:21], v[26:27]
	;; [unrolled: 1-line block ×5, first 2 shown]
	v_fma_f64 v[100:101], v[2:3], v[46:47], -v[100:101]
	v_fma_f64 v[114:115], v[54:55], v[46:47], -v[114:115]
	v_fma_f64 v[130:131], v[56:57], v[46:47], v[48:49]
	v_fma_f64 v[116:117], v[54:55], v[50:51], -v[116:117]
	v_fma_f64 v[132:133], v[56:57], v[50:51], v[52:53]
	ds_load_b128 v[58:61], v41 offset:80
	ds_load_b128 v[62:65], v40 offset:2560
	;; [unrolled: 1-line block ×8, first 2 shown]
	v_add_f64_e32 v[84:85], v[84:85], v[118:119]
	v_add_f64_e32 v[86:87], v[120:121], v[86:87]
	;; [unrolled: 1-line block ×8, first 2 shown]
	s_wait_dscnt 0x6
	v_mul_f64_e32 v[90:91], v[60:61], v[64:65]
	v_mul_f64_e32 v[92:93], v[58:59], v[64:65]
	s_wait_dscnt 0x5
	v_mul_f64_e32 v[94:95], v[60:61], v[68:69]
	v_mul_f64_e32 v[96:97], v[58:59], v[68:69]
	;; [unrolled: 3-line block ×3, first 2 shown]
	v_mul_f64_e32 v[118:119], v[72:73], v[68:69]
	v_mul_f64_e32 v[68:69], v[70:71], v[68:69]
	v_fma_f64 v[102:103], v[20:21], v[24:25], -v[102:103]
	v_fma_f64 v[104:105], v[22:23], v[24:25], v[104:105]
	v_fma_f64 v[106:107], v[20:21], v[28:29], -v[106:107]
	v_fma_f64 v[120:121], v[22:23], v[28:29], v[124:125]
	;; [unrolled: 2-line block ×4, first 2 shown]
	ds_load_b128 v[20:23], v41 offset:112
	ds_load_b128 v[24:27], v40 offset:3584
	;; [unrolled: 1-line block ×4, first 2 shown]
	s_wait_loadcnt_dscnt 0x0
	s_barrier_signal -1
	s_barrier_wait -1
	global_inv scope:SCOPE_SE
	v_add_f64_e32 v[84:85], v[84:85], v[100:101]
	v_add_f64_e32 v[86:87], v[108:109], v[86:87]
	;; [unrolled: 1-line block ×8, first 2 shown]
	v_mul_f64_e32 v[100:101], v[4:5], v[48:49]
	v_mul_f64_e32 v[108:109], v[2:3], v[48:49]
	;; [unrolled: 1-line block ×8, first 2 shown]
	v_fma_f64 v[90:91], v[58:59], v[62:63], -v[90:91]
	v_fma_f64 v[92:93], v[60:61], v[62:63], v[92:93]
	v_fma_f64 v[58:59], v[58:59], v[66:67], -v[94:95]
	v_fma_f64 v[60:61], v[60:61], v[66:67], v[96:97]
	;; [unrolled: 2-line block ×4, first 2 shown]
	v_mul_f64_e32 v[96:97], v[20:21], v[30:31]
	v_mul_f64_e32 v[98:99], v[34:35], v[26:27]
	v_add_f64_e32 v[68:69], v[84:85], v[102:103]
	v_add_f64_e32 v[70:71], v[104:105], v[86:87]
	;; [unrolled: 1-line block ×8, first 2 shown]
	v_mul_f64_e32 v[84:85], v[22:23], v[26:27]
	v_mul_f64_e32 v[86:87], v[20:21], v[26:27]
	;; [unrolled: 1-line block ×6, first 2 shown]
	v_fma_f64 v[100:101], v[2:3], v[46:47], -v[100:101]
	v_fma_f64 v[104:105], v[4:5], v[46:47], v[108:109]
	v_fma_f64 v[2:3], v[2:3], v[50:51], -v[110:111]
	v_fma_f64 v[4:5], v[4:5], v[50:51], v[112:113]
	;; [unrolled: 2-line block ×4, first 2 shown]
	v_add_f64_e32 v[52:53], v[68:69], v[90:91]
	v_add_f64_e32 v[54:55], v[92:93], v[70:71]
	;; [unrolled: 1-line block ×8, first 2 shown]
	v_fma_f64 v[68:69], v[20:21], v[24:25], -v[84:85]
	v_fma_f64 v[70:71], v[22:23], v[24:25], v[86:87]
	v_fma_f64 v[20:21], v[20:21], v[28:29], -v[88:89]
	v_fma_f64 v[22:23], v[22:23], v[28:29], v[96:97]
	;; [unrolled: 2-line block ×4, first 2 shown]
	v_add_f64_e32 v[24:25], v[52:53], v[100:101]
	v_add_f64_e32 v[28:29], v[104:105], v[54:55]
	;; [unrolled: 1-line block ×16, first 2 shown]
	s_wait_alu 0xfffe
	s_cbranch_vccz .LBB564_18
.LBB564_10:                             ;   Parent Loop BB564_7 Depth=1
                                        ; =>  This Inner Loop Header: Depth=2
	v_mov_b32_e32 v2, 0
	v_dual_mov_b32 v3, 0 :: v_dual_mov_b32 v4, 0
	v_mov_b32_e32 v5, 0
	s_and_saveexec_b32 s19, s0
	s_cbranch_execz .LBB564_14
; %bb.11:                               ;   in Loop: Header=BB564_10 Depth=2
	v_mov_b32_e32 v4, 0
	v_mov_b32_e32 v2, 0
	s_wait_alu 0xfffe
	v_dual_mov_b32 v5, 0 :: v_dual_add_nc_u32 v0, s16, v37
	v_mov_b32_e32 v3, 0
	s_mov_b32 s24, exec_lo
	s_delay_alu instid0(VALU_DEP_2)
	v_cmpx_gt_u64_e64 s[8:9], v[0:1]
	s_cbranch_execz .LBB564_13
; %bb.12:                               ;   in Loop: Header=BB564_10 Depth=2
	v_lshlrev_b64_e32 v[2:3], 4, v[0:1]
	s_delay_alu instid0(VALU_DEP_1) | instskip(SKIP_1) | instid1(VALU_DEP_2)
	v_add_co_u32 v2, vcc_lo, v42, v2
	s_wait_alu 0xfffd
	v_add_co_ci_u32_e64 v3, null, v43, v3, vcc_lo
	flat_load_b128 v[2:5], v[2:3]
	s_wait_loadcnt_dscnt 0x0
	v_xor_b32_e32 v5, 0x80000000, v5
.LBB564_13:                             ;   in Loop: Header=BB564_10 Depth=2
	s_or_b32 exec_lo, exec_lo, s24
.LBB564_14:                             ;   in Loop: Header=BB564_10 Depth=2
	s_delay_alu instid0(SALU_CYCLE_1)
	s_or_b32 exec_lo, exec_lo, s19
	s_wait_alu 0xfffe
	v_add_nc_u32_e32 v0, s16, v36
	ds_store_b128 v38, v[2:5]
	v_cmp_le_u64_e32 vcc_lo, s[8:9], v[0:1]
	s_or_b32 s19, vcc_lo, s18
	s_delay_alu instid0(SALU_CYCLE_1) | instskip(NEXT) | instid1(SALU_CYCLE_1)
	s_and_saveexec_b32 s24, s19
	s_xor_b32 s19, exec_lo, s24
; %bb.15:                               ;   in Loop: Header=BB564_10 Depth=2
	v_dual_mov_b32 v0, v1 :: v_dual_mov_b32 v3, v1
	v_mov_b32_e32 v2, v1
	ds_store_b128 v39, v[0:3]
; %bb.16:                               ;   in Loop: Header=BB564_10 Depth=2
	s_and_not1_saveexec_b32 s19, s19
	s_cbranch_execz .LBB564_9
; %bb.17:                               ;   in Loop: Header=BB564_10 Depth=2
	v_lshlrev_b64_e32 v[2:3], 4, v[0:1]
	s_delay_alu instid0(VALU_DEP_1) | instskip(SKIP_1) | instid1(VALU_DEP_2)
	v_add_co_u32 v2, vcc_lo, v44, v2
	s_wait_alu 0xfffd
	v_add_co_ci_u32_e64 v3, null, v45, v3, vcc_lo
	flat_load_b128 v[2:5], v[2:3]
	s_wait_loadcnt_dscnt 0x0
	ds_store_2addr_b64 v39, v[2:3], v[4:5] offset1:1
	s_branch .LBB564_9
.LBB564_18:                             ;   in Loop: Header=BB564_7 Depth=1
	s_wait_loadcnt 0x0
	v_add_co_u32 v0, vcc_lo, v18, s6
	s_wait_alu 0xfffd
	v_add_co_ci_u32_e64 v18, null, s7, v19, vcc_lo
	s_delay_alu instid0(VALU_DEP_2) | instskip(SKIP_1) | instid1(VALU_DEP_2)
	v_add_co_u32 v19, vcc_lo, v0, v14
	s_wait_alu 0xfffd
	v_add_co_ci_u32_e64 v42, null, v18, v15, vcc_lo
	s_and_saveexec_b32 s16, s23
	s_cbranch_execz .LBB564_23
; %bb.19:                               ;   in Loop: Header=BB564_7 Depth=1
	v_mul_f64_e32 v[2:3], s[12:13], v[34:35]
	v_mul_f64_e32 v[4:5], s[10:11], v[34:35]
	s_and_b32 vcc_lo, exec_lo, s22
	s_mov_b32 s17, -1
	s_delay_alu instid0(VALU_DEP_2) | instskip(NEXT) | instid1(VALU_DEP_2)
	v_fma_f64 v[2:3], s[10:11], v[32:33], -v[2:3]
	v_fma_f64 v[4:5], s[12:13], v[32:33], v[4:5]
	s_wait_alu 0xfffe
	s_cbranch_vccz .LBB564_21
; %bb.20:                               ;   in Loop: Header=BB564_7 Depth=1
	v_lshlrev_b64_e32 v[32:33], 4, v[6:7]
	s_mov_b32 s17, 0
	s_delay_alu instid0(VALU_DEP_1) | instskip(SKIP_1) | instid1(VALU_DEP_2)
	v_add_co_u32 v43, vcc_lo, v19, v32
	s_wait_alu 0xfffd
	v_add_co_ci_u32_e64 v44, null, v42, v33, vcc_lo
	flat_load_b128 v[32:35], v[43:44]
	s_wait_loadcnt_dscnt 0x0
	v_mul_f64_e32 v[45:46], s[28:29], v[34:35]
	v_mul_f64_e32 v[34:35], s[26:27], v[34:35]
	s_delay_alu instid0(VALU_DEP_2) | instskip(NEXT) | instid1(VALU_DEP_2)
	v_fma_f64 v[45:46], s[26:27], v[32:33], -v[45:46]
	v_fma_f64 v[34:35], s[28:29], v[32:33], v[34:35]
	s_delay_alu instid0(VALU_DEP_2) | instskip(NEXT) | instid1(VALU_DEP_2)
	v_add_f64_e32 v[32:33], v[2:3], v[45:46]
	v_add_f64_e32 v[34:35], v[4:5], v[34:35]
	flat_store_b128 v[43:44], v[32:35]
.LBB564_21:                             ;   in Loop: Header=BB564_7 Depth=1
	s_wait_alu 0xfffe
	s_and_not1_b32 vcc_lo, exec_lo, s17
	s_wait_alu 0xfffe
	s_cbranch_vccnz .LBB564_23
; %bb.22:                               ;   in Loop: Header=BB564_7 Depth=1
	v_lshlrev_b64_e32 v[32:33], 4, v[6:7]
	s_delay_alu instid0(VALU_DEP_1) | instskip(SKIP_1) | instid1(VALU_DEP_2)
	v_add_co_u32 v32, vcc_lo, v19, v32
	s_wait_alu 0xfffd
	v_add_co_ci_u32_e64 v33, null, v42, v33, vcc_lo
	flat_store_b128 v[32:33], v[2:5]
.LBB564_23:                             ;   in Loop: Header=BB564_7 Depth=1
	s_wait_alu 0xfffe
	s_or_b32 exec_lo, exec_lo, s16
	s_and_saveexec_b32 s16, s1
	s_cbranch_execz .LBB564_28
; %bb.24:                               ;   in Loop: Header=BB564_7 Depth=1
	v_mul_f64_e32 v[2:3], s[12:13], v[30:31]
	v_mul_f64_e32 v[4:5], s[10:11], v[30:31]
	s_and_not1_b32 vcc_lo, exec_lo, s22
	s_mov_b32 s17, -1
	s_delay_alu instid0(VALU_DEP_2) | instskip(NEXT) | instid1(VALU_DEP_2)
	v_fma_f64 v[2:3], s[10:11], v[28:29], -v[2:3]
	v_fma_f64 v[4:5], s[12:13], v[28:29], v[4:5]
	s_wait_alu 0xfffe
	s_cbranch_vccnz .LBB564_26
; %bb.25:                               ;   in Loop: Header=BB564_7 Depth=1
	v_lshlrev_b64_e32 v[28:29], 4, v[8:9]
	s_mov_b32 s17, 0
	s_delay_alu instid0(VALU_DEP_1) | instskip(SKIP_1) | instid1(VALU_DEP_2)
	v_add_co_u32 v32, vcc_lo, v19, v28
	s_wait_alu 0xfffd
	v_add_co_ci_u32_e64 v33, null, v42, v29, vcc_lo
	flat_load_b128 v[28:31], v[32:33]
	s_wait_loadcnt_dscnt 0x0
	v_mul_f64_e32 v[34:35], s[28:29], v[30:31]
	v_mul_f64_e32 v[30:31], s[26:27], v[30:31]
	s_delay_alu instid0(VALU_DEP_2) | instskip(NEXT) | instid1(VALU_DEP_2)
	v_fma_f64 v[34:35], s[26:27], v[28:29], -v[34:35]
	v_fma_f64 v[30:31], s[28:29], v[28:29], v[30:31]
	s_delay_alu instid0(VALU_DEP_2) | instskip(NEXT) | instid1(VALU_DEP_2)
	v_add_f64_e32 v[28:29], v[2:3], v[34:35]
	v_add_f64_e32 v[30:31], v[4:5], v[30:31]
	flat_store_b128 v[32:33], v[28:31]
.LBB564_26:                             ;   in Loop: Header=BB564_7 Depth=1
	s_wait_alu 0xfffe
	s_and_not1_b32 vcc_lo, exec_lo, s17
	s_wait_alu 0xfffe
	s_cbranch_vccnz .LBB564_28
; %bb.27:                               ;   in Loop: Header=BB564_7 Depth=1
	v_lshlrev_b64_e32 v[28:29], 4, v[8:9]
	s_delay_alu instid0(VALU_DEP_1) | instskip(SKIP_1) | instid1(VALU_DEP_2)
	v_add_co_u32 v28, vcc_lo, v19, v28
	s_wait_alu 0xfffd
	v_add_co_ci_u32_e64 v29, null, v42, v29, vcc_lo
	flat_store_b128 v[28:29], v[2:5]
.LBB564_28:                             ;   in Loop: Header=BB564_7 Depth=1
	s_wait_alu 0xfffe
	s_or_b32 exec_lo, exec_lo, s16
	v_add_co_u32 v0, vcc_lo, v0, v16
	s_wait_alu 0xfffd
	v_add_co_ci_u32_e64 v28, null, v18, v17, vcc_lo
	s_and_saveexec_b32 s16, s36
	s_cbranch_execz .LBB564_33
; %bb.29:                               ;   in Loop: Header=BB564_7 Depth=1
	v_mul_f64_e32 v[2:3], s[12:13], v[26:27]
	v_mul_f64_e32 v[4:5], s[10:11], v[26:27]
	v_lshlrev_b64_e32 v[18:19], 4, v[6:7]
	s_and_not1_b32 vcc_lo, exec_lo, s22
	s_mov_b32 s17, -1
	s_delay_alu instid0(VALU_DEP_3) | instskip(NEXT) | instid1(VALU_DEP_3)
	v_fma_f64 v[2:3], s[10:11], v[24:25], -v[2:3]
	v_fma_f64 v[4:5], s[12:13], v[24:25], v[4:5]
	s_wait_alu 0xfffe
	s_cbranch_vccnz .LBB564_31
; %bb.30:                               ;   in Loop: Header=BB564_7 Depth=1
	v_add_co_u32 v29, vcc_lo, v0, v18
	s_wait_alu 0xfffd
	v_add_co_ci_u32_e64 v30, null, v28, v19, vcc_lo
	s_mov_b32 s17, 0
	flat_load_b128 v[24:27], v[29:30]
	s_wait_loadcnt_dscnt 0x0
	v_mul_f64_e32 v[31:32], s[28:29], v[26:27]
	v_mul_f64_e32 v[26:27], s[26:27], v[26:27]
	s_delay_alu instid0(VALU_DEP_2) | instskip(NEXT) | instid1(VALU_DEP_2)
	v_fma_f64 v[31:32], s[26:27], v[24:25], -v[31:32]
	v_fma_f64 v[26:27], s[28:29], v[24:25], v[26:27]
	s_delay_alu instid0(VALU_DEP_2) | instskip(NEXT) | instid1(VALU_DEP_2)
	v_add_f64_e32 v[24:25], v[2:3], v[31:32]
	v_add_f64_e32 v[26:27], v[4:5], v[26:27]
	flat_store_b128 v[29:30], v[24:27]
.LBB564_31:                             ;   in Loop: Header=BB564_7 Depth=1
	s_wait_alu 0xfffe
	s_and_not1_b32 vcc_lo, exec_lo, s17
	s_wait_alu 0xfffe
	s_cbranch_vccnz .LBB564_33
; %bb.32:                               ;   in Loop: Header=BB564_7 Depth=1
	v_add_co_u32 v18, vcc_lo, v0, v18
	s_wait_alu 0xfffd
	v_add_co_ci_u32_e64 v19, null, v28, v19, vcc_lo
	flat_store_b128 v[18:19], v[2:5]
.LBB564_33:                             ;   in Loop: Header=BB564_7 Depth=1
	s_wait_alu 0xfffe
	s_or_b32 exec_lo, exec_lo, s16
	s_and_saveexec_b32 s16, s37
	s_cbranch_execz .LBB564_6
; %bb.34:                               ;   in Loop: Header=BB564_7 Depth=1
	v_mul_f64_e32 v[2:3], s[12:13], v[20:21]
	v_mul_f64_e32 v[4:5], s[10:11], v[20:21]
	v_lshlrev_b64_e32 v[18:19], 4, v[8:9]
	s_and_not1_b32 vcc_lo, exec_lo, s22
	s_mov_b32 s17, -1
	s_delay_alu instid0(VALU_DEP_3) | instskip(NEXT) | instid1(VALU_DEP_3)
	v_fma_f64 v[2:3], s[10:11], v[22:23], -v[2:3]
	v_fma_f64 v[4:5], s[12:13], v[22:23], v[4:5]
	s_wait_alu 0xfffe
	s_cbranch_vccnz .LBB564_36
; %bb.35:                               ;   in Loop: Header=BB564_7 Depth=1
	v_add_co_u32 v24, vcc_lo, v0, v18
	s_wait_alu 0xfffd
	v_add_co_ci_u32_e64 v25, null, v28, v19, vcc_lo
	s_mov_b32 s17, 0
	flat_load_b128 v[20:23], v[24:25]
	s_wait_loadcnt_dscnt 0x0
	v_mul_f64_e32 v[26:27], s[28:29], v[22:23]
	v_mul_f64_e32 v[22:23], s[26:27], v[22:23]
	s_delay_alu instid0(VALU_DEP_2) | instskip(NEXT) | instid1(VALU_DEP_2)
	v_fma_f64 v[26:27], s[26:27], v[20:21], -v[26:27]
	v_fma_f64 v[22:23], s[28:29], v[20:21], v[22:23]
	s_delay_alu instid0(VALU_DEP_2) | instskip(NEXT) | instid1(VALU_DEP_2)
	v_add_f64_e32 v[20:21], v[2:3], v[26:27]
	v_add_f64_e32 v[22:23], v[4:5], v[22:23]
	flat_store_b128 v[24:25], v[20:23]
.LBB564_36:                             ;   in Loop: Header=BB564_7 Depth=1
	s_wait_alu 0xfffe
	s_and_not1_b32 vcc_lo, exec_lo, s17
	s_wait_alu 0xfffe
	s_cbranch_vccnz .LBB564_6
; %bb.37:                               ;   in Loop: Header=BB564_7 Depth=1
	v_add_co_u32 v18, vcc_lo, v0, v18
	s_wait_alu 0xfffd
	v_add_co_ci_u32_e64 v19, null, v28, v19, vcc_lo
	flat_store_b128 v[18:19], v[2:5]
	s_branch .LBB564_6
.LBB564_38:
.LBB564_39:
	s_nop 0
	s_sendmsg sendmsg(MSG_DEALLOC_VGPRS)
	s_endpgm
	.section	.rodata,"a",@progbits
	.p2align	6, 0x0
	.amdhsa_kernel _ZL29rocblas_internal_gemmt_kernelIlLi16ELi32ELi8ELc67ELc78ELc85ELb1ELb0E19rocblas_complex_numIdES1_PKPKS1_PKPS1_EviT_T9_T10_S9_lSB_S9_lSA_T11_S9_li
		.amdhsa_group_segment_fixed_size 8192
		.amdhsa_private_segment_fixed_size 0
		.amdhsa_kernarg_size 124
		.amdhsa_user_sgpr_count 2
		.amdhsa_user_sgpr_dispatch_ptr 0
		.amdhsa_user_sgpr_queue_ptr 0
		.amdhsa_user_sgpr_kernarg_segment_ptr 1
		.amdhsa_user_sgpr_dispatch_id 0
		.amdhsa_user_sgpr_private_segment_size 0
		.amdhsa_wavefront_size32 1
		.amdhsa_uses_dynamic_stack 0
		.amdhsa_enable_private_segment 0
		.amdhsa_system_sgpr_workgroup_id_x 1
		.amdhsa_system_sgpr_workgroup_id_y 1
		.amdhsa_system_sgpr_workgroup_id_z 1
		.amdhsa_system_sgpr_workgroup_info 0
		.amdhsa_system_vgpr_workitem_id 1
		.amdhsa_next_free_vgpr 134
		.amdhsa_next_free_sgpr 40
		.amdhsa_reserve_vcc 1
		.amdhsa_float_round_mode_32 0
		.amdhsa_float_round_mode_16_64 0
		.amdhsa_float_denorm_mode_32 3
		.amdhsa_float_denorm_mode_16_64 3
		.amdhsa_fp16_overflow 0
		.amdhsa_workgroup_processor_mode 1
		.amdhsa_memory_ordered 1
		.amdhsa_forward_progress 1
		.amdhsa_inst_pref_size 28
		.amdhsa_round_robin_scheduling 0
		.amdhsa_exception_fp_ieee_invalid_op 0
		.amdhsa_exception_fp_denorm_src 0
		.amdhsa_exception_fp_ieee_div_zero 0
		.amdhsa_exception_fp_ieee_overflow 0
		.amdhsa_exception_fp_ieee_underflow 0
		.amdhsa_exception_fp_ieee_inexact 0
		.amdhsa_exception_int_div_zero 0
	.end_amdhsa_kernel
	.section	.text._ZL29rocblas_internal_gemmt_kernelIlLi16ELi32ELi8ELc67ELc78ELc85ELb1ELb0E19rocblas_complex_numIdES1_PKPKS1_PKPS1_EviT_T9_T10_S9_lSB_S9_lSA_T11_S9_li,"axG",@progbits,_ZL29rocblas_internal_gemmt_kernelIlLi16ELi32ELi8ELc67ELc78ELc85ELb1ELb0E19rocblas_complex_numIdES1_PKPKS1_PKPS1_EviT_T9_T10_S9_lSB_S9_lSA_T11_S9_li,comdat
.Lfunc_end564:
	.size	_ZL29rocblas_internal_gemmt_kernelIlLi16ELi32ELi8ELc67ELc78ELc85ELb1ELb0E19rocblas_complex_numIdES1_PKPKS1_PKPS1_EviT_T9_T10_S9_lSB_S9_lSA_T11_S9_li, .Lfunc_end564-_ZL29rocblas_internal_gemmt_kernelIlLi16ELi32ELi8ELc67ELc78ELc85ELb1ELb0E19rocblas_complex_numIdES1_PKPKS1_PKPS1_EviT_T9_T10_S9_lSB_S9_lSA_T11_S9_li
                                        ; -- End function
	.set _ZL29rocblas_internal_gemmt_kernelIlLi16ELi32ELi8ELc67ELc78ELc85ELb1ELb0E19rocblas_complex_numIdES1_PKPKS1_PKPS1_EviT_T9_T10_S9_lSB_S9_lSA_T11_S9_li.num_vgpr, 134
	.set _ZL29rocblas_internal_gemmt_kernelIlLi16ELi32ELi8ELc67ELc78ELc85ELb1ELb0E19rocblas_complex_numIdES1_PKPKS1_PKPS1_EviT_T9_T10_S9_lSB_S9_lSA_T11_S9_li.num_agpr, 0
	.set _ZL29rocblas_internal_gemmt_kernelIlLi16ELi32ELi8ELc67ELc78ELc85ELb1ELb0E19rocblas_complex_numIdES1_PKPKS1_PKPS1_EviT_T9_T10_S9_lSB_S9_lSA_T11_S9_li.numbered_sgpr, 40
	.set _ZL29rocblas_internal_gemmt_kernelIlLi16ELi32ELi8ELc67ELc78ELc85ELb1ELb0E19rocblas_complex_numIdES1_PKPKS1_PKPS1_EviT_T9_T10_S9_lSB_S9_lSA_T11_S9_li.num_named_barrier, 0
	.set _ZL29rocblas_internal_gemmt_kernelIlLi16ELi32ELi8ELc67ELc78ELc85ELb1ELb0E19rocblas_complex_numIdES1_PKPKS1_PKPS1_EviT_T9_T10_S9_lSB_S9_lSA_T11_S9_li.private_seg_size, 0
	.set _ZL29rocblas_internal_gemmt_kernelIlLi16ELi32ELi8ELc67ELc78ELc85ELb1ELb0E19rocblas_complex_numIdES1_PKPKS1_PKPS1_EviT_T9_T10_S9_lSB_S9_lSA_T11_S9_li.uses_vcc, 1
	.set _ZL29rocblas_internal_gemmt_kernelIlLi16ELi32ELi8ELc67ELc78ELc85ELb1ELb0E19rocblas_complex_numIdES1_PKPKS1_PKPS1_EviT_T9_T10_S9_lSB_S9_lSA_T11_S9_li.uses_flat_scratch, 0
	.set _ZL29rocblas_internal_gemmt_kernelIlLi16ELi32ELi8ELc67ELc78ELc85ELb1ELb0E19rocblas_complex_numIdES1_PKPKS1_PKPS1_EviT_T9_T10_S9_lSB_S9_lSA_T11_S9_li.has_dyn_sized_stack, 0
	.set _ZL29rocblas_internal_gemmt_kernelIlLi16ELi32ELi8ELc67ELc78ELc85ELb1ELb0E19rocblas_complex_numIdES1_PKPKS1_PKPS1_EviT_T9_T10_S9_lSB_S9_lSA_T11_S9_li.has_recursion, 0
	.set _ZL29rocblas_internal_gemmt_kernelIlLi16ELi32ELi8ELc67ELc78ELc85ELb1ELb0E19rocblas_complex_numIdES1_PKPKS1_PKPS1_EviT_T9_T10_S9_lSB_S9_lSA_T11_S9_li.has_indirect_call, 0
	.section	.AMDGPU.csdata,"",@progbits
; Kernel info:
; codeLenInByte = 3496
; TotalNumSgprs: 42
; NumVgprs: 134
; ScratchSize: 0
; MemoryBound: 1
; FloatMode: 240
; IeeeMode: 1
; LDSByteSize: 8192 bytes/workgroup (compile time only)
; SGPRBlocks: 0
; VGPRBlocks: 16
; NumSGPRsForWavesPerEU: 42
; NumVGPRsForWavesPerEU: 134
; Occupancy: 10
; WaveLimiterHint : 1
; COMPUTE_PGM_RSRC2:SCRATCH_EN: 0
; COMPUTE_PGM_RSRC2:USER_SGPR: 2
; COMPUTE_PGM_RSRC2:TRAP_HANDLER: 0
; COMPUTE_PGM_RSRC2:TGID_X_EN: 1
; COMPUTE_PGM_RSRC2:TGID_Y_EN: 1
; COMPUTE_PGM_RSRC2:TGID_Z_EN: 1
; COMPUTE_PGM_RSRC2:TIDIG_COMP_CNT: 1
	.section	.text._ZL29rocblas_internal_gemmt_kernelIlLi16ELi32ELi8ELc67ELc84ELc85ELb1ELb0E19rocblas_complex_numIdES1_PKPKS1_PKPS1_EviT_T9_T10_S9_lSB_S9_lSA_T11_S9_li,"axG",@progbits,_ZL29rocblas_internal_gemmt_kernelIlLi16ELi32ELi8ELc67ELc84ELc85ELb1ELb0E19rocblas_complex_numIdES1_PKPKS1_PKPS1_EviT_T9_T10_S9_lSB_S9_lSA_T11_S9_li,comdat
	.globl	_ZL29rocblas_internal_gemmt_kernelIlLi16ELi32ELi8ELc67ELc84ELc85ELb1ELb0E19rocblas_complex_numIdES1_PKPKS1_PKPS1_EviT_T9_T10_S9_lSB_S9_lSA_T11_S9_li ; -- Begin function _ZL29rocblas_internal_gemmt_kernelIlLi16ELi32ELi8ELc67ELc84ELc85ELb1ELb0E19rocblas_complex_numIdES1_PKPKS1_PKPS1_EviT_T9_T10_S9_lSB_S9_lSA_T11_S9_li
	.p2align	8
	.type	_ZL29rocblas_internal_gemmt_kernelIlLi16ELi32ELi8ELc67ELc84ELc85ELb1ELb0E19rocblas_complex_numIdES1_PKPKS1_PKPS1_EviT_T9_T10_S9_lSB_S9_lSA_T11_S9_li,@function
_ZL29rocblas_internal_gemmt_kernelIlLi16ELi32ELi8ELc67ELc84ELc85ELb1ELb0E19rocblas_complex_numIdES1_PKPKS1_PKPS1_EviT_T9_T10_S9_lSB_S9_lSA_T11_S9_li: ; @_ZL29rocblas_internal_gemmt_kernelIlLi16ELi32ELi8ELc67ELc84ELc85ELb1ELb0E19rocblas_complex_numIdES1_PKPKS1_PKPS1_EviT_T9_T10_S9_lSB_S9_lSA_T11_S9_li
; %bb.0:
	s_clause 0x1
	s_load_b256 s[24:31], s[0:1], 0x48
	s_load_b512 s[8:23], s[0:1], 0x8
	s_wait_kmcnt 0x0
	v_cmp_eq_f64_e64 s3, s[26:27], 1.0
	v_cmp_eq_f64_e64 s2, s[28:29], 0
	s_and_b32 s3, s3, s2
	s_delay_alu instid0(SALU_CYCLE_1)
	s_and_not1_b32 vcc_lo, exec_lo, s3
	s_mov_b32 s3, -1
	s_cbranch_vccnz .LBB565_3
; %bb.1:
	s_cmp_lg_u64 s[8:9], 0
	s_cbranch_scc0 .LBB565_38
; %bb.2:
	v_cmp_neq_f64_e64 s3, s[10:11], 0
	v_cmp_neq_f64_e64 s4, s[12:13], 0
	s_or_b32 s3, s3, s4
.LBB565_3:
	s_delay_alu instid0(SALU_CYCLE_1)
	s_and_b32 vcc_lo, exec_lo, s3
	s_cbranch_vccz .LBB565_39
; %bb.4:
	s_load_b32 s33, s[0:1], 0x78
	s_lshr_b32 s34, ttmp7, 16
	s_wait_kmcnt 0x0
	s_cmp_ge_u32 s34, s33
	s_cbranch_scc1 .LBB565_39
; %bb.5:
	s_clause 0x1
	s_load_b128 s[4:7], s[0:1], 0x68
	s_load_b32 s38, s[0:1], 0x0
	v_cmp_neq_f64_e64 s3, s[10:11], 0
	v_cmp_neq_f64_e64 s35, s[12:13], 0
	v_dual_mov_b32 v1, 0 :: v_dual_and_b32 v6, 0x3ff, v0
	v_bfe_u32 v9, v0, 10, 10
	s_lshl_b32 s0, ttmp7, 5
	v_cmp_neq_f64_e64 s36, s[26:27], 0
	v_and_b32_e32 v34, 7, v0
	s_and_b32 s0, s0, 0x1fffe0
	v_lshl_add_u32 v0, v9, 4, v6
	v_add_nc_u32_e32 v12, s0, v9
	s_lshl_b32 s1, ttmp9, 5
	v_cmp_gt_i64_e64 s40, s[8:9], 0
	s_wait_alu 0xfffe
	s_ashr_i32 s37, s1, 31
	v_and_b32_e32 v2, 31, v0
	v_add_nc_u32_e32 v13, 16, v12
	v_lshrrev_b32_e32 v8, 3, v0
	v_lshrrev_b32_e32 v36, 5, v0
	s_wait_kmcnt 0x0
	v_mad_co_u64_u32 v[4:5], null, s4, v12, 0
	v_lshlrev_b32_e32 v7, 4, v34
	v_lshlrev_b32_e32 v0, 4, v2
	v_or_b32_e32 v10, s1, v2
	v_mad_co_u64_u32 v[14:15], null, s4, v13, 0
	v_lshlrev_b32_e32 v35, 4, v6
	s_delay_alu instid0(VALU_DEP_4)
	v_lshl_or_b32 v37, v36, 9, v0
	v_mov_b32_e32 v0, v5
	v_lshl_or_b32 v7, v8, 7, v7
	v_mul_lo_u32 v11, s17, v10
	v_mad_co_u64_u32 v[2:3], null, s16, v10, 0
	v_add_nc_u32_e32 v16, s0, v8
	s_delay_alu instid0(VALU_DEP_4)
	v_add_nc_u32_e32 v38, 0x1000, v7
	v_mad_co_u64_u32 v[7:8], null, s5, v12, v[0:1]
	v_mov_b32_e32 v0, v15
	s_mul_i32 s37, s16, s37
	v_cmp_gt_i32_e64 s0, s38, v10
	v_add3_u32 v3, v3, s37, v11
	v_add_nc_u32_e32 v6, s1, v6
	v_mad_co_u64_u32 v[10:11], null, s5, v13, v[0:1]
	s_or_b32 s16, s3, s35
	s_xor_b32 s3, s2, -1
	v_cmp_gt_i32_e64 s1, s38, v12
	v_cmp_le_i32_e64 s2, v6, v12
	v_dual_mov_b32 v5, v7 :: v_dual_add_nc_u32 v8, 16, v6
	v_mov_b32_e32 v15, v10
	v_cmp_gt_i32_e32 vcc_lo, s38, v16
	s_or_b32 s36, s36, s3
	s_and_b32 s37, s1, s2
	v_cmp_le_i32_e64 s2, v8, v12
	v_cmp_gt_i32_e64 s3, s38, v13
	v_cmp_le_i32_e64 s4, v6, v13
	v_cmp_le_i32_e64 s5, v8, v13
	v_lshlrev_b64_e32 v[10:11], 4, v[2:3]
	v_lshlrev_b64_e32 v[12:13], 4, v[4:5]
	;; [unrolled: 1-line block ×3, first 2 shown]
	v_lshl_add_u32 v39, v9, 7, 0x1000
	v_ashrrev_i32_e32 v7, 31, v6
	v_ashrrev_i32_e32 v9, 31, v8
	v_lshlrev_b32_e32 v40, 4, v16
	s_and_b32 s1, s1, s2
	s_and_b32 s38, s3, s4
	;; [unrolled: 1-line block ×3, first 2 shown]
	s_mov_b32 s35, 0
	s_wait_alu 0xfffe
	s_and_b32 s40, s16, s40
	s_lshl_b64 s[2:3], s[24:25], 4
	s_lshl_b64 s[4:5], s[18:19], 4
	s_xor_b32 s18, vcc_lo, -1
	s_lshl_b64 s[6:7], s[6:7], 4
	s_branch .LBB565_7
.LBB565_6:                              ;   in Loop: Header=BB565_7 Depth=1
	s_wait_alu 0xfffe
	s_or_b32 exec_lo, exec_lo, s16
	s_add_co_i32 s34, s34, 0x10000
	s_delay_alu instid0(SALU_CYCLE_1)
	s_cmp_lt_u32 s34, s33
	s_cbranch_scc0 .LBB565_39
.LBB565_7:                              ; =>This Loop Header: Depth=1
                                        ;     Child Loop BB565_10 Depth 2
	s_lshl_b64 s[16:17], s[34:35], 3
	v_mov_b32_e32 v30, 0
	s_wait_alu 0xfffe
	s_add_nc_u64 s[24:25], s[30:31], s[16:17]
	v_mov_b32_e32 v26, 0
	global_load_b64 v[16:17], v1, s[24:25]
	v_mov_b32_e32 v22, 0
	v_dual_mov_b32 v20, 0 :: v_dual_mov_b32 v31, 0
	v_dual_mov_b32 v32, 0 :: v_dual_mov_b32 v27, 0
	;; [unrolled: 1-line block ×5, first 2 shown]
	v_mov_b32_e32 v29, 0
	v_mov_b32_e32 v25, 0
	;; [unrolled: 1-line block ×3, first 2 shown]
	s_and_not1_b32 vcc_lo, exec_lo, s40
	s_wait_alu 0xfffe
	s_cbranch_vccnz .LBB565_18
; %bb.8:                                ;   in Loop: Header=BB565_7 Depth=1
	s_add_nc_u64 s[24:25], s[14:15], s[16:17]
	s_add_nc_u64 s[16:17], s[20:21], s[16:17]
	s_clause 0x1
	global_load_b64 v[2:3], v1, s[24:25]
	global_load_b64 v[4:5], v1, s[16:17]
	v_mov_b32_e32 v18, 0
	v_mov_b32_e32 v24, 0
	;; [unrolled: 1-line block ×3, first 2 shown]
	v_dual_mov_b32 v32, 0 :: v_dual_mov_b32 v19, 0
	v_dual_mov_b32 v20, 0 :: v_dual_mov_b32 v25, 0
	;; [unrolled: 1-line block ×5, first 2 shown]
	v_mov_b32_e32 v23, 0
	v_mov_b32_e32 v27, 0
	;; [unrolled: 1-line block ×3, first 2 shown]
	s_mov_b64 s[16:17], 0
	s_wait_loadcnt 0x1
	v_add_co_u32 v0, vcc_lo, v2, s4
	s_wait_alu 0xfffd
	v_add_co_ci_u32_e64 v2, null, s5, v3, vcc_lo
	s_wait_loadcnt 0x0
	v_add_co_u32 v3, vcc_lo, v4, s2
	s_wait_alu 0xfffd
	v_add_co_ci_u32_e64 v4, null, s3, v5, vcc_lo
	v_add_co_u32 v41, vcc_lo, v0, v10
	s_wait_alu 0xfffd
	v_add_co_ci_u32_e64 v42, null, v2, v11, vcc_lo
	;; [unrolled: 3-line block ×3, first 2 shown]
	s_branch .LBB565_10
.LBB565_9:                              ;   in Loop: Header=BB565_10 Depth=2
	s_or_b32 exec_lo, exec_lo, s19
	s_wait_dscnt 0x0
	s_barrier_signal -1
	s_barrier_wait -1
	global_inv scope:SCOPE_SE
	ds_load_b128 v[2:5], v39
	ds_load_b128 v[45:48], v35
	ds_load_b128 v[49:52], v35 offset:256
	ds_load_b128 v[53:56], v39 offset:2048
	;; [unrolled: 1-line block ×10, first 2 shown]
	s_add_nc_u64 s[16:17], s[16:17], 8
	s_wait_alu 0xfffe
	v_cmp_gt_i64_e64 s19, s[8:9], s[16:17]
	s_and_b32 vcc_lo, exec_lo, s19
	s_wait_dscnt 0xa
	v_mul_f64_e32 v[89:90], v[4:5], v[47:48]
	v_mul_f64_e32 v[91:92], v[2:3], v[47:48]
	s_wait_dscnt 0x9
	v_mul_f64_e32 v[93:94], v[4:5], v[51:52]
	v_mul_f64_e32 v[95:96], v[2:3], v[51:52]
	;; [unrolled: 3-line block ×3, first 2 shown]
	v_mul_f64_e32 v[99:100], v[55:56], v[51:52]
	v_mul_f64_e32 v[51:52], v[53:54], v[51:52]
	s_wait_dscnt 0x5
	v_mul_f64_e32 v[101:102], v[59:60], v[67:68]
	v_mul_f64_e32 v[103:104], v[57:58], v[67:68]
	s_wait_dscnt 0x4
	v_mul_f64_e32 v[105:106], v[59:60], v[71:72]
	v_mul_f64_e32 v[107:108], v[57:58], v[71:72]
	;; [unrolled: 1-line block ×6, first 2 shown]
	s_wait_dscnt 0x2
	v_mul_f64_e32 v[117:118], v[75:76], v[79:80]
	v_mul_f64_e32 v[119:120], v[73:74], v[79:80]
	s_wait_dscnt 0x1
	v_mul_f64_e32 v[121:122], v[75:76], v[83:84]
	v_mul_f64_e32 v[123:124], v[73:74], v[83:84]
	;; [unrolled: 3-line block ×3, first 2 shown]
	v_mul_f64_e32 v[127:128], v[87:88], v[83:84]
	v_mul_f64_e32 v[83:84], v[85:86], v[83:84]
	v_fma_f64 v[89:90], v[2:3], v[45:46], -v[89:90]
	v_fma_f64 v[91:92], v[4:5], v[45:46], v[91:92]
	v_fma_f64 v[93:94], v[2:3], v[49:50], -v[93:94]
	v_fma_f64 v[95:96], v[4:5], v[49:50], v[95:96]
	;; [unrolled: 2-line block ×8, first 2 shown]
	ds_load_b128 v[2:5], v39 offset:48
	ds_load_b128 v[45:48], v35 offset:1536
	;; [unrolled: 1-line block ×4, first 2 shown]
	v_fma_f64 v[117:118], v[73:74], v[77:78], -v[117:118]
	v_fma_f64 v[119:120], v[75:76], v[77:78], v[119:120]
	v_fma_f64 v[73:74], v[73:74], v[81:82], -v[121:122]
	v_fma_f64 v[75:76], v[75:76], v[81:82], v[123:124]
	;; [unrolled: 2-line block ×4, first 2 shown]
	s_wait_dscnt 0x2
	v_mul_f64_e32 v[107:108], v[2:3], v[47:48]
	s_wait_dscnt 0x1
	v_mul_f64_e32 v[109:110], v[4:5], v[51:52]
	v_mul_f64_e32 v[111:112], v[2:3], v[51:52]
	v_add_f64_e32 v[67:68], v[30:31], v[89:90]
	v_add_f64_e32 v[69:70], v[91:92], v[32:33]
	;; [unrolled: 1-line block ×8, first 2 shown]
	v_mul_f64_e32 v[99:100], v[4:5], v[47:48]
	s_wait_dscnt 0x0
	v_mul_f64_e32 v[113:114], v[55:56], v[47:48]
	v_mul_f64_e32 v[47:48], v[53:54], v[47:48]
	;; [unrolled: 1-line block ×4, first 2 shown]
	ds_load_b128 v[18:21], v39 offset:64
	ds_load_b128 v[22:25], v35 offset:2048
	;; [unrolled: 1-line block ×4, first 2 shown]
	s_wait_dscnt 0x1
	v_mul_f64_e32 v[123:124], v[18:19], v[28:29]
	s_wait_dscnt 0x0
	v_mul_f64_e32 v[125:126], v[32:33], v[24:25]
	v_mul_f64_e32 v[127:128], v[32:33], v[28:29]
	v_fma_f64 v[107:108], v[4:5], v[45:46], v[107:108]
	v_fma_f64 v[109:110], v[2:3], v[49:50], -v[109:110]
	v_fma_f64 v[111:112], v[4:5], v[49:50], v[111:112]
	v_add_f64_e32 v[83:84], v[67:68], v[101:102]
	v_add_f64_e32 v[85:86], v[103:104], v[69:70]
	;; [unrolled: 1-line block ×8, first 2 shown]
	v_mul_f64_e32 v[101:102], v[20:21], v[24:25]
	v_mul_f64_e32 v[103:104], v[18:19], v[24:25]
	v_mul_f64_e32 v[105:106], v[20:21], v[28:29]
	v_mul_f64_e32 v[24:25], v[30:31], v[24:25]
	v_mul_f64_e32 v[28:29], v[30:31], v[28:29]
	v_fma_f64 v[99:100], v[2:3], v[45:46], -v[99:100]
	v_fma_f64 v[113:114], v[53:54], v[45:46], -v[113:114]
	v_fma_f64 v[129:130], v[55:56], v[45:46], v[47:48]
	v_fma_f64 v[115:116], v[53:54], v[49:50], -v[115:116]
	v_fma_f64 v[131:132], v[55:56], v[49:50], v[51:52]
	ds_load_b128 v[57:60], v39 offset:80
	ds_load_b128 v[61:64], v35 offset:2560
	;; [unrolled: 1-line block ×8, first 2 shown]
	v_add_f64_e32 v[83:84], v[83:84], v[117:118]
	v_add_f64_e32 v[85:86], v[119:120], v[85:86]
	;; [unrolled: 1-line block ×8, first 2 shown]
	s_wait_dscnt 0x6
	v_mul_f64_e32 v[89:90], v[59:60], v[63:64]
	v_mul_f64_e32 v[91:92], v[57:58], v[63:64]
	s_wait_dscnt 0x5
	v_mul_f64_e32 v[93:94], v[59:60], v[67:68]
	v_mul_f64_e32 v[95:96], v[57:58], v[67:68]
	;; [unrolled: 3-line block ×3, first 2 shown]
	v_mul_f64_e32 v[117:118], v[71:72], v[67:68]
	v_mul_f64_e32 v[67:68], v[69:70], v[67:68]
	v_fma_f64 v[101:102], v[18:19], v[22:23], -v[101:102]
	v_fma_f64 v[103:104], v[20:21], v[22:23], v[103:104]
	v_fma_f64 v[105:106], v[18:19], v[26:27], -v[105:106]
	v_fma_f64 v[119:120], v[20:21], v[26:27], v[123:124]
	v_fma_f64 v[121:122], v[30:31], v[22:23], -v[125:126]
	v_fma_f64 v[123:124], v[32:33], v[22:23], v[24:25]
	v_fma_f64 v[125:126], v[30:31], v[26:27], -v[127:128]
	v_fma_f64 v[127:128], v[32:33], v[26:27], v[28:29]
	ds_load_b128 v[18:21], v39 offset:112
	ds_load_b128 v[22:25], v35 offset:3584
	;; [unrolled: 1-line block ×4, first 2 shown]
	s_wait_loadcnt_dscnt 0x0
	s_barrier_signal -1
	s_barrier_wait -1
	global_inv scope:SCOPE_SE
	v_add_f64_e32 v[83:84], v[83:84], v[99:100]
	v_add_f64_e32 v[85:86], v[107:108], v[85:86]
	;; [unrolled: 1-line block ×8, first 2 shown]
	v_mul_f64_e32 v[99:100], v[4:5], v[47:48]
	v_mul_f64_e32 v[107:108], v[2:3], v[47:48]
	;; [unrolled: 1-line block ×8, first 2 shown]
	v_fma_f64 v[89:90], v[57:58], v[61:62], -v[89:90]
	v_fma_f64 v[91:92], v[59:60], v[61:62], v[91:92]
	v_fma_f64 v[57:58], v[57:58], v[65:66], -v[93:94]
	v_fma_f64 v[59:60], v[59:60], v[65:66], v[95:96]
	;; [unrolled: 2-line block ×4, first 2 shown]
	v_mul_f64_e32 v[95:96], v[18:19], v[28:29]
	v_mul_f64_e32 v[97:98], v[32:33], v[24:25]
	v_add_f64_e32 v[67:68], v[83:84], v[101:102]
	v_add_f64_e32 v[69:70], v[103:104], v[85:86]
	;; [unrolled: 1-line block ×8, first 2 shown]
	v_mul_f64_e32 v[83:84], v[20:21], v[24:25]
	v_mul_f64_e32 v[85:86], v[18:19], v[24:25]
	;; [unrolled: 1-line block ×6, first 2 shown]
	v_fma_f64 v[99:100], v[2:3], v[45:46], -v[99:100]
	v_fma_f64 v[103:104], v[4:5], v[45:46], v[107:108]
	v_fma_f64 v[2:3], v[2:3], v[49:50], -v[109:110]
	v_fma_f64 v[4:5], v[4:5], v[49:50], v[111:112]
	;; [unrolled: 2-line block ×4, first 2 shown]
	v_add_f64_e32 v[51:52], v[67:68], v[89:90]
	v_add_f64_e32 v[53:54], v[91:92], v[69:70]
	;; [unrolled: 1-line block ×8, first 2 shown]
	v_fma_f64 v[67:68], v[18:19], v[22:23], -v[83:84]
	v_fma_f64 v[69:70], v[20:21], v[22:23], v[85:86]
	v_fma_f64 v[18:19], v[18:19], v[26:27], -v[87:88]
	v_fma_f64 v[20:21], v[20:21], v[26:27], v[95:96]
	;; [unrolled: 2-line block ×4, first 2 shown]
	v_add_f64_e32 v[22:23], v[51:52], v[99:100]
	v_add_f64_e32 v[26:27], v[103:104], v[53:54]
	;; [unrolled: 1-line block ×16, first 2 shown]
	s_wait_alu 0xfffe
	s_cbranch_vccz .LBB565_18
.LBB565_10:                             ;   Parent Loop BB565_7 Depth=1
                                        ; =>  This Inner Loop Header: Depth=2
	v_mov_b32_e32 v2, 0
	v_dual_mov_b32 v3, 0 :: v_dual_mov_b32 v4, 0
	v_mov_b32_e32 v5, 0
	s_and_saveexec_b32 s19, s0
	s_cbranch_execz .LBB565_14
; %bb.11:                               ;   in Loop: Header=BB565_10 Depth=2
	v_mov_b32_e32 v4, 0
	v_mov_b32_e32 v2, 0
	s_wait_alu 0xfffe
	v_dual_mov_b32 v5, 0 :: v_dual_add_nc_u32 v0, s16, v36
	v_mov_b32_e32 v3, 0
	s_mov_b32 s24, exec_lo
	s_delay_alu instid0(VALU_DEP_2)
	v_cmpx_gt_u64_e64 s[8:9], v[0:1]
	s_cbranch_execz .LBB565_13
; %bb.12:                               ;   in Loop: Header=BB565_10 Depth=2
	v_lshlrev_b64_e32 v[2:3], 4, v[0:1]
	s_delay_alu instid0(VALU_DEP_1) | instskip(SKIP_1) | instid1(VALU_DEP_2)
	v_add_co_u32 v2, vcc_lo, v41, v2
	s_wait_alu 0xfffd
	v_add_co_ci_u32_e64 v3, null, v42, v3, vcc_lo
	flat_load_b128 v[2:5], v[2:3]
	s_wait_loadcnt_dscnt 0x0
	v_xor_b32_e32 v5, 0x80000000, v5
.LBB565_13:                             ;   in Loop: Header=BB565_10 Depth=2
	s_or_b32 exec_lo, exec_lo, s24
.LBB565_14:                             ;   in Loop: Header=BB565_10 Depth=2
	s_delay_alu instid0(SALU_CYCLE_1)
	s_or_b32 exec_lo, exec_lo, s19
	s_wait_alu 0xfffe
	v_add_nc_u32_e32 v0, s16, v34
	ds_store_b128 v37, v[2:5]
	v_cmp_le_u64_e32 vcc_lo, s[8:9], v[0:1]
	s_or_b32 s19, vcc_lo, s18
	s_delay_alu instid0(SALU_CYCLE_1) | instskip(NEXT) | instid1(SALU_CYCLE_1)
	s_and_saveexec_b32 s24, s19
	s_xor_b32 s19, exec_lo, s24
; %bb.15:                               ;   in Loop: Header=BB565_10 Depth=2
	v_dual_mov_b32 v0, v1 :: v_dual_mov_b32 v3, v1
	v_mov_b32_e32 v2, v1
	ds_store_b128 v38, v[0:3]
; %bb.16:                               ;   in Loop: Header=BB565_10 Depth=2
	s_and_not1_saveexec_b32 s19, s19
	s_cbranch_execz .LBB565_9
; %bb.17:                               ;   in Loop: Header=BB565_10 Depth=2
	v_mad_co_u64_u32 v[2:3], null, s22, v0, 0
	s_delay_alu instid0(VALU_DEP_1) | instskip(NEXT) | instid1(VALU_DEP_1)
	v_mad_co_u64_u32 v[3:4], null, s23, v0, v[3:4]
	v_lshlrev_b64_e32 v[2:3], 4, v[2:3]
	s_delay_alu instid0(VALU_DEP_1) | instskip(SKIP_1) | instid1(VALU_DEP_2)
	v_add_co_u32 v2, vcc_lo, v43, v2
	s_wait_alu 0xfffd
	v_add_co_ci_u32_e64 v3, null, v44, v3, vcc_lo
	flat_load_b128 v[2:5], v[2:3]
	s_wait_loadcnt_dscnt 0x0
	ds_store_2addr_b64 v38, v[2:3], v[4:5] offset1:1
	s_branch .LBB565_9
.LBB565_18:                             ;   in Loop: Header=BB565_7 Depth=1
	s_wait_loadcnt 0x0
	v_add_co_u32 v0, vcc_lo, v16, s6
	s_wait_alu 0xfffd
	v_add_co_ci_u32_e64 v16, null, s7, v17, vcc_lo
	s_delay_alu instid0(VALU_DEP_2) | instskip(SKIP_1) | instid1(VALU_DEP_2)
	v_add_co_u32 v17, vcc_lo, v0, v12
	s_wait_alu 0xfffd
	v_add_co_ci_u32_e64 v41, null, v16, v13, vcc_lo
	s_and_saveexec_b32 s16, s37
	s_cbranch_execz .LBB565_23
; %bb.19:                               ;   in Loop: Header=BB565_7 Depth=1
	v_mul_f64_e32 v[2:3], s[12:13], v[32:33]
	v_mul_f64_e32 v[4:5], s[10:11], v[32:33]
	s_and_b32 vcc_lo, exec_lo, s36
	s_mov_b32 s17, -1
	s_delay_alu instid0(VALU_DEP_2) | instskip(NEXT) | instid1(VALU_DEP_2)
	v_fma_f64 v[2:3], s[10:11], v[30:31], -v[2:3]
	v_fma_f64 v[4:5], s[12:13], v[30:31], v[4:5]
	s_wait_alu 0xfffe
	s_cbranch_vccz .LBB565_21
; %bb.20:                               ;   in Loop: Header=BB565_7 Depth=1
	v_lshlrev_b64_e32 v[30:31], 4, v[6:7]
	s_mov_b32 s17, 0
	s_delay_alu instid0(VALU_DEP_1) | instskip(SKIP_1) | instid1(VALU_DEP_2)
	v_add_co_u32 v42, vcc_lo, v17, v30
	s_wait_alu 0xfffd
	v_add_co_ci_u32_e64 v43, null, v41, v31, vcc_lo
	flat_load_b128 v[30:33], v[42:43]
	s_wait_loadcnt_dscnt 0x0
	v_mul_f64_e32 v[44:45], s[28:29], v[32:33]
	v_mul_f64_e32 v[32:33], s[26:27], v[32:33]
	s_delay_alu instid0(VALU_DEP_2) | instskip(NEXT) | instid1(VALU_DEP_2)
	v_fma_f64 v[44:45], s[26:27], v[30:31], -v[44:45]
	v_fma_f64 v[32:33], s[28:29], v[30:31], v[32:33]
	s_delay_alu instid0(VALU_DEP_2) | instskip(NEXT) | instid1(VALU_DEP_2)
	v_add_f64_e32 v[30:31], v[2:3], v[44:45]
	v_add_f64_e32 v[32:33], v[4:5], v[32:33]
	flat_store_b128 v[42:43], v[30:33]
.LBB565_21:                             ;   in Loop: Header=BB565_7 Depth=1
	s_wait_alu 0xfffe
	s_and_not1_b32 vcc_lo, exec_lo, s17
	s_wait_alu 0xfffe
	s_cbranch_vccnz .LBB565_23
; %bb.22:                               ;   in Loop: Header=BB565_7 Depth=1
	v_lshlrev_b64_e32 v[30:31], 4, v[6:7]
	s_delay_alu instid0(VALU_DEP_1) | instskip(SKIP_1) | instid1(VALU_DEP_2)
	v_add_co_u32 v30, vcc_lo, v17, v30
	s_wait_alu 0xfffd
	v_add_co_ci_u32_e64 v31, null, v41, v31, vcc_lo
	flat_store_b128 v[30:31], v[2:5]
.LBB565_23:                             ;   in Loop: Header=BB565_7 Depth=1
	s_wait_alu 0xfffe
	s_or_b32 exec_lo, exec_lo, s16
	s_and_saveexec_b32 s16, s1
	s_cbranch_execz .LBB565_28
; %bb.24:                               ;   in Loop: Header=BB565_7 Depth=1
	v_mul_f64_e32 v[2:3], s[12:13], v[28:29]
	v_mul_f64_e32 v[4:5], s[10:11], v[28:29]
	s_and_not1_b32 vcc_lo, exec_lo, s36
	s_mov_b32 s17, -1
	s_delay_alu instid0(VALU_DEP_2) | instskip(NEXT) | instid1(VALU_DEP_2)
	v_fma_f64 v[2:3], s[10:11], v[26:27], -v[2:3]
	v_fma_f64 v[4:5], s[12:13], v[26:27], v[4:5]
	s_wait_alu 0xfffe
	s_cbranch_vccnz .LBB565_26
; %bb.25:                               ;   in Loop: Header=BB565_7 Depth=1
	v_lshlrev_b64_e32 v[26:27], 4, v[8:9]
	s_mov_b32 s17, 0
	s_delay_alu instid0(VALU_DEP_1) | instskip(SKIP_1) | instid1(VALU_DEP_2)
	v_add_co_u32 v30, vcc_lo, v17, v26
	s_wait_alu 0xfffd
	v_add_co_ci_u32_e64 v31, null, v41, v27, vcc_lo
	flat_load_b128 v[26:29], v[30:31]
	s_wait_loadcnt_dscnt 0x0
	v_mul_f64_e32 v[32:33], s[28:29], v[28:29]
	v_mul_f64_e32 v[28:29], s[26:27], v[28:29]
	s_delay_alu instid0(VALU_DEP_2) | instskip(NEXT) | instid1(VALU_DEP_2)
	v_fma_f64 v[32:33], s[26:27], v[26:27], -v[32:33]
	v_fma_f64 v[28:29], s[28:29], v[26:27], v[28:29]
	s_delay_alu instid0(VALU_DEP_2) | instskip(NEXT) | instid1(VALU_DEP_2)
	v_add_f64_e32 v[26:27], v[2:3], v[32:33]
	v_add_f64_e32 v[28:29], v[4:5], v[28:29]
	flat_store_b128 v[30:31], v[26:29]
.LBB565_26:                             ;   in Loop: Header=BB565_7 Depth=1
	s_wait_alu 0xfffe
	s_and_not1_b32 vcc_lo, exec_lo, s17
	s_wait_alu 0xfffe
	s_cbranch_vccnz .LBB565_28
; %bb.27:                               ;   in Loop: Header=BB565_7 Depth=1
	v_lshlrev_b64_e32 v[26:27], 4, v[8:9]
	s_delay_alu instid0(VALU_DEP_1) | instskip(SKIP_1) | instid1(VALU_DEP_2)
	v_add_co_u32 v26, vcc_lo, v17, v26
	s_wait_alu 0xfffd
	v_add_co_ci_u32_e64 v27, null, v41, v27, vcc_lo
	flat_store_b128 v[26:27], v[2:5]
.LBB565_28:                             ;   in Loop: Header=BB565_7 Depth=1
	s_wait_alu 0xfffe
	s_or_b32 exec_lo, exec_lo, s16
	v_add_co_u32 v0, vcc_lo, v0, v14
	s_wait_alu 0xfffd
	v_add_co_ci_u32_e64 v26, null, v16, v15, vcc_lo
	s_and_saveexec_b32 s16, s38
	s_cbranch_execz .LBB565_33
; %bb.29:                               ;   in Loop: Header=BB565_7 Depth=1
	v_mul_f64_e32 v[2:3], s[12:13], v[24:25]
	v_mul_f64_e32 v[4:5], s[10:11], v[24:25]
	v_lshlrev_b64_e32 v[16:17], 4, v[6:7]
	s_and_not1_b32 vcc_lo, exec_lo, s36
	s_mov_b32 s17, -1
	s_delay_alu instid0(VALU_DEP_3) | instskip(NEXT) | instid1(VALU_DEP_3)
	v_fma_f64 v[2:3], s[10:11], v[22:23], -v[2:3]
	v_fma_f64 v[4:5], s[12:13], v[22:23], v[4:5]
	s_wait_alu 0xfffe
	s_cbranch_vccnz .LBB565_31
; %bb.30:                               ;   in Loop: Header=BB565_7 Depth=1
	v_add_co_u32 v27, vcc_lo, v0, v16
	s_wait_alu 0xfffd
	v_add_co_ci_u32_e64 v28, null, v26, v17, vcc_lo
	s_mov_b32 s17, 0
	flat_load_b128 v[22:25], v[27:28]
	s_wait_loadcnt_dscnt 0x0
	v_mul_f64_e32 v[29:30], s[28:29], v[24:25]
	v_mul_f64_e32 v[24:25], s[26:27], v[24:25]
	s_delay_alu instid0(VALU_DEP_2) | instskip(NEXT) | instid1(VALU_DEP_2)
	v_fma_f64 v[29:30], s[26:27], v[22:23], -v[29:30]
	v_fma_f64 v[24:25], s[28:29], v[22:23], v[24:25]
	s_delay_alu instid0(VALU_DEP_2) | instskip(NEXT) | instid1(VALU_DEP_2)
	v_add_f64_e32 v[22:23], v[2:3], v[29:30]
	v_add_f64_e32 v[24:25], v[4:5], v[24:25]
	flat_store_b128 v[27:28], v[22:25]
.LBB565_31:                             ;   in Loop: Header=BB565_7 Depth=1
	s_wait_alu 0xfffe
	s_and_not1_b32 vcc_lo, exec_lo, s17
	s_wait_alu 0xfffe
	s_cbranch_vccnz .LBB565_33
; %bb.32:                               ;   in Loop: Header=BB565_7 Depth=1
	v_add_co_u32 v16, vcc_lo, v0, v16
	s_wait_alu 0xfffd
	v_add_co_ci_u32_e64 v17, null, v26, v17, vcc_lo
	flat_store_b128 v[16:17], v[2:5]
.LBB565_33:                             ;   in Loop: Header=BB565_7 Depth=1
	s_wait_alu 0xfffe
	s_or_b32 exec_lo, exec_lo, s16
	s_and_saveexec_b32 s16, s39
	s_cbranch_execz .LBB565_6
; %bb.34:                               ;   in Loop: Header=BB565_7 Depth=1
	v_mul_f64_e32 v[2:3], s[12:13], v[18:19]
	v_mul_f64_e32 v[4:5], s[10:11], v[18:19]
	v_lshlrev_b64_e32 v[16:17], 4, v[8:9]
	s_and_not1_b32 vcc_lo, exec_lo, s36
	s_mov_b32 s17, -1
	s_delay_alu instid0(VALU_DEP_3) | instskip(NEXT) | instid1(VALU_DEP_3)
	v_fma_f64 v[2:3], s[10:11], v[20:21], -v[2:3]
	v_fma_f64 v[4:5], s[12:13], v[20:21], v[4:5]
	s_wait_alu 0xfffe
	s_cbranch_vccnz .LBB565_36
; %bb.35:                               ;   in Loop: Header=BB565_7 Depth=1
	v_add_co_u32 v22, vcc_lo, v0, v16
	s_wait_alu 0xfffd
	v_add_co_ci_u32_e64 v23, null, v26, v17, vcc_lo
	s_mov_b32 s17, 0
	flat_load_b128 v[18:21], v[22:23]
	s_wait_loadcnt_dscnt 0x0
	v_mul_f64_e32 v[24:25], s[28:29], v[20:21]
	v_mul_f64_e32 v[20:21], s[26:27], v[20:21]
	s_delay_alu instid0(VALU_DEP_2) | instskip(NEXT) | instid1(VALU_DEP_2)
	v_fma_f64 v[24:25], s[26:27], v[18:19], -v[24:25]
	v_fma_f64 v[20:21], s[28:29], v[18:19], v[20:21]
	s_delay_alu instid0(VALU_DEP_2) | instskip(NEXT) | instid1(VALU_DEP_2)
	v_add_f64_e32 v[18:19], v[2:3], v[24:25]
	v_add_f64_e32 v[20:21], v[4:5], v[20:21]
	flat_store_b128 v[22:23], v[18:21]
.LBB565_36:                             ;   in Loop: Header=BB565_7 Depth=1
	s_wait_alu 0xfffe
	s_and_not1_b32 vcc_lo, exec_lo, s17
	s_wait_alu 0xfffe
	s_cbranch_vccnz .LBB565_6
; %bb.37:                               ;   in Loop: Header=BB565_7 Depth=1
	v_add_co_u32 v16, vcc_lo, v0, v16
	s_wait_alu 0xfffd
	v_add_co_ci_u32_e64 v17, null, v26, v17, vcc_lo
	flat_store_b128 v[16:17], v[2:5]
	s_branch .LBB565_6
.LBB565_38:
.LBB565_39:
	s_nop 0
	s_sendmsg sendmsg(MSG_DEALLOC_VGPRS)
	s_endpgm
	.section	.rodata,"a",@progbits
	.p2align	6, 0x0
	.amdhsa_kernel _ZL29rocblas_internal_gemmt_kernelIlLi16ELi32ELi8ELc67ELc84ELc85ELb1ELb0E19rocblas_complex_numIdES1_PKPKS1_PKPS1_EviT_T9_T10_S9_lSB_S9_lSA_T11_S9_li
		.amdhsa_group_segment_fixed_size 8192
		.amdhsa_private_segment_fixed_size 0
		.amdhsa_kernarg_size 124
		.amdhsa_user_sgpr_count 2
		.amdhsa_user_sgpr_dispatch_ptr 0
		.amdhsa_user_sgpr_queue_ptr 0
		.amdhsa_user_sgpr_kernarg_segment_ptr 1
		.amdhsa_user_sgpr_dispatch_id 0
		.amdhsa_user_sgpr_private_segment_size 0
		.amdhsa_wavefront_size32 1
		.amdhsa_uses_dynamic_stack 0
		.amdhsa_enable_private_segment 0
		.amdhsa_system_sgpr_workgroup_id_x 1
		.amdhsa_system_sgpr_workgroup_id_y 1
		.amdhsa_system_sgpr_workgroup_id_z 1
		.amdhsa_system_sgpr_workgroup_info 0
		.amdhsa_system_vgpr_workitem_id 1
		.amdhsa_next_free_vgpr 133
		.amdhsa_next_free_sgpr 41
		.amdhsa_reserve_vcc 1
		.amdhsa_float_round_mode_32 0
		.amdhsa_float_round_mode_16_64 0
		.amdhsa_float_denorm_mode_32 3
		.amdhsa_float_denorm_mode_16_64 3
		.amdhsa_fp16_overflow 0
		.amdhsa_workgroup_processor_mode 1
		.amdhsa_memory_ordered 1
		.amdhsa_forward_progress 1
		.amdhsa_inst_pref_size 28
		.amdhsa_round_robin_scheduling 0
		.amdhsa_exception_fp_ieee_invalid_op 0
		.amdhsa_exception_fp_denorm_src 0
		.amdhsa_exception_fp_ieee_div_zero 0
		.amdhsa_exception_fp_ieee_overflow 0
		.amdhsa_exception_fp_ieee_underflow 0
		.amdhsa_exception_fp_ieee_inexact 0
		.amdhsa_exception_int_div_zero 0
	.end_amdhsa_kernel
	.section	.text._ZL29rocblas_internal_gemmt_kernelIlLi16ELi32ELi8ELc67ELc84ELc85ELb1ELb0E19rocblas_complex_numIdES1_PKPKS1_PKPS1_EviT_T9_T10_S9_lSB_S9_lSA_T11_S9_li,"axG",@progbits,_ZL29rocblas_internal_gemmt_kernelIlLi16ELi32ELi8ELc67ELc84ELc85ELb1ELb0E19rocblas_complex_numIdES1_PKPKS1_PKPS1_EviT_T9_T10_S9_lSB_S9_lSA_T11_S9_li,comdat
.Lfunc_end565:
	.size	_ZL29rocblas_internal_gemmt_kernelIlLi16ELi32ELi8ELc67ELc84ELc85ELb1ELb0E19rocblas_complex_numIdES1_PKPKS1_PKPS1_EviT_T9_T10_S9_lSB_S9_lSA_T11_S9_li, .Lfunc_end565-_ZL29rocblas_internal_gemmt_kernelIlLi16ELi32ELi8ELc67ELc84ELc85ELb1ELb0E19rocblas_complex_numIdES1_PKPKS1_PKPS1_EviT_T9_T10_S9_lSB_S9_lSA_T11_S9_li
                                        ; -- End function
	.set _ZL29rocblas_internal_gemmt_kernelIlLi16ELi32ELi8ELc67ELc84ELc85ELb1ELb0E19rocblas_complex_numIdES1_PKPKS1_PKPS1_EviT_T9_T10_S9_lSB_S9_lSA_T11_S9_li.num_vgpr, 133
	.set _ZL29rocblas_internal_gemmt_kernelIlLi16ELi32ELi8ELc67ELc84ELc85ELb1ELb0E19rocblas_complex_numIdES1_PKPKS1_PKPS1_EviT_T9_T10_S9_lSB_S9_lSA_T11_S9_li.num_agpr, 0
	.set _ZL29rocblas_internal_gemmt_kernelIlLi16ELi32ELi8ELc67ELc84ELc85ELb1ELb0E19rocblas_complex_numIdES1_PKPKS1_PKPS1_EviT_T9_T10_S9_lSB_S9_lSA_T11_S9_li.numbered_sgpr, 41
	.set _ZL29rocblas_internal_gemmt_kernelIlLi16ELi32ELi8ELc67ELc84ELc85ELb1ELb0E19rocblas_complex_numIdES1_PKPKS1_PKPS1_EviT_T9_T10_S9_lSB_S9_lSA_T11_S9_li.num_named_barrier, 0
	.set _ZL29rocblas_internal_gemmt_kernelIlLi16ELi32ELi8ELc67ELc84ELc85ELb1ELb0E19rocblas_complex_numIdES1_PKPKS1_PKPS1_EviT_T9_T10_S9_lSB_S9_lSA_T11_S9_li.private_seg_size, 0
	.set _ZL29rocblas_internal_gemmt_kernelIlLi16ELi32ELi8ELc67ELc84ELc85ELb1ELb0E19rocblas_complex_numIdES1_PKPKS1_PKPS1_EviT_T9_T10_S9_lSB_S9_lSA_T11_S9_li.uses_vcc, 1
	.set _ZL29rocblas_internal_gemmt_kernelIlLi16ELi32ELi8ELc67ELc84ELc85ELb1ELb0E19rocblas_complex_numIdES1_PKPKS1_PKPS1_EviT_T9_T10_S9_lSB_S9_lSA_T11_S9_li.uses_flat_scratch, 0
	.set _ZL29rocblas_internal_gemmt_kernelIlLi16ELi32ELi8ELc67ELc84ELc85ELb1ELb0E19rocblas_complex_numIdES1_PKPKS1_PKPS1_EviT_T9_T10_S9_lSB_S9_lSA_T11_S9_li.has_dyn_sized_stack, 0
	.set _ZL29rocblas_internal_gemmt_kernelIlLi16ELi32ELi8ELc67ELc84ELc85ELb1ELb0E19rocblas_complex_numIdES1_PKPKS1_PKPS1_EviT_T9_T10_S9_lSB_S9_lSA_T11_S9_li.has_recursion, 0
	.set _ZL29rocblas_internal_gemmt_kernelIlLi16ELi32ELi8ELc67ELc84ELc85ELb1ELb0E19rocblas_complex_numIdES1_PKPKS1_PKPS1_EviT_T9_T10_S9_lSB_S9_lSA_T11_S9_li.has_indirect_call, 0
	.section	.AMDGPU.csdata,"",@progbits
; Kernel info:
; codeLenInByte = 3484
; TotalNumSgprs: 43
; NumVgprs: 133
; ScratchSize: 0
; MemoryBound: 1
; FloatMode: 240
; IeeeMode: 1
; LDSByteSize: 8192 bytes/workgroup (compile time only)
; SGPRBlocks: 0
; VGPRBlocks: 16
; NumSGPRsForWavesPerEU: 43
; NumVGPRsForWavesPerEU: 133
; Occupancy: 10
; WaveLimiterHint : 1
; COMPUTE_PGM_RSRC2:SCRATCH_EN: 0
; COMPUTE_PGM_RSRC2:USER_SGPR: 2
; COMPUTE_PGM_RSRC2:TRAP_HANDLER: 0
; COMPUTE_PGM_RSRC2:TGID_X_EN: 1
; COMPUTE_PGM_RSRC2:TGID_Y_EN: 1
; COMPUTE_PGM_RSRC2:TGID_Z_EN: 1
; COMPUTE_PGM_RSRC2:TIDIG_COMP_CNT: 1
	.section	.text._ZL29rocblas_internal_gemmt_kernelIlLi16ELi32ELi8ELc67ELc67ELc85ELb1ELb1E19rocblas_complex_numIdES1_PKPKS1_PKPS1_EviT_T9_T10_S9_lSB_S9_lSA_T11_S9_li,"axG",@progbits,_ZL29rocblas_internal_gemmt_kernelIlLi16ELi32ELi8ELc67ELc67ELc85ELb1ELb1E19rocblas_complex_numIdES1_PKPKS1_PKPS1_EviT_T9_T10_S9_lSB_S9_lSA_T11_S9_li,comdat
	.globl	_ZL29rocblas_internal_gemmt_kernelIlLi16ELi32ELi8ELc67ELc67ELc85ELb1ELb1E19rocblas_complex_numIdES1_PKPKS1_PKPS1_EviT_T9_T10_S9_lSB_S9_lSA_T11_S9_li ; -- Begin function _ZL29rocblas_internal_gemmt_kernelIlLi16ELi32ELi8ELc67ELc67ELc85ELb1ELb1E19rocblas_complex_numIdES1_PKPKS1_PKPS1_EviT_T9_T10_S9_lSB_S9_lSA_T11_S9_li
	.p2align	8
	.type	_ZL29rocblas_internal_gemmt_kernelIlLi16ELi32ELi8ELc67ELc67ELc85ELb1ELb1E19rocblas_complex_numIdES1_PKPKS1_PKPS1_EviT_T9_T10_S9_lSB_S9_lSA_T11_S9_li,@function
_ZL29rocblas_internal_gemmt_kernelIlLi16ELi32ELi8ELc67ELc67ELc85ELb1ELb1E19rocblas_complex_numIdES1_PKPKS1_PKPS1_EviT_T9_T10_S9_lSB_S9_lSA_T11_S9_li: ; @_ZL29rocblas_internal_gemmt_kernelIlLi16ELi32ELi8ELc67ELc67ELc85ELb1ELb1E19rocblas_complex_numIdES1_PKPKS1_PKPS1_EviT_T9_T10_S9_lSB_S9_lSA_T11_S9_li
; %bb.0:
	s_clause 0x1
	s_load_b256 s[24:31], s[0:1], 0x48
	s_load_b512 s[8:23], s[0:1], 0x8
	s_wait_kmcnt 0x0
	v_cmp_eq_f64_e64 s3, s[26:27], 1.0
	v_cmp_eq_f64_e64 s2, s[28:29], 0
	s_and_b32 s3, s3, s2
	s_delay_alu instid0(SALU_CYCLE_1)
	s_and_not1_b32 vcc_lo, exec_lo, s3
	s_mov_b32 s3, -1
	s_cbranch_vccnz .LBB566_3
; %bb.1:
	s_cmp_lg_u64 s[8:9], 0
	s_cbranch_scc0 .LBB566_36
; %bb.2:
	v_cmp_neq_f64_e64 s3, s[10:11], 0
	v_cmp_neq_f64_e64 s4, s[12:13], 0
	s_or_b32 s3, s3, s4
.LBB566_3:
	s_delay_alu instid0(SALU_CYCLE_1)
	s_and_b32 vcc_lo, exec_lo, s3
	s_cbranch_vccz .LBB566_37
; %bb.4:
	s_load_b32 s33, s[0:1], 0x78
	s_lshr_b32 s34, ttmp7, 16
	s_wait_kmcnt 0x0
	s_cmp_ge_u32 s34, s33
	s_cbranch_scc1 .LBB566_37
; %bb.5:
	v_cmp_neq_f64_e64 s3, s[10:11], 0
	v_cmp_neq_f64_e64 s35, s[12:13], 0
	v_dual_mov_b32 v9, 0 :: v_dual_and_b32 v4, 0x3ff, v0
	v_bfe_u32 v8, v0, 10, 10
	s_clause 0x1
	s_load_b128 s[4:7], s[0:1], 0x68
	s_load_b32 s38, s[0:1], 0x0
	v_and_b32_e32 v38, 7, v0
	v_cmp_neq_f64_e64 s37, s[26:27], 0
	s_lshl_b32 s0, ttmp7, 5
	v_lshl_add_u32 v0, v8, 4, v4
	s_and_b32 s0, s0, 0x1fffe0
	v_lshlrev_b32_e32 v5, 4, v38
	v_add_nc_u32_e32 v11, s0, v8
	s_lshl_b32 s36, ttmp9, 5
	v_and_b32_e32 v1, 31, v0
	v_lshrrev_b32_e32 v6, 3, v0
	v_lshrrev_b32_e32 v40, 5, v0
	v_add_nc_u32_e32 v13, 16, v11
	v_lshlrev_b32_e32 v39, 4, v4
	v_lshlrev_b32_e32 v10, 4, v1
	v_lshl_or_b32 v5, v6, 7, v5
	v_or_b32_e32 v7, s36, v1
	v_add_nc_u32_e32 v20, s0, v6
	s_ashr_i32 s1, s36, 31
	s_wait_kmcnt 0x0
	v_mad_co_u64_u32 v[2:3], null, s4, v11, 0
	v_lshl_or_b32 v41, v40, 9, v10
	v_add_nc_u32_e32 v42, 0x1000, v5
	v_add_nc_u32_e32 v10, s36, v4
	v_mad_co_u64_u32 v[4:5], null, s4, v13, 0
	v_mul_lo_u32 v12, s17, v7
	v_mad_co_u64_u32 v[0:1], null, s16, v7, 0
	v_cmp_gt_i32_e64 s0, s38, v7
	s_wait_alu 0xfffe
	s_mul_i32 s39, s16, s1
	v_cmp_gt_i32_e32 vcc_lo, s38, v11
	v_mad_co_u64_u32 v[6:7], null, s5, v11, v[3:4]
	s_or_b32 s16, s3, s35
	s_wait_alu 0xfffe
	v_add3_u32 v1, v1, s39, v12
	s_xor_b32 s3, s2, -1
	v_cmp_le_i32_e64 s2, v10, v11
	v_add_nc_u32_e32 v12, 16, v10
	v_cmp_gt_i64_e64 s41, s[8:9], 0
	v_mov_b32_e32 v3, v6
	v_mad_co_u64_u32 v[5:6], null, s5, v13, v[5:6]
	s_or_b32 s36, s37, s3
	s_and_b32 s37, vcc_lo, s2
	v_cmp_le_i32_e64 s2, v12, v11
	v_cmp_gt_i32_e64 s3, s38, v13
	v_cmp_le_i32_e64 s4, v10, v13
	v_cmp_le_i32_e64 s5, v12, v13
	v_lshlrev_b64_e32 v[14:15], 4, v[0:1]
	v_lshlrev_b64_e32 v[16:17], 4, v[2:3]
	;; [unrolled: 1-line block ×3, first 2 shown]
	v_cmp_gt_i32_e64 s1, s38, v20
	v_lshl_add_u32 v43, v8, 7, 0x1000
	v_ashrrev_i32_e32 v11, 31, v10
	v_ashrrev_i32_e32 v13, 31, v12
	v_lshlrev_b32_e32 v44, 4, v20
	s_and_b32 s38, vcc_lo, s2
	s_and_b32 s39, s3, s4
	s_and_b32 s40, s3, s5
	s_mov_b32 s35, 0
	s_and_b32 s41, s16, s41
	s_lshl_b64 s[2:3], s[24:25], 4
	s_lshl_b64 s[4:5], s[18:19], 4
	s_lshl_b64 s[6:7], s[6:7], 4
	s_branch .LBB566_7
.LBB566_6:                              ;   in Loop: Header=BB566_7 Depth=1
	s_wait_alu 0xfffe
	s_or_b32 exec_lo, exec_lo, s16
	s_add_co_i32 s34, s34, 0x10000
	s_delay_alu instid0(SALU_CYCLE_1)
	s_cmp_lt_u32 s34, s33
	s_cbranch_scc0 .LBB566_37
.LBB566_7:                              ; =>This Loop Header: Depth=1
                                        ;     Child Loop BB566_10 Depth 2
	s_lshl_b64 s[16:17], s[34:35], 3
	v_mov_b32_e32 v34, 0
	s_wait_alu 0xfffe
	s_add_nc_u64 s[18:19], s[30:31], s[16:17]
	v_mov_b32_e32 v30, 0
	global_load_b64 v[20:21], v9, s[18:19]
	v_mov_b32_e32 v26, 0
	v_dual_mov_b32 v24, 0 :: v_dual_mov_b32 v35, 0
	v_dual_mov_b32 v36, 0 :: v_dual_mov_b32 v31, 0
	;; [unrolled: 1-line block ×5, first 2 shown]
	v_mov_b32_e32 v33, 0
	v_mov_b32_e32 v29, 0
	;; [unrolled: 1-line block ×3, first 2 shown]
	s_and_not1_b32 vcc_lo, exec_lo, s41
	s_wait_alu 0xfffe
	s_cbranch_vccnz .LBB566_16
; %bb.8:                                ;   in Loop: Header=BB566_7 Depth=1
	s_add_nc_u64 s[18:19], s[14:15], s[16:17]
	s_add_nc_u64 s[16:17], s[20:21], s[16:17]
	s_clause 0x1
	global_load_b64 v[0:1], v9, s[18:19]
	global_load_b64 v[2:3], v9, s[16:17]
	v_mov_b32_e32 v22, 0
	v_mov_b32_e32 v28, 0
	;; [unrolled: 1-line block ×3, first 2 shown]
	v_dual_mov_b32 v36, 0 :: v_dual_mov_b32 v23, 0
	v_dual_mov_b32 v24, 0 :: v_dual_mov_b32 v29, 0
	;; [unrolled: 1-line block ×5, first 2 shown]
	v_mov_b32_e32 v27, 0
	v_mov_b32_e32 v31, 0
	;; [unrolled: 1-line block ×3, first 2 shown]
	s_mov_b64 s[16:17], 0
	s_wait_loadcnt 0x1
	v_add_co_u32 v0, vcc_lo, v0, s4
	s_wait_alu 0xfffd
	v_add_co_ci_u32_e64 v1, null, s5, v1, vcc_lo
	s_wait_loadcnt 0x0
	v_add_co_u32 v2, vcc_lo, v2, s2
	s_wait_alu 0xfffd
	v_add_co_ci_u32_e64 v3, null, s3, v3, vcc_lo
	v_add_co_u32 v45, vcc_lo, v0, v14
	s_wait_alu 0xfffd
	v_add_co_ci_u32_e64 v46, null, v1, v15, vcc_lo
	;; [unrolled: 3-line block ×3, first 2 shown]
	s_branch .LBB566_10
.LBB566_9:                              ;   in Loop: Header=BB566_10 Depth=2
	s_or_b32 exec_lo, exec_lo, s18
	ds_store_b128 v42, v[4:7]
	s_wait_dscnt 0x0
	s_barrier_signal -1
	s_barrier_wait -1
	global_inv scope:SCOPE_SE
	ds_load_b128 v[0:3], v43
	ds_load_b128 v[4:7], v39
	ds_load_b128 v[49:52], v39 offset:256
	ds_load_b128 v[53:56], v43 offset:2048
	;; [unrolled: 1-line block ×10, first 2 shown]
	s_add_nc_u64 s[16:17], s[16:17], 8
	s_wait_alu 0xfffe
	v_cmp_gt_i64_e64 s18, s[8:9], s[16:17]
	s_and_b32 vcc_lo, exec_lo, s18
	s_wait_dscnt 0xa
	v_mul_f64_e32 v[89:90], v[2:3], v[6:7]
	v_mul_f64_e32 v[91:92], v[0:1], v[6:7]
	s_wait_dscnt 0x9
	v_mul_f64_e32 v[93:94], v[2:3], v[51:52]
	v_mul_f64_e32 v[95:96], v[0:1], v[51:52]
	;; [unrolled: 3-line block ×3, first 2 shown]
	v_mul_f64_e32 v[99:100], v[55:56], v[51:52]
	v_mul_f64_e32 v[51:52], v[53:54], v[51:52]
	s_wait_dscnt 0x5
	v_mul_f64_e32 v[101:102], v[59:60], v[67:68]
	v_mul_f64_e32 v[103:104], v[57:58], v[67:68]
	s_wait_dscnt 0x4
	v_mul_f64_e32 v[105:106], v[59:60], v[71:72]
	v_mul_f64_e32 v[107:108], v[57:58], v[71:72]
	;; [unrolled: 1-line block ×6, first 2 shown]
	s_wait_dscnt 0x2
	v_mul_f64_e32 v[117:118], v[75:76], v[79:80]
	v_mul_f64_e32 v[119:120], v[73:74], v[79:80]
	s_wait_dscnt 0x1
	v_mul_f64_e32 v[121:122], v[75:76], v[83:84]
	v_mul_f64_e32 v[123:124], v[73:74], v[83:84]
	;; [unrolled: 3-line block ×3, first 2 shown]
	v_mul_f64_e32 v[127:128], v[87:88], v[83:84]
	v_mul_f64_e32 v[83:84], v[85:86], v[83:84]
	v_fma_f64 v[89:90], v[0:1], v[4:5], -v[89:90]
	v_fma_f64 v[91:92], v[2:3], v[4:5], v[91:92]
	v_fma_f64 v[93:94], v[0:1], v[49:50], -v[93:94]
	v_fma_f64 v[95:96], v[2:3], v[49:50], v[95:96]
	;; [unrolled: 2-line block ×8, first 2 shown]
	ds_load_b128 v[0:3], v43 offset:48
	ds_load_b128 v[4:7], v39 offset:1536
	;; [unrolled: 1-line block ×4, first 2 shown]
	v_fma_f64 v[117:118], v[73:74], v[77:78], -v[117:118]
	v_fma_f64 v[119:120], v[75:76], v[77:78], v[119:120]
	v_fma_f64 v[73:74], v[73:74], v[81:82], -v[121:122]
	v_fma_f64 v[75:76], v[75:76], v[81:82], v[123:124]
	;; [unrolled: 2-line block ×4, first 2 shown]
	s_wait_dscnt 0x2
	v_mul_f64_e32 v[107:108], v[0:1], v[6:7]
	s_wait_dscnt 0x1
	v_mul_f64_e32 v[109:110], v[2:3], v[51:52]
	v_mul_f64_e32 v[111:112], v[0:1], v[51:52]
	v_add_f64_e32 v[67:68], v[34:35], v[89:90]
	v_add_f64_e32 v[69:70], v[91:92], v[36:37]
	;; [unrolled: 1-line block ×8, first 2 shown]
	v_mul_f64_e32 v[99:100], v[2:3], v[6:7]
	s_wait_dscnt 0x0
	v_mul_f64_e32 v[113:114], v[55:56], v[6:7]
	v_mul_f64_e32 v[6:7], v[53:54], v[6:7]
	;; [unrolled: 1-line block ×4, first 2 shown]
	ds_load_b128 v[22:25], v43 offset:64
	ds_load_b128 v[26:29], v39 offset:2048
	;; [unrolled: 1-line block ×4, first 2 shown]
	s_wait_dscnt 0x1
	v_mul_f64_e32 v[123:124], v[22:23], v[32:33]
	s_wait_dscnt 0x0
	v_mul_f64_e32 v[125:126], v[36:37], v[28:29]
	v_mul_f64_e32 v[127:128], v[36:37], v[32:33]
	v_fma_f64 v[107:108], v[2:3], v[4:5], v[107:108]
	v_fma_f64 v[109:110], v[0:1], v[49:50], -v[109:110]
	v_fma_f64 v[111:112], v[2:3], v[49:50], v[111:112]
	v_add_f64_e32 v[83:84], v[67:68], v[101:102]
	v_add_f64_e32 v[85:86], v[103:104], v[69:70]
	;; [unrolled: 1-line block ×8, first 2 shown]
	v_mul_f64_e32 v[101:102], v[24:25], v[28:29]
	v_mul_f64_e32 v[103:104], v[22:23], v[28:29]
	;; [unrolled: 1-line block ×5, first 2 shown]
	v_fma_f64 v[99:100], v[0:1], v[4:5], -v[99:100]
	v_fma_f64 v[113:114], v[53:54], v[4:5], -v[113:114]
	v_fma_f64 v[129:130], v[55:56], v[4:5], v[6:7]
	v_fma_f64 v[115:116], v[53:54], v[49:50], -v[115:116]
	v_fma_f64 v[131:132], v[55:56], v[49:50], v[51:52]
	ds_load_b128 v[57:60], v43 offset:80
	ds_load_b128 v[61:64], v39 offset:2560
	;; [unrolled: 1-line block ×8, first 2 shown]
	v_add_f64_e32 v[83:84], v[83:84], v[117:118]
	v_add_f64_e32 v[85:86], v[119:120], v[85:86]
	;; [unrolled: 1-line block ×8, first 2 shown]
	s_wait_dscnt 0x6
	v_mul_f64_e32 v[89:90], v[59:60], v[63:64]
	v_mul_f64_e32 v[91:92], v[57:58], v[63:64]
	s_wait_dscnt 0x5
	v_mul_f64_e32 v[93:94], v[59:60], v[67:68]
	v_mul_f64_e32 v[95:96], v[57:58], v[67:68]
	;; [unrolled: 3-line block ×3, first 2 shown]
	v_mul_f64_e32 v[117:118], v[71:72], v[67:68]
	v_mul_f64_e32 v[67:68], v[69:70], v[67:68]
	v_fma_f64 v[101:102], v[22:23], v[26:27], -v[101:102]
	v_fma_f64 v[103:104], v[24:25], v[26:27], v[103:104]
	v_fma_f64 v[105:106], v[22:23], v[30:31], -v[105:106]
	v_fma_f64 v[119:120], v[24:25], v[30:31], v[123:124]
	;; [unrolled: 2-line block ×4, first 2 shown]
	ds_load_b128 v[22:25], v43 offset:112
	ds_load_b128 v[26:29], v39 offset:3584
	;; [unrolled: 1-line block ×4, first 2 shown]
	s_wait_loadcnt_dscnt 0x0
	s_barrier_signal -1
	s_barrier_wait -1
	global_inv scope:SCOPE_SE
	v_add_f64_e32 v[83:84], v[83:84], v[99:100]
	v_add_f64_e32 v[85:86], v[107:108], v[85:86]
	;; [unrolled: 1-line block ×8, first 2 shown]
	v_mul_f64_e32 v[99:100], v[2:3], v[6:7]
	v_mul_f64_e32 v[107:108], v[0:1], v[6:7]
	;; [unrolled: 1-line block ×8, first 2 shown]
	v_fma_f64 v[89:90], v[57:58], v[61:62], -v[89:90]
	v_fma_f64 v[91:92], v[59:60], v[61:62], v[91:92]
	v_fma_f64 v[57:58], v[57:58], v[65:66], -v[93:94]
	v_fma_f64 v[59:60], v[59:60], v[65:66], v[95:96]
	;; [unrolled: 2-line block ×4, first 2 shown]
	v_mul_f64_e32 v[95:96], v[22:23], v[32:33]
	v_mul_f64_e32 v[97:98], v[36:37], v[28:29]
	v_add_f64_e32 v[67:68], v[83:84], v[101:102]
	v_add_f64_e32 v[69:70], v[103:104], v[85:86]
	;; [unrolled: 1-line block ×8, first 2 shown]
	v_mul_f64_e32 v[83:84], v[24:25], v[28:29]
	v_mul_f64_e32 v[85:86], v[22:23], v[28:29]
	;; [unrolled: 1-line block ×6, first 2 shown]
	v_fma_f64 v[99:100], v[0:1], v[4:5], -v[99:100]
	v_fma_f64 v[103:104], v[2:3], v[4:5], v[107:108]
	v_fma_f64 v[0:1], v[0:1], v[49:50], -v[109:110]
	v_fma_f64 v[2:3], v[2:3], v[49:50], v[111:112]
	;; [unrolled: 2-line block ×4, first 2 shown]
	v_add_f64_e32 v[51:52], v[67:68], v[89:90]
	v_add_f64_e32 v[53:54], v[91:92], v[69:70]
	;; [unrolled: 1-line block ×8, first 2 shown]
	v_fma_f64 v[67:68], v[22:23], v[26:27], -v[83:84]
	v_fma_f64 v[69:70], v[24:25], v[26:27], v[85:86]
	v_fma_f64 v[22:23], v[22:23], v[30:31], -v[87:88]
	v_fma_f64 v[24:25], v[24:25], v[30:31], v[95:96]
	;; [unrolled: 2-line block ×4, first 2 shown]
	v_add_f64_e32 v[26:27], v[51:52], v[99:100]
	v_add_f64_e32 v[30:31], v[103:104], v[53:54]
	;; [unrolled: 1-line block ×16, first 2 shown]
	s_wait_alu 0xfffe
	s_cbranch_vccz .LBB566_16
.LBB566_10:                             ;   Parent Loop BB566_7 Depth=1
                                        ; =>  This Inner Loop Header: Depth=2
	v_mov_b32_e32 v0, 0
	v_dual_mov_b32 v1, 0 :: v_dual_mov_b32 v2, 0
	v_mov_b32_e32 v3, 0
	s_and_saveexec_b32 s18, s0
	s_cbranch_execz .LBB566_14
; %bb.11:                               ;   in Loop: Header=BB566_10 Depth=2
	v_mov_b32_e32 v2, 0
	v_mov_b32_e32 v0, 0
	s_wait_alu 0xfffe
	v_dual_mov_b32 v3, 0 :: v_dual_add_nc_u32 v8, s16, v40
	v_mov_b32_e32 v1, 0
	s_mov_b32 s19, exec_lo
	s_delay_alu instid0(VALU_DEP_2)
	v_cmpx_gt_u64_e64 s[8:9], v[8:9]
	s_cbranch_execz .LBB566_13
; %bb.12:                               ;   in Loop: Header=BB566_10 Depth=2
	v_lshlrev_b64_e32 v[0:1], 4, v[8:9]
	s_delay_alu instid0(VALU_DEP_1) | instskip(SKIP_1) | instid1(VALU_DEP_2)
	v_add_co_u32 v0, vcc_lo, v45, v0
	s_wait_alu 0xfffd
	v_add_co_ci_u32_e64 v1, null, v46, v1, vcc_lo
	flat_load_b128 v[0:3], v[0:1]
	s_wait_loadcnt_dscnt 0x0
	v_xor_b32_e32 v3, 0x80000000, v3
.LBB566_13:                             ;   in Loop: Header=BB566_10 Depth=2
	s_or_b32 exec_lo, exec_lo, s19
.LBB566_14:                             ;   in Loop: Header=BB566_10 Depth=2
	s_delay_alu instid0(SALU_CYCLE_1)
	s_or_b32 exec_lo, exec_lo, s18
	s_wait_alu 0xfffe
	v_add_nc_u32_e32 v8, s16, v38
	v_mov_b32_e32 v4, 0
	v_dual_mov_b32 v5, 0 :: v_dual_mov_b32 v6, 0
	v_mov_b32_e32 v7, 0
	s_delay_alu instid0(VALU_DEP_4) | instskip(SKIP_2) | instid1(SALU_CYCLE_1)
	v_cmp_gt_u64_e32 vcc_lo, s[8:9], v[8:9]
	ds_store_b128 v41, v[0:3]
	s_and_b32 s19, vcc_lo, s1
	s_and_saveexec_b32 s18, s19
	s_cbranch_execz .LBB566_9
; %bb.15:                               ;   in Loop: Header=BB566_10 Depth=2
	v_mad_co_u64_u32 v[0:1], null, s22, v8, 0
	s_delay_alu instid0(VALU_DEP_1) | instskip(NEXT) | instid1(VALU_DEP_1)
	v_mad_co_u64_u32 v[1:2], null, s23, v8, v[1:2]
	v_lshlrev_b64_e32 v[0:1], 4, v[0:1]
	s_delay_alu instid0(VALU_DEP_1) | instskip(SKIP_1) | instid1(VALU_DEP_2)
	v_add_co_u32 v0, vcc_lo, v47, v0
	s_wait_alu 0xfffd
	v_add_co_ci_u32_e64 v1, null, v48, v1, vcc_lo
	flat_load_b128 v[4:7], v[0:1]
	s_wait_loadcnt_dscnt 0x0
	v_xor_b32_e32 v7, 0x80000000, v7
	s_branch .LBB566_9
.LBB566_16:                             ;   in Loop: Header=BB566_7 Depth=1
	s_wait_loadcnt 0x0
	v_add_co_u32 v4, vcc_lo, v20, s6
	s_wait_alu 0xfffd
	v_add_co_ci_u32_e64 v5, null, s7, v21, vcc_lo
	s_delay_alu instid0(VALU_DEP_2) | instskip(SKIP_1) | instid1(VALU_DEP_2)
	v_add_co_u32 v6, vcc_lo, v4, v16
	s_wait_alu 0xfffd
	v_add_co_ci_u32_e64 v7, null, v5, v17, vcc_lo
	s_and_saveexec_b32 s16, s37
	s_cbranch_execz .LBB566_21
; %bb.17:                               ;   in Loop: Header=BB566_7 Depth=1
	v_mul_f64_e32 v[0:1], s[12:13], v[36:37]
	v_mul_f64_e32 v[2:3], s[10:11], v[36:37]
	s_and_b32 vcc_lo, exec_lo, s36
	s_mov_b32 s17, -1
	s_delay_alu instid0(VALU_DEP_2) | instskip(NEXT) | instid1(VALU_DEP_2)
	v_fma_f64 v[0:1], s[10:11], v[34:35], -v[0:1]
	v_fma_f64 v[2:3], s[12:13], v[34:35], v[2:3]
	s_wait_alu 0xfffe
	s_cbranch_vccz .LBB566_19
; %bb.18:                               ;   in Loop: Header=BB566_7 Depth=1
	v_lshlrev_b64_e32 v[20:21], 4, v[10:11]
	s_mov_b32 s17, 0
	s_delay_alu instid0(VALU_DEP_1) | instskip(SKIP_1) | instid1(VALU_DEP_2)
	v_add_co_u32 v20, vcc_lo, v6, v20
	s_wait_alu 0xfffd
	v_add_co_ci_u32_e64 v21, null, v7, v21, vcc_lo
	flat_load_b128 v[34:37], v[20:21]
	s_wait_loadcnt_dscnt 0x0
	v_mul_f64_e32 v[45:46], s[28:29], v[36:37]
	v_mul_f64_e32 v[36:37], s[26:27], v[36:37]
	s_delay_alu instid0(VALU_DEP_2) | instskip(NEXT) | instid1(VALU_DEP_2)
	v_fma_f64 v[45:46], s[26:27], v[34:35], -v[45:46]
	v_fma_f64 v[36:37], s[28:29], v[34:35], v[36:37]
	s_delay_alu instid0(VALU_DEP_2) | instskip(NEXT) | instid1(VALU_DEP_2)
	v_add_f64_e32 v[34:35], v[0:1], v[45:46]
	v_add_f64_e32 v[36:37], v[2:3], v[36:37]
	flat_store_b128 v[20:21], v[34:37]
.LBB566_19:                             ;   in Loop: Header=BB566_7 Depth=1
	s_wait_alu 0xfffe
	s_and_not1_b32 vcc_lo, exec_lo, s17
	s_wait_alu 0xfffe
	s_cbranch_vccnz .LBB566_21
; %bb.20:                               ;   in Loop: Header=BB566_7 Depth=1
	v_lshlrev_b64_e32 v[20:21], 4, v[10:11]
	s_delay_alu instid0(VALU_DEP_1) | instskip(SKIP_1) | instid1(VALU_DEP_2)
	v_add_co_u32 v20, vcc_lo, v6, v20
	s_wait_alu 0xfffd
	v_add_co_ci_u32_e64 v21, null, v7, v21, vcc_lo
	flat_store_b128 v[20:21], v[0:3]
.LBB566_21:                             ;   in Loop: Header=BB566_7 Depth=1
	s_wait_alu 0xfffe
	s_or_b32 exec_lo, exec_lo, s16
	s_and_saveexec_b32 s16, s38
	s_cbranch_execz .LBB566_26
; %bb.22:                               ;   in Loop: Header=BB566_7 Depth=1
	v_mul_f64_e32 v[0:1], s[12:13], v[32:33]
	v_mul_f64_e32 v[2:3], s[10:11], v[32:33]
	s_and_not1_b32 vcc_lo, exec_lo, s36
	s_mov_b32 s17, -1
	s_delay_alu instid0(VALU_DEP_2) | instskip(NEXT) | instid1(VALU_DEP_2)
	v_fma_f64 v[0:1], s[10:11], v[30:31], -v[0:1]
	v_fma_f64 v[2:3], s[12:13], v[30:31], v[2:3]
	s_wait_alu 0xfffe
	s_cbranch_vccnz .LBB566_24
; %bb.23:                               ;   in Loop: Header=BB566_7 Depth=1
	v_lshlrev_b64_e32 v[20:21], 4, v[12:13]
	s_mov_b32 s17, 0
	s_delay_alu instid0(VALU_DEP_1) | instskip(SKIP_1) | instid1(VALU_DEP_2)
	v_add_co_u32 v20, vcc_lo, v6, v20
	s_wait_alu 0xfffd
	v_add_co_ci_u32_e64 v21, null, v7, v21, vcc_lo
	flat_load_b128 v[30:33], v[20:21]
	s_wait_loadcnt_dscnt 0x0
	v_mul_f64_e32 v[34:35], s[28:29], v[32:33]
	v_mul_f64_e32 v[32:33], s[26:27], v[32:33]
	s_delay_alu instid0(VALU_DEP_2) | instskip(NEXT) | instid1(VALU_DEP_2)
	v_fma_f64 v[34:35], s[26:27], v[30:31], -v[34:35]
	v_fma_f64 v[32:33], s[28:29], v[30:31], v[32:33]
	s_delay_alu instid0(VALU_DEP_2) | instskip(NEXT) | instid1(VALU_DEP_2)
	v_add_f64_e32 v[30:31], v[0:1], v[34:35]
	v_add_f64_e32 v[32:33], v[2:3], v[32:33]
	flat_store_b128 v[20:21], v[30:33]
.LBB566_24:                             ;   in Loop: Header=BB566_7 Depth=1
	s_wait_alu 0xfffe
	s_and_not1_b32 vcc_lo, exec_lo, s17
	s_wait_alu 0xfffe
	s_cbranch_vccnz .LBB566_26
; %bb.25:                               ;   in Loop: Header=BB566_7 Depth=1
	v_lshlrev_b64_e32 v[20:21], 4, v[12:13]
	s_delay_alu instid0(VALU_DEP_1) | instskip(SKIP_1) | instid1(VALU_DEP_2)
	v_add_co_u32 v6, vcc_lo, v6, v20
	s_wait_alu 0xfffd
	v_add_co_ci_u32_e64 v7, null, v7, v21, vcc_lo
	flat_store_b128 v[6:7], v[0:3]
.LBB566_26:                             ;   in Loop: Header=BB566_7 Depth=1
	s_wait_alu 0xfffe
	s_or_b32 exec_lo, exec_lo, s16
	v_add_co_u32 v6, vcc_lo, v4, v18
	s_wait_alu 0xfffd
	v_add_co_ci_u32_e64 v7, null, v5, v19, vcc_lo
	s_and_saveexec_b32 s16, s39
	s_cbranch_execz .LBB566_31
; %bb.27:                               ;   in Loop: Header=BB566_7 Depth=1
	v_mul_f64_e32 v[0:1], s[12:13], v[28:29]
	v_mul_f64_e32 v[2:3], s[10:11], v[28:29]
	v_lshlrev_b64_e32 v[4:5], 4, v[10:11]
	s_and_not1_b32 vcc_lo, exec_lo, s36
	s_mov_b32 s17, -1
	s_delay_alu instid0(VALU_DEP_3) | instskip(NEXT) | instid1(VALU_DEP_3)
	v_fma_f64 v[0:1], s[10:11], v[26:27], -v[0:1]
	v_fma_f64 v[2:3], s[12:13], v[26:27], v[2:3]
	s_wait_alu 0xfffe
	s_cbranch_vccnz .LBB566_29
; %bb.28:                               ;   in Loop: Header=BB566_7 Depth=1
	v_add_co_u32 v20, vcc_lo, v6, v4
	s_wait_alu 0xfffd
	v_add_co_ci_u32_e64 v21, null, v7, v5, vcc_lo
	s_mov_b32 s17, 0
	flat_load_b128 v[26:29], v[20:21]
	s_wait_loadcnt_dscnt 0x0
	v_mul_f64_e32 v[30:31], s[28:29], v[28:29]
	v_mul_f64_e32 v[28:29], s[26:27], v[28:29]
	s_delay_alu instid0(VALU_DEP_2) | instskip(NEXT) | instid1(VALU_DEP_2)
	v_fma_f64 v[30:31], s[26:27], v[26:27], -v[30:31]
	v_fma_f64 v[28:29], s[28:29], v[26:27], v[28:29]
	s_delay_alu instid0(VALU_DEP_2) | instskip(NEXT) | instid1(VALU_DEP_2)
	v_add_f64_e32 v[26:27], v[0:1], v[30:31]
	v_add_f64_e32 v[28:29], v[2:3], v[28:29]
	flat_store_b128 v[20:21], v[26:29]
.LBB566_29:                             ;   in Loop: Header=BB566_7 Depth=1
	s_wait_alu 0xfffe
	s_and_not1_b32 vcc_lo, exec_lo, s17
	s_wait_alu 0xfffe
	s_cbranch_vccnz .LBB566_31
; %bb.30:                               ;   in Loop: Header=BB566_7 Depth=1
	v_add_co_u32 v4, vcc_lo, v6, v4
	s_wait_alu 0xfffd
	v_add_co_ci_u32_e64 v5, null, v7, v5, vcc_lo
	flat_store_b128 v[4:5], v[0:3]
.LBB566_31:                             ;   in Loop: Header=BB566_7 Depth=1
	s_wait_alu 0xfffe
	s_or_b32 exec_lo, exec_lo, s16
	s_and_saveexec_b32 s16, s40
	s_cbranch_execz .LBB566_6
; %bb.32:                               ;   in Loop: Header=BB566_7 Depth=1
	v_mul_f64_e32 v[0:1], s[12:13], v[22:23]
	v_mul_f64_e32 v[2:3], s[10:11], v[22:23]
	v_lshlrev_b64_e32 v[4:5], 4, v[12:13]
	s_and_not1_b32 vcc_lo, exec_lo, s36
	s_mov_b32 s17, -1
	s_delay_alu instid0(VALU_DEP_3) | instskip(NEXT) | instid1(VALU_DEP_3)
	v_fma_f64 v[0:1], s[10:11], v[24:25], -v[0:1]
	v_fma_f64 v[2:3], s[12:13], v[24:25], v[2:3]
	s_wait_alu 0xfffe
	s_cbranch_vccnz .LBB566_34
; %bb.33:                               ;   in Loop: Header=BB566_7 Depth=1
	v_add_co_u32 v24, vcc_lo, v6, v4
	s_wait_alu 0xfffd
	v_add_co_ci_u32_e64 v25, null, v7, v5, vcc_lo
	s_mov_b32 s17, 0
	flat_load_b128 v[20:23], v[24:25]
	s_wait_loadcnt_dscnt 0x0
	v_mul_f64_e32 v[26:27], s[28:29], v[22:23]
	v_mul_f64_e32 v[22:23], s[26:27], v[22:23]
	s_delay_alu instid0(VALU_DEP_2) | instskip(NEXT) | instid1(VALU_DEP_2)
	v_fma_f64 v[26:27], s[26:27], v[20:21], -v[26:27]
	v_fma_f64 v[22:23], s[28:29], v[20:21], v[22:23]
	s_delay_alu instid0(VALU_DEP_2) | instskip(NEXT) | instid1(VALU_DEP_2)
	v_add_f64_e32 v[20:21], v[0:1], v[26:27]
	v_add_f64_e32 v[22:23], v[2:3], v[22:23]
	flat_store_b128 v[24:25], v[20:23]
.LBB566_34:                             ;   in Loop: Header=BB566_7 Depth=1
	s_wait_alu 0xfffe
	s_and_not1_b32 vcc_lo, exec_lo, s17
	s_wait_alu 0xfffe
	s_cbranch_vccnz .LBB566_6
; %bb.35:                               ;   in Loop: Header=BB566_7 Depth=1
	v_add_co_u32 v4, vcc_lo, v6, v4
	s_wait_alu 0xfffd
	v_add_co_ci_u32_e64 v5, null, v7, v5, vcc_lo
	flat_store_b128 v[4:5], v[0:3]
	s_branch .LBB566_6
.LBB566_36:
.LBB566_37:
	s_nop 0
	s_sendmsg sendmsg(MSG_DEALLOC_VGPRS)
	s_endpgm
	.section	.rodata,"a",@progbits
	.p2align	6, 0x0
	.amdhsa_kernel _ZL29rocblas_internal_gemmt_kernelIlLi16ELi32ELi8ELc67ELc67ELc85ELb1ELb1E19rocblas_complex_numIdES1_PKPKS1_PKPS1_EviT_T9_T10_S9_lSB_S9_lSA_T11_S9_li
		.amdhsa_group_segment_fixed_size 8192
		.amdhsa_private_segment_fixed_size 0
		.amdhsa_kernarg_size 124
		.amdhsa_user_sgpr_count 2
		.amdhsa_user_sgpr_dispatch_ptr 0
		.amdhsa_user_sgpr_queue_ptr 0
		.amdhsa_user_sgpr_kernarg_segment_ptr 1
		.amdhsa_user_sgpr_dispatch_id 0
		.amdhsa_user_sgpr_private_segment_size 0
		.amdhsa_wavefront_size32 1
		.amdhsa_uses_dynamic_stack 0
		.amdhsa_enable_private_segment 0
		.amdhsa_system_sgpr_workgroup_id_x 1
		.amdhsa_system_sgpr_workgroup_id_y 1
		.amdhsa_system_sgpr_workgroup_id_z 1
		.amdhsa_system_sgpr_workgroup_info 0
		.amdhsa_system_vgpr_workitem_id 1
		.amdhsa_next_free_vgpr 133
		.amdhsa_next_free_sgpr 42
		.amdhsa_reserve_vcc 1
		.amdhsa_float_round_mode_32 0
		.amdhsa_float_round_mode_16_64 0
		.amdhsa_float_denorm_mode_32 3
		.amdhsa_float_denorm_mode_16_64 3
		.amdhsa_fp16_overflow 0
		.amdhsa_workgroup_processor_mode 1
		.amdhsa_memory_ordered 1
		.amdhsa_forward_progress 1
		.amdhsa_inst_pref_size 27
		.amdhsa_round_robin_scheduling 0
		.amdhsa_exception_fp_ieee_invalid_op 0
		.amdhsa_exception_fp_denorm_src 0
		.amdhsa_exception_fp_ieee_div_zero 0
		.amdhsa_exception_fp_ieee_overflow 0
		.amdhsa_exception_fp_ieee_underflow 0
		.amdhsa_exception_fp_ieee_inexact 0
		.amdhsa_exception_int_div_zero 0
	.end_amdhsa_kernel
	.section	.text._ZL29rocblas_internal_gemmt_kernelIlLi16ELi32ELi8ELc67ELc67ELc85ELb1ELb1E19rocblas_complex_numIdES1_PKPKS1_PKPS1_EviT_T9_T10_S9_lSB_S9_lSA_T11_S9_li,"axG",@progbits,_ZL29rocblas_internal_gemmt_kernelIlLi16ELi32ELi8ELc67ELc67ELc85ELb1ELb1E19rocblas_complex_numIdES1_PKPKS1_PKPS1_EviT_T9_T10_S9_lSB_S9_lSA_T11_S9_li,comdat
.Lfunc_end566:
	.size	_ZL29rocblas_internal_gemmt_kernelIlLi16ELi32ELi8ELc67ELc67ELc85ELb1ELb1E19rocblas_complex_numIdES1_PKPKS1_PKPS1_EviT_T9_T10_S9_lSB_S9_lSA_T11_S9_li, .Lfunc_end566-_ZL29rocblas_internal_gemmt_kernelIlLi16ELi32ELi8ELc67ELc67ELc85ELb1ELb1E19rocblas_complex_numIdES1_PKPKS1_PKPS1_EviT_T9_T10_S9_lSB_S9_lSA_T11_S9_li
                                        ; -- End function
	.set _ZL29rocblas_internal_gemmt_kernelIlLi16ELi32ELi8ELc67ELc67ELc85ELb1ELb1E19rocblas_complex_numIdES1_PKPKS1_PKPS1_EviT_T9_T10_S9_lSB_S9_lSA_T11_S9_li.num_vgpr, 133
	.set _ZL29rocblas_internal_gemmt_kernelIlLi16ELi32ELi8ELc67ELc67ELc85ELb1ELb1E19rocblas_complex_numIdES1_PKPKS1_PKPS1_EviT_T9_T10_S9_lSB_S9_lSA_T11_S9_li.num_agpr, 0
	.set _ZL29rocblas_internal_gemmt_kernelIlLi16ELi32ELi8ELc67ELc67ELc85ELb1ELb1E19rocblas_complex_numIdES1_PKPKS1_PKPS1_EviT_T9_T10_S9_lSB_S9_lSA_T11_S9_li.numbered_sgpr, 42
	.set _ZL29rocblas_internal_gemmt_kernelIlLi16ELi32ELi8ELc67ELc67ELc85ELb1ELb1E19rocblas_complex_numIdES1_PKPKS1_PKPS1_EviT_T9_T10_S9_lSB_S9_lSA_T11_S9_li.num_named_barrier, 0
	.set _ZL29rocblas_internal_gemmt_kernelIlLi16ELi32ELi8ELc67ELc67ELc85ELb1ELb1E19rocblas_complex_numIdES1_PKPKS1_PKPS1_EviT_T9_T10_S9_lSB_S9_lSA_T11_S9_li.private_seg_size, 0
	.set _ZL29rocblas_internal_gemmt_kernelIlLi16ELi32ELi8ELc67ELc67ELc85ELb1ELb1E19rocblas_complex_numIdES1_PKPKS1_PKPS1_EviT_T9_T10_S9_lSB_S9_lSA_T11_S9_li.uses_vcc, 1
	.set _ZL29rocblas_internal_gemmt_kernelIlLi16ELi32ELi8ELc67ELc67ELc85ELb1ELb1E19rocblas_complex_numIdES1_PKPKS1_PKPS1_EviT_T9_T10_S9_lSB_S9_lSA_T11_S9_li.uses_flat_scratch, 0
	.set _ZL29rocblas_internal_gemmt_kernelIlLi16ELi32ELi8ELc67ELc67ELc85ELb1ELb1E19rocblas_complex_numIdES1_PKPKS1_PKPS1_EviT_T9_T10_S9_lSB_S9_lSA_T11_S9_li.has_dyn_sized_stack, 0
	.set _ZL29rocblas_internal_gemmt_kernelIlLi16ELi32ELi8ELc67ELc67ELc85ELb1ELb1E19rocblas_complex_numIdES1_PKPKS1_PKPS1_EviT_T9_T10_S9_lSB_S9_lSA_T11_S9_li.has_recursion, 0
	.set _ZL29rocblas_internal_gemmt_kernelIlLi16ELi32ELi8ELc67ELc67ELc85ELb1ELb1E19rocblas_complex_numIdES1_PKPKS1_PKPS1_EviT_T9_T10_S9_lSB_S9_lSA_T11_S9_li.has_indirect_call, 0
	.section	.AMDGPU.csdata,"",@progbits
; Kernel info:
; codeLenInByte = 3456
; TotalNumSgprs: 44
; NumVgprs: 133
; ScratchSize: 0
; MemoryBound: 1
; FloatMode: 240
; IeeeMode: 1
; LDSByteSize: 8192 bytes/workgroup (compile time only)
; SGPRBlocks: 0
; VGPRBlocks: 16
; NumSGPRsForWavesPerEU: 44
; NumVGPRsForWavesPerEU: 133
; Occupancy: 10
; WaveLimiterHint : 1
; COMPUTE_PGM_RSRC2:SCRATCH_EN: 0
; COMPUTE_PGM_RSRC2:USER_SGPR: 2
; COMPUTE_PGM_RSRC2:TRAP_HANDLER: 0
; COMPUTE_PGM_RSRC2:TGID_X_EN: 1
; COMPUTE_PGM_RSRC2:TGID_Y_EN: 1
; COMPUTE_PGM_RSRC2:TGID_Z_EN: 1
; COMPUTE_PGM_RSRC2:TIDIG_COMP_CNT: 1
	.section	.text._ZL29rocblas_internal_gemmt_kernelIlLi16ELi32ELi8ELc78ELc78ELc76ELb0ELb0E19rocblas_complex_numIdES1_PKPKS1_PKPS1_EviT_T9_T10_S9_lSB_S9_lSA_T11_S9_li,"axG",@progbits,_ZL29rocblas_internal_gemmt_kernelIlLi16ELi32ELi8ELc78ELc78ELc76ELb0ELb0E19rocblas_complex_numIdES1_PKPKS1_PKPS1_EviT_T9_T10_S9_lSB_S9_lSA_T11_S9_li,comdat
	.globl	_ZL29rocblas_internal_gemmt_kernelIlLi16ELi32ELi8ELc78ELc78ELc76ELb0ELb0E19rocblas_complex_numIdES1_PKPKS1_PKPS1_EviT_T9_T10_S9_lSB_S9_lSA_T11_S9_li ; -- Begin function _ZL29rocblas_internal_gemmt_kernelIlLi16ELi32ELi8ELc78ELc78ELc76ELb0ELb0E19rocblas_complex_numIdES1_PKPKS1_PKPS1_EviT_T9_T10_S9_lSB_S9_lSA_T11_S9_li
	.p2align	8
	.type	_ZL29rocblas_internal_gemmt_kernelIlLi16ELi32ELi8ELc78ELc78ELc76ELb0ELb0E19rocblas_complex_numIdES1_PKPKS1_PKPS1_EviT_T9_T10_S9_lSB_S9_lSA_T11_S9_li,@function
_ZL29rocblas_internal_gemmt_kernelIlLi16ELi32ELi8ELc78ELc78ELc76ELb0ELb0E19rocblas_complex_numIdES1_PKPKS1_PKPS1_EviT_T9_T10_S9_lSB_S9_lSA_T11_S9_li: ; @_ZL29rocblas_internal_gemmt_kernelIlLi16ELi32ELi8ELc78ELc78ELc76ELb0ELb0E19rocblas_complex_numIdES1_PKPKS1_PKPS1_EviT_T9_T10_S9_lSB_S9_lSA_T11_S9_li
; %bb.0:
	s_clause 0x1
	s_load_b256 s[24:31], s[0:1], 0x48
	s_load_b512 s[8:23], s[0:1], 0x8
	s_wait_kmcnt 0x0
	v_cmp_eq_f64_e64 s3, s[26:27], 1.0
	v_cmp_eq_f64_e64 s2, s[28:29], 0
	s_and_b32 s3, s3, s2
	s_delay_alu instid0(SALU_CYCLE_1)
	s_and_not1_b32 vcc_lo, exec_lo, s3
	s_mov_b32 s3, -1
	s_cbranch_vccnz .LBB567_3
; %bb.1:
	s_cmp_lg_u64 s[8:9], 0
	s_cbranch_scc0 .LBB567_41
; %bb.2:
	v_cmp_neq_f64_e64 s3, s[10:11], 0
	v_cmp_neq_f64_e64 s4, s[12:13], 0
	s_or_b32 s3, s3, s4
.LBB567_3:
	s_delay_alu instid0(SALU_CYCLE_1)
	s_and_b32 vcc_lo, exec_lo, s3
	s_cbranch_vccz .LBB567_42
; %bb.4:
	s_load_b32 s33, s[0:1], 0x78
	s_lshr_b32 s34, ttmp7, 16
	s_wait_kmcnt 0x0
	s_cmp_ge_u32 s34, s33
	s_cbranch_scc1 .LBB567_42
; %bb.5:
	s_clause 0x1
	s_load_b128 s[4:7], s[0:1], 0x68
	s_load_b32 s36, s[0:1], 0x0
	v_and_b32_e32 v9, 0x3ff, v0
	v_bfe_u32 v10, v0, 10, 10
	s_lshl_b32 s0, ttmp7, 5
	v_cmp_neq_f64_e64 s1, s[26:27], 0
	s_and_b32 s0, s0, 0x1fffe0
	v_cmp_neq_f64_e64 s3, s[10:11], 0
	v_lshl_add_u32 v1, v10, 4, v9
	v_add_nc_u32_e32 v11, s0, v10
	v_cmp_neq_f64_e64 s35, s[12:13], 0
	s_lshl_b32 s37, ttmp9, 5
	s_xor_b32 s2, s2, -1
	v_and_b32_e32 v7, 31, v1
	v_add_nc_u32_e32 v12, 16, v11
	v_lshrrev_b32_e32 v37, 5, v1
	v_cmp_gt_i64_e64 s39, s[8:9], 0
	v_lshl_add_u32 v41, v10, 7, 0x1000
	v_or_b32_e32 v4, s37, v7
                                        ; implicit-def: $vgpr18_vgpr19
	s_wait_kmcnt 0x0
	v_mad_co_u64_u32 v[14:15], null, s4, v11, 0
	v_and_b32_e32 v36, 7, v0
	v_lshrrev_b32_e32 v0, 3, v1
	v_mad_co_u64_u32 v[16:17], null, s4, v12, 0
	v_lshlrev_b32_e32 v1, 4, v7
	s_delay_alu instid0(VALU_DEP_4) | instskip(NEXT) | instid1(VALU_DEP_4)
	v_lshlrev_b32_e32 v5, 4, v36
	v_add_nc_u32_e32 v6, s0, v0
	v_cmp_gt_i32_e64 s0, s36, v4
	s_lshl_b64 s[6:7], s[6:7], 4
	v_lshl_or_b32 v38, v37, 9, v1
	v_lshl_or_b32 v7, v0, 7, v5
	v_mad_co_u64_u32 v[2:3], null, s22, v6, 0
	v_ashrrev_i32_e32 v5, 31, v4
	v_cmp_le_i32_e64 s22, s36, v4
	s_delay_alu instid0(VALU_DEP_3) | instskip(SKIP_1) | instid1(VALU_DEP_2)
	v_dual_mov_b32 v0, v3 :: v_dual_add_nc_u32 v39, 0x1000, v7
	v_lshlrev_b32_e32 v40, 4, v9
	v_mad_co_u64_u32 v[0:1], null, s23, v6, v[0:1]
	v_mov_b32_e32 v1, v15
	s_or_b32 s23, s1, s2
	s_or_b32 s40, s3, s35
	s_mov_b32 s35, 0
	s_and_b32 s39, s40, s39
	v_mad_co_u64_u32 v[7:8], null, s5, v11, v[1:2]
	s_delay_alu instid0(VALU_DEP_3) | instskip(SKIP_1) | instid1(VALU_DEP_3)
	v_dual_mov_b32 v3, v0 :: v_dual_mov_b32 v0, v17
	v_cmp_gt_i32_e32 vcc_lo, s36, v6
	v_mov_b32_e32 v15, v7
	s_delay_alu instid0(VALU_DEP_3) | instskip(SKIP_1) | instid1(VALU_DEP_3)
	v_mad_co_u64_u32 v[0:1], null, s5, v12, v[0:1]
	v_dual_mov_b32 v1, 0 :: v_dual_add_nc_u32 v6, s37, v9
	v_lshlrev_b64_e32 v[14:15], 4, v[14:15]
	s_delay_alu instid0(VALU_DEP_2) | instskip(SKIP_3) | instid1(VALU_DEP_4)
	v_dual_mov_b32 v17, v0 :: v_dual_add_nc_u32 v8, 16, v6
	v_cmp_le_i32_e64 s1, v11, v6
	v_cmp_gt_i32_e64 s2, s36, v6
	v_ashrrev_i32_e32 v7, 31, v6
	v_lshlrev_b64_e32 v[16:17], 4, v[16:17]
	v_cmp_le_i32_e64 s3, v11, v8
	v_cmp_gt_i32_e64 s4, s36, v8
	s_and_b32 s36, s1, s2
	v_cmp_le_i32_e64 s1, v12, v6
	v_cmp_le_i32_e64 s5, v12, v8
	v_lshlrev_b64_e32 v[10:11], 4, v[4:5]
	v_lshlrev_b64_e32 v[12:13], 4, v[2:3]
	v_ashrrev_i32_e32 v9, 31, v8
	s_and_b32 s37, s3, s4
	s_and_b32 s1, s1, s2
	s_and_b32 s38, s5, s4
	s_lshl_b64 s[2:3], s[24:25], 4
	s_lshl_b64 s[4:5], s[18:19], 4
	s_xor_b32 s24, vcc_lo, -1
	s_branch .LBB567_7
.LBB567_6:                              ;   in Loop: Header=BB567_7 Depth=1
	s_wait_alu 0xfffe
	s_or_b32 exec_lo, exec_lo, s18
	s_add_co_i32 s34, s34, 0x10000
	s_delay_alu instid0(SALU_CYCLE_1)
	s_cmp_lt_u32 s34, s33
	s_cbranch_scc0 .LBB567_42
.LBB567_7:                              ; =>This Loop Header: Depth=1
                                        ;     Child Loop BB567_10 Depth 2
	s_lshl_b64 s[18:19], s[34:35], 3
	v_mov_b32_e32 v32, 0
	s_wait_alu 0xfffe
	s_add_nc_u64 s[40:41], s[30:31], s[18:19]
	v_mov_b32_e32 v33, 0
	global_load_b64 v[4:5], v1, s[40:41]
	s_and_not1_b32 vcc_lo, exec_lo, s39
	s_wait_alu 0xfffe
	s_cbranch_vccnz .LBB567_20
; %bb.8:                                ;   in Loop: Header=BB567_7 Depth=1
	s_add_nc_u64 s[40:41], s[14:15], s[18:19]
	s_add_nc_u64 s[18:19], s[20:21], s[18:19]
	s_clause 0x1
	global_load_b64 v[2:3], v1, s[40:41]
	global_load_b64 v[42:43], v1, s[18:19]
	v_mov_b32_e32 v20, 0
	v_mov_b32_e32 v26, 0
	;; [unrolled: 1-line block ×3, first 2 shown]
	v_dual_mov_b32 v34, 0 :: v_dual_mov_b32 v21, 0
	v_dual_mov_b32 v22, 0 :: v_dual_mov_b32 v27, 0
	;; [unrolled: 1-line block ×5, first 2 shown]
	v_mov_b32_e32 v25, 0
	v_mov_b32_e32 v29, 0
	v_mov_b32_e32 v33, 0
	s_mov_b64 s[18:19], 0
	s_wait_loadcnt 0x1
	v_add_co_u32 v0, vcc_lo, v2, s4
	s_wait_alu 0xfffd
	v_add_co_ci_u32_e64 v2, null, s5, v3, vcc_lo
	s_wait_loadcnt 0x0
	v_add_co_u32 v3, vcc_lo, v42, s2
	s_wait_alu 0xfffd
	v_add_co_ci_u32_e64 v45, null, s3, v43, vcc_lo
	v_add_co_u32 v42, vcc_lo, v0, v10
	s_wait_alu 0xfffd
	v_add_co_ci_u32_e64 v43, null, v2, v11, vcc_lo
	;; [unrolled: 3-line block ×3, first 2 shown]
	s_branch .LBB567_10
.LBB567_9:                              ;   in Loop: Header=BB567_10 Depth=2
	s_or_b32 exec_lo, exec_lo, s25
	s_wait_dscnt 0x0
	s_barrier_signal -1
	s_barrier_wait -1
	global_inv scope:SCOPE_SE
	ds_load_b128 v[46:49], v41
	ds_load_b128 v[50:53], v40
	ds_load_b128 v[54:57], v40 offset:256
	ds_load_b128 v[58:61], v41 offset:2048
	;; [unrolled: 1-line block ×10, first 2 shown]
	s_add_nc_u64 s[18:19], s[18:19], 8
	s_wait_alu 0xfffe
	v_cmp_gt_i64_e64 s25, s[8:9], s[18:19]
	s_and_b32 vcc_lo, exec_lo, s25
	s_wait_dscnt 0xa
	v_mul_f64_e32 v[2:3], v[48:49], v[52:53]
	v_mul_f64_e32 v[94:95], v[46:47], v[52:53]
	s_wait_dscnt 0x9
	v_mul_f64_e32 v[96:97], v[48:49], v[56:57]
	v_mul_f64_e32 v[98:99], v[46:47], v[56:57]
	;; [unrolled: 3-line block ×3, first 2 shown]
	v_mul_f64_e32 v[102:103], v[60:61], v[56:57]
	v_mul_f64_e32 v[56:57], v[58:59], v[56:57]
	s_wait_dscnt 0x5
	v_mul_f64_e32 v[104:105], v[64:65], v[72:73]
	v_mul_f64_e32 v[106:107], v[62:63], v[72:73]
	s_wait_dscnt 0x4
	v_mul_f64_e32 v[108:109], v[64:65], v[76:77]
	v_mul_f64_e32 v[110:111], v[62:63], v[76:77]
	;; [unrolled: 1-line block ×6, first 2 shown]
	s_wait_dscnt 0x2
	v_mul_f64_e32 v[120:121], v[80:81], v[84:85]
	v_mul_f64_e32 v[122:123], v[78:79], v[84:85]
	s_wait_dscnt 0x1
	v_mul_f64_e32 v[124:125], v[80:81], v[88:89]
	v_mul_f64_e32 v[126:127], v[78:79], v[88:89]
	;; [unrolled: 3-line block ×3, first 2 shown]
	v_mul_f64_e32 v[130:131], v[92:93], v[88:89]
	v_mul_f64_e32 v[88:89], v[90:91], v[88:89]
	v_fma_f64 v[2:3], v[46:47], v[50:51], -v[2:3]
	v_fma_f64 v[94:95], v[48:49], v[50:51], v[94:95]
	v_fma_f64 v[96:97], v[46:47], v[54:55], -v[96:97]
	v_fma_f64 v[98:99], v[48:49], v[54:55], v[98:99]
	;; [unrolled: 2-line block ×8, first 2 shown]
	ds_load_b128 v[46:49], v41 offset:48
	ds_load_b128 v[50:53], v40 offset:1536
	;; [unrolled: 1-line block ×4, first 2 shown]
	v_fma_f64 v[120:121], v[78:79], v[82:83], -v[120:121]
	v_fma_f64 v[122:123], v[80:81], v[82:83], v[122:123]
	v_fma_f64 v[78:79], v[78:79], v[86:87], -v[124:125]
	v_fma_f64 v[80:81], v[80:81], v[86:87], v[126:127]
	;; [unrolled: 2-line block ×4, first 2 shown]
	s_wait_dscnt 0x2
	v_mul_f64_e32 v[110:111], v[46:47], v[52:53]
	s_wait_dscnt 0x1
	v_mul_f64_e32 v[112:113], v[48:49], v[56:57]
	v_mul_f64_e32 v[114:115], v[46:47], v[56:57]
	v_add_f64_e32 v[2:3], v[32:33], v[2:3]
	v_add_f64_e32 v[72:73], v[94:95], v[34:35]
	;; [unrolled: 1-line block ×8, first 2 shown]
	v_mul_f64_e32 v[102:103], v[48:49], v[52:53]
	s_wait_dscnt 0x0
	v_mul_f64_e32 v[116:117], v[60:61], v[52:53]
	v_mul_f64_e32 v[52:53], v[58:59], v[52:53]
	;; [unrolled: 1-line block ×4, first 2 shown]
	ds_load_b128 v[20:23], v41 offset:64
	ds_load_b128 v[24:27], v40 offset:2048
	;; [unrolled: 1-line block ×4, first 2 shown]
	s_wait_dscnt 0x1
	v_mul_f64_e32 v[126:127], v[20:21], v[30:31]
	s_wait_dscnt 0x0
	v_mul_f64_e32 v[128:129], v[34:35], v[26:27]
	v_mul_f64_e32 v[130:131], v[34:35], v[30:31]
	v_fma_f64 v[110:111], v[48:49], v[50:51], v[110:111]
	v_fma_f64 v[112:113], v[46:47], v[54:55], -v[112:113]
	v_fma_f64 v[114:115], v[48:49], v[54:55], v[114:115]
	v_add_f64_e32 v[2:3], v[2:3], v[104:105]
	v_add_f64_e32 v[88:89], v[106:107], v[72:73]
	;; [unrolled: 1-line block ×8, first 2 shown]
	v_mul_f64_e32 v[104:105], v[22:23], v[26:27]
	v_mul_f64_e32 v[106:107], v[20:21], v[26:27]
	;; [unrolled: 1-line block ×5, first 2 shown]
	v_fma_f64 v[102:103], v[46:47], v[50:51], -v[102:103]
	v_fma_f64 v[116:117], v[58:59], v[50:51], -v[116:117]
	v_fma_f64 v[132:133], v[60:61], v[50:51], v[52:53]
	v_fma_f64 v[118:119], v[58:59], v[54:55], -v[118:119]
	v_fma_f64 v[134:135], v[60:61], v[54:55], v[56:57]
	ds_load_b128 v[62:65], v41 offset:80
	ds_load_b128 v[66:69], v40 offset:2560
	;; [unrolled: 1-line block ×8, first 2 shown]
	v_add_f64_e32 v[2:3], v[2:3], v[120:121]
	v_add_f64_e32 v[88:89], v[122:123], v[88:89]
	;; [unrolled: 1-line block ×8, first 2 shown]
	s_wait_dscnt 0x6
	v_mul_f64_e32 v[92:93], v[64:65], v[68:69]
	v_mul_f64_e32 v[94:95], v[62:63], v[68:69]
	s_wait_dscnt 0x5
	v_mul_f64_e32 v[96:97], v[64:65], v[72:73]
	v_mul_f64_e32 v[98:99], v[62:63], v[72:73]
	;; [unrolled: 3-line block ×3, first 2 shown]
	v_mul_f64_e32 v[120:121], v[76:77], v[72:73]
	v_mul_f64_e32 v[72:73], v[74:75], v[72:73]
	v_fma_f64 v[104:105], v[20:21], v[24:25], -v[104:105]
	v_fma_f64 v[106:107], v[22:23], v[24:25], v[106:107]
	v_fma_f64 v[108:109], v[20:21], v[28:29], -v[108:109]
	v_fma_f64 v[122:123], v[22:23], v[28:29], v[126:127]
	;; [unrolled: 2-line block ×4, first 2 shown]
	ds_load_b128 v[20:23], v41 offset:112
	ds_load_b128 v[24:27], v40 offset:3584
	;; [unrolled: 1-line block ×4, first 2 shown]
	s_wait_loadcnt_dscnt 0x0
	s_barrier_signal -1
	s_barrier_wait -1
	global_inv scope:SCOPE_SE
	v_add_f64_e32 v[2:3], v[2:3], v[102:103]
	v_add_f64_e32 v[88:89], v[110:111], v[88:89]
	;; [unrolled: 1-line block ×8, first 2 shown]
	v_mul_f64_e32 v[102:103], v[48:49], v[52:53]
	v_mul_f64_e32 v[110:111], v[46:47], v[52:53]
	;; [unrolled: 1-line block ×8, first 2 shown]
	v_fma_f64 v[92:93], v[62:63], v[66:67], -v[92:93]
	v_fma_f64 v[94:95], v[64:65], v[66:67], v[94:95]
	v_fma_f64 v[62:63], v[62:63], v[70:71], -v[96:97]
	v_fma_f64 v[64:65], v[64:65], v[70:71], v[98:99]
	;; [unrolled: 2-line block ×4, first 2 shown]
	v_mul_f64_e32 v[98:99], v[20:21], v[30:31]
	v_mul_f64_e32 v[100:101], v[34:35], v[26:27]
	v_add_f64_e32 v[2:3], v[2:3], v[104:105]
	v_add_f64_e32 v[72:73], v[106:107], v[88:89]
	;; [unrolled: 1-line block ×8, first 2 shown]
	v_mul_f64_e32 v[86:87], v[22:23], v[26:27]
	v_mul_f64_e32 v[88:89], v[20:21], v[26:27]
	v_mul_f64_e32 v[90:91], v[22:23], v[30:31]
	v_mul_f64_e32 v[26:27], v[32:33], v[26:27]
	v_mul_f64_e32 v[104:105], v[34:35], v[30:31]
	v_mul_f64_e32 v[30:31], v[32:33], v[30:31]
	v_fma_f64 v[102:103], v[46:47], v[50:51], -v[102:103]
	v_fma_f64 v[106:107], v[48:49], v[50:51], v[110:111]
	v_fma_f64 v[46:47], v[46:47], v[54:55], -v[112:113]
	v_fma_f64 v[48:49], v[48:49], v[54:55], v[114:115]
	;; [unrolled: 2-line block ×4, first 2 shown]
	v_add_f64_e32 v[2:3], v[2:3], v[92:93]
	v_add_f64_e32 v[56:57], v[94:95], v[72:73]
	;; [unrolled: 1-line block ×8, first 2 shown]
	v_fma_f64 v[70:71], v[20:21], v[24:25], -v[86:87]
	v_fma_f64 v[72:73], v[22:23], v[24:25], v[88:89]
	v_fma_f64 v[20:21], v[20:21], v[28:29], -v[90:91]
	v_fma_f64 v[22:23], v[22:23], v[28:29], v[98:99]
	;; [unrolled: 2-line block ×4, first 2 shown]
	v_add_f64_e32 v[2:3], v[2:3], v[102:103]
	v_add_f64_e32 v[24:25], v[106:107], v[56:57]
	;; [unrolled: 1-line block ×16, first 2 shown]
	s_wait_alu 0xfffe
	s_cbranch_vccz .LBB567_21
.LBB567_10:                             ;   Parent Loop BB567_7 Depth=1
                                        ; =>  This Inner Loop Header: Depth=2
	s_mov_b32 s25, 0
	s_mov_b32 s41, s22
	s_and_saveexec_b32 s40, s0
	s_cbranch_execnz .LBB567_18
; %bb.11:                               ;   in Loop: Header=BB567_10 Depth=2
	s_or_b32 exec_lo, exec_lo, s40
	s_and_saveexec_b32 s40, s41
	s_delay_alu instid0(SALU_CYCLE_1)
	s_xor_b32 s40, exec_lo, s40
	s_cbranch_execnz .LBB567_19
.LBB567_12:                             ;   in Loop: Header=BB567_10 Depth=2
	s_or_b32 exec_lo, exec_lo, s40
	s_and_saveexec_b32 s40, s25
	s_cbranch_execz .LBB567_14
.LBB567_13:                             ;   in Loop: Header=BB567_10 Depth=2
	v_mul_lo_u32 v0, s17, v18
	v_mul_lo_u32 v46, s16, v19
	v_mad_co_u64_u32 v[2:3], null, s16, v18, 0
	s_delay_alu instid0(VALU_DEP_1) | instskip(NEXT) | instid1(VALU_DEP_1)
	v_add3_u32 v3, v3, v46, v0
	v_lshlrev_b64_e32 v[2:3], 4, v[2:3]
	s_delay_alu instid0(VALU_DEP_1) | instskip(SKIP_1) | instid1(VALU_DEP_2)
	v_add_co_u32 v2, vcc_lo, v42, v2
	s_wait_alu 0xfffd
	v_add_co_ci_u32_e64 v3, null, v43, v3, vcc_lo
	flat_load_b128 v[46:49], v[2:3]
	s_wait_loadcnt_dscnt 0x0
	ds_store_2addr_b64 v38, v[46:47], v[48:49] offset1:1
.LBB567_14:                             ;   in Loop: Header=BB567_10 Depth=2
	s_or_b32 exec_lo, exec_lo, s40
	s_wait_alu 0xfffe
	v_add_nc_u32_e32 v0, s18, v36
	s_delay_alu instid0(VALU_DEP_1) | instskip(SKIP_1) | instid1(SALU_CYCLE_1)
	v_cmp_le_u64_e32 vcc_lo, s[8:9], v[0:1]
	s_or_b32 s25, vcc_lo, s24
	s_and_saveexec_b32 s40, s25
	s_delay_alu instid0(SALU_CYCLE_1)
	s_xor_b32 s25, exec_lo, s40
; %bb.15:                               ;   in Loop: Header=BB567_10 Depth=2
	v_dual_mov_b32 v0, v1 :: v_dual_mov_b32 v3, v1
	v_mov_b32_e32 v2, v1
	ds_store_b128 v39, v[0:3]
; %bb.16:                               ;   in Loop: Header=BB567_10 Depth=2
	s_and_not1_saveexec_b32 s25, s25
	s_cbranch_execz .LBB567_9
; %bb.17:                               ;   in Loop: Header=BB567_10 Depth=2
	v_lshlrev_b64_e32 v[2:3], 4, v[0:1]
	s_delay_alu instid0(VALU_DEP_1) | instskip(SKIP_1) | instid1(VALU_DEP_2)
	v_add_co_u32 v2, vcc_lo, v44, v2
	s_wait_alu 0xfffd
	v_add_co_ci_u32_e64 v3, null, v45, v3, vcc_lo
	flat_load_b128 v[46:49], v[2:3]
	s_wait_loadcnt_dscnt 0x0
	ds_store_2addr_b64 v39, v[46:47], v[48:49] offset1:1
	s_branch .LBB567_9
.LBB567_18:                             ;   in Loop: Header=BB567_10 Depth=2
	s_wait_alu 0xfffe
	v_add_nc_u32_e32 v0, s18, v37
	v_mov_b32_e32 v19, v1
	s_and_not1_b32 s41, s22, exec_lo
	s_mov_b32 s25, exec_lo
	s_delay_alu instid0(VALU_DEP_2) | instskip(SKIP_2) | instid1(SALU_CYCLE_1)
	v_cmp_le_u64_e32 vcc_lo, s[8:9], v[0:1]
	v_mov_b32_e32 v18, v0
	s_and_b32 s42, vcc_lo, exec_lo
	s_or_b32 s41, s41, s42
	s_or_b32 exec_lo, exec_lo, s40
	s_and_saveexec_b32 s40, s41
	s_delay_alu instid0(SALU_CYCLE_1)
	s_xor_b32 s40, exec_lo, s40
	s_cbranch_execz .LBB567_12
.LBB567_19:                             ;   in Loop: Header=BB567_10 Depth=2
	v_dual_mov_b32 v0, v1 :: v_dual_mov_b32 v3, v1
	v_mov_b32_e32 v2, v1
	s_and_not1_b32 s25, s25, exec_lo
	ds_store_b128 v38, v[0:3]
	s_or_b32 exec_lo, exec_lo, s40
	s_and_saveexec_b32 s40, s25
	s_cbranch_execnz .LBB567_13
	s_branch .LBB567_14
.LBB567_20:                             ;   in Loop: Header=BB567_7 Depth=1
	v_mov_b32_e32 v34, 0
	v_mov_b32_e32 v30, 0
	v_dual_mov_b32 v26, 0 :: v_dual_mov_b32 v35, 0
	v_dual_mov_b32 v28, 0 :: v_dual_mov_b32 v31, 0
	;; [unrolled: 1-line block ×3, first 2 shown]
	v_mov_b32_e32 v22, 0
	v_dual_mov_b32 v20, 0 :: v_dual_mov_b32 v29, 0
	v_mov_b32_e32 v25, 0
	v_mov_b32_e32 v23, 0
	;; [unrolled: 1-line block ×3, first 2 shown]
.LBB567_21:                             ;   in Loop: Header=BB567_7 Depth=1
	s_wait_loadcnt 0x0
	v_add_co_u32 v0, vcc_lo, v4, s6
	s_wait_alu 0xfffd
	v_add_co_ci_u32_e64 v42, null, s7, v5, vcc_lo
	s_delay_alu instid0(VALU_DEP_2) | instskip(SKIP_1) | instid1(VALU_DEP_2)
	v_add_co_u32 v43, vcc_lo, v0, v14
	s_wait_alu 0xfffd
	v_add_co_ci_u32_e64 v44, null, v42, v15, vcc_lo
	s_wait_alu 0xfffe
	s_and_saveexec_b32 s18, s36
	s_cbranch_execz .LBB567_26
; %bb.22:                               ;   in Loop: Header=BB567_7 Depth=1
	v_mul_f64_e32 v[2:3], s[12:13], v[34:35]
	v_mul_f64_e32 v[4:5], s[10:11], v[34:35]
	s_and_b32 vcc_lo, exec_lo, s23
	s_mov_b32 s19, -1
	s_delay_alu instid0(VALU_DEP_2) | instskip(NEXT) | instid1(VALU_DEP_2)
	v_fma_f64 v[2:3], s[10:11], v[32:33], -v[2:3]
	v_fma_f64 v[4:5], s[12:13], v[32:33], v[4:5]
	s_wait_alu 0xfffe
	s_cbranch_vccz .LBB567_24
; %bb.23:                               ;   in Loop: Header=BB567_7 Depth=1
	v_lshlrev_b64_e32 v[32:33], 4, v[6:7]
	s_mov_b32 s19, 0
	s_delay_alu instid0(VALU_DEP_1) | instskip(SKIP_1) | instid1(VALU_DEP_2)
	v_add_co_u32 v45, vcc_lo, v43, v32
	s_wait_alu 0xfffd
	v_add_co_ci_u32_e64 v46, null, v44, v33, vcc_lo
	flat_load_b128 v[32:35], v[45:46]
	s_wait_loadcnt_dscnt 0x0
	v_mul_f64_e32 v[47:48], s[28:29], v[34:35]
	v_mul_f64_e32 v[34:35], s[26:27], v[34:35]
	s_delay_alu instid0(VALU_DEP_2) | instskip(NEXT) | instid1(VALU_DEP_2)
	v_fma_f64 v[47:48], s[26:27], v[32:33], -v[47:48]
	v_fma_f64 v[34:35], s[28:29], v[32:33], v[34:35]
	s_delay_alu instid0(VALU_DEP_2) | instskip(NEXT) | instid1(VALU_DEP_2)
	v_add_f64_e32 v[32:33], v[2:3], v[47:48]
	v_add_f64_e32 v[34:35], v[4:5], v[34:35]
	flat_store_b128 v[45:46], v[32:35]
.LBB567_24:                             ;   in Loop: Header=BB567_7 Depth=1
	s_wait_alu 0xfffe
	s_and_not1_b32 vcc_lo, exec_lo, s19
	s_wait_alu 0xfffe
	s_cbranch_vccnz .LBB567_26
; %bb.25:                               ;   in Loop: Header=BB567_7 Depth=1
	v_lshlrev_b64_e32 v[32:33], 4, v[6:7]
	s_delay_alu instid0(VALU_DEP_1) | instskip(SKIP_1) | instid1(VALU_DEP_2)
	v_add_co_u32 v32, vcc_lo, v43, v32
	s_wait_alu 0xfffd
	v_add_co_ci_u32_e64 v33, null, v44, v33, vcc_lo
	flat_store_b128 v[32:33], v[2:5]
.LBB567_26:                             ;   in Loop: Header=BB567_7 Depth=1
	s_wait_alu 0xfffe
	s_or_b32 exec_lo, exec_lo, s18
	s_and_saveexec_b32 s18, s37
	s_cbranch_execz .LBB567_31
; %bb.27:                               ;   in Loop: Header=BB567_7 Depth=1
	v_mul_f64_e32 v[2:3], s[12:13], v[30:31]
	v_mul_f64_e32 v[4:5], s[10:11], v[30:31]
	s_and_not1_b32 vcc_lo, exec_lo, s23
	s_mov_b32 s19, -1
	s_delay_alu instid0(VALU_DEP_2) | instskip(NEXT) | instid1(VALU_DEP_2)
	v_fma_f64 v[2:3], s[10:11], v[28:29], -v[2:3]
	v_fma_f64 v[4:5], s[12:13], v[28:29], v[4:5]
	s_wait_alu 0xfffe
	s_cbranch_vccnz .LBB567_29
; %bb.28:                               ;   in Loop: Header=BB567_7 Depth=1
	v_lshlrev_b64_e32 v[28:29], 4, v[8:9]
	s_mov_b32 s19, 0
	s_delay_alu instid0(VALU_DEP_1) | instskip(SKIP_1) | instid1(VALU_DEP_2)
	v_add_co_u32 v32, vcc_lo, v43, v28
	s_wait_alu 0xfffd
	v_add_co_ci_u32_e64 v33, null, v44, v29, vcc_lo
	flat_load_b128 v[28:31], v[32:33]
	s_wait_loadcnt_dscnt 0x0
	v_mul_f64_e32 v[34:35], s[28:29], v[30:31]
	v_mul_f64_e32 v[30:31], s[26:27], v[30:31]
	s_delay_alu instid0(VALU_DEP_2) | instskip(NEXT) | instid1(VALU_DEP_2)
	v_fma_f64 v[34:35], s[26:27], v[28:29], -v[34:35]
	v_fma_f64 v[30:31], s[28:29], v[28:29], v[30:31]
	s_delay_alu instid0(VALU_DEP_2) | instskip(NEXT) | instid1(VALU_DEP_2)
	v_add_f64_e32 v[28:29], v[2:3], v[34:35]
	v_add_f64_e32 v[30:31], v[4:5], v[30:31]
	flat_store_b128 v[32:33], v[28:31]
.LBB567_29:                             ;   in Loop: Header=BB567_7 Depth=1
	s_wait_alu 0xfffe
	s_and_not1_b32 vcc_lo, exec_lo, s19
	s_wait_alu 0xfffe
	s_cbranch_vccnz .LBB567_31
; %bb.30:                               ;   in Loop: Header=BB567_7 Depth=1
	v_lshlrev_b64_e32 v[28:29], 4, v[8:9]
	s_delay_alu instid0(VALU_DEP_1) | instskip(SKIP_1) | instid1(VALU_DEP_2)
	v_add_co_u32 v28, vcc_lo, v43, v28
	s_wait_alu 0xfffd
	v_add_co_ci_u32_e64 v29, null, v44, v29, vcc_lo
	flat_store_b128 v[28:29], v[2:5]
.LBB567_31:                             ;   in Loop: Header=BB567_7 Depth=1
	s_wait_alu 0xfffe
	s_or_b32 exec_lo, exec_lo, s18
	v_add_co_u32 v0, vcc_lo, v0, v16
	s_wait_alu 0xfffd
	v_add_co_ci_u32_e64 v28, null, v42, v17, vcc_lo
	s_and_saveexec_b32 s18, s1
	s_cbranch_execz .LBB567_36
; %bb.32:                               ;   in Loop: Header=BB567_7 Depth=1
	v_mul_f64_e32 v[2:3], s[12:13], v[26:27]
	v_mul_f64_e32 v[4:5], s[10:11], v[26:27]
	s_and_not1_b32 vcc_lo, exec_lo, s23
	s_mov_b32 s19, -1
	s_delay_alu instid0(VALU_DEP_2) | instskip(NEXT) | instid1(VALU_DEP_2)
	v_fma_f64 v[2:3], s[10:11], v[24:25], -v[2:3]
	v_fma_f64 v[4:5], s[12:13], v[24:25], v[4:5]
	v_lshlrev_b64_e32 v[24:25], 4, v[6:7]
	s_wait_alu 0xfffe
	s_cbranch_vccnz .LBB567_34
; %bb.33:                               ;   in Loop: Header=BB567_7 Depth=1
	s_delay_alu instid0(VALU_DEP_1) | instskip(SKIP_1) | instid1(VALU_DEP_2)
	v_add_co_u32 v26, vcc_lo, v0, v24
	s_wait_alu 0xfffd
	v_add_co_ci_u32_e64 v27, null, v28, v25, vcc_lo
	s_mov_b32 s19, 0
	flat_load_b128 v[29:32], v[26:27]
	s_wait_loadcnt_dscnt 0x0
	v_mul_f64_e32 v[33:34], s[28:29], v[31:32]
	v_mul_f64_e32 v[31:32], s[26:27], v[31:32]
	s_delay_alu instid0(VALU_DEP_2) | instskip(NEXT) | instid1(VALU_DEP_2)
	v_fma_f64 v[33:34], s[26:27], v[29:30], -v[33:34]
	v_fma_f64 v[31:32], s[28:29], v[29:30], v[31:32]
	s_delay_alu instid0(VALU_DEP_2) | instskip(NEXT) | instid1(VALU_DEP_2)
	v_add_f64_e32 v[29:30], v[2:3], v[33:34]
	v_add_f64_e32 v[31:32], v[4:5], v[31:32]
	flat_store_b128 v[26:27], v[29:32]
.LBB567_34:                             ;   in Loop: Header=BB567_7 Depth=1
	s_wait_alu 0xfffe
	s_and_not1_b32 vcc_lo, exec_lo, s19
	s_wait_alu 0xfffe
	s_cbranch_vccnz .LBB567_36
; %bb.35:                               ;   in Loop: Header=BB567_7 Depth=1
	v_add_co_u32 v24, vcc_lo, v0, v24
	s_wait_alu 0xfffd
	v_add_co_ci_u32_e64 v25, null, v28, v25, vcc_lo
	flat_store_b128 v[24:25], v[2:5]
.LBB567_36:                             ;   in Loop: Header=BB567_7 Depth=1
	s_wait_alu 0xfffe
	s_or_b32 exec_lo, exec_lo, s18
	s_and_saveexec_b32 s18, s38
	s_cbranch_execz .LBB567_6
; %bb.37:                               ;   in Loop: Header=BB567_7 Depth=1
	v_mul_f64_e32 v[2:3], s[12:13], v[20:21]
	v_mul_f64_e32 v[4:5], s[10:11], v[20:21]
	v_lshlrev_b64_e32 v[20:21], 4, v[8:9]
	s_and_not1_b32 vcc_lo, exec_lo, s23
	s_mov_b32 s19, -1
	s_delay_alu instid0(VALU_DEP_3) | instskip(NEXT) | instid1(VALU_DEP_3)
	v_fma_f64 v[2:3], s[10:11], v[22:23], -v[2:3]
	v_fma_f64 v[4:5], s[12:13], v[22:23], v[4:5]
	s_wait_alu 0xfffe
	s_cbranch_vccnz .LBB567_39
; %bb.38:                               ;   in Loop: Header=BB567_7 Depth=1
	v_add_co_u32 v26, vcc_lo, v0, v20
	s_wait_alu 0xfffd
	v_add_co_ci_u32_e64 v27, null, v28, v21, vcc_lo
	s_mov_b32 s19, 0
	flat_load_b128 v[22:25], v[26:27]
	s_wait_loadcnt_dscnt 0x0
	v_mul_f64_e32 v[29:30], s[28:29], v[24:25]
	v_mul_f64_e32 v[24:25], s[26:27], v[24:25]
	s_delay_alu instid0(VALU_DEP_2) | instskip(NEXT) | instid1(VALU_DEP_2)
	v_fma_f64 v[29:30], s[26:27], v[22:23], -v[29:30]
	v_fma_f64 v[24:25], s[28:29], v[22:23], v[24:25]
	s_delay_alu instid0(VALU_DEP_2) | instskip(NEXT) | instid1(VALU_DEP_2)
	v_add_f64_e32 v[22:23], v[2:3], v[29:30]
	v_add_f64_e32 v[24:25], v[4:5], v[24:25]
	flat_store_b128 v[26:27], v[22:25]
.LBB567_39:                             ;   in Loop: Header=BB567_7 Depth=1
	s_wait_alu 0xfffe
	s_and_not1_b32 vcc_lo, exec_lo, s19
	s_wait_alu 0xfffe
	s_cbranch_vccnz .LBB567_6
; %bb.40:                               ;   in Loop: Header=BB567_7 Depth=1
	v_add_co_u32 v20, vcc_lo, v0, v20
	s_wait_alu 0xfffd
	v_add_co_ci_u32_e64 v21, null, v28, v21, vcc_lo
	flat_store_b128 v[20:21], v[2:5]
	s_branch .LBB567_6
.LBB567_41:
.LBB567_42:
	s_nop 0
	s_sendmsg sendmsg(MSG_DEALLOC_VGPRS)
	s_endpgm
	.section	.rodata,"a",@progbits
	.p2align	6, 0x0
	.amdhsa_kernel _ZL29rocblas_internal_gemmt_kernelIlLi16ELi32ELi8ELc78ELc78ELc76ELb0ELb0E19rocblas_complex_numIdES1_PKPKS1_PKPS1_EviT_T9_T10_S9_lSB_S9_lSA_T11_S9_li
		.amdhsa_group_segment_fixed_size 8192
		.amdhsa_private_segment_fixed_size 0
		.amdhsa_kernarg_size 124
		.amdhsa_user_sgpr_count 2
		.amdhsa_user_sgpr_dispatch_ptr 0
		.amdhsa_user_sgpr_queue_ptr 0
		.amdhsa_user_sgpr_kernarg_segment_ptr 1
		.amdhsa_user_sgpr_dispatch_id 0
		.amdhsa_user_sgpr_private_segment_size 0
		.amdhsa_wavefront_size32 1
		.amdhsa_uses_dynamic_stack 0
		.amdhsa_enable_private_segment 0
		.amdhsa_system_sgpr_workgroup_id_x 1
		.amdhsa_system_sgpr_workgroup_id_y 1
		.amdhsa_system_sgpr_workgroup_id_z 1
		.amdhsa_system_sgpr_workgroup_info 0
		.amdhsa_system_vgpr_workitem_id 1
		.amdhsa_next_free_vgpr 136
		.amdhsa_next_free_sgpr 43
		.amdhsa_reserve_vcc 1
		.amdhsa_float_round_mode_32 0
		.amdhsa_float_round_mode_16_64 0
		.amdhsa_float_denorm_mode_32 3
		.amdhsa_float_denorm_mode_16_64 3
		.amdhsa_fp16_overflow 0
		.amdhsa_workgroup_processor_mode 1
		.amdhsa_memory_ordered 1
		.amdhsa_forward_progress 1
		.amdhsa_inst_pref_size 28
		.amdhsa_round_robin_scheduling 0
		.amdhsa_exception_fp_ieee_invalid_op 0
		.amdhsa_exception_fp_denorm_src 0
		.amdhsa_exception_fp_ieee_div_zero 0
		.amdhsa_exception_fp_ieee_overflow 0
		.amdhsa_exception_fp_ieee_underflow 0
		.amdhsa_exception_fp_ieee_inexact 0
		.amdhsa_exception_int_div_zero 0
	.end_amdhsa_kernel
	.section	.text._ZL29rocblas_internal_gemmt_kernelIlLi16ELi32ELi8ELc78ELc78ELc76ELb0ELb0E19rocblas_complex_numIdES1_PKPKS1_PKPS1_EviT_T9_T10_S9_lSB_S9_lSA_T11_S9_li,"axG",@progbits,_ZL29rocblas_internal_gemmt_kernelIlLi16ELi32ELi8ELc78ELc78ELc76ELb0ELb0E19rocblas_complex_numIdES1_PKPKS1_PKPS1_EviT_T9_T10_S9_lSB_S9_lSA_T11_S9_li,comdat
.Lfunc_end567:
	.size	_ZL29rocblas_internal_gemmt_kernelIlLi16ELi32ELi8ELc78ELc78ELc76ELb0ELb0E19rocblas_complex_numIdES1_PKPKS1_PKPS1_EviT_T9_T10_S9_lSB_S9_lSA_T11_S9_li, .Lfunc_end567-_ZL29rocblas_internal_gemmt_kernelIlLi16ELi32ELi8ELc78ELc78ELc76ELb0ELb0E19rocblas_complex_numIdES1_PKPKS1_PKPS1_EviT_T9_T10_S9_lSB_S9_lSA_T11_S9_li
                                        ; -- End function
	.set _ZL29rocblas_internal_gemmt_kernelIlLi16ELi32ELi8ELc78ELc78ELc76ELb0ELb0E19rocblas_complex_numIdES1_PKPKS1_PKPS1_EviT_T9_T10_S9_lSB_S9_lSA_T11_S9_li.num_vgpr, 136
	.set _ZL29rocblas_internal_gemmt_kernelIlLi16ELi32ELi8ELc78ELc78ELc76ELb0ELb0E19rocblas_complex_numIdES1_PKPKS1_PKPS1_EviT_T9_T10_S9_lSB_S9_lSA_T11_S9_li.num_agpr, 0
	.set _ZL29rocblas_internal_gemmt_kernelIlLi16ELi32ELi8ELc78ELc78ELc76ELb0ELb0E19rocblas_complex_numIdES1_PKPKS1_PKPS1_EviT_T9_T10_S9_lSB_S9_lSA_T11_S9_li.numbered_sgpr, 43
	.set _ZL29rocblas_internal_gemmt_kernelIlLi16ELi32ELi8ELc78ELc78ELc76ELb0ELb0E19rocblas_complex_numIdES1_PKPKS1_PKPS1_EviT_T9_T10_S9_lSB_S9_lSA_T11_S9_li.num_named_barrier, 0
	.set _ZL29rocblas_internal_gemmt_kernelIlLi16ELi32ELi8ELc78ELc78ELc76ELb0ELb0E19rocblas_complex_numIdES1_PKPKS1_PKPS1_EviT_T9_T10_S9_lSB_S9_lSA_T11_S9_li.private_seg_size, 0
	.set _ZL29rocblas_internal_gemmt_kernelIlLi16ELi32ELi8ELc78ELc78ELc76ELb0ELb0E19rocblas_complex_numIdES1_PKPKS1_PKPS1_EviT_T9_T10_S9_lSB_S9_lSA_T11_S9_li.uses_vcc, 1
	.set _ZL29rocblas_internal_gemmt_kernelIlLi16ELi32ELi8ELc78ELc78ELc76ELb0ELb0E19rocblas_complex_numIdES1_PKPKS1_PKPS1_EviT_T9_T10_S9_lSB_S9_lSA_T11_S9_li.uses_flat_scratch, 0
	.set _ZL29rocblas_internal_gemmt_kernelIlLi16ELi32ELi8ELc78ELc78ELc76ELb0ELb0E19rocblas_complex_numIdES1_PKPKS1_PKPS1_EviT_T9_T10_S9_lSB_S9_lSA_T11_S9_li.has_dyn_sized_stack, 0
	.set _ZL29rocblas_internal_gemmt_kernelIlLi16ELi32ELi8ELc78ELc78ELc76ELb0ELb0E19rocblas_complex_numIdES1_PKPKS1_PKPS1_EviT_T9_T10_S9_lSB_S9_lSA_T11_S9_li.has_recursion, 0
	.set _ZL29rocblas_internal_gemmt_kernelIlLi16ELi32ELi8ELc78ELc78ELc76ELb0ELb0E19rocblas_complex_numIdES1_PKPKS1_PKPS1_EviT_T9_T10_S9_lSB_S9_lSA_T11_S9_li.has_indirect_call, 0
	.section	.AMDGPU.csdata,"",@progbits
; Kernel info:
; codeLenInByte = 3584
; TotalNumSgprs: 45
; NumVgprs: 136
; ScratchSize: 0
; MemoryBound: 0
; FloatMode: 240
; IeeeMode: 1
; LDSByteSize: 8192 bytes/workgroup (compile time only)
; SGPRBlocks: 0
; VGPRBlocks: 16
; NumSGPRsForWavesPerEU: 45
; NumVGPRsForWavesPerEU: 136
; Occupancy: 10
; WaveLimiterHint : 1
; COMPUTE_PGM_RSRC2:SCRATCH_EN: 0
; COMPUTE_PGM_RSRC2:USER_SGPR: 2
; COMPUTE_PGM_RSRC2:TRAP_HANDLER: 0
; COMPUTE_PGM_RSRC2:TGID_X_EN: 1
; COMPUTE_PGM_RSRC2:TGID_Y_EN: 1
; COMPUTE_PGM_RSRC2:TGID_Z_EN: 1
; COMPUTE_PGM_RSRC2:TIDIG_COMP_CNT: 1
	.section	.text._ZL29rocblas_internal_gemmt_kernelIlLi16ELi32ELi8ELc78ELc84ELc76ELb0ELb0E19rocblas_complex_numIdES1_PKPKS1_PKPS1_EviT_T9_T10_S9_lSB_S9_lSA_T11_S9_li,"axG",@progbits,_ZL29rocblas_internal_gemmt_kernelIlLi16ELi32ELi8ELc78ELc84ELc76ELb0ELb0E19rocblas_complex_numIdES1_PKPKS1_PKPS1_EviT_T9_T10_S9_lSB_S9_lSA_T11_S9_li,comdat
	.globl	_ZL29rocblas_internal_gemmt_kernelIlLi16ELi32ELi8ELc78ELc84ELc76ELb0ELb0E19rocblas_complex_numIdES1_PKPKS1_PKPS1_EviT_T9_T10_S9_lSB_S9_lSA_T11_S9_li ; -- Begin function _ZL29rocblas_internal_gemmt_kernelIlLi16ELi32ELi8ELc78ELc84ELc76ELb0ELb0E19rocblas_complex_numIdES1_PKPKS1_PKPS1_EviT_T9_T10_S9_lSB_S9_lSA_T11_S9_li
	.p2align	8
	.type	_ZL29rocblas_internal_gemmt_kernelIlLi16ELi32ELi8ELc78ELc84ELc76ELb0ELb0E19rocblas_complex_numIdES1_PKPKS1_PKPS1_EviT_T9_T10_S9_lSB_S9_lSA_T11_S9_li,@function
_ZL29rocblas_internal_gemmt_kernelIlLi16ELi32ELi8ELc78ELc84ELc76ELb0ELb0E19rocblas_complex_numIdES1_PKPKS1_PKPS1_EviT_T9_T10_S9_lSB_S9_lSA_T11_S9_li: ; @_ZL29rocblas_internal_gemmt_kernelIlLi16ELi32ELi8ELc78ELc84ELc76ELb0ELb0E19rocblas_complex_numIdES1_PKPKS1_PKPS1_EviT_T9_T10_S9_lSB_S9_lSA_T11_S9_li
; %bb.0:
	s_clause 0x1
	s_load_b256 s[24:31], s[0:1], 0x48
	s_load_b512 s[8:23], s[0:1], 0x8
	s_wait_kmcnt 0x0
	v_cmp_eq_f64_e64 s3, s[26:27], 1.0
	v_cmp_eq_f64_e64 s2, s[28:29], 0
	s_and_b32 s3, s3, s2
	s_delay_alu instid0(SALU_CYCLE_1)
	s_and_not1_b32 vcc_lo, exec_lo, s3
	s_mov_b32 s3, -1
	s_cbranch_vccnz .LBB568_3
; %bb.1:
	s_cmp_lg_u64 s[8:9], 0
	s_cbranch_scc0 .LBB568_41
; %bb.2:
	v_cmp_neq_f64_e64 s3, s[10:11], 0
	v_cmp_neq_f64_e64 s4, s[12:13], 0
	s_or_b32 s3, s3, s4
.LBB568_3:
	s_delay_alu instid0(SALU_CYCLE_1)
	s_and_b32 vcc_lo, exec_lo, s3
	s_cbranch_vccz .LBB568_42
; %bb.4:
	s_load_b32 s33, s[0:1], 0x78
	s_lshr_b32 s34, ttmp7, 16
	s_wait_kmcnt 0x0
	s_cmp_ge_u32 s34, s33
	s_cbranch_scc1 .LBB568_42
; %bb.5:
	s_clause 0x1
	s_load_b128 s[4:7], s[0:1], 0x68
	s_load_b32 s38, s[0:1], 0x0
	v_bfe_u32 v10, v0, 10, 10
	s_lshl_b32 s1, ttmp7, 5
	v_cmp_neq_f64_e64 s3, s[10:11], 0
	s_and_b32 s1, s1, 0x1fffe0
	v_cmp_neq_f64_e64 s35, s[12:13], 0
	v_cmp_neq_f64_e64 s37, s[26:27], 0
	v_add_nc_u32_e32 v11, s1, v10
	v_dual_mov_b32 v1, 0 :: v_dual_and_b32 v34, 7, v0
	s_lshl_b32 s0, ttmp9, 5
	v_lshl_add_u32 v39, v10, 7, 0x1000
	s_delay_alu instid0(VALU_DEP_3)
	v_add_nc_u32_e32 v12, 16, v11
	v_cmp_gt_i64_e64 s41, s[8:9], 0
	s_wait_kmcnt 0x0
	v_mad_co_u64_u32 v[4:5], null, s4, v11, 0
	v_and_b32_e32 v9, 0x3ff, v0
	v_mad_co_u64_u32 v[14:15], null, s4, v12, 0
	v_lshlrev_b32_e32 v3, 4, v34
	s_lshl_b64 s[6:7], s[6:7], 4
	s_delay_alu instid0(VALU_DEP_3) | instskip(NEXT) | instid1(VALU_DEP_1)
	v_lshl_add_u32 v0, v10, 4, v9
	v_and_b32_e32 v7, 31, v0
	v_lshrrev_b32_e32 v35, 5, v0
	v_lshrrev_b32_e32 v0, 3, v0
	s_wait_alu 0xfffe
	s_delay_alu instid0(VALU_DEP_3) | instskip(SKIP_1) | instid1(VALU_DEP_3)
	v_or_b32_e32 v2, s0, v7
	v_lshlrev_b32_e32 v7, 4, v7
	v_add_nc_u32_e32 v16, s1, v0
	v_lshl_or_b32 v8, v0, 7, v3
	v_mov_b32_e32 v0, v5
	s_xor_b32 s1, s2, -1
	v_lshl_or_b32 v36, v35, 9, v7
	s_or_b32 s42, s3, s35
	v_add_nc_u32_e32 v37, 0x1000, v8
	v_mad_co_u64_u32 v[7:8], null, s5, v11, v[0:1]
	v_add_nc_u32_e32 v6, s0, v9
	v_mov_b32_e32 v0, v15
	s_wait_alu 0xfffe
	s_or_b32 s37, s37, s1
	v_ashrrev_i32_e32 v3, 31, v2
	v_cmp_gt_i32_e64 s0, s38, v2
	v_cmp_le_i32_e64 s36, s38, v2
	v_dual_mov_b32 v5, v7 :: v_dual_add_nc_u32 v8, 16, v6
	v_cmp_le_i32_e64 s1, v11, v6
	v_cmp_gt_i32_e64 s2, s38, v6
	v_cmp_gt_i32_e32 vcc_lo, s38, v16
	v_lshlrev_b32_e32 v38, 4, v9
	v_cmp_le_i32_e64 s3, v11, v8
	v_mad_co_u64_u32 v[10:11], null, s5, v12, v[0:1]
	v_cmp_gt_i32_e64 s4, s38, v8
	s_and_b32 s38, s1, s2
	v_ashrrev_i32_e32 v7, 31, v6
	v_ashrrev_i32_e32 v9, 31, v8
	v_lshlrev_b32_e32 v40, 4, v16
	s_and_b32 s39, s3, s4
	v_mov_b32_e32 v15, v10
	v_cmp_le_i32_e64 s1, v12, v6
	v_cmp_le_i32_e64 s5, v12, v8
	v_lshlrev_b64_e32 v[10:11], 4, v[2:3]
	v_lshlrev_b64_e32 v[12:13], 4, v[4:5]
	;; [unrolled: 1-line block ×3, first 2 shown]
	s_and_b32 s1, s1, s2
	s_and_b32 s40, s5, s4
	s_mov_b32 s35, 0
	s_and_b32 s41, s42, s41
	s_lshl_b64 s[2:3], s[24:25], 4
	s_lshl_b64 s[4:5], s[18:19], 4
	s_xor_b32 s24, vcc_lo, -1
                                        ; implicit-def: $vgpr16_vgpr17
	s_branch .LBB568_7
.LBB568_6:                              ;   in Loop: Header=BB568_7 Depth=1
	s_wait_alu 0xfffe
	s_or_b32 exec_lo, exec_lo, s18
	s_add_co_i32 s34, s34, 0x10000
	s_delay_alu instid0(SALU_CYCLE_1)
	s_cmp_lt_u32 s34, s33
	s_cbranch_scc0 .LBB568_42
.LBB568_7:                              ; =>This Loop Header: Depth=1
                                        ;     Child Loop BB568_10 Depth 2
	s_lshl_b64 s[18:19], s[34:35], 3
	v_mov_b32_e32 v30, 0
	s_wait_alu 0xfffe
	s_add_nc_u64 s[42:43], s[30:31], s[18:19]
	v_mov_b32_e32 v31, 0
	global_load_b64 v[4:5], v1, s[42:43]
	s_and_not1_b32 vcc_lo, exec_lo, s41
	s_wait_alu 0xfffe
	s_cbranch_vccnz .LBB568_20
; %bb.8:                                ;   in Loop: Header=BB568_7 Depth=1
	s_add_nc_u64 s[42:43], s[14:15], s[18:19]
	s_add_nc_u64 s[18:19], s[20:21], s[18:19]
	s_clause 0x1
	global_load_b64 v[2:3], v1, s[42:43]
	global_load_b64 v[41:42], v1, s[18:19]
	v_mov_b32_e32 v18, 0
	v_mov_b32_e32 v24, 0
	;; [unrolled: 1-line block ×3, first 2 shown]
	v_dual_mov_b32 v32, 0 :: v_dual_mov_b32 v19, 0
	v_dual_mov_b32 v20, 0 :: v_dual_mov_b32 v25, 0
	;; [unrolled: 1-line block ×5, first 2 shown]
	v_mov_b32_e32 v23, 0
	v_mov_b32_e32 v27, 0
	;; [unrolled: 1-line block ×3, first 2 shown]
	s_mov_b64 s[18:19], 0
	s_wait_loadcnt 0x1
	v_add_co_u32 v0, vcc_lo, v2, s4
	s_wait_alu 0xfffd
	v_add_co_ci_u32_e64 v2, null, s5, v3, vcc_lo
	s_wait_loadcnt 0x0
	v_add_co_u32 v3, vcc_lo, v41, s2
	s_wait_alu 0xfffd
	v_add_co_ci_u32_e64 v44, null, s3, v42, vcc_lo
	v_add_co_u32 v41, vcc_lo, v0, v10
	s_wait_alu 0xfffd
	v_add_co_ci_u32_e64 v42, null, v2, v11, vcc_lo
	;; [unrolled: 3-line block ×3, first 2 shown]
	s_branch .LBB568_10
.LBB568_9:                              ;   in Loop: Header=BB568_10 Depth=2
	s_or_b32 exec_lo, exec_lo, s25
	s_wait_dscnt 0x0
	s_barrier_signal -1
	s_barrier_wait -1
	global_inv scope:SCOPE_SE
	ds_load_b128 v[45:48], v39
	ds_load_b128 v[49:52], v38
	ds_load_b128 v[53:56], v38 offset:256
	ds_load_b128 v[57:60], v39 offset:2048
	;; [unrolled: 1-line block ×10, first 2 shown]
	s_add_nc_u64 s[18:19], s[18:19], 8
	s_wait_alu 0xfffe
	v_cmp_gt_i64_e64 s25, s[8:9], s[18:19]
	s_and_b32 vcc_lo, exec_lo, s25
	s_wait_dscnt 0xa
	v_mul_f64_e32 v[2:3], v[47:48], v[51:52]
	v_mul_f64_e32 v[93:94], v[45:46], v[51:52]
	s_wait_dscnt 0x9
	v_mul_f64_e32 v[95:96], v[47:48], v[55:56]
	v_mul_f64_e32 v[97:98], v[45:46], v[55:56]
	;; [unrolled: 3-line block ×3, first 2 shown]
	v_mul_f64_e32 v[101:102], v[59:60], v[55:56]
	v_mul_f64_e32 v[55:56], v[57:58], v[55:56]
	s_wait_dscnt 0x5
	v_mul_f64_e32 v[103:104], v[63:64], v[71:72]
	v_mul_f64_e32 v[105:106], v[61:62], v[71:72]
	s_wait_dscnt 0x4
	v_mul_f64_e32 v[107:108], v[63:64], v[75:76]
	v_mul_f64_e32 v[109:110], v[61:62], v[75:76]
	;; [unrolled: 1-line block ×6, first 2 shown]
	s_wait_dscnt 0x2
	v_mul_f64_e32 v[119:120], v[79:80], v[83:84]
	v_mul_f64_e32 v[121:122], v[77:78], v[83:84]
	s_wait_dscnt 0x1
	v_mul_f64_e32 v[123:124], v[79:80], v[87:88]
	v_mul_f64_e32 v[125:126], v[77:78], v[87:88]
	s_wait_dscnt 0x0
	v_mul_f64_e32 v[127:128], v[91:92], v[83:84]
	v_mul_f64_e32 v[83:84], v[89:90], v[83:84]
	v_mul_f64_e32 v[129:130], v[91:92], v[87:88]
	v_mul_f64_e32 v[87:88], v[89:90], v[87:88]
	v_fma_f64 v[2:3], v[45:46], v[49:50], -v[2:3]
	v_fma_f64 v[93:94], v[47:48], v[49:50], v[93:94]
	v_fma_f64 v[95:96], v[45:46], v[53:54], -v[95:96]
	v_fma_f64 v[97:98], v[47:48], v[53:54], v[97:98]
	;; [unrolled: 2-line block ×8, first 2 shown]
	ds_load_b128 v[45:48], v39 offset:48
	ds_load_b128 v[49:52], v38 offset:1536
	;; [unrolled: 1-line block ×4, first 2 shown]
	v_fma_f64 v[119:120], v[77:78], v[81:82], -v[119:120]
	v_fma_f64 v[121:122], v[79:80], v[81:82], v[121:122]
	v_fma_f64 v[77:78], v[77:78], v[85:86], -v[123:124]
	v_fma_f64 v[79:80], v[79:80], v[85:86], v[125:126]
	;; [unrolled: 2-line block ×4, first 2 shown]
	s_wait_dscnt 0x2
	v_mul_f64_e32 v[109:110], v[45:46], v[51:52]
	s_wait_dscnt 0x1
	v_mul_f64_e32 v[111:112], v[47:48], v[55:56]
	v_mul_f64_e32 v[113:114], v[45:46], v[55:56]
	v_add_f64_e32 v[2:3], v[30:31], v[2:3]
	v_add_f64_e32 v[71:72], v[93:94], v[32:33]
	;; [unrolled: 1-line block ×8, first 2 shown]
	v_mul_f64_e32 v[101:102], v[47:48], v[51:52]
	s_wait_dscnt 0x0
	v_mul_f64_e32 v[115:116], v[59:60], v[51:52]
	v_mul_f64_e32 v[51:52], v[57:58], v[51:52]
	;; [unrolled: 1-line block ×4, first 2 shown]
	ds_load_b128 v[18:21], v39 offset:64
	ds_load_b128 v[22:25], v38 offset:2048
	;; [unrolled: 1-line block ×4, first 2 shown]
	s_wait_dscnt 0x1
	v_mul_f64_e32 v[125:126], v[18:19], v[28:29]
	s_wait_dscnt 0x0
	v_mul_f64_e32 v[127:128], v[32:33], v[24:25]
	v_mul_f64_e32 v[129:130], v[32:33], v[28:29]
	v_fma_f64 v[109:110], v[47:48], v[49:50], v[109:110]
	v_fma_f64 v[111:112], v[45:46], v[53:54], -v[111:112]
	v_fma_f64 v[113:114], v[47:48], v[53:54], v[113:114]
	v_add_f64_e32 v[2:3], v[2:3], v[103:104]
	v_add_f64_e32 v[87:88], v[105:106], v[71:72]
	;; [unrolled: 1-line block ×8, first 2 shown]
	v_mul_f64_e32 v[103:104], v[20:21], v[24:25]
	v_mul_f64_e32 v[105:106], v[18:19], v[24:25]
	;; [unrolled: 1-line block ×5, first 2 shown]
	v_fma_f64 v[101:102], v[45:46], v[49:50], -v[101:102]
	v_fma_f64 v[115:116], v[57:58], v[49:50], -v[115:116]
	v_fma_f64 v[131:132], v[59:60], v[49:50], v[51:52]
	v_fma_f64 v[117:118], v[57:58], v[53:54], -v[117:118]
	v_fma_f64 v[133:134], v[59:60], v[53:54], v[55:56]
	ds_load_b128 v[61:64], v39 offset:80
	ds_load_b128 v[65:68], v38 offset:2560
	;; [unrolled: 1-line block ×8, first 2 shown]
	v_add_f64_e32 v[2:3], v[2:3], v[119:120]
	v_add_f64_e32 v[87:88], v[121:122], v[87:88]
	;; [unrolled: 1-line block ×8, first 2 shown]
	s_wait_dscnt 0x6
	v_mul_f64_e32 v[91:92], v[63:64], v[67:68]
	v_mul_f64_e32 v[93:94], v[61:62], v[67:68]
	s_wait_dscnt 0x5
	v_mul_f64_e32 v[95:96], v[63:64], v[71:72]
	v_mul_f64_e32 v[97:98], v[61:62], v[71:72]
	;; [unrolled: 3-line block ×3, first 2 shown]
	v_mul_f64_e32 v[119:120], v[75:76], v[71:72]
	v_mul_f64_e32 v[71:72], v[73:74], v[71:72]
	v_fma_f64 v[103:104], v[18:19], v[22:23], -v[103:104]
	v_fma_f64 v[105:106], v[20:21], v[22:23], v[105:106]
	v_fma_f64 v[107:108], v[18:19], v[26:27], -v[107:108]
	v_fma_f64 v[121:122], v[20:21], v[26:27], v[125:126]
	;; [unrolled: 2-line block ×4, first 2 shown]
	ds_load_b128 v[18:21], v39 offset:112
	ds_load_b128 v[22:25], v38 offset:3584
	;; [unrolled: 1-line block ×4, first 2 shown]
	s_wait_loadcnt_dscnt 0x0
	s_barrier_signal -1
	s_barrier_wait -1
	global_inv scope:SCOPE_SE
	v_add_f64_e32 v[2:3], v[2:3], v[101:102]
	v_add_f64_e32 v[87:88], v[109:110], v[87:88]
	;; [unrolled: 1-line block ×8, first 2 shown]
	v_mul_f64_e32 v[101:102], v[47:48], v[51:52]
	v_mul_f64_e32 v[109:110], v[45:46], v[51:52]
	;; [unrolled: 1-line block ×8, first 2 shown]
	v_fma_f64 v[91:92], v[61:62], v[65:66], -v[91:92]
	v_fma_f64 v[93:94], v[63:64], v[65:66], v[93:94]
	v_fma_f64 v[61:62], v[61:62], v[69:70], -v[95:96]
	v_fma_f64 v[63:64], v[63:64], v[69:70], v[97:98]
	;; [unrolled: 2-line block ×4, first 2 shown]
	v_mul_f64_e32 v[97:98], v[18:19], v[28:29]
	v_mul_f64_e32 v[99:100], v[32:33], v[24:25]
	v_add_f64_e32 v[2:3], v[2:3], v[103:104]
	v_add_f64_e32 v[71:72], v[105:106], v[87:88]
	;; [unrolled: 1-line block ×8, first 2 shown]
	v_mul_f64_e32 v[85:86], v[20:21], v[24:25]
	v_mul_f64_e32 v[87:88], v[18:19], v[24:25]
	;; [unrolled: 1-line block ×6, first 2 shown]
	v_fma_f64 v[101:102], v[45:46], v[49:50], -v[101:102]
	v_fma_f64 v[105:106], v[47:48], v[49:50], v[109:110]
	v_fma_f64 v[45:46], v[45:46], v[53:54], -v[111:112]
	v_fma_f64 v[47:48], v[47:48], v[53:54], v[113:114]
	;; [unrolled: 2-line block ×4, first 2 shown]
	v_add_f64_e32 v[2:3], v[2:3], v[91:92]
	v_add_f64_e32 v[55:56], v[93:94], v[71:72]
	;; [unrolled: 1-line block ×8, first 2 shown]
	v_fma_f64 v[69:70], v[18:19], v[22:23], -v[85:86]
	v_fma_f64 v[71:72], v[20:21], v[22:23], v[87:88]
	v_fma_f64 v[18:19], v[18:19], v[26:27], -v[89:90]
	v_fma_f64 v[20:21], v[20:21], v[26:27], v[97:98]
	;; [unrolled: 2-line block ×4, first 2 shown]
	v_add_f64_e32 v[2:3], v[2:3], v[101:102]
	v_add_f64_e32 v[22:23], v[105:106], v[55:56]
	;; [unrolled: 1-line block ×16, first 2 shown]
	s_wait_alu 0xfffe
	s_cbranch_vccz .LBB568_21
.LBB568_10:                             ;   Parent Loop BB568_7 Depth=1
                                        ; =>  This Inner Loop Header: Depth=2
	s_mov_b32 s25, 0
	s_mov_b32 s43, s36
	s_and_saveexec_b32 s42, s0
	s_cbranch_execnz .LBB568_18
; %bb.11:                               ;   in Loop: Header=BB568_10 Depth=2
	s_or_b32 exec_lo, exec_lo, s42
	s_and_saveexec_b32 s42, s43
	s_delay_alu instid0(SALU_CYCLE_1)
	s_xor_b32 s42, exec_lo, s42
	s_cbranch_execnz .LBB568_19
.LBB568_12:                             ;   in Loop: Header=BB568_10 Depth=2
	s_or_b32 exec_lo, exec_lo, s42
	s_and_saveexec_b32 s42, s25
	s_cbranch_execz .LBB568_14
.LBB568_13:                             ;   in Loop: Header=BB568_10 Depth=2
	v_mul_lo_u32 v0, s17, v16
	v_mul_lo_u32 v45, s16, v17
	v_mad_co_u64_u32 v[2:3], null, s16, v16, 0
	s_delay_alu instid0(VALU_DEP_1) | instskip(NEXT) | instid1(VALU_DEP_1)
	v_add3_u32 v3, v3, v45, v0
	v_lshlrev_b64_e32 v[2:3], 4, v[2:3]
	s_delay_alu instid0(VALU_DEP_1) | instskip(SKIP_1) | instid1(VALU_DEP_2)
	v_add_co_u32 v2, vcc_lo, v41, v2
	s_wait_alu 0xfffd
	v_add_co_ci_u32_e64 v3, null, v42, v3, vcc_lo
	flat_load_b128 v[45:48], v[2:3]
	s_wait_loadcnt_dscnt 0x0
	ds_store_2addr_b64 v36, v[45:46], v[47:48] offset1:1
.LBB568_14:                             ;   in Loop: Header=BB568_10 Depth=2
	s_or_b32 exec_lo, exec_lo, s42
	s_wait_alu 0xfffe
	v_add_nc_u32_e32 v0, s18, v34
	s_delay_alu instid0(VALU_DEP_1) | instskip(SKIP_1) | instid1(SALU_CYCLE_1)
	v_cmp_le_u64_e32 vcc_lo, s[8:9], v[0:1]
	s_or_b32 s25, vcc_lo, s24
	s_and_saveexec_b32 s42, s25
	s_delay_alu instid0(SALU_CYCLE_1)
	s_xor_b32 s25, exec_lo, s42
; %bb.15:                               ;   in Loop: Header=BB568_10 Depth=2
	v_dual_mov_b32 v0, v1 :: v_dual_mov_b32 v3, v1
	v_mov_b32_e32 v2, v1
	ds_store_b128 v37, v[0:3]
; %bb.16:                               ;   in Loop: Header=BB568_10 Depth=2
	s_and_not1_saveexec_b32 s25, s25
	s_cbranch_execz .LBB568_9
; %bb.17:                               ;   in Loop: Header=BB568_10 Depth=2
	v_mad_co_u64_u32 v[2:3], null, s22, v0, 0
	s_delay_alu instid0(VALU_DEP_1) | instskip(NEXT) | instid1(VALU_DEP_1)
	v_mad_co_u64_u32 v[45:46], null, s23, v0, v[3:4]
	v_mov_b32_e32 v3, v45
	s_delay_alu instid0(VALU_DEP_1) | instskip(NEXT) | instid1(VALU_DEP_1)
	v_lshlrev_b64_e32 v[2:3], 4, v[2:3]
	v_add_co_u32 v2, vcc_lo, v43, v2
	s_wait_alu 0xfffd
	s_delay_alu instid0(VALU_DEP_2)
	v_add_co_ci_u32_e64 v3, null, v44, v3, vcc_lo
	flat_load_b128 v[45:48], v[2:3]
	s_wait_loadcnt_dscnt 0x0
	ds_store_2addr_b64 v37, v[45:46], v[47:48] offset1:1
	s_branch .LBB568_9
.LBB568_18:                             ;   in Loop: Header=BB568_10 Depth=2
	s_wait_alu 0xfffe
	v_add_nc_u32_e32 v0, s18, v35
	v_mov_b32_e32 v17, v1
	s_and_not1_b32 s43, s36, exec_lo
	s_mov_b32 s25, exec_lo
	s_delay_alu instid0(VALU_DEP_2) | instskip(SKIP_2) | instid1(SALU_CYCLE_1)
	v_cmp_le_u64_e32 vcc_lo, s[8:9], v[0:1]
	v_mov_b32_e32 v16, v0
	s_and_b32 s44, vcc_lo, exec_lo
	s_or_b32 s43, s43, s44
	s_or_b32 exec_lo, exec_lo, s42
	s_and_saveexec_b32 s42, s43
	s_delay_alu instid0(SALU_CYCLE_1)
	s_xor_b32 s42, exec_lo, s42
	s_cbranch_execz .LBB568_12
.LBB568_19:                             ;   in Loop: Header=BB568_10 Depth=2
	v_dual_mov_b32 v0, v1 :: v_dual_mov_b32 v3, v1
	v_mov_b32_e32 v2, v1
	s_and_not1_b32 s25, s25, exec_lo
	ds_store_b128 v36, v[0:3]
	s_or_b32 exec_lo, exec_lo, s42
	s_and_saveexec_b32 s42, s25
	s_cbranch_execnz .LBB568_13
	s_branch .LBB568_14
.LBB568_20:                             ;   in Loop: Header=BB568_7 Depth=1
	v_mov_b32_e32 v32, 0
	v_mov_b32_e32 v28, 0
	v_dual_mov_b32 v24, 0 :: v_dual_mov_b32 v33, 0
	v_dual_mov_b32 v26, 0 :: v_dual_mov_b32 v29, 0
	;; [unrolled: 1-line block ×3, first 2 shown]
	v_mov_b32_e32 v20, 0
	v_dual_mov_b32 v18, 0 :: v_dual_mov_b32 v27, 0
	v_mov_b32_e32 v23, 0
	v_mov_b32_e32 v21, 0
	;; [unrolled: 1-line block ×3, first 2 shown]
.LBB568_21:                             ;   in Loop: Header=BB568_7 Depth=1
	s_wait_loadcnt 0x0
	v_add_co_u32 v0, vcc_lo, v4, s6
	s_wait_alu 0xfffd
	v_add_co_ci_u32_e64 v41, null, s7, v5, vcc_lo
	s_delay_alu instid0(VALU_DEP_2) | instskip(SKIP_1) | instid1(VALU_DEP_2)
	v_add_co_u32 v42, vcc_lo, v0, v12
	s_wait_alu 0xfffd
	v_add_co_ci_u32_e64 v43, null, v41, v13, vcc_lo
	s_wait_alu 0xfffe
	s_and_saveexec_b32 s18, s38
	s_cbranch_execz .LBB568_26
; %bb.22:                               ;   in Loop: Header=BB568_7 Depth=1
	v_mul_f64_e32 v[2:3], s[12:13], v[32:33]
	v_mul_f64_e32 v[4:5], s[10:11], v[32:33]
	s_and_b32 vcc_lo, exec_lo, s37
	s_mov_b32 s19, -1
	s_delay_alu instid0(VALU_DEP_2) | instskip(NEXT) | instid1(VALU_DEP_2)
	v_fma_f64 v[2:3], s[10:11], v[30:31], -v[2:3]
	v_fma_f64 v[4:5], s[12:13], v[30:31], v[4:5]
	s_wait_alu 0xfffe
	s_cbranch_vccz .LBB568_24
; %bb.23:                               ;   in Loop: Header=BB568_7 Depth=1
	v_lshlrev_b64_e32 v[30:31], 4, v[6:7]
	s_mov_b32 s19, 0
	s_delay_alu instid0(VALU_DEP_1) | instskip(SKIP_1) | instid1(VALU_DEP_2)
	v_add_co_u32 v44, vcc_lo, v42, v30
	s_wait_alu 0xfffd
	v_add_co_ci_u32_e64 v45, null, v43, v31, vcc_lo
	flat_load_b128 v[30:33], v[44:45]
	s_wait_loadcnt_dscnt 0x0
	v_mul_f64_e32 v[46:47], s[28:29], v[32:33]
	v_mul_f64_e32 v[32:33], s[26:27], v[32:33]
	s_delay_alu instid0(VALU_DEP_2) | instskip(NEXT) | instid1(VALU_DEP_2)
	v_fma_f64 v[46:47], s[26:27], v[30:31], -v[46:47]
	v_fma_f64 v[32:33], s[28:29], v[30:31], v[32:33]
	s_delay_alu instid0(VALU_DEP_2) | instskip(NEXT) | instid1(VALU_DEP_2)
	v_add_f64_e32 v[30:31], v[2:3], v[46:47]
	v_add_f64_e32 v[32:33], v[4:5], v[32:33]
	flat_store_b128 v[44:45], v[30:33]
.LBB568_24:                             ;   in Loop: Header=BB568_7 Depth=1
	s_wait_alu 0xfffe
	s_and_not1_b32 vcc_lo, exec_lo, s19
	s_wait_alu 0xfffe
	s_cbranch_vccnz .LBB568_26
; %bb.25:                               ;   in Loop: Header=BB568_7 Depth=1
	v_lshlrev_b64_e32 v[30:31], 4, v[6:7]
	s_delay_alu instid0(VALU_DEP_1) | instskip(SKIP_1) | instid1(VALU_DEP_2)
	v_add_co_u32 v30, vcc_lo, v42, v30
	s_wait_alu 0xfffd
	v_add_co_ci_u32_e64 v31, null, v43, v31, vcc_lo
	flat_store_b128 v[30:31], v[2:5]
.LBB568_26:                             ;   in Loop: Header=BB568_7 Depth=1
	s_wait_alu 0xfffe
	s_or_b32 exec_lo, exec_lo, s18
	s_and_saveexec_b32 s18, s39
	s_cbranch_execz .LBB568_31
; %bb.27:                               ;   in Loop: Header=BB568_7 Depth=1
	v_mul_f64_e32 v[2:3], s[12:13], v[28:29]
	v_mul_f64_e32 v[4:5], s[10:11], v[28:29]
	s_and_not1_b32 vcc_lo, exec_lo, s37
	s_mov_b32 s19, -1
	s_delay_alu instid0(VALU_DEP_2) | instskip(NEXT) | instid1(VALU_DEP_2)
	v_fma_f64 v[2:3], s[10:11], v[26:27], -v[2:3]
	v_fma_f64 v[4:5], s[12:13], v[26:27], v[4:5]
	s_wait_alu 0xfffe
	s_cbranch_vccnz .LBB568_29
; %bb.28:                               ;   in Loop: Header=BB568_7 Depth=1
	v_lshlrev_b64_e32 v[26:27], 4, v[8:9]
	s_mov_b32 s19, 0
	s_delay_alu instid0(VALU_DEP_1) | instskip(SKIP_1) | instid1(VALU_DEP_2)
	v_add_co_u32 v30, vcc_lo, v42, v26
	s_wait_alu 0xfffd
	v_add_co_ci_u32_e64 v31, null, v43, v27, vcc_lo
	flat_load_b128 v[26:29], v[30:31]
	s_wait_loadcnt_dscnt 0x0
	v_mul_f64_e32 v[32:33], s[28:29], v[28:29]
	v_mul_f64_e32 v[28:29], s[26:27], v[28:29]
	s_delay_alu instid0(VALU_DEP_2) | instskip(NEXT) | instid1(VALU_DEP_2)
	v_fma_f64 v[32:33], s[26:27], v[26:27], -v[32:33]
	v_fma_f64 v[28:29], s[28:29], v[26:27], v[28:29]
	s_delay_alu instid0(VALU_DEP_2) | instskip(NEXT) | instid1(VALU_DEP_2)
	v_add_f64_e32 v[26:27], v[2:3], v[32:33]
	v_add_f64_e32 v[28:29], v[4:5], v[28:29]
	flat_store_b128 v[30:31], v[26:29]
.LBB568_29:                             ;   in Loop: Header=BB568_7 Depth=1
	s_wait_alu 0xfffe
	s_and_not1_b32 vcc_lo, exec_lo, s19
	s_wait_alu 0xfffe
	s_cbranch_vccnz .LBB568_31
; %bb.30:                               ;   in Loop: Header=BB568_7 Depth=1
	v_lshlrev_b64_e32 v[26:27], 4, v[8:9]
	s_delay_alu instid0(VALU_DEP_1) | instskip(SKIP_1) | instid1(VALU_DEP_2)
	v_add_co_u32 v26, vcc_lo, v42, v26
	s_wait_alu 0xfffd
	v_add_co_ci_u32_e64 v27, null, v43, v27, vcc_lo
	flat_store_b128 v[26:27], v[2:5]
.LBB568_31:                             ;   in Loop: Header=BB568_7 Depth=1
	s_wait_alu 0xfffe
	s_or_b32 exec_lo, exec_lo, s18
	v_add_co_u32 v0, vcc_lo, v0, v14
	s_wait_alu 0xfffd
	v_add_co_ci_u32_e64 v26, null, v41, v15, vcc_lo
	s_and_saveexec_b32 s18, s1
	s_cbranch_execz .LBB568_36
; %bb.32:                               ;   in Loop: Header=BB568_7 Depth=1
	v_mul_f64_e32 v[2:3], s[12:13], v[24:25]
	v_mul_f64_e32 v[4:5], s[10:11], v[24:25]
	s_and_not1_b32 vcc_lo, exec_lo, s37
	s_mov_b32 s19, -1
	s_delay_alu instid0(VALU_DEP_2) | instskip(NEXT) | instid1(VALU_DEP_2)
	v_fma_f64 v[2:3], s[10:11], v[22:23], -v[2:3]
	v_fma_f64 v[4:5], s[12:13], v[22:23], v[4:5]
	v_lshlrev_b64_e32 v[22:23], 4, v[6:7]
	s_wait_alu 0xfffe
	s_cbranch_vccnz .LBB568_34
; %bb.33:                               ;   in Loop: Header=BB568_7 Depth=1
	s_delay_alu instid0(VALU_DEP_1) | instskip(SKIP_1) | instid1(VALU_DEP_2)
	v_add_co_u32 v24, vcc_lo, v0, v22
	s_wait_alu 0xfffd
	v_add_co_ci_u32_e64 v25, null, v26, v23, vcc_lo
	s_mov_b32 s19, 0
	flat_load_b128 v[27:30], v[24:25]
	s_wait_loadcnt_dscnt 0x0
	v_mul_f64_e32 v[31:32], s[28:29], v[29:30]
	v_mul_f64_e32 v[29:30], s[26:27], v[29:30]
	s_delay_alu instid0(VALU_DEP_2) | instskip(NEXT) | instid1(VALU_DEP_2)
	v_fma_f64 v[31:32], s[26:27], v[27:28], -v[31:32]
	v_fma_f64 v[29:30], s[28:29], v[27:28], v[29:30]
	s_delay_alu instid0(VALU_DEP_2) | instskip(NEXT) | instid1(VALU_DEP_2)
	v_add_f64_e32 v[27:28], v[2:3], v[31:32]
	v_add_f64_e32 v[29:30], v[4:5], v[29:30]
	flat_store_b128 v[24:25], v[27:30]
.LBB568_34:                             ;   in Loop: Header=BB568_7 Depth=1
	s_wait_alu 0xfffe
	s_and_not1_b32 vcc_lo, exec_lo, s19
	s_wait_alu 0xfffe
	s_cbranch_vccnz .LBB568_36
; %bb.35:                               ;   in Loop: Header=BB568_7 Depth=1
	v_add_co_u32 v22, vcc_lo, v0, v22
	s_wait_alu 0xfffd
	v_add_co_ci_u32_e64 v23, null, v26, v23, vcc_lo
	flat_store_b128 v[22:23], v[2:5]
.LBB568_36:                             ;   in Loop: Header=BB568_7 Depth=1
	s_wait_alu 0xfffe
	s_or_b32 exec_lo, exec_lo, s18
	s_and_saveexec_b32 s18, s40
	s_cbranch_execz .LBB568_6
; %bb.37:                               ;   in Loop: Header=BB568_7 Depth=1
	v_mul_f64_e32 v[2:3], s[12:13], v[18:19]
	v_mul_f64_e32 v[4:5], s[10:11], v[18:19]
	v_lshlrev_b64_e32 v[18:19], 4, v[8:9]
	s_and_not1_b32 vcc_lo, exec_lo, s37
	s_mov_b32 s19, -1
	s_delay_alu instid0(VALU_DEP_3) | instskip(NEXT) | instid1(VALU_DEP_3)
	v_fma_f64 v[2:3], s[10:11], v[20:21], -v[2:3]
	v_fma_f64 v[4:5], s[12:13], v[20:21], v[4:5]
	s_wait_alu 0xfffe
	s_cbranch_vccnz .LBB568_39
; %bb.38:                               ;   in Loop: Header=BB568_7 Depth=1
	v_add_co_u32 v24, vcc_lo, v0, v18
	s_wait_alu 0xfffd
	v_add_co_ci_u32_e64 v25, null, v26, v19, vcc_lo
	s_mov_b32 s19, 0
	flat_load_b128 v[20:23], v[24:25]
	s_wait_loadcnt_dscnt 0x0
	v_mul_f64_e32 v[27:28], s[28:29], v[22:23]
	v_mul_f64_e32 v[22:23], s[26:27], v[22:23]
	s_delay_alu instid0(VALU_DEP_2) | instskip(NEXT) | instid1(VALU_DEP_2)
	v_fma_f64 v[27:28], s[26:27], v[20:21], -v[27:28]
	v_fma_f64 v[22:23], s[28:29], v[20:21], v[22:23]
	s_delay_alu instid0(VALU_DEP_2) | instskip(NEXT) | instid1(VALU_DEP_2)
	v_add_f64_e32 v[20:21], v[2:3], v[27:28]
	v_add_f64_e32 v[22:23], v[4:5], v[22:23]
	flat_store_b128 v[24:25], v[20:23]
.LBB568_39:                             ;   in Loop: Header=BB568_7 Depth=1
	s_wait_alu 0xfffe
	s_and_not1_b32 vcc_lo, exec_lo, s19
	s_wait_alu 0xfffe
	s_cbranch_vccnz .LBB568_6
; %bb.40:                               ;   in Loop: Header=BB568_7 Depth=1
	v_add_co_u32 v18, vcc_lo, v0, v18
	s_wait_alu 0xfffd
	v_add_co_ci_u32_e64 v19, null, v26, v19, vcc_lo
	flat_store_b128 v[18:19], v[2:5]
	s_branch .LBB568_6
.LBB568_41:
.LBB568_42:
	s_nop 0
	s_sendmsg sendmsg(MSG_DEALLOC_VGPRS)
	s_endpgm
	.section	.rodata,"a",@progbits
	.p2align	6, 0x0
	.amdhsa_kernel _ZL29rocblas_internal_gemmt_kernelIlLi16ELi32ELi8ELc78ELc84ELc76ELb0ELb0E19rocblas_complex_numIdES1_PKPKS1_PKPS1_EviT_T9_T10_S9_lSB_S9_lSA_T11_S9_li
		.amdhsa_group_segment_fixed_size 8192
		.amdhsa_private_segment_fixed_size 0
		.amdhsa_kernarg_size 124
		.amdhsa_user_sgpr_count 2
		.amdhsa_user_sgpr_dispatch_ptr 0
		.amdhsa_user_sgpr_queue_ptr 0
		.amdhsa_user_sgpr_kernarg_segment_ptr 1
		.amdhsa_user_sgpr_dispatch_id 0
		.amdhsa_user_sgpr_private_segment_size 0
		.amdhsa_wavefront_size32 1
		.amdhsa_uses_dynamic_stack 0
		.amdhsa_enable_private_segment 0
		.amdhsa_system_sgpr_workgroup_id_x 1
		.amdhsa_system_sgpr_workgroup_id_y 1
		.amdhsa_system_sgpr_workgroup_id_z 1
		.amdhsa_system_sgpr_workgroup_info 0
		.amdhsa_system_vgpr_workitem_id 1
		.amdhsa_next_free_vgpr 135
		.amdhsa_next_free_sgpr 45
		.amdhsa_reserve_vcc 1
		.amdhsa_float_round_mode_32 0
		.amdhsa_float_round_mode_16_64 0
		.amdhsa_float_denorm_mode_32 3
		.amdhsa_float_denorm_mode_16_64 3
		.amdhsa_fp16_overflow 0
		.amdhsa_workgroup_processor_mode 1
		.amdhsa_memory_ordered 1
		.amdhsa_forward_progress 1
		.amdhsa_inst_pref_size 29
		.amdhsa_round_robin_scheduling 0
		.amdhsa_exception_fp_ieee_invalid_op 0
		.amdhsa_exception_fp_denorm_src 0
		.amdhsa_exception_fp_ieee_div_zero 0
		.amdhsa_exception_fp_ieee_overflow 0
		.amdhsa_exception_fp_ieee_underflow 0
		.amdhsa_exception_fp_ieee_inexact 0
		.amdhsa_exception_int_div_zero 0
	.end_amdhsa_kernel
	.section	.text._ZL29rocblas_internal_gemmt_kernelIlLi16ELi32ELi8ELc78ELc84ELc76ELb0ELb0E19rocblas_complex_numIdES1_PKPKS1_PKPS1_EviT_T9_T10_S9_lSB_S9_lSA_T11_S9_li,"axG",@progbits,_ZL29rocblas_internal_gemmt_kernelIlLi16ELi32ELi8ELc78ELc84ELc76ELb0ELb0E19rocblas_complex_numIdES1_PKPKS1_PKPS1_EviT_T9_T10_S9_lSB_S9_lSA_T11_S9_li,comdat
.Lfunc_end568:
	.size	_ZL29rocblas_internal_gemmt_kernelIlLi16ELi32ELi8ELc78ELc84ELc76ELb0ELb0E19rocblas_complex_numIdES1_PKPKS1_PKPS1_EviT_T9_T10_S9_lSB_S9_lSA_T11_S9_li, .Lfunc_end568-_ZL29rocblas_internal_gemmt_kernelIlLi16ELi32ELi8ELc78ELc84ELc76ELb0ELb0E19rocblas_complex_numIdES1_PKPKS1_PKPS1_EviT_T9_T10_S9_lSB_S9_lSA_T11_S9_li
                                        ; -- End function
	.set _ZL29rocblas_internal_gemmt_kernelIlLi16ELi32ELi8ELc78ELc84ELc76ELb0ELb0E19rocblas_complex_numIdES1_PKPKS1_PKPS1_EviT_T9_T10_S9_lSB_S9_lSA_T11_S9_li.num_vgpr, 135
	.set _ZL29rocblas_internal_gemmt_kernelIlLi16ELi32ELi8ELc78ELc84ELc76ELb0ELb0E19rocblas_complex_numIdES1_PKPKS1_PKPS1_EviT_T9_T10_S9_lSB_S9_lSA_T11_S9_li.num_agpr, 0
	.set _ZL29rocblas_internal_gemmt_kernelIlLi16ELi32ELi8ELc78ELc84ELc76ELb0ELb0E19rocblas_complex_numIdES1_PKPKS1_PKPS1_EviT_T9_T10_S9_lSB_S9_lSA_T11_S9_li.numbered_sgpr, 45
	.set _ZL29rocblas_internal_gemmt_kernelIlLi16ELi32ELi8ELc78ELc84ELc76ELb0ELb0E19rocblas_complex_numIdES1_PKPKS1_PKPS1_EviT_T9_T10_S9_lSB_S9_lSA_T11_S9_li.num_named_barrier, 0
	.set _ZL29rocblas_internal_gemmt_kernelIlLi16ELi32ELi8ELc78ELc84ELc76ELb0ELb0E19rocblas_complex_numIdES1_PKPKS1_PKPS1_EviT_T9_T10_S9_lSB_S9_lSA_T11_S9_li.private_seg_size, 0
	.set _ZL29rocblas_internal_gemmt_kernelIlLi16ELi32ELi8ELc78ELc84ELc76ELb0ELb0E19rocblas_complex_numIdES1_PKPKS1_PKPS1_EviT_T9_T10_S9_lSB_S9_lSA_T11_S9_li.uses_vcc, 1
	.set _ZL29rocblas_internal_gemmt_kernelIlLi16ELi32ELi8ELc78ELc84ELc76ELb0ELb0E19rocblas_complex_numIdES1_PKPKS1_PKPS1_EviT_T9_T10_S9_lSB_S9_lSA_T11_S9_li.uses_flat_scratch, 0
	.set _ZL29rocblas_internal_gemmt_kernelIlLi16ELi32ELi8ELc78ELc84ELc76ELb0ELb0E19rocblas_complex_numIdES1_PKPKS1_PKPS1_EviT_T9_T10_S9_lSB_S9_lSA_T11_S9_li.has_dyn_sized_stack, 0
	.set _ZL29rocblas_internal_gemmt_kernelIlLi16ELi32ELi8ELc78ELc84ELc76ELb0ELb0E19rocblas_complex_numIdES1_PKPKS1_PKPS1_EviT_T9_T10_S9_lSB_S9_lSA_T11_S9_li.has_recursion, 0
	.set _ZL29rocblas_internal_gemmt_kernelIlLi16ELi32ELi8ELc78ELc84ELc76ELb0ELb0E19rocblas_complex_numIdES1_PKPKS1_PKPS1_EviT_T9_T10_S9_lSB_S9_lSA_T11_S9_li.has_indirect_call, 0
	.section	.AMDGPU.csdata,"",@progbits
; Kernel info:
; codeLenInByte = 3588
; TotalNumSgprs: 47
; NumVgprs: 135
; ScratchSize: 0
; MemoryBound: 0
; FloatMode: 240
; IeeeMode: 1
; LDSByteSize: 8192 bytes/workgroup (compile time only)
; SGPRBlocks: 0
; VGPRBlocks: 16
; NumSGPRsForWavesPerEU: 47
; NumVGPRsForWavesPerEU: 135
; Occupancy: 10
; WaveLimiterHint : 1
; COMPUTE_PGM_RSRC2:SCRATCH_EN: 0
; COMPUTE_PGM_RSRC2:USER_SGPR: 2
; COMPUTE_PGM_RSRC2:TRAP_HANDLER: 0
; COMPUTE_PGM_RSRC2:TGID_X_EN: 1
; COMPUTE_PGM_RSRC2:TGID_Y_EN: 1
; COMPUTE_PGM_RSRC2:TGID_Z_EN: 1
; COMPUTE_PGM_RSRC2:TIDIG_COMP_CNT: 1
	.section	.text._ZL29rocblas_internal_gemmt_kernelIlLi16ELi32ELi8ELc78ELc67ELc76ELb0ELb1E19rocblas_complex_numIdES1_PKPKS1_PKPS1_EviT_T9_T10_S9_lSB_S9_lSA_T11_S9_li,"axG",@progbits,_ZL29rocblas_internal_gemmt_kernelIlLi16ELi32ELi8ELc78ELc67ELc76ELb0ELb1E19rocblas_complex_numIdES1_PKPKS1_PKPS1_EviT_T9_T10_S9_lSB_S9_lSA_T11_S9_li,comdat
	.globl	_ZL29rocblas_internal_gemmt_kernelIlLi16ELi32ELi8ELc78ELc67ELc76ELb0ELb1E19rocblas_complex_numIdES1_PKPKS1_PKPS1_EviT_T9_T10_S9_lSB_S9_lSA_T11_S9_li ; -- Begin function _ZL29rocblas_internal_gemmt_kernelIlLi16ELi32ELi8ELc78ELc67ELc76ELb0ELb1E19rocblas_complex_numIdES1_PKPKS1_PKPS1_EviT_T9_T10_S9_lSB_S9_lSA_T11_S9_li
	.p2align	8
	.type	_ZL29rocblas_internal_gemmt_kernelIlLi16ELi32ELi8ELc78ELc67ELc76ELb0ELb1E19rocblas_complex_numIdES1_PKPKS1_PKPS1_EviT_T9_T10_S9_lSB_S9_lSA_T11_S9_li,@function
_ZL29rocblas_internal_gemmt_kernelIlLi16ELi32ELi8ELc78ELc67ELc76ELb0ELb1E19rocblas_complex_numIdES1_PKPKS1_PKPS1_EviT_T9_T10_S9_lSB_S9_lSA_T11_S9_li: ; @_ZL29rocblas_internal_gemmt_kernelIlLi16ELi32ELi8ELc78ELc67ELc76ELb0ELb1E19rocblas_complex_numIdES1_PKPKS1_PKPS1_EviT_T9_T10_S9_lSB_S9_lSA_T11_S9_li
; %bb.0:
	s_clause 0x1
	s_load_b256 s[24:31], s[0:1], 0x48
	s_load_b512 s[8:23], s[0:1], 0x8
	s_wait_kmcnt 0x0
	v_cmp_eq_f64_e64 s3, s[26:27], 1.0
	v_cmp_eq_f64_e64 s2, s[28:29], 0
	s_and_b32 s3, s3, s2
	s_delay_alu instid0(SALU_CYCLE_1)
	s_and_not1_b32 vcc_lo, exec_lo, s3
	s_mov_b32 s3, -1
	s_cbranch_vccnz .LBB569_3
; %bb.1:
	s_cmp_lg_u64 s[8:9], 0
	s_cbranch_scc0 .LBB569_39
; %bb.2:
	v_cmp_neq_f64_e64 s3, s[10:11], 0
	v_cmp_neq_f64_e64 s4, s[12:13], 0
	s_or_b32 s3, s3, s4
.LBB569_3:
	s_delay_alu instid0(SALU_CYCLE_1)
	s_and_b32 vcc_lo, exec_lo, s3
	s_cbranch_vccz .LBB569_40
; %bb.4:
	s_load_b32 s33, s[0:1], 0x78
	s_lshr_b32 s34, ttmp7, 16
	s_wait_kmcnt 0x0
	s_cmp_ge_u32 s34, s33
	s_cbranch_scc1 .LBB569_40
; %bb.5:
	s_clause 0x1
	s_load_b128 s[4:7], s[0:1], 0x68
	s_load_b32 s38, s[0:1], 0x0
	v_bfe_u32 v10, v0, 10, 10
	s_lshl_b32 s1, ttmp7, 5
	v_cmp_neq_f64_e64 s3, s[10:11], 0
	s_and_b32 s1, s1, 0x1fffe0
	v_cmp_neq_f64_e64 s35, s[12:13], 0
	v_add_nc_u32_e32 v11, s1, v10
	v_cmp_neq_f64_e64 s37, s[26:27], 0
	v_dual_mov_b32 v1, 0 :: v_dual_and_b32 v36, 7, v0
	s_lshl_b32 s0, ttmp9, 5
	v_add_nc_u32_e32 v12, 16, v11
	v_lshl_add_u32 v41, v10, 7, 0x1000
	s_xor_b32 s2, s2, -1
	v_cmp_gt_i64_e64 s42, s[8:9], 0
	s_wait_kmcnt 0x0
	v_mad_co_u64_u32 v[4:5], null, s4, v11, 0
	v_and_b32_e32 v9, 0x3ff, v0
	v_mad_co_u64_u32 v[14:15], null, s4, v12, 0
	v_lshlrev_b32_e32 v3, 4, v36
	s_lshl_b64 s[6:7], s[6:7], 4
	s_delay_alu instid0(VALU_DEP_3) | instskip(NEXT) | instid1(VALU_DEP_1)
	v_lshl_add_u32 v0, v10, 4, v9
	v_and_b32_e32 v7, 31, v0
	v_lshrrev_b32_e32 v37, 5, v0
	v_lshrrev_b32_e32 v0, 3, v0
	s_wait_alu 0xfffe
	s_delay_alu instid0(VALU_DEP_3) | instskip(SKIP_1) | instid1(VALU_DEP_3)
	v_or_b32_e32 v2, s0, v7
	v_lshlrev_b32_e32 v7, 4, v7
	v_add_nc_u32_e32 v16, s1, v0
	v_lshl_or_b32 v8, v0, 7, v3
	v_mov_b32_e32 v0, v5
	v_ashrrev_i32_e32 v3, 31, v2
	v_lshl_or_b32 v38, v37, 9, v7
	s_or_b32 s43, s3, s35
	v_add_nc_u32_e32 v39, 0x1000, v8
	v_mad_co_u64_u32 v[7:8], null, s5, v11, v[0:1]
	v_add_nc_u32_e32 v6, s0, v9
	v_mov_b32_e32 v0, v15
	s_or_b32 s37, s37, s2
	v_cmp_gt_i32_e64 s0, s38, v2
	v_cmp_le_i32_e64 s36, s38, v2
	v_cmp_gt_i32_e64 s1, s38, v16
	v_dual_mov_b32 v5, v7 :: v_dual_add_nc_u32 v8, 16, v6
	v_cmp_le_i32_e32 vcc_lo, v11, v6
	v_cmp_gt_i32_e64 s2, s38, v6
	v_lshlrev_b32_e32 v40, 4, v9
	v_ashrrev_i32_e32 v7, 31, v6
	v_cmp_le_i32_e64 s3, v11, v8
	v_mad_co_u64_u32 v[10:11], null, s5, v12, v[0:1]
	v_cmp_gt_i32_e64 s4, s38, v8
	s_and_b32 s38, vcc_lo, s2
	v_ashrrev_i32_e32 v9, 31, v8
	v_lshlrev_b32_e32 v42, 4, v16
	s_mov_b32 s35, 0
	s_and_b32 s39, s3, s4
	v_mov_b32_e32 v15, v10
	v_cmp_le_i32_e32 vcc_lo, v12, v6
	v_cmp_le_i32_e64 s5, v12, v8
	v_lshlrev_b64_e32 v[10:11], 4, v[2:3]
	v_lshlrev_b64_e32 v[12:13], 4, v[4:5]
	v_lshlrev_b64_e32 v[14:15], 4, v[14:15]
	s_and_b32 s40, vcc_lo, s2
	s_and_b32 s41, s5, s4
	s_and_b32 s42, s43, s42
	s_lshl_b64 s[2:3], s[24:25], 4
	s_lshl_b64 s[4:5], s[18:19], 4
                                        ; implicit-def: $vgpr16_vgpr17
	s_branch .LBB569_7
.LBB569_6:                              ;   in Loop: Header=BB569_7 Depth=1
	s_wait_alu 0xfffe
	s_or_b32 exec_lo, exec_lo, s18
	s_add_co_i32 s34, s34, 0x10000
	s_delay_alu instid0(SALU_CYCLE_1)
	s_cmp_lt_u32 s34, s33
	s_cbranch_scc0 .LBB569_40
.LBB569_7:                              ; =>This Loop Header: Depth=1
                                        ;     Child Loop BB569_10 Depth 2
	s_lshl_b64 s[18:19], s[34:35], 3
	v_mov_b32_e32 v32, 0
	s_wait_alu 0xfffe
	s_add_nc_u64 s[24:25], s[30:31], s[18:19]
	v_mov_b32_e32 v33, 0
	global_load_b64 v[18:19], v1, s[24:25]
	s_and_not1_b32 vcc_lo, exec_lo, s42
	s_wait_alu 0xfffe
	s_cbranch_vccnz .LBB569_18
; %bb.8:                                ;   in Loop: Header=BB569_7 Depth=1
	s_add_nc_u64 s[24:25], s[14:15], s[18:19]
	s_add_nc_u64 s[18:19], s[20:21], s[18:19]
	s_clause 0x1
	global_load_b64 v[2:3], v1, s[24:25]
	global_load_b64 v[4:5], v1, s[18:19]
	v_mov_b32_e32 v20, 0
	v_mov_b32_e32 v26, 0
	;; [unrolled: 1-line block ×3, first 2 shown]
	v_dual_mov_b32 v34, 0 :: v_dual_mov_b32 v21, 0
	v_dual_mov_b32 v22, 0 :: v_dual_mov_b32 v27, 0
	;; [unrolled: 1-line block ×5, first 2 shown]
	v_mov_b32_e32 v25, 0
	v_mov_b32_e32 v29, 0
	v_mov_b32_e32 v33, 0
	s_mov_b64 s[18:19], 0
	s_wait_loadcnt 0x1
	v_add_co_u32 v0, vcc_lo, v2, s4
	s_wait_alu 0xfffd
	v_add_co_ci_u32_e64 v2, null, s5, v3, vcc_lo
	s_wait_loadcnt 0x0
	v_add_co_u32 v3, vcc_lo, v4, s2
	s_wait_alu 0xfffd
	v_add_co_ci_u32_e64 v4, null, s3, v5, vcc_lo
	v_add_co_u32 v43, vcc_lo, v0, v10
	s_wait_alu 0xfffd
	v_add_co_ci_u32_e64 v44, null, v2, v11, vcc_lo
	;; [unrolled: 3-line block ×3, first 2 shown]
	s_branch .LBB569_10
.LBB569_9:                              ;   in Loop: Header=BB569_10 Depth=2
	s_or_b32 exec_lo, exec_lo, s24
	ds_store_b128 v39, v[2:5]
	s_wait_dscnt 0x0
	s_barrier_signal -1
	s_barrier_wait -1
	global_inv scope:SCOPE_SE
	ds_load_b128 v[2:5], v41
	ds_load_b128 v[47:50], v40
	ds_load_b128 v[51:54], v40 offset:256
	ds_load_b128 v[55:58], v41 offset:2048
	ds_load_b128 v[59:62], v41 offset:16
	ds_load_b128 v[63:66], v41 offset:2064
	ds_load_b128 v[67:70], v40 offset:512
	ds_load_b128 v[71:74], v40 offset:768
	ds_load_b128 v[75:78], v41 offset:32
	ds_load_b128 v[79:82], v40 offset:1024
	ds_load_b128 v[83:86], v40 offset:1280
	ds_load_b128 v[87:90], v41 offset:2080
	s_add_nc_u64 s[18:19], s[18:19], 8
	s_wait_alu 0xfffe
	v_cmp_gt_i64_e64 s24, s[8:9], s[18:19]
	s_and_b32 vcc_lo, exec_lo, s24
	s_wait_dscnt 0xa
	v_mul_f64_e32 v[91:92], v[4:5], v[49:50]
	v_mul_f64_e32 v[93:94], v[2:3], v[49:50]
	s_wait_dscnt 0x9
	v_mul_f64_e32 v[95:96], v[4:5], v[53:54]
	v_mul_f64_e32 v[97:98], v[2:3], v[53:54]
	;; [unrolled: 3-line block ×3, first 2 shown]
	v_mul_f64_e32 v[101:102], v[57:58], v[53:54]
	v_mul_f64_e32 v[53:54], v[55:56], v[53:54]
	s_wait_dscnt 0x5
	v_mul_f64_e32 v[103:104], v[61:62], v[69:70]
	v_mul_f64_e32 v[105:106], v[59:60], v[69:70]
	s_wait_dscnt 0x4
	v_mul_f64_e32 v[107:108], v[61:62], v[73:74]
	v_mul_f64_e32 v[109:110], v[59:60], v[73:74]
	;; [unrolled: 1-line block ×6, first 2 shown]
	s_wait_dscnt 0x2
	v_mul_f64_e32 v[119:120], v[77:78], v[81:82]
	v_mul_f64_e32 v[121:122], v[75:76], v[81:82]
	s_wait_dscnt 0x1
	v_mul_f64_e32 v[123:124], v[77:78], v[85:86]
	v_mul_f64_e32 v[125:126], v[75:76], v[85:86]
	;; [unrolled: 3-line block ×3, first 2 shown]
	v_mul_f64_e32 v[129:130], v[89:90], v[85:86]
	v_mul_f64_e32 v[85:86], v[87:88], v[85:86]
	v_fma_f64 v[91:92], v[2:3], v[47:48], -v[91:92]
	v_fma_f64 v[93:94], v[4:5], v[47:48], v[93:94]
	v_fma_f64 v[95:96], v[2:3], v[51:52], -v[95:96]
	v_fma_f64 v[97:98], v[4:5], v[51:52], v[97:98]
	;; [unrolled: 2-line block ×8, first 2 shown]
	ds_load_b128 v[2:5], v41 offset:48
	ds_load_b128 v[47:50], v40 offset:1536
	;; [unrolled: 1-line block ×4, first 2 shown]
	v_fma_f64 v[119:120], v[75:76], v[79:80], -v[119:120]
	v_fma_f64 v[121:122], v[77:78], v[79:80], v[121:122]
	v_fma_f64 v[75:76], v[75:76], v[83:84], -v[123:124]
	v_fma_f64 v[77:78], v[77:78], v[83:84], v[125:126]
	;; [unrolled: 2-line block ×4, first 2 shown]
	s_wait_dscnt 0x2
	v_mul_f64_e32 v[109:110], v[2:3], v[49:50]
	s_wait_dscnt 0x1
	v_mul_f64_e32 v[111:112], v[4:5], v[53:54]
	v_mul_f64_e32 v[113:114], v[2:3], v[53:54]
	v_add_f64_e32 v[69:70], v[32:33], v[91:92]
	v_add_f64_e32 v[71:72], v[93:94], v[34:35]
	;; [unrolled: 1-line block ×8, first 2 shown]
	v_mul_f64_e32 v[101:102], v[4:5], v[49:50]
	s_wait_dscnt 0x0
	v_mul_f64_e32 v[115:116], v[57:58], v[49:50]
	v_mul_f64_e32 v[49:50], v[55:56], v[49:50]
	;; [unrolled: 1-line block ×4, first 2 shown]
	ds_load_b128 v[20:23], v41 offset:64
	ds_load_b128 v[24:27], v40 offset:2048
	;; [unrolled: 1-line block ×4, first 2 shown]
	s_wait_dscnt 0x1
	v_mul_f64_e32 v[125:126], v[20:21], v[30:31]
	s_wait_dscnt 0x0
	v_mul_f64_e32 v[127:128], v[34:35], v[26:27]
	v_mul_f64_e32 v[129:130], v[34:35], v[30:31]
	v_fma_f64 v[109:110], v[4:5], v[47:48], v[109:110]
	v_fma_f64 v[111:112], v[2:3], v[51:52], -v[111:112]
	v_fma_f64 v[113:114], v[4:5], v[51:52], v[113:114]
	v_add_f64_e32 v[85:86], v[69:70], v[103:104]
	v_add_f64_e32 v[87:88], v[105:106], v[71:72]
	;; [unrolled: 1-line block ×8, first 2 shown]
	v_mul_f64_e32 v[103:104], v[22:23], v[26:27]
	v_mul_f64_e32 v[105:106], v[20:21], v[26:27]
	;; [unrolled: 1-line block ×5, first 2 shown]
	v_fma_f64 v[101:102], v[2:3], v[47:48], -v[101:102]
	v_fma_f64 v[115:116], v[55:56], v[47:48], -v[115:116]
	v_fma_f64 v[131:132], v[57:58], v[47:48], v[49:50]
	v_fma_f64 v[117:118], v[55:56], v[51:52], -v[117:118]
	v_fma_f64 v[133:134], v[57:58], v[51:52], v[53:54]
	ds_load_b128 v[59:62], v41 offset:80
	ds_load_b128 v[63:66], v40 offset:2560
	;; [unrolled: 1-line block ×8, first 2 shown]
	v_add_f64_e32 v[85:86], v[85:86], v[119:120]
	v_add_f64_e32 v[87:88], v[121:122], v[87:88]
	;; [unrolled: 1-line block ×8, first 2 shown]
	s_wait_dscnt 0x6
	v_mul_f64_e32 v[91:92], v[61:62], v[65:66]
	v_mul_f64_e32 v[93:94], v[59:60], v[65:66]
	s_wait_dscnt 0x5
	v_mul_f64_e32 v[95:96], v[61:62], v[69:70]
	v_mul_f64_e32 v[97:98], v[59:60], v[69:70]
	;; [unrolled: 3-line block ×3, first 2 shown]
	v_mul_f64_e32 v[119:120], v[73:74], v[69:70]
	v_mul_f64_e32 v[69:70], v[71:72], v[69:70]
	v_fma_f64 v[103:104], v[20:21], v[24:25], -v[103:104]
	v_fma_f64 v[105:106], v[22:23], v[24:25], v[105:106]
	v_fma_f64 v[107:108], v[20:21], v[28:29], -v[107:108]
	v_fma_f64 v[121:122], v[22:23], v[28:29], v[125:126]
	;; [unrolled: 2-line block ×4, first 2 shown]
	ds_load_b128 v[20:23], v41 offset:112
	ds_load_b128 v[24:27], v40 offset:3584
	;; [unrolled: 1-line block ×4, first 2 shown]
	s_wait_loadcnt_dscnt 0x0
	s_barrier_signal -1
	s_barrier_wait -1
	global_inv scope:SCOPE_SE
	v_add_f64_e32 v[85:86], v[85:86], v[101:102]
	v_add_f64_e32 v[87:88], v[109:110], v[87:88]
	;; [unrolled: 1-line block ×8, first 2 shown]
	v_mul_f64_e32 v[101:102], v[4:5], v[49:50]
	v_mul_f64_e32 v[109:110], v[2:3], v[49:50]
	;; [unrolled: 1-line block ×8, first 2 shown]
	v_fma_f64 v[91:92], v[59:60], v[63:64], -v[91:92]
	v_fma_f64 v[93:94], v[61:62], v[63:64], v[93:94]
	v_fma_f64 v[59:60], v[59:60], v[67:68], -v[95:96]
	v_fma_f64 v[61:62], v[61:62], v[67:68], v[97:98]
	;; [unrolled: 2-line block ×4, first 2 shown]
	v_mul_f64_e32 v[97:98], v[20:21], v[30:31]
	v_mul_f64_e32 v[99:100], v[34:35], v[26:27]
	v_add_f64_e32 v[69:70], v[85:86], v[103:104]
	v_add_f64_e32 v[71:72], v[105:106], v[87:88]
	;; [unrolled: 1-line block ×8, first 2 shown]
	v_mul_f64_e32 v[85:86], v[22:23], v[26:27]
	v_mul_f64_e32 v[87:88], v[20:21], v[26:27]
	v_mul_f64_e32 v[89:90], v[22:23], v[30:31]
	v_mul_f64_e32 v[26:27], v[32:33], v[26:27]
	v_mul_f64_e32 v[103:104], v[34:35], v[30:31]
	v_mul_f64_e32 v[30:31], v[32:33], v[30:31]
	v_fma_f64 v[101:102], v[2:3], v[47:48], -v[101:102]
	v_fma_f64 v[105:106], v[4:5], v[47:48], v[109:110]
	v_fma_f64 v[2:3], v[2:3], v[51:52], -v[111:112]
	v_fma_f64 v[4:5], v[4:5], v[51:52], v[113:114]
	;; [unrolled: 2-line block ×4, first 2 shown]
	v_add_f64_e32 v[53:54], v[69:70], v[91:92]
	v_add_f64_e32 v[55:56], v[93:94], v[71:72]
	;; [unrolled: 1-line block ×8, first 2 shown]
	v_fma_f64 v[69:70], v[20:21], v[24:25], -v[85:86]
	v_fma_f64 v[71:72], v[22:23], v[24:25], v[87:88]
	v_fma_f64 v[20:21], v[20:21], v[28:29], -v[89:90]
	v_fma_f64 v[22:23], v[22:23], v[28:29], v[97:98]
	;; [unrolled: 2-line block ×4, first 2 shown]
	v_add_f64_e32 v[24:25], v[53:54], v[101:102]
	v_add_f64_e32 v[28:29], v[105:106], v[55:56]
	;; [unrolled: 1-line block ×16, first 2 shown]
	s_wait_alu 0xfffe
	s_cbranch_vccz .LBB569_19
.LBB569_10:                             ;   Parent Loop BB569_7 Depth=1
                                        ; =>  This Inner Loop Header: Depth=2
	s_mov_b32 s24, 0
	s_mov_b32 s43, s36
	s_and_saveexec_b32 s25, s0
	s_cbranch_execnz .LBB569_16
; %bb.11:                               ;   in Loop: Header=BB569_10 Depth=2
	s_or_b32 exec_lo, exec_lo, s25
	s_and_saveexec_b32 s25, s43
	s_delay_alu instid0(SALU_CYCLE_1)
	s_xor_b32 s25, exec_lo, s25
	s_cbranch_execnz .LBB569_17
.LBB569_12:                             ;   in Loop: Header=BB569_10 Depth=2
	s_or_b32 exec_lo, exec_lo, s25
	s_and_saveexec_b32 s25, s24
	s_cbranch_execz .LBB569_14
.LBB569_13:                             ;   in Loop: Header=BB569_10 Depth=2
	v_mul_lo_u32 v0, s17, v16
	v_mul_lo_u32 v4, s16, v17
	v_mad_co_u64_u32 v[2:3], null, s16, v16, 0
	s_delay_alu instid0(VALU_DEP_1) | instskip(NEXT) | instid1(VALU_DEP_1)
	v_add3_u32 v3, v3, v4, v0
	v_lshlrev_b64_e32 v[2:3], 4, v[2:3]
	s_delay_alu instid0(VALU_DEP_1) | instskip(SKIP_1) | instid1(VALU_DEP_2)
	v_add_co_u32 v2, vcc_lo, v43, v2
	s_wait_alu 0xfffd
	v_add_co_ci_u32_e64 v3, null, v44, v3, vcc_lo
	flat_load_b128 v[2:5], v[2:3]
	s_wait_loadcnt_dscnt 0x0
	ds_store_2addr_b64 v38, v[2:3], v[4:5] offset1:1
.LBB569_14:                             ;   in Loop: Header=BB569_10 Depth=2
	s_or_b32 exec_lo, exec_lo, s25
	s_wait_alu 0xfffe
	v_add_nc_u32_e32 v0, s18, v36
	v_mov_b32_e32 v2, 0
	v_dual_mov_b32 v3, 0 :: v_dual_mov_b32 v4, 0
	v_mov_b32_e32 v5, 0
	s_delay_alu instid0(VALU_DEP_4) | instskip(SKIP_1) | instid1(SALU_CYCLE_1)
	v_cmp_gt_u64_e32 vcc_lo, s[8:9], v[0:1]
	s_and_b32 s25, vcc_lo, s1
	s_and_saveexec_b32 s24, s25
	s_cbranch_execz .LBB569_9
; %bb.15:                               ;   in Loop: Header=BB569_10 Depth=2
	v_mad_co_u64_u32 v[2:3], null, s22, v0, 0
	s_delay_alu instid0(VALU_DEP_1) | instskip(NEXT) | instid1(VALU_DEP_1)
	v_mad_co_u64_u32 v[3:4], null, s23, v0, v[3:4]
	v_lshlrev_b64_e32 v[2:3], 4, v[2:3]
	s_delay_alu instid0(VALU_DEP_1) | instskip(SKIP_1) | instid1(VALU_DEP_2)
	v_add_co_u32 v2, vcc_lo, v45, v2
	s_wait_alu 0xfffd
	v_add_co_ci_u32_e64 v3, null, v46, v3, vcc_lo
	flat_load_b128 v[2:5], v[2:3]
	s_wait_loadcnt_dscnt 0x0
	v_xor_b32_e32 v5, 0x80000000, v5
	s_branch .LBB569_9
.LBB569_16:                             ;   in Loop: Header=BB569_10 Depth=2
	s_wait_alu 0xfffe
	v_add_nc_u32_e32 v0, s18, v37
	v_mov_b32_e32 v17, v1
	s_and_not1_b32 s43, s36, exec_lo
	s_mov_b32 s24, exec_lo
	s_delay_alu instid0(VALU_DEP_2) | instskip(SKIP_2) | instid1(SALU_CYCLE_1)
	v_cmp_le_u64_e32 vcc_lo, s[8:9], v[0:1]
	v_mov_b32_e32 v16, v0
	s_and_b32 s44, vcc_lo, exec_lo
	s_or_b32 s43, s43, s44
	s_or_b32 exec_lo, exec_lo, s25
	s_and_saveexec_b32 s25, s43
	s_delay_alu instid0(SALU_CYCLE_1)
	s_xor_b32 s25, exec_lo, s25
	s_cbranch_execz .LBB569_12
.LBB569_17:                             ;   in Loop: Header=BB569_10 Depth=2
	v_dual_mov_b32 v0, v1 :: v_dual_mov_b32 v3, v1
	v_mov_b32_e32 v2, v1
	s_and_not1_b32 s24, s24, exec_lo
	ds_store_b128 v38, v[0:3]
	s_or_b32 exec_lo, exec_lo, s25
	s_and_saveexec_b32 s25, s24
	s_cbranch_execnz .LBB569_13
	s_branch .LBB569_14
.LBB569_18:                             ;   in Loop: Header=BB569_7 Depth=1
	v_mov_b32_e32 v34, 0
	v_mov_b32_e32 v30, 0
	v_dual_mov_b32 v26, 0 :: v_dual_mov_b32 v35, 0
	v_dual_mov_b32 v28, 0 :: v_dual_mov_b32 v31, 0
	;; [unrolled: 1-line block ×3, first 2 shown]
	v_mov_b32_e32 v22, 0
	v_dual_mov_b32 v20, 0 :: v_dual_mov_b32 v29, 0
	v_mov_b32_e32 v25, 0
	v_mov_b32_e32 v23, 0
	;; [unrolled: 1-line block ×3, first 2 shown]
.LBB569_19:                             ;   in Loop: Header=BB569_7 Depth=1
	s_wait_loadcnt 0x0
	v_add_co_u32 v0, vcc_lo, v18, s6
	s_wait_alu 0xfffd
	v_add_co_ci_u32_e64 v18, null, s7, v19, vcc_lo
	s_delay_alu instid0(VALU_DEP_2) | instskip(SKIP_1) | instid1(VALU_DEP_2)
	v_add_co_u32 v19, vcc_lo, v0, v12
	s_wait_alu 0xfffd
	v_add_co_ci_u32_e64 v43, null, v18, v13, vcc_lo
	s_wait_alu 0xfffe
	s_and_saveexec_b32 s18, s38
	s_cbranch_execz .LBB569_24
; %bb.20:                               ;   in Loop: Header=BB569_7 Depth=1
	v_mul_f64_e32 v[2:3], s[12:13], v[34:35]
	v_mul_f64_e32 v[4:5], s[10:11], v[34:35]
	s_and_b32 vcc_lo, exec_lo, s37
	s_mov_b32 s19, -1
	s_delay_alu instid0(VALU_DEP_2) | instskip(NEXT) | instid1(VALU_DEP_2)
	v_fma_f64 v[2:3], s[10:11], v[32:33], -v[2:3]
	v_fma_f64 v[4:5], s[12:13], v[32:33], v[4:5]
	s_wait_alu 0xfffe
	s_cbranch_vccz .LBB569_22
; %bb.21:                               ;   in Loop: Header=BB569_7 Depth=1
	v_lshlrev_b64_e32 v[32:33], 4, v[6:7]
	s_mov_b32 s19, 0
	s_delay_alu instid0(VALU_DEP_1) | instskip(SKIP_1) | instid1(VALU_DEP_2)
	v_add_co_u32 v44, vcc_lo, v19, v32
	s_wait_alu 0xfffd
	v_add_co_ci_u32_e64 v45, null, v43, v33, vcc_lo
	flat_load_b128 v[32:35], v[44:45]
	s_wait_loadcnt_dscnt 0x0
	v_mul_f64_e32 v[46:47], s[28:29], v[34:35]
	v_mul_f64_e32 v[34:35], s[26:27], v[34:35]
	s_delay_alu instid0(VALU_DEP_2) | instskip(NEXT) | instid1(VALU_DEP_2)
	v_fma_f64 v[46:47], s[26:27], v[32:33], -v[46:47]
	v_fma_f64 v[34:35], s[28:29], v[32:33], v[34:35]
	s_delay_alu instid0(VALU_DEP_2) | instskip(NEXT) | instid1(VALU_DEP_2)
	v_add_f64_e32 v[32:33], v[2:3], v[46:47]
	v_add_f64_e32 v[34:35], v[4:5], v[34:35]
	flat_store_b128 v[44:45], v[32:35]
.LBB569_22:                             ;   in Loop: Header=BB569_7 Depth=1
	s_wait_alu 0xfffe
	s_and_not1_b32 vcc_lo, exec_lo, s19
	s_wait_alu 0xfffe
	s_cbranch_vccnz .LBB569_24
; %bb.23:                               ;   in Loop: Header=BB569_7 Depth=1
	v_lshlrev_b64_e32 v[32:33], 4, v[6:7]
	s_delay_alu instid0(VALU_DEP_1) | instskip(SKIP_1) | instid1(VALU_DEP_2)
	v_add_co_u32 v32, vcc_lo, v19, v32
	s_wait_alu 0xfffd
	v_add_co_ci_u32_e64 v33, null, v43, v33, vcc_lo
	flat_store_b128 v[32:33], v[2:5]
.LBB569_24:                             ;   in Loop: Header=BB569_7 Depth=1
	s_wait_alu 0xfffe
	s_or_b32 exec_lo, exec_lo, s18
	s_and_saveexec_b32 s18, s39
	s_cbranch_execz .LBB569_29
; %bb.25:                               ;   in Loop: Header=BB569_7 Depth=1
	v_mul_f64_e32 v[2:3], s[12:13], v[30:31]
	v_mul_f64_e32 v[4:5], s[10:11], v[30:31]
	s_and_not1_b32 vcc_lo, exec_lo, s37
	s_mov_b32 s19, -1
	s_delay_alu instid0(VALU_DEP_2) | instskip(NEXT) | instid1(VALU_DEP_2)
	v_fma_f64 v[2:3], s[10:11], v[28:29], -v[2:3]
	v_fma_f64 v[4:5], s[12:13], v[28:29], v[4:5]
	s_wait_alu 0xfffe
	s_cbranch_vccnz .LBB569_27
; %bb.26:                               ;   in Loop: Header=BB569_7 Depth=1
	v_lshlrev_b64_e32 v[28:29], 4, v[8:9]
	s_mov_b32 s19, 0
	s_delay_alu instid0(VALU_DEP_1) | instskip(SKIP_1) | instid1(VALU_DEP_2)
	v_add_co_u32 v32, vcc_lo, v19, v28
	s_wait_alu 0xfffd
	v_add_co_ci_u32_e64 v33, null, v43, v29, vcc_lo
	flat_load_b128 v[28:31], v[32:33]
	s_wait_loadcnt_dscnt 0x0
	v_mul_f64_e32 v[34:35], s[28:29], v[30:31]
	v_mul_f64_e32 v[30:31], s[26:27], v[30:31]
	s_delay_alu instid0(VALU_DEP_2) | instskip(NEXT) | instid1(VALU_DEP_2)
	v_fma_f64 v[34:35], s[26:27], v[28:29], -v[34:35]
	v_fma_f64 v[30:31], s[28:29], v[28:29], v[30:31]
	s_delay_alu instid0(VALU_DEP_2) | instskip(NEXT) | instid1(VALU_DEP_2)
	v_add_f64_e32 v[28:29], v[2:3], v[34:35]
	v_add_f64_e32 v[30:31], v[4:5], v[30:31]
	flat_store_b128 v[32:33], v[28:31]
.LBB569_27:                             ;   in Loop: Header=BB569_7 Depth=1
	s_wait_alu 0xfffe
	s_and_not1_b32 vcc_lo, exec_lo, s19
	s_wait_alu 0xfffe
	s_cbranch_vccnz .LBB569_29
; %bb.28:                               ;   in Loop: Header=BB569_7 Depth=1
	v_lshlrev_b64_e32 v[28:29], 4, v[8:9]
	s_delay_alu instid0(VALU_DEP_1) | instskip(SKIP_1) | instid1(VALU_DEP_2)
	v_add_co_u32 v28, vcc_lo, v19, v28
	s_wait_alu 0xfffd
	v_add_co_ci_u32_e64 v29, null, v43, v29, vcc_lo
	flat_store_b128 v[28:29], v[2:5]
.LBB569_29:                             ;   in Loop: Header=BB569_7 Depth=1
	s_wait_alu 0xfffe
	s_or_b32 exec_lo, exec_lo, s18
	v_add_co_u32 v0, vcc_lo, v0, v14
	s_wait_alu 0xfffd
	v_add_co_ci_u32_e64 v28, null, v18, v15, vcc_lo
	s_and_saveexec_b32 s18, s40
	s_cbranch_execz .LBB569_34
; %bb.30:                               ;   in Loop: Header=BB569_7 Depth=1
	v_mul_f64_e32 v[2:3], s[12:13], v[26:27]
	v_mul_f64_e32 v[4:5], s[10:11], v[26:27]
	v_lshlrev_b64_e32 v[18:19], 4, v[6:7]
	s_and_not1_b32 vcc_lo, exec_lo, s37
	s_mov_b32 s19, -1
	s_delay_alu instid0(VALU_DEP_3) | instskip(NEXT) | instid1(VALU_DEP_3)
	v_fma_f64 v[2:3], s[10:11], v[24:25], -v[2:3]
	v_fma_f64 v[4:5], s[12:13], v[24:25], v[4:5]
	s_wait_alu 0xfffe
	s_cbranch_vccnz .LBB569_32
; %bb.31:                               ;   in Loop: Header=BB569_7 Depth=1
	v_add_co_u32 v29, vcc_lo, v0, v18
	s_wait_alu 0xfffd
	v_add_co_ci_u32_e64 v30, null, v28, v19, vcc_lo
	s_mov_b32 s19, 0
	flat_load_b128 v[24:27], v[29:30]
	s_wait_loadcnt_dscnt 0x0
	v_mul_f64_e32 v[31:32], s[28:29], v[26:27]
	v_mul_f64_e32 v[26:27], s[26:27], v[26:27]
	s_delay_alu instid0(VALU_DEP_2) | instskip(NEXT) | instid1(VALU_DEP_2)
	v_fma_f64 v[31:32], s[26:27], v[24:25], -v[31:32]
	v_fma_f64 v[26:27], s[28:29], v[24:25], v[26:27]
	s_delay_alu instid0(VALU_DEP_2) | instskip(NEXT) | instid1(VALU_DEP_2)
	v_add_f64_e32 v[24:25], v[2:3], v[31:32]
	v_add_f64_e32 v[26:27], v[4:5], v[26:27]
	flat_store_b128 v[29:30], v[24:27]
.LBB569_32:                             ;   in Loop: Header=BB569_7 Depth=1
	s_wait_alu 0xfffe
	s_and_not1_b32 vcc_lo, exec_lo, s19
	s_wait_alu 0xfffe
	s_cbranch_vccnz .LBB569_34
; %bb.33:                               ;   in Loop: Header=BB569_7 Depth=1
	v_add_co_u32 v18, vcc_lo, v0, v18
	s_wait_alu 0xfffd
	v_add_co_ci_u32_e64 v19, null, v28, v19, vcc_lo
	flat_store_b128 v[18:19], v[2:5]
.LBB569_34:                             ;   in Loop: Header=BB569_7 Depth=1
	s_wait_alu 0xfffe
	s_or_b32 exec_lo, exec_lo, s18
	s_and_saveexec_b32 s18, s41
	s_cbranch_execz .LBB569_6
; %bb.35:                               ;   in Loop: Header=BB569_7 Depth=1
	v_mul_f64_e32 v[2:3], s[12:13], v[20:21]
	v_mul_f64_e32 v[4:5], s[10:11], v[20:21]
	v_lshlrev_b64_e32 v[18:19], 4, v[8:9]
	s_and_not1_b32 vcc_lo, exec_lo, s37
	s_mov_b32 s19, -1
	s_delay_alu instid0(VALU_DEP_3) | instskip(NEXT) | instid1(VALU_DEP_3)
	v_fma_f64 v[2:3], s[10:11], v[22:23], -v[2:3]
	v_fma_f64 v[4:5], s[12:13], v[22:23], v[4:5]
	s_wait_alu 0xfffe
	s_cbranch_vccnz .LBB569_37
; %bb.36:                               ;   in Loop: Header=BB569_7 Depth=1
	v_add_co_u32 v24, vcc_lo, v0, v18
	s_wait_alu 0xfffd
	v_add_co_ci_u32_e64 v25, null, v28, v19, vcc_lo
	s_mov_b32 s19, 0
	flat_load_b128 v[20:23], v[24:25]
	s_wait_loadcnt_dscnt 0x0
	v_mul_f64_e32 v[26:27], s[28:29], v[22:23]
	v_mul_f64_e32 v[22:23], s[26:27], v[22:23]
	s_delay_alu instid0(VALU_DEP_2) | instskip(NEXT) | instid1(VALU_DEP_2)
	v_fma_f64 v[26:27], s[26:27], v[20:21], -v[26:27]
	v_fma_f64 v[22:23], s[28:29], v[20:21], v[22:23]
	s_delay_alu instid0(VALU_DEP_2) | instskip(NEXT) | instid1(VALU_DEP_2)
	v_add_f64_e32 v[20:21], v[2:3], v[26:27]
	v_add_f64_e32 v[22:23], v[4:5], v[22:23]
	flat_store_b128 v[24:25], v[20:23]
.LBB569_37:                             ;   in Loop: Header=BB569_7 Depth=1
	s_wait_alu 0xfffe
	s_and_not1_b32 vcc_lo, exec_lo, s19
	s_wait_alu 0xfffe
	s_cbranch_vccnz .LBB569_6
; %bb.38:                               ;   in Loop: Header=BB569_7 Depth=1
	v_add_co_u32 v18, vcc_lo, v0, v18
	s_wait_alu 0xfffd
	v_add_co_ci_u32_e64 v19, null, v28, v19, vcc_lo
	flat_store_b128 v[18:19], v[2:5]
	s_branch .LBB569_6
.LBB569_39:
.LBB569_40:
	s_nop 0
	s_sendmsg sendmsg(MSG_DEALLOC_VGPRS)
	s_endpgm
	.section	.rodata,"a",@progbits
	.p2align	6, 0x0
	.amdhsa_kernel _ZL29rocblas_internal_gemmt_kernelIlLi16ELi32ELi8ELc78ELc67ELc76ELb0ELb1E19rocblas_complex_numIdES1_PKPKS1_PKPS1_EviT_T9_T10_S9_lSB_S9_lSA_T11_S9_li
		.amdhsa_group_segment_fixed_size 8192
		.amdhsa_private_segment_fixed_size 0
		.amdhsa_kernarg_size 124
		.amdhsa_user_sgpr_count 2
		.amdhsa_user_sgpr_dispatch_ptr 0
		.amdhsa_user_sgpr_queue_ptr 0
		.amdhsa_user_sgpr_kernarg_segment_ptr 1
		.amdhsa_user_sgpr_dispatch_id 0
		.amdhsa_user_sgpr_private_segment_size 0
		.amdhsa_wavefront_size32 1
		.amdhsa_uses_dynamic_stack 0
		.amdhsa_enable_private_segment 0
		.amdhsa_system_sgpr_workgroup_id_x 1
		.amdhsa_system_sgpr_workgroup_id_y 1
		.amdhsa_system_sgpr_workgroup_id_z 1
		.amdhsa_system_sgpr_workgroup_info 0
		.amdhsa_system_vgpr_workitem_id 1
		.amdhsa_next_free_vgpr 135
		.amdhsa_next_free_sgpr 45
		.amdhsa_reserve_vcc 1
		.amdhsa_float_round_mode_32 0
		.amdhsa_float_round_mode_16_64 0
		.amdhsa_float_denorm_mode_32 3
		.amdhsa_float_denorm_mode_16_64 3
		.amdhsa_fp16_overflow 0
		.amdhsa_workgroup_processor_mode 1
		.amdhsa_memory_ordered 1
		.amdhsa_forward_progress 1
		.amdhsa_inst_pref_size 28
		.amdhsa_round_robin_scheduling 0
		.amdhsa_exception_fp_ieee_invalid_op 0
		.amdhsa_exception_fp_denorm_src 0
		.amdhsa_exception_fp_ieee_div_zero 0
		.amdhsa_exception_fp_ieee_overflow 0
		.amdhsa_exception_fp_ieee_underflow 0
		.amdhsa_exception_fp_ieee_inexact 0
		.amdhsa_exception_int_div_zero 0
	.end_amdhsa_kernel
	.section	.text._ZL29rocblas_internal_gemmt_kernelIlLi16ELi32ELi8ELc78ELc67ELc76ELb0ELb1E19rocblas_complex_numIdES1_PKPKS1_PKPS1_EviT_T9_T10_S9_lSB_S9_lSA_T11_S9_li,"axG",@progbits,_ZL29rocblas_internal_gemmt_kernelIlLi16ELi32ELi8ELc78ELc67ELc76ELb0ELb1E19rocblas_complex_numIdES1_PKPKS1_PKPS1_EviT_T9_T10_S9_lSB_S9_lSA_T11_S9_li,comdat
.Lfunc_end569:
	.size	_ZL29rocblas_internal_gemmt_kernelIlLi16ELi32ELi8ELc78ELc67ELc76ELb0ELb1E19rocblas_complex_numIdES1_PKPKS1_PKPS1_EviT_T9_T10_S9_lSB_S9_lSA_T11_S9_li, .Lfunc_end569-_ZL29rocblas_internal_gemmt_kernelIlLi16ELi32ELi8ELc78ELc67ELc76ELb0ELb1E19rocblas_complex_numIdES1_PKPKS1_PKPS1_EviT_T9_T10_S9_lSB_S9_lSA_T11_S9_li
                                        ; -- End function
	.set _ZL29rocblas_internal_gemmt_kernelIlLi16ELi32ELi8ELc78ELc67ELc76ELb0ELb1E19rocblas_complex_numIdES1_PKPKS1_PKPS1_EviT_T9_T10_S9_lSB_S9_lSA_T11_S9_li.num_vgpr, 135
	.set _ZL29rocblas_internal_gemmt_kernelIlLi16ELi32ELi8ELc78ELc67ELc76ELb0ELb1E19rocblas_complex_numIdES1_PKPKS1_PKPS1_EviT_T9_T10_S9_lSB_S9_lSA_T11_S9_li.num_agpr, 0
	.set _ZL29rocblas_internal_gemmt_kernelIlLi16ELi32ELi8ELc78ELc67ELc76ELb0ELb1E19rocblas_complex_numIdES1_PKPKS1_PKPS1_EviT_T9_T10_S9_lSB_S9_lSA_T11_S9_li.numbered_sgpr, 45
	.set _ZL29rocblas_internal_gemmt_kernelIlLi16ELi32ELi8ELc78ELc67ELc76ELb0ELb1E19rocblas_complex_numIdES1_PKPKS1_PKPS1_EviT_T9_T10_S9_lSB_S9_lSA_T11_S9_li.num_named_barrier, 0
	.set _ZL29rocblas_internal_gemmt_kernelIlLi16ELi32ELi8ELc78ELc67ELc76ELb0ELb1E19rocblas_complex_numIdES1_PKPKS1_PKPS1_EviT_T9_T10_S9_lSB_S9_lSA_T11_S9_li.private_seg_size, 0
	.set _ZL29rocblas_internal_gemmt_kernelIlLi16ELi32ELi8ELc78ELc67ELc76ELb0ELb1E19rocblas_complex_numIdES1_PKPKS1_PKPS1_EviT_T9_T10_S9_lSB_S9_lSA_T11_S9_li.uses_vcc, 1
	.set _ZL29rocblas_internal_gemmt_kernelIlLi16ELi32ELi8ELc78ELc67ELc76ELb0ELb1E19rocblas_complex_numIdES1_PKPKS1_PKPS1_EviT_T9_T10_S9_lSB_S9_lSA_T11_S9_li.uses_flat_scratch, 0
	.set _ZL29rocblas_internal_gemmt_kernelIlLi16ELi32ELi8ELc78ELc67ELc76ELb0ELb1E19rocblas_complex_numIdES1_PKPKS1_PKPS1_EviT_T9_T10_S9_lSB_S9_lSA_T11_S9_li.has_dyn_sized_stack, 0
	.set _ZL29rocblas_internal_gemmt_kernelIlLi16ELi32ELi8ELc78ELc67ELc76ELb0ELb1E19rocblas_complex_numIdES1_PKPKS1_PKPS1_EviT_T9_T10_S9_lSB_S9_lSA_T11_S9_li.has_recursion, 0
	.set _ZL29rocblas_internal_gemmt_kernelIlLi16ELi32ELi8ELc78ELc67ELc76ELb0ELb1E19rocblas_complex_numIdES1_PKPKS1_PKPS1_EviT_T9_T10_S9_lSB_S9_lSA_T11_S9_li.has_indirect_call, 0
	.section	.AMDGPU.csdata,"",@progbits
; Kernel info:
; codeLenInByte = 3552
; TotalNumSgprs: 47
; NumVgprs: 135
; ScratchSize: 0
; MemoryBound: 1
; FloatMode: 240
; IeeeMode: 1
; LDSByteSize: 8192 bytes/workgroup (compile time only)
; SGPRBlocks: 0
; VGPRBlocks: 16
; NumSGPRsForWavesPerEU: 47
; NumVGPRsForWavesPerEU: 135
; Occupancy: 10
; WaveLimiterHint : 1
; COMPUTE_PGM_RSRC2:SCRATCH_EN: 0
; COMPUTE_PGM_RSRC2:USER_SGPR: 2
; COMPUTE_PGM_RSRC2:TRAP_HANDLER: 0
; COMPUTE_PGM_RSRC2:TGID_X_EN: 1
; COMPUTE_PGM_RSRC2:TGID_Y_EN: 1
; COMPUTE_PGM_RSRC2:TGID_Z_EN: 1
; COMPUTE_PGM_RSRC2:TIDIG_COMP_CNT: 1
	.section	.text._ZL29rocblas_internal_gemmt_kernelIlLi16ELi32ELi8ELc84ELc78ELc76ELb0ELb0E19rocblas_complex_numIdES1_PKPKS1_PKPS1_EviT_T9_T10_S9_lSB_S9_lSA_T11_S9_li,"axG",@progbits,_ZL29rocblas_internal_gemmt_kernelIlLi16ELi32ELi8ELc84ELc78ELc76ELb0ELb0E19rocblas_complex_numIdES1_PKPKS1_PKPS1_EviT_T9_T10_S9_lSB_S9_lSA_T11_S9_li,comdat
	.globl	_ZL29rocblas_internal_gemmt_kernelIlLi16ELi32ELi8ELc84ELc78ELc76ELb0ELb0E19rocblas_complex_numIdES1_PKPKS1_PKPS1_EviT_T9_T10_S9_lSB_S9_lSA_T11_S9_li ; -- Begin function _ZL29rocblas_internal_gemmt_kernelIlLi16ELi32ELi8ELc84ELc78ELc76ELb0ELb0E19rocblas_complex_numIdES1_PKPKS1_PKPS1_EviT_T9_T10_S9_lSB_S9_lSA_T11_S9_li
	.p2align	8
	.type	_ZL29rocblas_internal_gemmt_kernelIlLi16ELi32ELi8ELc84ELc78ELc76ELb0ELb0E19rocblas_complex_numIdES1_PKPKS1_PKPS1_EviT_T9_T10_S9_lSB_S9_lSA_T11_S9_li,@function
_ZL29rocblas_internal_gemmt_kernelIlLi16ELi32ELi8ELc84ELc78ELc76ELb0ELb0E19rocblas_complex_numIdES1_PKPKS1_PKPS1_EviT_T9_T10_S9_lSB_S9_lSA_T11_S9_li: ; @_ZL29rocblas_internal_gemmt_kernelIlLi16ELi32ELi8ELc84ELc78ELc76ELb0ELb0E19rocblas_complex_numIdES1_PKPKS1_PKPS1_EviT_T9_T10_S9_lSB_S9_lSA_T11_S9_li
; %bb.0:
	s_clause 0x1
	s_load_b256 s[24:31], s[0:1], 0x48
	s_load_b512 s[8:23], s[0:1], 0x8
	s_wait_kmcnt 0x0
	v_cmp_eq_f64_e64 s3, s[26:27], 1.0
	v_cmp_eq_f64_e64 s2, s[28:29], 0
	s_and_b32 s3, s3, s2
	s_delay_alu instid0(SALU_CYCLE_1)
	s_and_not1_b32 vcc_lo, exec_lo, s3
	s_mov_b32 s3, -1
	s_cbranch_vccnz .LBB570_3
; %bb.1:
	s_cmp_lg_u64 s[8:9], 0
	s_cbranch_scc0 .LBB570_41
; %bb.2:
	v_cmp_neq_f64_e64 s3, s[10:11], 0
	v_cmp_neq_f64_e64 s4, s[12:13], 0
	s_or_b32 s3, s3, s4
.LBB570_3:
	s_delay_alu instid0(SALU_CYCLE_1)
	s_and_b32 vcc_lo, exec_lo, s3
	s_cbranch_vccz .LBB570_42
; %bb.4:
	s_load_b32 s33, s[0:1], 0x78
	s_lshr_b32 s34, ttmp7, 16
	s_wait_kmcnt 0x0
	s_cmp_ge_u32 s34, s33
	s_cbranch_scc1 .LBB570_42
; %bb.5:
	s_clause 0x1
	s_load_b128 s[4:7], s[0:1], 0x68
	s_load_b32 s36, s[0:1], 0x0
	v_bfe_u32 v8, v0, 10, 10
	s_lshl_b32 s0, ttmp7, 5
	v_and_b32_e32 v7, 0x3ff, v0
	s_and_b32 s0, s0, 0x1fffe0
	v_cmp_neq_f64_e64 s37, s[26:27], 0
	v_add_nc_u32_e32 v9, s0, v8
	v_cmp_neq_f64_e64 s3, s[10:11], 0
	v_cmp_neq_f64_e64 s35, s[12:13], 0
	s_lshl_b32 s1, ttmp9, 5
	v_lshl_add_u32 v41, v8, 7, 0x1000
	s_wait_alu 0xfffe
	s_ashr_i32 s38, s1, 31
	v_cmp_gt_i64_e64 s39, s[8:9], 0
	s_mul_i32 s38, s16, s38
                                        ; implicit-def: $vgpr18_vgpr19
	s_wait_kmcnt 0x0
	v_mad_co_u64_u32 v[14:15], null, s4, v9, 0
	v_and_b32_e32 v36, 7, v0
	v_lshl_add_u32 v0, v8, 4, v7
	s_lshl_b64 s[6:7], s[6:7], 4
	s_delay_alu instid0(VALU_DEP_2) | instskip(NEXT) | instid1(VALU_DEP_2)
	v_lshlrev_b32_e32 v5, 4, v36
	v_lshrrev_b32_e32 v1, 3, v0
	v_and_b32_e32 v4, 31, v0
	v_lshrrev_b32_e32 v37, 5, v0
	s_delay_alu instid0(VALU_DEP_3) | instskip(SKIP_1) | instid1(VALU_DEP_2)
	v_add_nc_u32_e32 v6, s0, v1
	v_lshl_or_b32 v12, v1, 7, v5
	v_mad_co_u64_u32 v[2:3], null, s22, v6, 0
	s_delay_alu instid0(VALU_DEP_1) | instskip(SKIP_1) | instid1(VALU_DEP_2)
	v_dual_mov_b32 v0, v3 :: v_dual_add_nc_u32 v39, 0x1000, v12
	v_lshlrev_b32_e32 v40, 4, v7
	v_mad_co_u64_u32 v[0:1], null, s23, v6, v[0:1]
	v_mov_b32_e32 v1, v15
	s_delay_alu instid0(VALU_DEP_2) | instskip(SKIP_2) | instid1(VALU_DEP_4)
	v_mov_b32_e32 v3, v0
	v_or_b32_e32 v10, s1, v4
	v_lshlrev_b32_e32 v11, 4, v4
	v_mad_co_u64_u32 v[0:1], null, s5, v9, v[1:2]
	s_delay_alu instid0(VALU_DEP_3)
	v_cmp_gt_i32_e64 s0, s36, v10
	v_mul_lo_u32 v13, s17, v10
	v_mad_co_u64_u32 v[4:5], null, s16, v10, 0
	v_cmp_le_i32_e64 s22, s36, v10
	v_dual_mov_b32 v15, v0 :: v_dual_add_nc_u32 v10, 16, v9
	v_cmp_gt_i32_e32 vcc_lo, s36, v6
	v_add_nc_u32_e32 v6, s1, v7
	s_xor_b32 s1, s2, -1
	s_delay_alu instid0(VALU_DEP_3)
	v_mad_co_u64_u32 v[16:17], null, s4, v10, 0
	s_wait_alu 0xfffe
	s_or_b32 s23, s37, s1
	v_add3_u32 v5, v5, s38, v13
	s_or_b32 s16, s3, s35
	v_lshl_or_b32 v38, v37, 9, v11
	v_lshlrev_b64_e32 v[12:13], 4, v[2:3]
	v_lshlrev_b64_e32 v[14:15], 4, v[14:15]
	v_mov_b32_e32 v0, v17
	s_mov_b32 s35, 0
	s_wait_alu 0xfffe
	s_and_b32 s39, s16, s39
	s_delay_alu instid0(VALU_DEP_1)
	v_mad_co_u64_u32 v[0:1], null, s5, v10, v[0:1]
	v_dual_mov_b32 v1, 0 :: v_dual_add_nc_u32 v8, 16, v6
	v_cmp_le_i32_e64 s1, v9, v6
	v_cmp_gt_i32_e64 s2, s36, v6
	v_ashrrev_i32_e32 v7, 31, v6
	v_mov_b32_e32 v17, v0
	v_cmp_le_i32_e64 s3, v9, v8
	v_cmp_gt_i32_e64 s4, s36, v8
	s_and_b32 s36, s1, s2
	v_cmp_le_i32_e64 s1, v10, v6
	v_cmp_le_i32_e64 s5, v10, v8
	v_lshlrev_b64_e32 v[10:11], 4, v[4:5]
	v_lshlrev_b64_e32 v[16:17], 4, v[16:17]
	v_ashrrev_i32_e32 v9, 31, v8
	s_and_b32 s37, s3, s4
	s_and_b32 s1, s1, s2
	;; [unrolled: 1-line block ×3, first 2 shown]
	s_lshl_b64 s[2:3], s[24:25], 4
	s_lshl_b64 s[4:5], s[18:19], 4
	s_xor_b32 s18, vcc_lo, -1
	s_branch .LBB570_7
.LBB570_6:                              ;   in Loop: Header=BB570_7 Depth=1
	s_wait_alu 0xfffe
	s_or_b32 exec_lo, exec_lo, s16
	s_add_co_i32 s34, s34, 0x10000
	s_delay_alu instid0(SALU_CYCLE_1)
	s_cmp_lt_u32 s34, s33
	s_cbranch_scc0 .LBB570_42
.LBB570_7:                              ; =>This Loop Header: Depth=1
                                        ;     Child Loop BB570_10 Depth 2
	s_lshl_b64 s[16:17], s[34:35], 3
	v_mov_b32_e32 v32, 0
	s_wait_alu 0xfffe
	s_add_nc_u64 s[24:25], s[30:31], s[16:17]
	v_mov_b32_e32 v33, 0
	global_load_b64 v[4:5], v1, s[24:25]
	s_and_not1_b32 vcc_lo, exec_lo, s39
	s_wait_alu 0xfffe
	s_cbranch_vccnz .LBB570_20
; %bb.8:                                ;   in Loop: Header=BB570_7 Depth=1
	s_add_nc_u64 s[24:25], s[14:15], s[16:17]
	s_add_nc_u64 s[16:17], s[20:21], s[16:17]
	s_clause 0x1
	global_load_b64 v[2:3], v1, s[24:25]
	global_load_b64 v[42:43], v1, s[16:17]
	v_mov_b32_e32 v20, 0
	v_mov_b32_e32 v26, 0
	;; [unrolled: 1-line block ×3, first 2 shown]
	v_dual_mov_b32 v34, 0 :: v_dual_mov_b32 v21, 0
	v_dual_mov_b32 v22, 0 :: v_dual_mov_b32 v27, 0
	;; [unrolled: 1-line block ×5, first 2 shown]
	v_mov_b32_e32 v25, 0
	v_mov_b32_e32 v29, 0
	;; [unrolled: 1-line block ×3, first 2 shown]
	s_mov_b64 s[16:17], 0
	s_wait_loadcnt 0x1
	v_add_co_u32 v0, vcc_lo, v2, s4
	s_wait_alu 0xfffd
	v_add_co_ci_u32_e64 v2, null, s5, v3, vcc_lo
	s_wait_loadcnt 0x0
	v_add_co_u32 v3, vcc_lo, v42, s2
	s_wait_alu 0xfffd
	v_add_co_ci_u32_e64 v45, null, s3, v43, vcc_lo
	v_add_co_u32 v42, vcc_lo, v0, v10
	s_wait_alu 0xfffd
	v_add_co_ci_u32_e64 v43, null, v2, v11, vcc_lo
	;; [unrolled: 3-line block ×3, first 2 shown]
	s_branch .LBB570_10
.LBB570_9:                              ;   in Loop: Header=BB570_10 Depth=2
	s_or_b32 exec_lo, exec_lo, s19
	s_wait_dscnt 0x0
	s_barrier_signal -1
	s_barrier_wait -1
	global_inv scope:SCOPE_SE
	ds_load_b128 v[46:49], v41
	ds_load_b128 v[50:53], v40
	ds_load_b128 v[54:57], v40 offset:256
	ds_load_b128 v[58:61], v41 offset:2048
	;; [unrolled: 1-line block ×10, first 2 shown]
	s_add_nc_u64 s[16:17], s[16:17], 8
	s_wait_alu 0xfffe
	v_cmp_gt_i64_e64 s19, s[8:9], s[16:17]
	s_and_b32 vcc_lo, exec_lo, s19
	s_wait_dscnt 0xa
	v_mul_f64_e32 v[2:3], v[48:49], v[52:53]
	v_mul_f64_e32 v[94:95], v[46:47], v[52:53]
	s_wait_dscnt 0x9
	v_mul_f64_e32 v[96:97], v[48:49], v[56:57]
	v_mul_f64_e32 v[98:99], v[46:47], v[56:57]
	;; [unrolled: 3-line block ×3, first 2 shown]
	v_mul_f64_e32 v[102:103], v[60:61], v[56:57]
	v_mul_f64_e32 v[56:57], v[58:59], v[56:57]
	s_wait_dscnt 0x5
	v_mul_f64_e32 v[104:105], v[64:65], v[72:73]
	v_mul_f64_e32 v[106:107], v[62:63], v[72:73]
	s_wait_dscnt 0x4
	v_mul_f64_e32 v[108:109], v[64:65], v[76:77]
	v_mul_f64_e32 v[110:111], v[62:63], v[76:77]
	;; [unrolled: 1-line block ×6, first 2 shown]
	s_wait_dscnt 0x2
	v_mul_f64_e32 v[120:121], v[80:81], v[84:85]
	v_mul_f64_e32 v[122:123], v[78:79], v[84:85]
	s_wait_dscnt 0x1
	v_mul_f64_e32 v[124:125], v[80:81], v[88:89]
	v_mul_f64_e32 v[126:127], v[78:79], v[88:89]
	;; [unrolled: 3-line block ×3, first 2 shown]
	v_mul_f64_e32 v[130:131], v[92:93], v[88:89]
	v_mul_f64_e32 v[88:89], v[90:91], v[88:89]
	v_fma_f64 v[2:3], v[46:47], v[50:51], -v[2:3]
	v_fma_f64 v[94:95], v[48:49], v[50:51], v[94:95]
	v_fma_f64 v[96:97], v[46:47], v[54:55], -v[96:97]
	v_fma_f64 v[98:99], v[48:49], v[54:55], v[98:99]
	;; [unrolled: 2-line block ×8, first 2 shown]
	ds_load_b128 v[46:49], v41 offset:48
	ds_load_b128 v[50:53], v40 offset:1536
	;; [unrolled: 1-line block ×4, first 2 shown]
	v_fma_f64 v[120:121], v[78:79], v[82:83], -v[120:121]
	v_fma_f64 v[122:123], v[80:81], v[82:83], v[122:123]
	v_fma_f64 v[78:79], v[78:79], v[86:87], -v[124:125]
	v_fma_f64 v[80:81], v[80:81], v[86:87], v[126:127]
	;; [unrolled: 2-line block ×4, first 2 shown]
	s_wait_dscnt 0x2
	v_mul_f64_e32 v[110:111], v[46:47], v[52:53]
	s_wait_dscnt 0x1
	v_mul_f64_e32 v[112:113], v[48:49], v[56:57]
	v_mul_f64_e32 v[114:115], v[46:47], v[56:57]
	v_add_f64_e32 v[2:3], v[32:33], v[2:3]
	v_add_f64_e32 v[72:73], v[94:95], v[34:35]
	;; [unrolled: 1-line block ×8, first 2 shown]
	v_mul_f64_e32 v[102:103], v[48:49], v[52:53]
	s_wait_dscnt 0x0
	v_mul_f64_e32 v[116:117], v[60:61], v[52:53]
	v_mul_f64_e32 v[52:53], v[58:59], v[52:53]
	;; [unrolled: 1-line block ×4, first 2 shown]
	ds_load_b128 v[20:23], v41 offset:64
	ds_load_b128 v[24:27], v40 offset:2048
	;; [unrolled: 1-line block ×4, first 2 shown]
	s_wait_dscnt 0x1
	v_mul_f64_e32 v[126:127], v[20:21], v[30:31]
	s_wait_dscnt 0x0
	v_mul_f64_e32 v[128:129], v[34:35], v[26:27]
	v_mul_f64_e32 v[130:131], v[34:35], v[30:31]
	v_fma_f64 v[110:111], v[48:49], v[50:51], v[110:111]
	v_fma_f64 v[112:113], v[46:47], v[54:55], -v[112:113]
	v_fma_f64 v[114:115], v[48:49], v[54:55], v[114:115]
	v_add_f64_e32 v[2:3], v[2:3], v[104:105]
	v_add_f64_e32 v[88:89], v[106:107], v[72:73]
	;; [unrolled: 1-line block ×8, first 2 shown]
	v_mul_f64_e32 v[104:105], v[22:23], v[26:27]
	v_mul_f64_e32 v[106:107], v[20:21], v[26:27]
	;; [unrolled: 1-line block ×5, first 2 shown]
	v_fma_f64 v[102:103], v[46:47], v[50:51], -v[102:103]
	v_fma_f64 v[116:117], v[58:59], v[50:51], -v[116:117]
	v_fma_f64 v[132:133], v[60:61], v[50:51], v[52:53]
	v_fma_f64 v[118:119], v[58:59], v[54:55], -v[118:119]
	v_fma_f64 v[134:135], v[60:61], v[54:55], v[56:57]
	ds_load_b128 v[62:65], v41 offset:80
	ds_load_b128 v[66:69], v40 offset:2560
	;; [unrolled: 1-line block ×8, first 2 shown]
	v_add_f64_e32 v[2:3], v[2:3], v[120:121]
	v_add_f64_e32 v[88:89], v[122:123], v[88:89]
	;; [unrolled: 1-line block ×8, first 2 shown]
	s_wait_dscnt 0x6
	v_mul_f64_e32 v[92:93], v[64:65], v[68:69]
	v_mul_f64_e32 v[94:95], v[62:63], v[68:69]
	s_wait_dscnt 0x5
	v_mul_f64_e32 v[96:97], v[64:65], v[72:73]
	v_mul_f64_e32 v[98:99], v[62:63], v[72:73]
	;; [unrolled: 3-line block ×3, first 2 shown]
	v_mul_f64_e32 v[120:121], v[76:77], v[72:73]
	v_mul_f64_e32 v[72:73], v[74:75], v[72:73]
	v_fma_f64 v[104:105], v[20:21], v[24:25], -v[104:105]
	v_fma_f64 v[106:107], v[22:23], v[24:25], v[106:107]
	v_fma_f64 v[108:109], v[20:21], v[28:29], -v[108:109]
	v_fma_f64 v[122:123], v[22:23], v[28:29], v[126:127]
	;; [unrolled: 2-line block ×4, first 2 shown]
	ds_load_b128 v[20:23], v41 offset:112
	ds_load_b128 v[24:27], v40 offset:3584
	;; [unrolled: 1-line block ×4, first 2 shown]
	s_wait_loadcnt_dscnt 0x0
	s_barrier_signal -1
	s_barrier_wait -1
	global_inv scope:SCOPE_SE
	v_add_f64_e32 v[2:3], v[2:3], v[102:103]
	v_add_f64_e32 v[88:89], v[110:111], v[88:89]
	;; [unrolled: 1-line block ×8, first 2 shown]
	v_mul_f64_e32 v[102:103], v[48:49], v[52:53]
	v_mul_f64_e32 v[110:111], v[46:47], v[52:53]
	;; [unrolled: 1-line block ×8, first 2 shown]
	v_fma_f64 v[92:93], v[62:63], v[66:67], -v[92:93]
	v_fma_f64 v[94:95], v[64:65], v[66:67], v[94:95]
	v_fma_f64 v[62:63], v[62:63], v[70:71], -v[96:97]
	v_fma_f64 v[64:65], v[64:65], v[70:71], v[98:99]
	;; [unrolled: 2-line block ×4, first 2 shown]
	v_mul_f64_e32 v[98:99], v[20:21], v[30:31]
	v_mul_f64_e32 v[100:101], v[34:35], v[26:27]
	v_add_f64_e32 v[2:3], v[2:3], v[104:105]
	v_add_f64_e32 v[72:73], v[106:107], v[88:89]
	;; [unrolled: 1-line block ×8, first 2 shown]
	v_mul_f64_e32 v[86:87], v[22:23], v[26:27]
	v_mul_f64_e32 v[88:89], v[20:21], v[26:27]
	;; [unrolled: 1-line block ×6, first 2 shown]
	v_fma_f64 v[102:103], v[46:47], v[50:51], -v[102:103]
	v_fma_f64 v[106:107], v[48:49], v[50:51], v[110:111]
	v_fma_f64 v[46:47], v[46:47], v[54:55], -v[112:113]
	v_fma_f64 v[48:49], v[48:49], v[54:55], v[114:115]
	;; [unrolled: 2-line block ×4, first 2 shown]
	v_add_f64_e32 v[2:3], v[2:3], v[92:93]
	v_add_f64_e32 v[56:57], v[94:95], v[72:73]
	;; [unrolled: 1-line block ×8, first 2 shown]
	v_fma_f64 v[70:71], v[20:21], v[24:25], -v[86:87]
	v_fma_f64 v[72:73], v[22:23], v[24:25], v[88:89]
	v_fma_f64 v[20:21], v[20:21], v[28:29], -v[90:91]
	v_fma_f64 v[22:23], v[22:23], v[28:29], v[98:99]
	v_fma_f64 v[74:75], v[32:33], v[24:25], -v[100:101]
	v_fma_f64 v[26:27], v[34:35], v[24:25], v[26:27]
	v_fma_f64 v[76:77], v[32:33], v[28:29], -v[104:105]
	v_fma_f64 v[78:79], v[34:35], v[28:29], v[30:31]
	v_add_f64_e32 v[2:3], v[2:3], v[102:103]
	v_add_f64_e32 v[24:25], v[106:107], v[56:57]
	;; [unrolled: 1-line block ×16, first 2 shown]
	s_wait_alu 0xfffe
	s_cbranch_vccz .LBB570_21
.LBB570_10:                             ;   Parent Loop BB570_7 Depth=1
                                        ; =>  This Inner Loop Header: Depth=2
	s_mov_b32 s19, 0
	s_mov_b32 s25, s22
	s_and_saveexec_b32 s24, s0
	s_cbranch_execnz .LBB570_18
; %bb.11:                               ;   in Loop: Header=BB570_10 Depth=2
	s_or_b32 exec_lo, exec_lo, s24
	s_and_saveexec_b32 s24, s25
	s_delay_alu instid0(SALU_CYCLE_1)
	s_xor_b32 s24, exec_lo, s24
	s_cbranch_execnz .LBB570_19
.LBB570_12:                             ;   in Loop: Header=BB570_10 Depth=2
	s_or_b32 exec_lo, exec_lo, s24
	s_and_saveexec_b32 s24, s19
	s_cbranch_execz .LBB570_14
.LBB570_13:                             ;   in Loop: Header=BB570_10 Depth=2
	v_lshlrev_b64_e32 v[2:3], 4, v[18:19]
	s_delay_alu instid0(VALU_DEP_1) | instskip(SKIP_1) | instid1(VALU_DEP_2)
	v_add_co_u32 v2, vcc_lo, v42, v2
	s_wait_alu 0xfffd
	v_add_co_ci_u32_e64 v3, null, v43, v3, vcc_lo
	flat_load_b128 v[46:49], v[2:3]
	s_wait_loadcnt_dscnt 0x0
	ds_store_2addr_b64 v38, v[46:47], v[48:49] offset1:1
.LBB570_14:                             ;   in Loop: Header=BB570_10 Depth=2
	s_or_b32 exec_lo, exec_lo, s24
	s_wait_alu 0xfffe
	v_add_nc_u32_e32 v0, s16, v36
	s_delay_alu instid0(VALU_DEP_1) | instskip(SKIP_1) | instid1(SALU_CYCLE_1)
	v_cmp_le_u64_e32 vcc_lo, s[8:9], v[0:1]
	s_or_b32 s19, vcc_lo, s18
	s_and_saveexec_b32 s24, s19
	s_delay_alu instid0(SALU_CYCLE_1)
	s_xor_b32 s19, exec_lo, s24
; %bb.15:                               ;   in Loop: Header=BB570_10 Depth=2
	v_dual_mov_b32 v0, v1 :: v_dual_mov_b32 v3, v1
	v_mov_b32_e32 v2, v1
	ds_store_b128 v39, v[0:3]
; %bb.16:                               ;   in Loop: Header=BB570_10 Depth=2
	s_and_not1_saveexec_b32 s19, s19
	s_cbranch_execz .LBB570_9
; %bb.17:                               ;   in Loop: Header=BB570_10 Depth=2
	v_lshlrev_b64_e32 v[2:3], 4, v[0:1]
	s_delay_alu instid0(VALU_DEP_1) | instskip(SKIP_1) | instid1(VALU_DEP_2)
	v_add_co_u32 v2, vcc_lo, v44, v2
	s_wait_alu 0xfffd
	v_add_co_ci_u32_e64 v3, null, v45, v3, vcc_lo
	flat_load_b128 v[46:49], v[2:3]
	s_wait_loadcnt_dscnt 0x0
	ds_store_2addr_b64 v39, v[46:47], v[48:49] offset1:1
	s_branch .LBB570_9
.LBB570_18:                             ;   in Loop: Header=BB570_10 Depth=2
	s_wait_alu 0xfffe
	v_add_nc_u32_e32 v0, s16, v37
	v_mov_b32_e32 v19, v1
	s_and_not1_b32 s25, s22, exec_lo
	s_mov_b32 s19, exec_lo
	s_delay_alu instid0(VALU_DEP_2) | instskip(SKIP_2) | instid1(SALU_CYCLE_1)
	v_cmp_le_u64_e32 vcc_lo, s[8:9], v[0:1]
	v_mov_b32_e32 v18, v0
	s_and_b32 s40, vcc_lo, exec_lo
	s_or_b32 s25, s25, s40
	s_or_b32 exec_lo, exec_lo, s24
	s_and_saveexec_b32 s24, s25
	s_delay_alu instid0(SALU_CYCLE_1)
	s_xor_b32 s24, exec_lo, s24
	s_cbranch_execz .LBB570_12
.LBB570_19:                             ;   in Loop: Header=BB570_10 Depth=2
	v_dual_mov_b32 v0, v1 :: v_dual_mov_b32 v3, v1
	v_mov_b32_e32 v2, v1
	s_and_not1_b32 s19, s19, exec_lo
	ds_store_b128 v38, v[0:3]
	s_or_b32 exec_lo, exec_lo, s24
	s_and_saveexec_b32 s24, s19
	s_cbranch_execnz .LBB570_13
	s_branch .LBB570_14
.LBB570_20:                             ;   in Loop: Header=BB570_7 Depth=1
	v_mov_b32_e32 v34, 0
	v_mov_b32_e32 v30, 0
	v_dual_mov_b32 v26, 0 :: v_dual_mov_b32 v35, 0
	v_dual_mov_b32 v28, 0 :: v_dual_mov_b32 v31, 0
	v_dual_mov_b32 v24, 0 :: v_dual_mov_b32 v27, 0
	v_mov_b32_e32 v22, 0
	v_dual_mov_b32 v20, 0 :: v_dual_mov_b32 v29, 0
	v_mov_b32_e32 v25, 0
	v_mov_b32_e32 v23, 0
	v_mov_b32_e32 v21, 0
.LBB570_21:                             ;   in Loop: Header=BB570_7 Depth=1
	s_wait_loadcnt 0x0
	v_add_co_u32 v0, vcc_lo, v4, s6
	s_wait_alu 0xfffd
	v_add_co_ci_u32_e64 v42, null, s7, v5, vcc_lo
	s_delay_alu instid0(VALU_DEP_2) | instskip(SKIP_1) | instid1(VALU_DEP_2)
	v_add_co_u32 v43, vcc_lo, v0, v14
	s_wait_alu 0xfffd
	v_add_co_ci_u32_e64 v44, null, v42, v15, vcc_lo
	s_and_saveexec_b32 s16, s36
	s_cbranch_execz .LBB570_26
; %bb.22:                               ;   in Loop: Header=BB570_7 Depth=1
	v_mul_f64_e32 v[2:3], s[12:13], v[34:35]
	v_mul_f64_e32 v[4:5], s[10:11], v[34:35]
	s_and_b32 vcc_lo, exec_lo, s23
	s_mov_b32 s17, -1
	s_delay_alu instid0(VALU_DEP_2) | instskip(NEXT) | instid1(VALU_DEP_2)
	v_fma_f64 v[2:3], s[10:11], v[32:33], -v[2:3]
	v_fma_f64 v[4:5], s[12:13], v[32:33], v[4:5]
	s_wait_alu 0xfffe
	s_cbranch_vccz .LBB570_24
; %bb.23:                               ;   in Loop: Header=BB570_7 Depth=1
	v_lshlrev_b64_e32 v[32:33], 4, v[6:7]
	s_mov_b32 s17, 0
	s_delay_alu instid0(VALU_DEP_1) | instskip(SKIP_1) | instid1(VALU_DEP_2)
	v_add_co_u32 v45, vcc_lo, v43, v32
	s_wait_alu 0xfffd
	v_add_co_ci_u32_e64 v46, null, v44, v33, vcc_lo
	flat_load_b128 v[32:35], v[45:46]
	s_wait_loadcnt_dscnt 0x0
	v_mul_f64_e32 v[47:48], s[28:29], v[34:35]
	v_mul_f64_e32 v[34:35], s[26:27], v[34:35]
	s_delay_alu instid0(VALU_DEP_2) | instskip(NEXT) | instid1(VALU_DEP_2)
	v_fma_f64 v[47:48], s[26:27], v[32:33], -v[47:48]
	v_fma_f64 v[34:35], s[28:29], v[32:33], v[34:35]
	s_delay_alu instid0(VALU_DEP_2) | instskip(NEXT) | instid1(VALU_DEP_2)
	v_add_f64_e32 v[32:33], v[2:3], v[47:48]
	v_add_f64_e32 v[34:35], v[4:5], v[34:35]
	flat_store_b128 v[45:46], v[32:35]
.LBB570_24:                             ;   in Loop: Header=BB570_7 Depth=1
	s_wait_alu 0xfffe
	s_and_not1_b32 vcc_lo, exec_lo, s17
	s_wait_alu 0xfffe
	s_cbranch_vccnz .LBB570_26
; %bb.25:                               ;   in Loop: Header=BB570_7 Depth=1
	v_lshlrev_b64_e32 v[32:33], 4, v[6:7]
	s_delay_alu instid0(VALU_DEP_1) | instskip(SKIP_1) | instid1(VALU_DEP_2)
	v_add_co_u32 v32, vcc_lo, v43, v32
	s_wait_alu 0xfffd
	v_add_co_ci_u32_e64 v33, null, v44, v33, vcc_lo
	flat_store_b128 v[32:33], v[2:5]
.LBB570_26:                             ;   in Loop: Header=BB570_7 Depth=1
	s_wait_alu 0xfffe
	s_or_b32 exec_lo, exec_lo, s16
	s_and_saveexec_b32 s16, s37
	s_cbranch_execz .LBB570_31
; %bb.27:                               ;   in Loop: Header=BB570_7 Depth=1
	v_mul_f64_e32 v[2:3], s[12:13], v[30:31]
	v_mul_f64_e32 v[4:5], s[10:11], v[30:31]
	s_and_not1_b32 vcc_lo, exec_lo, s23
	s_mov_b32 s17, -1
	s_delay_alu instid0(VALU_DEP_2) | instskip(NEXT) | instid1(VALU_DEP_2)
	v_fma_f64 v[2:3], s[10:11], v[28:29], -v[2:3]
	v_fma_f64 v[4:5], s[12:13], v[28:29], v[4:5]
	s_wait_alu 0xfffe
	s_cbranch_vccnz .LBB570_29
; %bb.28:                               ;   in Loop: Header=BB570_7 Depth=1
	v_lshlrev_b64_e32 v[28:29], 4, v[8:9]
	s_mov_b32 s17, 0
	s_delay_alu instid0(VALU_DEP_1) | instskip(SKIP_1) | instid1(VALU_DEP_2)
	v_add_co_u32 v32, vcc_lo, v43, v28
	s_wait_alu 0xfffd
	v_add_co_ci_u32_e64 v33, null, v44, v29, vcc_lo
	flat_load_b128 v[28:31], v[32:33]
	s_wait_loadcnt_dscnt 0x0
	v_mul_f64_e32 v[34:35], s[28:29], v[30:31]
	v_mul_f64_e32 v[30:31], s[26:27], v[30:31]
	s_delay_alu instid0(VALU_DEP_2) | instskip(NEXT) | instid1(VALU_DEP_2)
	v_fma_f64 v[34:35], s[26:27], v[28:29], -v[34:35]
	v_fma_f64 v[30:31], s[28:29], v[28:29], v[30:31]
	s_delay_alu instid0(VALU_DEP_2) | instskip(NEXT) | instid1(VALU_DEP_2)
	v_add_f64_e32 v[28:29], v[2:3], v[34:35]
	v_add_f64_e32 v[30:31], v[4:5], v[30:31]
	flat_store_b128 v[32:33], v[28:31]
.LBB570_29:                             ;   in Loop: Header=BB570_7 Depth=1
	s_wait_alu 0xfffe
	s_and_not1_b32 vcc_lo, exec_lo, s17
	s_wait_alu 0xfffe
	s_cbranch_vccnz .LBB570_31
; %bb.30:                               ;   in Loop: Header=BB570_7 Depth=1
	v_lshlrev_b64_e32 v[28:29], 4, v[8:9]
	s_delay_alu instid0(VALU_DEP_1) | instskip(SKIP_1) | instid1(VALU_DEP_2)
	v_add_co_u32 v28, vcc_lo, v43, v28
	s_wait_alu 0xfffd
	v_add_co_ci_u32_e64 v29, null, v44, v29, vcc_lo
	flat_store_b128 v[28:29], v[2:5]
.LBB570_31:                             ;   in Loop: Header=BB570_7 Depth=1
	s_wait_alu 0xfffe
	s_or_b32 exec_lo, exec_lo, s16
	v_add_co_u32 v0, vcc_lo, v0, v16
	s_wait_alu 0xfffd
	v_add_co_ci_u32_e64 v28, null, v42, v17, vcc_lo
	s_and_saveexec_b32 s16, s1
	s_cbranch_execz .LBB570_36
; %bb.32:                               ;   in Loop: Header=BB570_7 Depth=1
	v_mul_f64_e32 v[2:3], s[12:13], v[26:27]
	v_mul_f64_e32 v[4:5], s[10:11], v[26:27]
	s_and_not1_b32 vcc_lo, exec_lo, s23
	s_mov_b32 s17, -1
	s_delay_alu instid0(VALU_DEP_2) | instskip(NEXT) | instid1(VALU_DEP_2)
	v_fma_f64 v[2:3], s[10:11], v[24:25], -v[2:3]
	v_fma_f64 v[4:5], s[12:13], v[24:25], v[4:5]
	v_lshlrev_b64_e32 v[24:25], 4, v[6:7]
	s_wait_alu 0xfffe
	s_cbranch_vccnz .LBB570_34
; %bb.33:                               ;   in Loop: Header=BB570_7 Depth=1
	s_delay_alu instid0(VALU_DEP_1) | instskip(SKIP_1) | instid1(VALU_DEP_2)
	v_add_co_u32 v26, vcc_lo, v0, v24
	s_wait_alu 0xfffd
	v_add_co_ci_u32_e64 v27, null, v28, v25, vcc_lo
	s_mov_b32 s17, 0
	flat_load_b128 v[29:32], v[26:27]
	s_wait_loadcnt_dscnt 0x0
	v_mul_f64_e32 v[33:34], s[28:29], v[31:32]
	v_mul_f64_e32 v[31:32], s[26:27], v[31:32]
	s_delay_alu instid0(VALU_DEP_2) | instskip(NEXT) | instid1(VALU_DEP_2)
	v_fma_f64 v[33:34], s[26:27], v[29:30], -v[33:34]
	v_fma_f64 v[31:32], s[28:29], v[29:30], v[31:32]
	s_delay_alu instid0(VALU_DEP_2) | instskip(NEXT) | instid1(VALU_DEP_2)
	v_add_f64_e32 v[29:30], v[2:3], v[33:34]
	v_add_f64_e32 v[31:32], v[4:5], v[31:32]
	flat_store_b128 v[26:27], v[29:32]
.LBB570_34:                             ;   in Loop: Header=BB570_7 Depth=1
	s_wait_alu 0xfffe
	s_and_not1_b32 vcc_lo, exec_lo, s17
	s_wait_alu 0xfffe
	s_cbranch_vccnz .LBB570_36
; %bb.35:                               ;   in Loop: Header=BB570_7 Depth=1
	v_add_co_u32 v24, vcc_lo, v0, v24
	s_wait_alu 0xfffd
	v_add_co_ci_u32_e64 v25, null, v28, v25, vcc_lo
	flat_store_b128 v[24:25], v[2:5]
.LBB570_36:                             ;   in Loop: Header=BB570_7 Depth=1
	s_wait_alu 0xfffe
	s_or_b32 exec_lo, exec_lo, s16
	s_and_saveexec_b32 s16, s38
	s_cbranch_execz .LBB570_6
; %bb.37:                               ;   in Loop: Header=BB570_7 Depth=1
	v_mul_f64_e32 v[2:3], s[12:13], v[20:21]
	v_mul_f64_e32 v[4:5], s[10:11], v[20:21]
	v_lshlrev_b64_e32 v[20:21], 4, v[8:9]
	s_and_not1_b32 vcc_lo, exec_lo, s23
	s_mov_b32 s17, -1
	s_delay_alu instid0(VALU_DEP_3) | instskip(NEXT) | instid1(VALU_DEP_3)
	v_fma_f64 v[2:3], s[10:11], v[22:23], -v[2:3]
	v_fma_f64 v[4:5], s[12:13], v[22:23], v[4:5]
	s_wait_alu 0xfffe
	s_cbranch_vccnz .LBB570_39
; %bb.38:                               ;   in Loop: Header=BB570_7 Depth=1
	v_add_co_u32 v26, vcc_lo, v0, v20
	s_wait_alu 0xfffd
	v_add_co_ci_u32_e64 v27, null, v28, v21, vcc_lo
	s_mov_b32 s17, 0
	flat_load_b128 v[22:25], v[26:27]
	s_wait_loadcnt_dscnt 0x0
	v_mul_f64_e32 v[29:30], s[28:29], v[24:25]
	v_mul_f64_e32 v[24:25], s[26:27], v[24:25]
	s_delay_alu instid0(VALU_DEP_2) | instskip(NEXT) | instid1(VALU_DEP_2)
	v_fma_f64 v[29:30], s[26:27], v[22:23], -v[29:30]
	v_fma_f64 v[24:25], s[28:29], v[22:23], v[24:25]
	s_delay_alu instid0(VALU_DEP_2) | instskip(NEXT) | instid1(VALU_DEP_2)
	v_add_f64_e32 v[22:23], v[2:3], v[29:30]
	v_add_f64_e32 v[24:25], v[4:5], v[24:25]
	flat_store_b128 v[26:27], v[22:25]
.LBB570_39:                             ;   in Loop: Header=BB570_7 Depth=1
	s_wait_alu 0xfffe
	s_and_not1_b32 vcc_lo, exec_lo, s17
	s_wait_alu 0xfffe
	s_cbranch_vccnz .LBB570_6
; %bb.40:                               ;   in Loop: Header=BB570_7 Depth=1
	v_add_co_u32 v20, vcc_lo, v0, v20
	s_wait_alu 0xfffd
	v_add_co_ci_u32_e64 v21, null, v28, v21, vcc_lo
	flat_store_b128 v[20:21], v[2:5]
	s_branch .LBB570_6
.LBB570_41:
.LBB570_42:
	s_nop 0
	s_sendmsg sendmsg(MSG_DEALLOC_VGPRS)
	s_endpgm
	.section	.rodata,"a",@progbits
	.p2align	6, 0x0
	.amdhsa_kernel _ZL29rocblas_internal_gemmt_kernelIlLi16ELi32ELi8ELc84ELc78ELc76ELb0ELb0E19rocblas_complex_numIdES1_PKPKS1_PKPS1_EviT_T9_T10_S9_lSB_S9_lSA_T11_S9_li
		.amdhsa_group_segment_fixed_size 8192
		.amdhsa_private_segment_fixed_size 0
		.amdhsa_kernarg_size 124
		.amdhsa_user_sgpr_count 2
		.amdhsa_user_sgpr_dispatch_ptr 0
		.amdhsa_user_sgpr_queue_ptr 0
		.amdhsa_user_sgpr_kernarg_segment_ptr 1
		.amdhsa_user_sgpr_dispatch_id 0
		.amdhsa_user_sgpr_private_segment_size 0
		.amdhsa_wavefront_size32 1
		.amdhsa_uses_dynamic_stack 0
		.amdhsa_enable_private_segment 0
		.amdhsa_system_sgpr_workgroup_id_x 1
		.amdhsa_system_sgpr_workgroup_id_y 1
		.amdhsa_system_sgpr_workgroup_id_z 1
		.amdhsa_system_sgpr_workgroup_info 0
		.amdhsa_system_vgpr_workitem_id 1
		.amdhsa_next_free_vgpr 136
		.amdhsa_next_free_sgpr 41
		.amdhsa_reserve_vcc 1
		.amdhsa_float_round_mode_32 0
		.amdhsa_float_round_mode_16_64 0
		.amdhsa_float_denorm_mode_32 3
		.amdhsa_float_denorm_mode_16_64 3
		.amdhsa_fp16_overflow 0
		.amdhsa_workgroup_processor_mode 1
		.amdhsa_memory_ordered 1
		.amdhsa_forward_progress 1
		.amdhsa_inst_pref_size 29
		.amdhsa_round_robin_scheduling 0
		.amdhsa_exception_fp_ieee_invalid_op 0
		.amdhsa_exception_fp_denorm_src 0
		.amdhsa_exception_fp_ieee_div_zero 0
		.amdhsa_exception_fp_ieee_overflow 0
		.amdhsa_exception_fp_ieee_underflow 0
		.amdhsa_exception_fp_ieee_inexact 0
		.amdhsa_exception_int_div_zero 0
	.end_amdhsa_kernel
	.section	.text._ZL29rocblas_internal_gemmt_kernelIlLi16ELi32ELi8ELc84ELc78ELc76ELb0ELb0E19rocblas_complex_numIdES1_PKPKS1_PKPS1_EviT_T9_T10_S9_lSB_S9_lSA_T11_S9_li,"axG",@progbits,_ZL29rocblas_internal_gemmt_kernelIlLi16ELi32ELi8ELc84ELc78ELc76ELb0ELb0E19rocblas_complex_numIdES1_PKPKS1_PKPS1_EviT_T9_T10_S9_lSB_S9_lSA_T11_S9_li,comdat
.Lfunc_end570:
	.size	_ZL29rocblas_internal_gemmt_kernelIlLi16ELi32ELi8ELc84ELc78ELc76ELb0ELb0E19rocblas_complex_numIdES1_PKPKS1_PKPS1_EviT_T9_T10_S9_lSB_S9_lSA_T11_S9_li, .Lfunc_end570-_ZL29rocblas_internal_gemmt_kernelIlLi16ELi32ELi8ELc84ELc78ELc76ELb0ELb0E19rocblas_complex_numIdES1_PKPKS1_PKPS1_EviT_T9_T10_S9_lSB_S9_lSA_T11_S9_li
                                        ; -- End function
	.set _ZL29rocblas_internal_gemmt_kernelIlLi16ELi32ELi8ELc84ELc78ELc76ELb0ELb0E19rocblas_complex_numIdES1_PKPKS1_PKPS1_EviT_T9_T10_S9_lSB_S9_lSA_T11_S9_li.num_vgpr, 136
	.set _ZL29rocblas_internal_gemmt_kernelIlLi16ELi32ELi8ELc84ELc78ELc76ELb0ELb0E19rocblas_complex_numIdES1_PKPKS1_PKPS1_EviT_T9_T10_S9_lSB_S9_lSA_T11_S9_li.num_agpr, 0
	.set _ZL29rocblas_internal_gemmt_kernelIlLi16ELi32ELi8ELc84ELc78ELc76ELb0ELb0E19rocblas_complex_numIdES1_PKPKS1_PKPS1_EviT_T9_T10_S9_lSB_S9_lSA_T11_S9_li.numbered_sgpr, 41
	.set _ZL29rocblas_internal_gemmt_kernelIlLi16ELi32ELi8ELc84ELc78ELc76ELb0ELb0E19rocblas_complex_numIdES1_PKPKS1_PKPS1_EviT_T9_T10_S9_lSB_S9_lSA_T11_S9_li.num_named_barrier, 0
	.set _ZL29rocblas_internal_gemmt_kernelIlLi16ELi32ELi8ELc84ELc78ELc76ELb0ELb0E19rocblas_complex_numIdES1_PKPKS1_PKPS1_EviT_T9_T10_S9_lSB_S9_lSA_T11_S9_li.private_seg_size, 0
	.set _ZL29rocblas_internal_gemmt_kernelIlLi16ELi32ELi8ELc84ELc78ELc76ELb0ELb0E19rocblas_complex_numIdES1_PKPKS1_PKPS1_EviT_T9_T10_S9_lSB_S9_lSA_T11_S9_li.uses_vcc, 1
	.set _ZL29rocblas_internal_gemmt_kernelIlLi16ELi32ELi8ELc84ELc78ELc76ELb0ELb0E19rocblas_complex_numIdES1_PKPKS1_PKPS1_EviT_T9_T10_S9_lSB_S9_lSA_T11_S9_li.uses_flat_scratch, 0
	.set _ZL29rocblas_internal_gemmt_kernelIlLi16ELi32ELi8ELc84ELc78ELc76ELb0ELb0E19rocblas_complex_numIdES1_PKPKS1_PKPS1_EviT_T9_T10_S9_lSB_S9_lSA_T11_S9_li.has_dyn_sized_stack, 0
	.set _ZL29rocblas_internal_gemmt_kernelIlLi16ELi32ELi8ELc84ELc78ELc76ELb0ELb0E19rocblas_complex_numIdES1_PKPKS1_PKPS1_EviT_T9_T10_S9_lSB_S9_lSA_T11_S9_li.has_recursion, 0
	.set _ZL29rocblas_internal_gemmt_kernelIlLi16ELi32ELi8ELc84ELc78ELc76ELb0ELb0E19rocblas_complex_numIdES1_PKPKS1_PKPS1_EviT_T9_T10_S9_lSB_S9_lSA_T11_S9_li.has_indirect_call, 0
	.section	.AMDGPU.csdata,"",@progbits
; Kernel info:
; codeLenInByte = 3592
; TotalNumSgprs: 43
; NumVgprs: 136
; ScratchSize: 0
; MemoryBound: 0
; FloatMode: 240
; IeeeMode: 1
; LDSByteSize: 8192 bytes/workgroup (compile time only)
; SGPRBlocks: 0
; VGPRBlocks: 16
; NumSGPRsForWavesPerEU: 43
; NumVGPRsForWavesPerEU: 136
; Occupancy: 10
; WaveLimiterHint : 1
; COMPUTE_PGM_RSRC2:SCRATCH_EN: 0
; COMPUTE_PGM_RSRC2:USER_SGPR: 2
; COMPUTE_PGM_RSRC2:TRAP_HANDLER: 0
; COMPUTE_PGM_RSRC2:TGID_X_EN: 1
; COMPUTE_PGM_RSRC2:TGID_Y_EN: 1
; COMPUTE_PGM_RSRC2:TGID_Z_EN: 1
; COMPUTE_PGM_RSRC2:TIDIG_COMP_CNT: 1
	.section	.text._ZL29rocblas_internal_gemmt_kernelIlLi16ELi32ELi8ELc84ELc84ELc76ELb0ELb0E19rocblas_complex_numIdES1_PKPKS1_PKPS1_EviT_T9_T10_S9_lSB_S9_lSA_T11_S9_li,"axG",@progbits,_ZL29rocblas_internal_gemmt_kernelIlLi16ELi32ELi8ELc84ELc84ELc76ELb0ELb0E19rocblas_complex_numIdES1_PKPKS1_PKPS1_EviT_T9_T10_S9_lSB_S9_lSA_T11_S9_li,comdat
	.globl	_ZL29rocblas_internal_gemmt_kernelIlLi16ELi32ELi8ELc84ELc84ELc76ELb0ELb0E19rocblas_complex_numIdES1_PKPKS1_PKPS1_EviT_T9_T10_S9_lSB_S9_lSA_T11_S9_li ; -- Begin function _ZL29rocblas_internal_gemmt_kernelIlLi16ELi32ELi8ELc84ELc84ELc76ELb0ELb0E19rocblas_complex_numIdES1_PKPKS1_PKPS1_EviT_T9_T10_S9_lSB_S9_lSA_T11_S9_li
	.p2align	8
	.type	_ZL29rocblas_internal_gemmt_kernelIlLi16ELi32ELi8ELc84ELc84ELc76ELb0ELb0E19rocblas_complex_numIdES1_PKPKS1_PKPS1_EviT_T9_T10_S9_lSB_S9_lSA_T11_S9_li,@function
_ZL29rocblas_internal_gemmt_kernelIlLi16ELi32ELi8ELc84ELc84ELc76ELb0ELb0E19rocblas_complex_numIdES1_PKPKS1_PKPS1_EviT_T9_T10_S9_lSB_S9_lSA_T11_S9_li: ; @_ZL29rocblas_internal_gemmt_kernelIlLi16ELi32ELi8ELc84ELc84ELc76ELb0ELb0E19rocblas_complex_numIdES1_PKPKS1_PKPS1_EviT_T9_T10_S9_lSB_S9_lSA_T11_S9_li
; %bb.0:
	s_clause 0x1
	s_load_b256 s[24:31], s[0:1], 0x48
	s_load_b512 s[8:23], s[0:1], 0x8
	s_wait_kmcnt 0x0
	v_cmp_eq_f64_e64 s3, s[26:27], 1.0
	v_cmp_eq_f64_e64 s2, s[28:29], 0
	s_and_b32 s3, s3, s2
	s_delay_alu instid0(SALU_CYCLE_1)
	s_and_not1_b32 vcc_lo, exec_lo, s3
	s_mov_b32 s3, -1
	s_cbranch_vccnz .LBB571_3
; %bb.1:
	s_cmp_lg_u64 s[8:9], 0
	s_cbranch_scc0 .LBB571_41
; %bb.2:
	v_cmp_neq_f64_e64 s3, s[10:11], 0
	v_cmp_neq_f64_e64 s4, s[12:13], 0
	s_or_b32 s3, s3, s4
.LBB571_3:
	s_delay_alu instid0(SALU_CYCLE_1)
	s_and_b32 vcc_lo, exec_lo, s3
	s_cbranch_vccz .LBB571_42
; %bb.4:
	s_load_b32 s33, s[0:1], 0x78
	s_lshr_b32 s34, ttmp7, 16
	s_wait_kmcnt 0x0
	s_cmp_ge_u32 s34, s33
	s_cbranch_scc1 .LBB571_42
; %bb.5:
	v_cmp_neq_f64_e64 s3, s[10:11], 0
	v_cmp_neq_f64_e64 s35, s[12:13], 0
	s_clause 0x1
	s_load_b128 s[4:7], s[0:1], 0x68
	s_load_b32 s38, s[0:1], 0x0
	v_cmp_neq_f64_e64 s37, s[26:27], 0
	v_and_b32_e32 v9, 0x3ff, v0
	v_bfe_u32 v10, v0, 10, 10
	v_dual_mov_b32 v1, 0 :: v_dual_and_b32 v34, 7, v0
	s_lshl_b32 s0, ttmp7, 5
	s_lshl_b32 s1, ttmp9, 5
	s_delay_alu instid0(VALU_DEP_2)
	v_lshl_add_u32 v0, v10, 4, v9
	s_and_b32 s0, s0, 0x1fffe0
	v_lshlrev_b32_e32 v7, 4, v34
	v_add_nc_u32_e32 v11, s0, v10
	s_ashr_i32 s36, s1, 31
	v_and_b32_e32 v2, 31, v0
	v_lshrrev_b32_e32 v6, 3, v0
	v_lshrrev_b32_e32 v35, 5, v0
	v_add_nc_u32_e32 v12, 16, v11
	s_mul_i32 s39, s16, s36
	v_or_b32_e32 v8, s1, v2
	v_lshlrev_b32_e32 v0, 4, v2
	s_wait_kmcnt 0x0
	v_mad_co_u64_u32 v[2:3], null, s4, v11, 0
	v_add_nc_u32_e32 v16, s0, v6
	v_lshl_or_b32 v6, v6, 7, v7
	v_mad_co_u64_u32 v[14:15], null, s4, v12, 0
	v_lshl_or_b32 v36, v35, 9, v0
	v_mul_lo_u32 v13, s17, v8
	s_delay_alu instid0(VALU_DEP_4)
	v_dual_mov_b32 v0, v3 :: v_dual_add_nc_u32 v37, 0x1000, v6
	v_add_nc_u32_e32 v6, s1, v9
	v_mad_co_u64_u32 v[4:5], null, s16, v8, 0
	v_cmp_gt_i32_e64 s0, s38, v8
	v_cmp_le_i32_e64 s36, s38, v8
	v_mad_co_u64_u32 v[7:8], null, s5, v11, v[0:1]
	v_add_nc_u32_e32 v8, 16, v6
	v_mov_b32_e32 v0, v15
	s_xor_b32 s1, s2, -1
	s_or_b32 s16, s3, s35
	v_lshl_add_u32 v39, v10, 7, 0x1000
	s_wait_alu 0xfffe
	s_or_b32 s37, s37, s1
	v_cmp_le_i32_e64 s1, v11, v6
	v_cmp_le_i32_e64 s3, v11, v8
	v_mad_co_u64_u32 v[10:11], null, s5, v12, v[0:1]
	v_cmp_gt_i32_e64 s2, s38, v6
	v_add3_u32 v5, v5, s39, v13
	v_mov_b32_e32 v3, v7
	v_cmp_gt_i64_e64 s41, s[8:9], 0
	v_cmp_gt_i32_e32 vcc_lo, s38, v16
	v_cmp_gt_i32_e64 s4, s38, v8
	v_mov_b32_e32 v15, v10
	s_and_b32 s38, s1, s2
	v_cmp_le_i32_e64 s1, v12, v6
	v_cmp_le_i32_e64 s5, v12, v8
	v_lshlrev_b64_e32 v[10:11], 4, v[4:5]
	v_lshlrev_b64_e32 v[12:13], 4, v[2:3]
	v_lshlrev_b64_e32 v[14:15], 4, v[14:15]
	v_lshlrev_b32_e32 v38, 4, v9
	v_ashrrev_i32_e32 v7, 31, v6
	v_ashrrev_i32_e32 v9, 31, v8
	v_lshlrev_b32_e32 v40, 4, v16
	s_and_b32 s39, s3, s4
	s_and_b32 s1, s1, s2
	;; [unrolled: 1-line block ×3, first 2 shown]
	s_mov_b32 s35, 0
	s_and_b32 s41, s16, s41
	s_lshl_b64 s[2:3], s[24:25], 4
	s_lshl_b64 s[4:5], s[18:19], 4
	s_xor_b32 s18, vcc_lo, -1
	s_lshl_b64 s[6:7], s[6:7], 4
                                        ; implicit-def: $vgpr16_vgpr17
	s_branch .LBB571_7
.LBB571_6:                              ;   in Loop: Header=BB571_7 Depth=1
	s_wait_alu 0xfffe
	s_or_b32 exec_lo, exec_lo, s16
	s_add_co_i32 s34, s34, 0x10000
	s_delay_alu instid0(SALU_CYCLE_1)
	s_cmp_lt_u32 s34, s33
	s_cbranch_scc0 .LBB571_42
.LBB571_7:                              ; =>This Loop Header: Depth=1
                                        ;     Child Loop BB571_10 Depth 2
	s_lshl_b64 s[16:17], s[34:35], 3
	v_mov_b32_e32 v30, 0
	s_wait_alu 0xfffe
	s_add_nc_u64 s[24:25], s[30:31], s[16:17]
	v_mov_b32_e32 v31, 0
	global_load_b64 v[4:5], v1, s[24:25]
	s_and_not1_b32 vcc_lo, exec_lo, s41
	s_wait_alu 0xfffe
	s_cbranch_vccnz .LBB571_20
; %bb.8:                                ;   in Loop: Header=BB571_7 Depth=1
	s_add_nc_u64 s[24:25], s[14:15], s[16:17]
	s_add_nc_u64 s[16:17], s[20:21], s[16:17]
	s_clause 0x1
	global_load_b64 v[2:3], v1, s[24:25]
	global_load_b64 v[41:42], v1, s[16:17]
	v_mov_b32_e32 v18, 0
	v_mov_b32_e32 v24, 0
	;; [unrolled: 1-line block ×3, first 2 shown]
	v_dual_mov_b32 v32, 0 :: v_dual_mov_b32 v19, 0
	v_dual_mov_b32 v20, 0 :: v_dual_mov_b32 v25, 0
	;; [unrolled: 1-line block ×5, first 2 shown]
	v_mov_b32_e32 v23, 0
	v_mov_b32_e32 v27, 0
	;; [unrolled: 1-line block ×3, first 2 shown]
	s_mov_b64 s[16:17], 0
	s_wait_loadcnt 0x1
	v_add_co_u32 v0, vcc_lo, v2, s4
	s_wait_alu 0xfffd
	v_add_co_ci_u32_e64 v2, null, s5, v3, vcc_lo
	s_wait_loadcnt 0x0
	v_add_co_u32 v3, vcc_lo, v41, s2
	s_wait_alu 0xfffd
	v_add_co_ci_u32_e64 v44, null, s3, v42, vcc_lo
	v_add_co_u32 v41, vcc_lo, v0, v10
	s_wait_alu 0xfffd
	v_add_co_ci_u32_e64 v42, null, v2, v11, vcc_lo
	;; [unrolled: 3-line block ×3, first 2 shown]
	s_branch .LBB571_10
.LBB571_9:                              ;   in Loop: Header=BB571_10 Depth=2
	s_or_b32 exec_lo, exec_lo, s19
	s_wait_dscnt 0x0
	s_barrier_signal -1
	s_barrier_wait -1
	global_inv scope:SCOPE_SE
	ds_load_b128 v[45:48], v39
	ds_load_b128 v[49:52], v38
	ds_load_b128 v[53:56], v38 offset:256
	ds_load_b128 v[57:60], v39 offset:2048
	;; [unrolled: 1-line block ×10, first 2 shown]
	s_add_nc_u64 s[16:17], s[16:17], 8
	s_wait_alu 0xfffe
	v_cmp_gt_i64_e64 s19, s[8:9], s[16:17]
	s_and_b32 vcc_lo, exec_lo, s19
	s_wait_dscnt 0xa
	v_mul_f64_e32 v[2:3], v[47:48], v[51:52]
	v_mul_f64_e32 v[93:94], v[45:46], v[51:52]
	s_wait_dscnt 0x9
	v_mul_f64_e32 v[95:96], v[47:48], v[55:56]
	v_mul_f64_e32 v[97:98], v[45:46], v[55:56]
	s_wait_dscnt 0x8
	v_mul_f64_e32 v[99:100], v[59:60], v[51:52]
	v_mul_f64_e32 v[51:52], v[57:58], v[51:52]
	v_mul_f64_e32 v[101:102], v[59:60], v[55:56]
	v_mul_f64_e32 v[55:56], v[57:58], v[55:56]
	s_wait_dscnt 0x5
	v_mul_f64_e32 v[103:104], v[63:64], v[71:72]
	v_mul_f64_e32 v[105:106], v[61:62], v[71:72]
	s_wait_dscnt 0x4
	v_mul_f64_e32 v[107:108], v[63:64], v[75:76]
	v_mul_f64_e32 v[109:110], v[61:62], v[75:76]
	;; [unrolled: 1-line block ×6, first 2 shown]
	s_wait_dscnt 0x2
	v_mul_f64_e32 v[119:120], v[79:80], v[83:84]
	v_mul_f64_e32 v[121:122], v[77:78], v[83:84]
	s_wait_dscnt 0x1
	v_mul_f64_e32 v[123:124], v[79:80], v[87:88]
	v_mul_f64_e32 v[125:126], v[77:78], v[87:88]
	;; [unrolled: 3-line block ×3, first 2 shown]
	v_mul_f64_e32 v[129:130], v[91:92], v[87:88]
	v_mul_f64_e32 v[87:88], v[89:90], v[87:88]
	v_fma_f64 v[2:3], v[45:46], v[49:50], -v[2:3]
	v_fma_f64 v[93:94], v[47:48], v[49:50], v[93:94]
	v_fma_f64 v[95:96], v[45:46], v[53:54], -v[95:96]
	v_fma_f64 v[97:98], v[47:48], v[53:54], v[97:98]
	;; [unrolled: 2-line block ×8, first 2 shown]
	ds_load_b128 v[45:48], v39 offset:48
	ds_load_b128 v[49:52], v38 offset:1536
	;; [unrolled: 1-line block ×4, first 2 shown]
	v_fma_f64 v[119:120], v[77:78], v[81:82], -v[119:120]
	v_fma_f64 v[121:122], v[79:80], v[81:82], v[121:122]
	v_fma_f64 v[77:78], v[77:78], v[85:86], -v[123:124]
	v_fma_f64 v[79:80], v[79:80], v[85:86], v[125:126]
	;; [unrolled: 2-line block ×4, first 2 shown]
	s_wait_dscnt 0x2
	v_mul_f64_e32 v[109:110], v[45:46], v[51:52]
	s_wait_dscnt 0x1
	v_mul_f64_e32 v[111:112], v[47:48], v[55:56]
	v_mul_f64_e32 v[113:114], v[45:46], v[55:56]
	v_add_f64_e32 v[2:3], v[30:31], v[2:3]
	v_add_f64_e32 v[71:72], v[93:94], v[32:33]
	;; [unrolled: 1-line block ×8, first 2 shown]
	v_mul_f64_e32 v[101:102], v[47:48], v[51:52]
	s_wait_dscnt 0x0
	v_mul_f64_e32 v[115:116], v[59:60], v[51:52]
	v_mul_f64_e32 v[51:52], v[57:58], v[51:52]
	;; [unrolled: 1-line block ×4, first 2 shown]
	ds_load_b128 v[18:21], v39 offset:64
	ds_load_b128 v[22:25], v38 offset:2048
	;; [unrolled: 1-line block ×4, first 2 shown]
	s_wait_dscnt 0x1
	v_mul_f64_e32 v[125:126], v[18:19], v[28:29]
	s_wait_dscnt 0x0
	v_mul_f64_e32 v[127:128], v[32:33], v[24:25]
	v_mul_f64_e32 v[129:130], v[32:33], v[28:29]
	v_fma_f64 v[109:110], v[47:48], v[49:50], v[109:110]
	v_fma_f64 v[111:112], v[45:46], v[53:54], -v[111:112]
	v_fma_f64 v[113:114], v[47:48], v[53:54], v[113:114]
	v_add_f64_e32 v[2:3], v[2:3], v[103:104]
	v_add_f64_e32 v[87:88], v[105:106], v[71:72]
	;; [unrolled: 1-line block ×8, first 2 shown]
	v_mul_f64_e32 v[103:104], v[20:21], v[24:25]
	v_mul_f64_e32 v[105:106], v[18:19], v[24:25]
	v_mul_f64_e32 v[107:108], v[20:21], v[28:29]
	v_mul_f64_e32 v[24:25], v[30:31], v[24:25]
	v_mul_f64_e32 v[28:29], v[30:31], v[28:29]
	v_fma_f64 v[101:102], v[45:46], v[49:50], -v[101:102]
	v_fma_f64 v[115:116], v[57:58], v[49:50], -v[115:116]
	v_fma_f64 v[131:132], v[59:60], v[49:50], v[51:52]
	v_fma_f64 v[117:118], v[57:58], v[53:54], -v[117:118]
	v_fma_f64 v[133:134], v[59:60], v[53:54], v[55:56]
	ds_load_b128 v[61:64], v39 offset:80
	ds_load_b128 v[65:68], v38 offset:2560
	;; [unrolled: 1-line block ×8, first 2 shown]
	v_add_f64_e32 v[2:3], v[2:3], v[119:120]
	v_add_f64_e32 v[87:88], v[121:122], v[87:88]
	v_add_f64_e32 v[77:78], v[89:90], v[77:78]
	v_add_f64_e32 v[79:80], v[79:80], v[91:92]
	v_add_f64_e32 v[89:90], v[93:94], v[123:124]
	v_add_f64_e32 v[81:82], v[81:82], v[95:96]
	v_add_f64_e32 v[83:84], v[97:98], v[83:84]
	v_add_f64_e32 v[85:86], v[85:86], v[99:100]
	s_wait_dscnt 0x6
	v_mul_f64_e32 v[91:92], v[63:64], v[67:68]
	v_mul_f64_e32 v[93:94], v[61:62], v[67:68]
	s_wait_dscnt 0x5
	v_mul_f64_e32 v[95:96], v[63:64], v[71:72]
	v_mul_f64_e32 v[97:98], v[61:62], v[71:72]
	;; [unrolled: 3-line block ×3, first 2 shown]
	v_mul_f64_e32 v[119:120], v[75:76], v[71:72]
	v_mul_f64_e32 v[71:72], v[73:74], v[71:72]
	v_fma_f64 v[103:104], v[18:19], v[22:23], -v[103:104]
	v_fma_f64 v[105:106], v[20:21], v[22:23], v[105:106]
	v_fma_f64 v[107:108], v[18:19], v[26:27], -v[107:108]
	v_fma_f64 v[121:122], v[20:21], v[26:27], v[125:126]
	;; [unrolled: 2-line block ×4, first 2 shown]
	ds_load_b128 v[18:21], v39 offset:112
	ds_load_b128 v[22:25], v38 offset:3584
	;; [unrolled: 1-line block ×4, first 2 shown]
	s_wait_loadcnt_dscnt 0x0
	s_barrier_signal -1
	s_barrier_wait -1
	global_inv scope:SCOPE_SE
	v_add_f64_e32 v[2:3], v[2:3], v[101:102]
	v_add_f64_e32 v[87:88], v[109:110], v[87:88]
	;; [unrolled: 1-line block ×8, first 2 shown]
	v_mul_f64_e32 v[101:102], v[47:48], v[51:52]
	v_mul_f64_e32 v[109:110], v[45:46], v[51:52]
	;; [unrolled: 1-line block ×8, first 2 shown]
	v_fma_f64 v[91:92], v[61:62], v[65:66], -v[91:92]
	v_fma_f64 v[93:94], v[63:64], v[65:66], v[93:94]
	v_fma_f64 v[61:62], v[61:62], v[69:70], -v[95:96]
	v_fma_f64 v[63:64], v[63:64], v[69:70], v[97:98]
	;; [unrolled: 2-line block ×4, first 2 shown]
	v_mul_f64_e32 v[97:98], v[18:19], v[28:29]
	v_mul_f64_e32 v[99:100], v[32:33], v[24:25]
	v_add_f64_e32 v[2:3], v[2:3], v[103:104]
	v_add_f64_e32 v[71:72], v[105:106], v[87:88]
	;; [unrolled: 1-line block ×8, first 2 shown]
	v_mul_f64_e32 v[85:86], v[20:21], v[24:25]
	v_mul_f64_e32 v[87:88], v[18:19], v[24:25]
	;; [unrolled: 1-line block ×6, first 2 shown]
	v_fma_f64 v[101:102], v[45:46], v[49:50], -v[101:102]
	v_fma_f64 v[105:106], v[47:48], v[49:50], v[109:110]
	v_fma_f64 v[45:46], v[45:46], v[53:54], -v[111:112]
	v_fma_f64 v[47:48], v[47:48], v[53:54], v[113:114]
	;; [unrolled: 2-line block ×4, first 2 shown]
	v_add_f64_e32 v[2:3], v[2:3], v[91:92]
	v_add_f64_e32 v[55:56], v[93:94], v[71:72]
	;; [unrolled: 1-line block ×8, first 2 shown]
	v_fma_f64 v[69:70], v[18:19], v[22:23], -v[85:86]
	v_fma_f64 v[71:72], v[20:21], v[22:23], v[87:88]
	v_fma_f64 v[18:19], v[18:19], v[26:27], -v[89:90]
	v_fma_f64 v[20:21], v[20:21], v[26:27], v[97:98]
	;; [unrolled: 2-line block ×4, first 2 shown]
	v_add_f64_e32 v[2:3], v[2:3], v[101:102]
	v_add_f64_e32 v[22:23], v[105:106], v[55:56]
	;; [unrolled: 1-line block ×16, first 2 shown]
	s_wait_alu 0xfffe
	s_cbranch_vccz .LBB571_21
.LBB571_10:                             ;   Parent Loop BB571_7 Depth=1
                                        ; =>  This Inner Loop Header: Depth=2
	s_mov_b32 s19, 0
	s_mov_b32 s25, s36
	s_and_saveexec_b32 s24, s0
	s_cbranch_execnz .LBB571_18
; %bb.11:                               ;   in Loop: Header=BB571_10 Depth=2
	s_or_b32 exec_lo, exec_lo, s24
	s_and_saveexec_b32 s24, s25
	s_delay_alu instid0(SALU_CYCLE_1)
	s_xor_b32 s24, exec_lo, s24
	s_cbranch_execnz .LBB571_19
.LBB571_12:                             ;   in Loop: Header=BB571_10 Depth=2
	s_or_b32 exec_lo, exec_lo, s24
	s_and_saveexec_b32 s24, s19
	s_cbranch_execz .LBB571_14
.LBB571_13:                             ;   in Loop: Header=BB571_10 Depth=2
	v_lshlrev_b64_e32 v[2:3], 4, v[16:17]
	s_delay_alu instid0(VALU_DEP_1) | instskip(SKIP_1) | instid1(VALU_DEP_2)
	v_add_co_u32 v2, vcc_lo, v41, v2
	s_wait_alu 0xfffd
	v_add_co_ci_u32_e64 v3, null, v42, v3, vcc_lo
	flat_load_b128 v[45:48], v[2:3]
	s_wait_loadcnt_dscnt 0x0
	ds_store_2addr_b64 v36, v[45:46], v[47:48] offset1:1
.LBB571_14:                             ;   in Loop: Header=BB571_10 Depth=2
	s_or_b32 exec_lo, exec_lo, s24
	s_wait_alu 0xfffe
	v_add_nc_u32_e32 v0, s16, v34
	s_delay_alu instid0(VALU_DEP_1) | instskip(SKIP_1) | instid1(SALU_CYCLE_1)
	v_cmp_le_u64_e32 vcc_lo, s[8:9], v[0:1]
	s_or_b32 s19, vcc_lo, s18
	s_and_saveexec_b32 s24, s19
	s_delay_alu instid0(SALU_CYCLE_1)
	s_xor_b32 s19, exec_lo, s24
; %bb.15:                               ;   in Loop: Header=BB571_10 Depth=2
	v_dual_mov_b32 v0, v1 :: v_dual_mov_b32 v3, v1
	v_mov_b32_e32 v2, v1
	ds_store_b128 v37, v[0:3]
; %bb.16:                               ;   in Loop: Header=BB571_10 Depth=2
	s_and_not1_saveexec_b32 s19, s19
	s_cbranch_execz .LBB571_9
; %bb.17:                               ;   in Loop: Header=BB571_10 Depth=2
	v_mad_co_u64_u32 v[2:3], null, s22, v0, 0
	s_delay_alu instid0(VALU_DEP_1) | instskip(NEXT) | instid1(VALU_DEP_1)
	v_mad_co_u64_u32 v[45:46], null, s23, v0, v[3:4]
	v_mov_b32_e32 v3, v45
	s_delay_alu instid0(VALU_DEP_1) | instskip(NEXT) | instid1(VALU_DEP_1)
	v_lshlrev_b64_e32 v[2:3], 4, v[2:3]
	v_add_co_u32 v2, vcc_lo, v43, v2
	s_wait_alu 0xfffd
	s_delay_alu instid0(VALU_DEP_2)
	v_add_co_ci_u32_e64 v3, null, v44, v3, vcc_lo
	flat_load_b128 v[45:48], v[2:3]
	s_wait_loadcnt_dscnt 0x0
	ds_store_2addr_b64 v37, v[45:46], v[47:48] offset1:1
	s_branch .LBB571_9
.LBB571_18:                             ;   in Loop: Header=BB571_10 Depth=2
	s_wait_alu 0xfffe
	v_add_nc_u32_e32 v0, s16, v35
	v_mov_b32_e32 v17, v1
	s_and_not1_b32 s25, s36, exec_lo
	s_mov_b32 s19, exec_lo
	s_delay_alu instid0(VALU_DEP_2) | instskip(SKIP_2) | instid1(SALU_CYCLE_1)
	v_cmp_le_u64_e32 vcc_lo, s[8:9], v[0:1]
	v_mov_b32_e32 v16, v0
	s_and_b32 s42, vcc_lo, exec_lo
	s_or_b32 s25, s25, s42
	s_or_b32 exec_lo, exec_lo, s24
	s_and_saveexec_b32 s24, s25
	s_delay_alu instid0(SALU_CYCLE_1)
	s_xor_b32 s24, exec_lo, s24
	s_cbranch_execz .LBB571_12
.LBB571_19:                             ;   in Loop: Header=BB571_10 Depth=2
	v_dual_mov_b32 v0, v1 :: v_dual_mov_b32 v3, v1
	v_mov_b32_e32 v2, v1
	s_and_not1_b32 s19, s19, exec_lo
	ds_store_b128 v36, v[0:3]
	s_or_b32 exec_lo, exec_lo, s24
	s_and_saveexec_b32 s24, s19
	s_cbranch_execnz .LBB571_13
	s_branch .LBB571_14
.LBB571_20:                             ;   in Loop: Header=BB571_7 Depth=1
	v_mov_b32_e32 v32, 0
	v_mov_b32_e32 v28, 0
	v_dual_mov_b32 v24, 0 :: v_dual_mov_b32 v33, 0
	v_dual_mov_b32 v26, 0 :: v_dual_mov_b32 v29, 0
	;; [unrolled: 1-line block ×3, first 2 shown]
	v_mov_b32_e32 v20, 0
	v_dual_mov_b32 v18, 0 :: v_dual_mov_b32 v27, 0
	v_mov_b32_e32 v23, 0
	v_mov_b32_e32 v21, 0
	;; [unrolled: 1-line block ×3, first 2 shown]
.LBB571_21:                             ;   in Loop: Header=BB571_7 Depth=1
	s_wait_loadcnt 0x0
	v_add_co_u32 v0, vcc_lo, v4, s6
	s_wait_alu 0xfffd
	v_add_co_ci_u32_e64 v41, null, s7, v5, vcc_lo
	s_delay_alu instid0(VALU_DEP_2) | instskip(SKIP_1) | instid1(VALU_DEP_2)
	v_add_co_u32 v42, vcc_lo, v0, v12
	s_wait_alu 0xfffd
	v_add_co_ci_u32_e64 v43, null, v41, v13, vcc_lo
	s_and_saveexec_b32 s16, s38
	s_cbranch_execz .LBB571_26
; %bb.22:                               ;   in Loop: Header=BB571_7 Depth=1
	v_mul_f64_e32 v[2:3], s[12:13], v[32:33]
	v_mul_f64_e32 v[4:5], s[10:11], v[32:33]
	s_and_b32 vcc_lo, exec_lo, s37
	s_mov_b32 s17, -1
	s_delay_alu instid0(VALU_DEP_2) | instskip(NEXT) | instid1(VALU_DEP_2)
	v_fma_f64 v[2:3], s[10:11], v[30:31], -v[2:3]
	v_fma_f64 v[4:5], s[12:13], v[30:31], v[4:5]
	s_wait_alu 0xfffe
	s_cbranch_vccz .LBB571_24
; %bb.23:                               ;   in Loop: Header=BB571_7 Depth=1
	v_lshlrev_b64_e32 v[30:31], 4, v[6:7]
	s_mov_b32 s17, 0
	s_delay_alu instid0(VALU_DEP_1) | instskip(SKIP_1) | instid1(VALU_DEP_2)
	v_add_co_u32 v44, vcc_lo, v42, v30
	s_wait_alu 0xfffd
	v_add_co_ci_u32_e64 v45, null, v43, v31, vcc_lo
	flat_load_b128 v[30:33], v[44:45]
	s_wait_loadcnt_dscnt 0x0
	v_mul_f64_e32 v[46:47], s[28:29], v[32:33]
	v_mul_f64_e32 v[32:33], s[26:27], v[32:33]
	s_delay_alu instid0(VALU_DEP_2) | instskip(NEXT) | instid1(VALU_DEP_2)
	v_fma_f64 v[46:47], s[26:27], v[30:31], -v[46:47]
	v_fma_f64 v[32:33], s[28:29], v[30:31], v[32:33]
	s_delay_alu instid0(VALU_DEP_2) | instskip(NEXT) | instid1(VALU_DEP_2)
	v_add_f64_e32 v[30:31], v[2:3], v[46:47]
	v_add_f64_e32 v[32:33], v[4:5], v[32:33]
	flat_store_b128 v[44:45], v[30:33]
.LBB571_24:                             ;   in Loop: Header=BB571_7 Depth=1
	s_wait_alu 0xfffe
	s_and_not1_b32 vcc_lo, exec_lo, s17
	s_wait_alu 0xfffe
	s_cbranch_vccnz .LBB571_26
; %bb.25:                               ;   in Loop: Header=BB571_7 Depth=1
	v_lshlrev_b64_e32 v[30:31], 4, v[6:7]
	s_delay_alu instid0(VALU_DEP_1) | instskip(SKIP_1) | instid1(VALU_DEP_2)
	v_add_co_u32 v30, vcc_lo, v42, v30
	s_wait_alu 0xfffd
	v_add_co_ci_u32_e64 v31, null, v43, v31, vcc_lo
	flat_store_b128 v[30:31], v[2:5]
.LBB571_26:                             ;   in Loop: Header=BB571_7 Depth=1
	s_wait_alu 0xfffe
	s_or_b32 exec_lo, exec_lo, s16
	s_and_saveexec_b32 s16, s39
	s_cbranch_execz .LBB571_31
; %bb.27:                               ;   in Loop: Header=BB571_7 Depth=1
	v_mul_f64_e32 v[2:3], s[12:13], v[28:29]
	v_mul_f64_e32 v[4:5], s[10:11], v[28:29]
	s_and_not1_b32 vcc_lo, exec_lo, s37
	s_mov_b32 s17, -1
	s_delay_alu instid0(VALU_DEP_2) | instskip(NEXT) | instid1(VALU_DEP_2)
	v_fma_f64 v[2:3], s[10:11], v[26:27], -v[2:3]
	v_fma_f64 v[4:5], s[12:13], v[26:27], v[4:5]
	s_wait_alu 0xfffe
	s_cbranch_vccnz .LBB571_29
; %bb.28:                               ;   in Loop: Header=BB571_7 Depth=1
	v_lshlrev_b64_e32 v[26:27], 4, v[8:9]
	s_mov_b32 s17, 0
	s_delay_alu instid0(VALU_DEP_1) | instskip(SKIP_1) | instid1(VALU_DEP_2)
	v_add_co_u32 v30, vcc_lo, v42, v26
	s_wait_alu 0xfffd
	v_add_co_ci_u32_e64 v31, null, v43, v27, vcc_lo
	flat_load_b128 v[26:29], v[30:31]
	s_wait_loadcnt_dscnt 0x0
	v_mul_f64_e32 v[32:33], s[28:29], v[28:29]
	v_mul_f64_e32 v[28:29], s[26:27], v[28:29]
	s_delay_alu instid0(VALU_DEP_2) | instskip(NEXT) | instid1(VALU_DEP_2)
	v_fma_f64 v[32:33], s[26:27], v[26:27], -v[32:33]
	v_fma_f64 v[28:29], s[28:29], v[26:27], v[28:29]
	s_delay_alu instid0(VALU_DEP_2) | instskip(NEXT) | instid1(VALU_DEP_2)
	v_add_f64_e32 v[26:27], v[2:3], v[32:33]
	v_add_f64_e32 v[28:29], v[4:5], v[28:29]
	flat_store_b128 v[30:31], v[26:29]
.LBB571_29:                             ;   in Loop: Header=BB571_7 Depth=1
	s_wait_alu 0xfffe
	s_and_not1_b32 vcc_lo, exec_lo, s17
	s_wait_alu 0xfffe
	s_cbranch_vccnz .LBB571_31
; %bb.30:                               ;   in Loop: Header=BB571_7 Depth=1
	v_lshlrev_b64_e32 v[26:27], 4, v[8:9]
	s_delay_alu instid0(VALU_DEP_1) | instskip(SKIP_1) | instid1(VALU_DEP_2)
	v_add_co_u32 v26, vcc_lo, v42, v26
	s_wait_alu 0xfffd
	v_add_co_ci_u32_e64 v27, null, v43, v27, vcc_lo
	flat_store_b128 v[26:27], v[2:5]
.LBB571_31:                             ;   in Loop: Header=BB571_7 Depth=1
	s_wait_alu 0xfffe
	s_or_b32 exec_lo, exec_lo, s16
	v_add_co_u32 v0, vcc_lo, v0, v14
	s_wait_alu 0xfffd
	v_add_co_ci_u32_e64 v26, null, v41, v15, vcc_lo
	s_and_saveexec_b32 s16, s1
	s_cbranch_execz .LBB571_36
; %bb.32:                               ;   in Loop: Header=BB571_7 Depth=1
	v_mul_f64_e32 v[2:3], s[12:13], v[24:25]
	v_mul_f64_e32 v[4:5], s[10:11], v[24:25]
	s_and_not1_b32 vcc_lo, exec_lo, s37
	s_mov_b32 s17, -1
	s_delay_alu instid0(VALU_DEP_2) | instskip(NEXT) | instid1(VALU_DEP_2)
	v_fma_f64 v[2:3], s[10:11], v[22:23], -v[2:3]
	v_fma_f64 v[4:5], s[12:13], v[22:23], v[4:5]
	v_lshlrev_b64_e32 v[22:23], 4, v[6:7]
	s_wait_alu 0xfffe
	s_cbranch_vccnz .LBB571_34
; %bb.33:                               ;   in Loop: Header=BB571_7 Depth=1
	s_delay_alu instid0(VALU_DEP_1) | instskip(SKIP_1) | instid1(VALU_DEP_2)
	v_add_co_u32 v24, vcc_lo, v0, v22
	s_wait_alu 0xfffd
	v_add_co_ci_u32_e64 v25, null, v26, v23, vcc_lo
	s_mov_b32 s17, 0
	flat_load_b128 v[27:30], v[24:25]
	s_wait_loadcnt_dscnt 0x0
	v_mul_f64_e32 v[31:32], s[28:29], v[29:30]
	v_mul_f64_e32 v[29:30], s[26:27], v[29:30]
	s_delay_alu instid0(VALU_DEP_2) | instskip(NEXT) | instid1(VALU_DEP_2)
	v_fma_f64 v[31:32], s[26:27], v[27:28], -v[31:32]
	v_fma_f64 v[29:30], s[28:29], v[27:28], v[29:30]
	s_delay_alu instid0(VALU_DEP_2) | instskip(NEXT) | instid1(VALU_DEP_2)
	v_add_f64_e32 v[27:28], v[2:3], v[31:32]
	v_add_f64_e32 v[29:30], v[4:5], v[29:30]
	flat_store_b128 v[24:25], v[27:30]
.LBB571_34:                             ;   in Loop: Header=BB571_7 Depth=1
	s_wait_alu 0xfffe
	s_and_not1_b32 vcc_lo, exec_lo, s17
	s_wait_alu 0xfffe
	s_cbranch_vccnz .LBB571_36
; %bb.35:                               ;   in Loop: Header=BB571_7 Depth=1
	v_add_co_u32 v22, vcc_lo, v0, v22
	s_wait_alu 0xfffd
	v_add_co_ci_u32_e64 v23, null, v26, v23, vcc_lo
	flat_store_b128 v[22:23], v[2:5]
.LBB571_36:                             ;   in Loop: Header=BB571_7 Depth=1
	s_wait_alu 0xfffe
	s_or_b32 exec_lo, exec_lo, s16
	s_and_saveexec_b32 s16, s40
	s_cbranch_execz .LBB571_6
; %bb.37:                               ;   in Loop: Header=BB571_7 Depth=1
	v_mul_f64_e32 v[2:3], s[12:13], v[18:19]
	v_mul_f64_e32 v[4:5], s[10:11], v[18:19]
	v_lshlrev_b64_e32 v[18:19], 4, v[8:9]
	s_and_not1_b32 vcc_lo, exec_lo, s37
	s_mov_b32 s17, -1
	s_delay_alu instid0(VALU_DEP_3) | instskip(NEXT) | instid1(VALU_DEP_3)
	v_fma_f64 v[2:3], s[10:11], v[20:21], -v[2:3]
	v_fma_f64 v[4:5], s[12:13], v[20:21], v[4:5]
	s_wait_alu 0xfffe
	s_cbranch_vccnz .LBB571_39
; %bb.38:                               ;   in Loop: Header=BB571_7 Depth=1
	v_add_co_u32 v24, vcc_lo, v0, v18
	s_wait_alu 0xfffd
	v_add_co_ci_u32_e64 v25, null, v26, v19, vcc_lo
	s_mov_b32 s17, 0
	flat_load_b128 v[20:23], v[24:25]
	s_wait_loadcnt_dscnt 0x0
	v_mul_f64_e32 v[27:28], s[28:29], v[22:23]
	v_mul_f64_e32 v[22:23], s[26:27], v[22:23]
	s_delay_alu instid0(VALU_DEP_2) | instskip(NEXT) | instid1(VALU_DEP_2)
	v_fma_f64 v[27:28], s[26:27], v[20:21], -v[27:28]
	v_fma_f64 v[22:23], s[28:29], v[20:21], v[22:23]
	s_delay_alu instid0(VALU_DEP_2) | instskip(NEXT) | instid1(VALU_DEP_2)
	v_add_f64_e32 v[20:21], v[2:3], v[27:28]
	v_add_f64_e32 v[22:23], v[4:5], v[22:23]
	flat_store_b128 v[24:25], v[20:23]
.LBB571_39:                             ;   in Loop: Header=BB571_7 Depth=1
	s_wait_alu 0xfffe
	s_and_not1_b32 vcc_lo, exec_lo, s17
	s_wait_alu 0xfffe
	s_cbranch_vccnz .LBB571_6
; %bb.40:                               ;   in Loop: Header=BB571_7 Depth=1
	v_add_co_u32 v18, vcc_lo, v0, v18
	s_wait_alu 0xfffd
	v_add_co_ci_u32_e64 v19, null, v26, v19, vcc_lo
	flat_store_b128 v[18:19], v[2:5]
	s_branch .LBB571_6
.LBB571_41:
.LBB571_42:
	s_nop 0
	s_sendmsg sendmsg(MSG_DEALLOC_VGPRS)
	s_endpgm
	.section	.rodata,"a",@progbits
	.p2align	6, 0x0
	.amdhsa_kernel _ZL29rocblas_internal_gemmt_kernelIlLi16ELi32ELi8ELc84ELc84ELc76ELb0ELb0E19rocblas_complex_numIdES1_PKPKS1_PKPS1_EviT_T9_T10_S9_lSB_S9_lSA_T11_S9_li
		.amdhsa_group_segment_fixed_size 8192
		.amdhsa_private_segment_fixed_size 0
		.amdhsa_kernarg_size 124
		.amdhsa_user_sgpr_count 2
		.amdhsa_user_sgpr_dispatch_ptr 0
		.amdhsa_user_sgpr_queue_ptr 0
		.amdhsa_user_sgpr_kernarg_segment_ptr 1
		.amdhsa_user_sgpr_dispatch_id 0
		.amdhsa_user_sgpr_private_segment_size 0
		.amdhsa_wavefront_size32 1
		.amdhsa_uses_dynamic_stack 0
		.amdhsa_enable_private_segment 0
		.amdhsa_system_sgpr_workgroup_id_x 1
		.amdhsa_system_sgpr_workgroup_id_y 1
		.amdhsa_system_sgpr_workgroup_id_z 1
		.amdhsa_system_sgpr_workgroup_info 0
		.amdhsa_system_vgpr_workitem_id 1
		.amdhsa_next_free_vgpr 135
		.amdhsa_next_free_sgpr 43
		.amdhsa_reserve_vcc 1
		.amdhsa_float_round_mode_32 0
		.amdhsa_float_round_mode_16_64 0
		.amdhsa_float_denorm_mode_32 3
		.amdhsa_float_denorm_mode_16_64 3
		.amdhsa_fp16_overflow 0
		.amdhsa_workgroup_processor_mode 1
		.amdhsa_memory_ordered 1
		.amdhsa_forward_progress 1
		.amdhsa_inst_pref_size 28
		.amdhsa_round_robin_scheduling 0
		.amdhsa_exception_fp_ieee_invalid_op 0
		.amdhsa_exception_fp_denorm_src 0
		.amdhsa_exception_fp_ieee_div_zero 0
		.amdhsa_exception_fp_ieee_overflow 0
		.amdhsa_exception_fp_ieee_underflow 0
		.amdhsa_exception_fp_ieee_inexact 0
		.amdhsa_exception_int_div_zero 0
	.end_amdhsa_kernel
	.section	.text._ZL29rocblas_internal_gemmt_kernelIlLi16ELi32ELi8ELc84ELc84ELc76ELb0ELb0E19rocblas_complex_numIdES1_PKPKS1_PKPS1_EviT_T9_T10_S9_lSB_S9_lSA_T11_S9_li,"axG",@progbits,_ZL29rocblas_internal_gemmt_kernelIlLi16ELi32ELi8ELc84ELc84ELc76ELb0ELb0E19rocblas_complex_numIdES1_PKPKS1_PKPS1_EviT_T9_T10_S9_lSB_S9_lSA_T11_S9_li,comdat
.Lfunc_end571:
	.size	_ZL29rocblas_internal_gemmt_kernelIlLi16ELi32ELi8ELc84ELc84ELc76ELb0ELb0E19rocblas_complex_numIdES1_PKPKS1_PKPS1_EviT_T9_T10_S9_lSB_S9_lSA_T11_S9_li, .Lfunc_end571-_ZL29rocblas_internal_gemmt_kernelIlLi16ELi32ELi8ELc84ELc84ELc76ELb0ELb0E19rocblas_complex_numIdES1_PKPKS1_PKPS1_EviT_T9_T10_S9_lSB_S9_lSA_T11_S9_li
                                        ; -- End function
	.set _ZL29rocblas_internal_gemmt_kernelIlLi16ELi32ELi8ELc84ELc84ELc76ELb0ELb0E19rocblas_complex_numIdES1_PKPKS1_PKPS1_EviT_T9_T10_S9_lSB_S9_lSA_T11_S9_li.num_vgpr, 135
	.set _ZL29rocblas_internal_gemmt_kernelIlLi16ELi32ELi8ELc84ELc84ELc76ELb0ELb0E19rocblas_complex_numIdES1_PKPKS1_PKPS1_EviT_T9_T10_S9_lSB_S9_lSA_T11_S9_li.num_agpr, 0
	.set _ZL29rocblas_internal_gemmt_kernelIlLi16ELi32ELi8ELc84ELc84ELc76ELb0ELb0E19rocblas_complex_numIdES1_PKPKS1_PKPS1_EviT_T9_T10_S9_lSB_S9_lSA_T11_S9_li.numbered_sgpr, 43
	.set _ZL29rocblas_internal_gemmt_kernelIlLi16ELi32ELi8ELc84ELc84ELc76ELb0ELb0E19rocblas_complex_numIdES1_PKPKS1_PKPS1_EviT_T9_T10_S9_lSB_S9_lSA_T11_S9_li.num_named_barrier, 0
	.set _ZL29rocblas_internal_gemmt_kernelIlLi16ELi32ELi8ELc84ELc84ELc76ELb0ELb0E19rocblas_complex_numIdES1_PKPKS1_PKPS1_EviT_T9_T10_S9_lSB_S9_lSA_T11_S9_li.private_seg_size, 0
	.set _ZL29rocblas_internal_gemmt_kernelIlLi16ELi32ELi8ELc84ELc84ELc76ELb0ELb0E19rocblas_complex_numIdES1_PKPKS1_PKPS1_EviT_T9_T10_S9_lSB_S9_lSA_T11_S9_li.uses_vcc, 1
	.set _ZL29rocblas_internal_gemmt_kernelIlLi16ELi32ELi8ELc84ELc84ELc76ELb0ELb0E19rocblas_complex_numIdES1_PKPKS1_PKPS1_EviT_T9_T10_S9_lSB_S9_lSA_T11_S9_li.uses_flat_scratch, 0
	.set _ZL29rocblas_internal_gemmt_kernelIlLi16ELi32ELi8ELc84ELc84ELc76ELb0ELb0E19rocblas_complex_numIdES1_PKPKS1_PKPS1_EviT_T9_T10_S9_lSB_S9_lSA_T11_S9_li.has_dyn_sized_stack, 0
	.set _ZL29rocblas_internal_gemmt_kernelIlLi16ELi32ELi8ELc84ELc84ELc76ELb0ELb0E19rocblas_complex_numIdES1_PKPKS1_PKPS1_EviT_T9_T10_S9_lSB_S9_lSA_T11_S9_li.has_recursion, 0
	.set _ZL29rocblas_internal_gemmt_kernelIlLi16ELi32ELi8ELc84ELc84ELc76ELb0ELb0E19rocblas_complex_numIdES1_PKPKS1_PKPS1_EviT_T9_T10_S9_lSB_S9_lSA_T11_S9_li.has_indirect_call, 0
	.section	.AMDGPU.csdata,"",@progbits
; Kernel info:
; codeLenInByte = 3568
; TotalNumSgprs: 45
; NumVgprs: 135
; ScratchSize: 0
; MemoryBound: 0
; FloatMode: 240
; IeeeMode: 1
; LDSByteSize: 8192 bytes/workgroup (compile time only)
; SGPRBlocks: 0
; VGPRBlocks: 16
; NumSGPRsForWavesPerEU: 45
; NumVGPRsForWavesPerEU: 135
; Occupancy: 10
; WaveLimiterHint : 1
; COMPUTE_PGM_RSRC2:SCRATCH_EN: 0
; COMPUTE_PGM_RSRC2:USER_SGPR: 2
; COMPUTE_PGM_RSRC2:TRAP_HANDLER: 0
; COMPUTE_PGM_RSRC2:TGID_X_EN: 1
; COMPUTE_PGM_RSRC2:TGID_Y_EN: 1
; COMPUTE_PGM_RSRC2:TGID_Z_EN: 1
; COMPUTE_PGM_RSRC2:TIDIG_COMP_CNT: 1
	.section	.text._ZL29rocblas_internal_gemmt_kernelIlLi16ELi32ELi8ELc84ELc67ELc76ELb0ELb1E19rocblas_complex_numIdES1_PKPKS1_PKPS1_EviT_T9_T10_S9_lSB_S9_lSA_T11_S9_li,"axG",@progbits,_ZL29rocblas_internal_gemmt_kernelIlLi16ELi32ELi8ELc84ELc67ELc76ELb0ELb1E19rocblas_complex_numIdES1_PKPKS1_PKPS1_EviT_T9_T10_S9_lSB_S9_lSA_T11_S9_li,comdat
	.globl	_ZL29rocblas_internal_gemmt_kernelIlLi16ELi32ELi8ELc84ELc67ELc76ELb0ELb1E19rocblas_complex_numIdES1_PKPKS1_PKPS1_EviT_T9_T10_S9_lSB_S9_lSA_T11_S9_li ; -- Begin function _ZL29rocblas_internal_gemmt_kernelIlLi16ELi32ELi8ELc84ELc67ELc76ELb0ELb1E19rocblas_complex_numIdES1_PKPKS1_PKPS1_EviT_T9_T10_S9_lSB_S9_lSA_T11_S9_li
	.p2align	8
	.type	_ZL29rocblas_internal_gemmt_kernelIlLi16ELi32ELi8ELc84ELc67ELc76ELb0ELb1E19rocblas_complex_numIdES1_PKPKS1_PKPS1_EviT_T9_T10_S9_lSB_S9_lSA_T11_S9_li,@function
_ZL29rocblas_internal_gemmt_kernelIlLi16ELi32ELi8ELc84ELc67ELc76ELb0ELb1E19rocblas_complex_numIdES1_PKPKS1_PKPS1_EviT_T9_T10_S9_lSB_S9_lSA_T11_S9_li: ; @_ZL29rocblas_internal_gemmt_kernelIlLi16ELi32ELi8ELc84ELc67ELc76ELb0ELb1E19rocblas_complex_numIdES1_PKPKS1_PKPS1_EviT_T9_T10_S9_lSB_S9_lSA_T11_S9_li
; %bb.0:
	s_clause 0x1
	s_load_b256 s[24:31], s[0:1], 0x48
	s_load_b512 s[8:23], s[0:1], 0x8
	s_wait_kmcnt 0x0
	v_cmp_eq_f64_e64 s3, s[26:27], 1.0
	v_cmp_eq_f64_e64 s2, s[28:29], 0
	s_and_b32 s3, s3, s2
	s_delay_alu instid0(SALU_CYCLE_1)
	s_and_not1_b32 vcc_lo, exec_lo, s3
	s_mov_b32 s3, -1
	s_cbranch_vccnz .LBB572_3
; %bb.1:
	s_cmp_lg_u64 s[8:9], 0
	s_cbranch_scc0 .LBB572_39
; %bb.2:
	v_cmp_neq_f64_e64 s3, s[10:11], 0
	v_cmp_neq_f64_e64 s4, s[12:13], 0
	s_or_b32 s3, s3, s4
.LBB572_3:
	s_delay_alu instid0(SALU_CYCLE_1)
	s_and_b32 vcc_lo, exec_lo, s3
	s_cbranch_vccz .LBB572_40
; %bb.4:
	s_load_b32 s33, s[0:1], 0x78
	s_lshr_b32 s34, ttmp7, 16
	s_wait_kmcnt 0x0
	s_cmp_ge_u32 s34, s33
	s_cbranch_scc1 .LBB572_40
; %bb.5:
	v_cmp_neq_f64_e64 s3, s[10:11], 0
	v_cmp_neq_f64_e64 s35, s[12:13], 0
	s_clause 0x1
	s_load_b128 s[4:7], s[0:1], 0x68
	s_load_b32 s38, s[0:1], 0x0
	v_and_b32_e32 v9, 0x3ff, v0
	v_bfe_u32 v10, v0, 10, 10
	v_cmp_neq_f64_e64 s39, s[26:27], 0
	v_dual_mov_b32 v1, 0 :: v_dual_and_b32 v36, 7, v0
	s_lshl_b32 s0, ttmp7, 5
	v_lshl_add_u32 v0, v10, 4, v9
	s_and_b32 s0, s0, 0x1fffe0
	s_lshl_b32 s37, ttmp9, 5
	v_add_nc_u32_e32 v11, s0, v10
	v_lshlrev_b32_e32 v7, 4, v36
	v_and_b32_e32 v2, 31, v0
	v_lshrrev_b32_e32 v6, 3, v0
	v_lshrrev_b32_e32 v37, 5, v0
	v_add_nc_u32_e32 v12, 16, v11
	s_ashr_i32 s1, s37, 31
	v_or_b32_e32 v8, s37, v2
	v_lshlrev_b32_e32 v0, 4, v2
	s_wait_kmcnt 0x0
	v_mad_co_u64_u32 v[2:3], null, s4, v11, 0
	v_add_nc_u32_e32 v16, s0, v6
	v_lshl_or_b32 v6, v6, 7, v7
	v_mad_co_u64_u32 v[14:15], null, s4, v12, 0
	v_lshl_or_b32 v38, v37, 9, v0
	v_mul_lo_u32 v13, s17, v8
	s_delay_alu instid0(VALU_DEP_4)
	v_dual_mov_b32 v0, v3 :: v_dual_add_nc_u32 v39, 0x1000, v6
	v_add_nc_u32_e32 v6, s37, v9
	v_mad_co_u64_u32 v[4:5], null, s16, v8, 0
	v_cmp_gt_i32_e64 s0, s38, v8
	v_cmp_le_i32_e64 s36, s38, v8
	v_mad_co_u64_u32 v[7:8], null, s5, v11, v[0:1]
	v_add_nc_u32_e32 v8, 16, v6
	v_mov_b32_e32 v0, v15
	s_wait_alu 0xfffe
	s_mul_i32 s40, s16, s1
	s_or_b32 s16, s3, s35
	v_lshl_add_u32 v41, v10, 7, 0x1000
	v_cmp_le_i32_e32 vcc_lo, v11, v6
	v_cmp_le_i32_e64 s3, v11, v8
	v_mad_co_u64_u32 v[10:11], null, s5, v12, v[0:1]
	s_xor_b32 s2, s2, -1
	v_add3_u32 v5, v5, s40, v13
	s_or_b32 s37, s39, s2
	v_cmp_gt_i32_e64 s2, s38, v6
	v_mov_b32_e32 v3, v7
	v_cmp_gt_i64_e64 s42, s[8:9], 0
	v_mov_b32_e32 v15, v10
	v_cmp_gt_i32_e64 s1, s38, v16
	v_cmp_gt_i32_e64 s4, s38, v8
	s_and_b32 s38, vcc_lo, s2
	v_cmp_le_i32_e32 vcc_lo, v12, v6
	v_cmp_le_i32_e64 s5, v12, v8
	v_lshlrev_b64_e32 v[10:11], 4, v[4:5]
	v_lshlrev_b64_e32 v[12:13], 4, v[2:3]
	;; [unrolled: 1-line block ×3, first 2 shown]
	v_lshlrev_b32_e32 v40, 4, v9
	v_ashrrev_i32_e32 v7, 31, v6
	v_ashrrev_i32_e32 v9, 31, v8
	v_lshlrev_b32_e32 v42, 4, v16
	s_and_b32 s39, s3, s4
	s_and_b32 s40, vcc_lo, s2
	s_and_b32 s41, s5, s4
	s_mov_b32 s35, 0
	s_wait_alu 0xfffe
	s_and_b32 s42, s16, s42
	s_lshl_b64 s[2:3], s[24:25], 4
	s_lshl_b64 s[4:5], s[18:19], 4
	;; [unrolled: 1-line block ×3, first 2 shown]
                                        ; implicit-def: $vgpr16_vgpr17
	s_branch .LBB572_7
.LBB572_6:                              ;   in Loop: Header=BB572_7 Depth=1
	s_wait_alu 0xfffe
	s_or_b32 exec_lo, exec_lo, s16
	s_add_co_i32 s34, s34, 0x10000
	s_delay_alu instid0(SALU_CYCLE_1)
	s_cmp_lt_u32 s34, s33
	s_cbranch_scc0 .LBB572_40
.LBB572_7:                              ; =>This Loop Header: Depth=1
                                        ;     Child Loop BB572_10 Depth 2
	s_lshl_b64 s[16:17], s[34:35], 3
	v_mov_b32_e32 v32, 0
	s_wait_alu 0xfffe
	s_add_nc_u64 s[18:19], s[30:31], s[16:17]
	v_mov_b32_e32 v33, 0
	global_load_b64 v[18:19], v1, s[18:19]
	s_and_not1_b32 vcc_lo, exec_lo, s42
	s_wait_alu 0xfffe
	s_cbranch_vccnz .LBB572_18
; %bb.8:                                ;   in Loop: Header=BB572_7 Depth=1
	s_add_nc_u64 s[18:19], s[14:15], s[16:17]
	s_add_nc_u64 s[16:17], s[20:21], s[16:17]
	s_clause 0x1
	global_load_b64 v[2:3], v1, s[18:19]
	global_load_b64 v[4:5], v1, s[16:17]
	v_mov_b32_e32 v20, 0
	v_mov_b32_e32 v26, 0
	;; [unrolled: 1-line block ×3, first 2 shown]
	v_dual_mov_b32 v34, 0 :: v_dual_mov_b32 v21, 0
	v_dual_mov_b32 v22, 0 :: v_dual_mov_b32 v27, 0
	;; [unrolled: 1-line block ×5, first 2 shown]
	v_mov_b32_e32 v25, 0
	v_mov_b32_e32 v29, 0
	v_mov_b32_e32 v33, 0
	s_mov_b64 s[16:17], 0
	s_wait_loadcnt 0x1
	v_add_co_u32 v0, vcc_lo, v2, s4
	s_wait_alu 0xfffd
	v_add_co_ci_u32_e64 v2, null, s5, v3, vcc_lo
	s_wait_loadcnt 0x0
	v_add_co_u32 v3, vcc_lo, v4, s2
	s_wait_alu 0xfffd
	v_add_co_ci_u32_e64 v4, null, s3, v5, vcc_lo
	v_add_co_u32 v43, vcc_lo, v0, v10
	s_wait_alu 0xfffd
	v_add_co_ci_u32_e64 v44, null, v2, v11, vcc_lo
	;; [unrolled: 3-line block ×3, first 2 shown]
	s_branch .LBB572_10
.LBB572_9:                              ;   in Loop: Header=BB572_10 Depth=2
	s_or_b32 exec_lo, exec_lo, s18
	ds_store_b128 v39, v[2:5]
	s_wait_dscnt 0x0
	s_barrier_signal -1
	s_barrier_wait -1
	global_inv scope:SCOPE_SE
	ds_load_b128 v[2:5], v41
	ds_load_b128 v[47:50], v40
	ds_load_b128 v[51:54], v40 offset:256
	ds_load_b128 v[55:58], v41 offset:2048
	;; [unrolled: 1-line block ×10, first 2 shown]
	s_add_nc_u64 s[16:17], s[16:17], 8
	s_wait_alu 0xfffe
	v_cmp_gt_i64_e64 s18, s[8:9], s[16:17]
	s_and_b32 vcc_lo, exec_lo, s18
	s_wait_dscnt 0xa
	v_mul_f64_e32 v[91:92], v[4:5], v[49:50]
	v_mul_f64_e32 v[93:94], v[2:3], v[49:50]
	s_wait_dscnt 0x9
	v_mul_f64_e32 v[95:96], v[4:5], v[53:54]
	v_mul_f64_e32 v[97:98], v[2:3], v[53:54]
	;; [unrolled: 3-line block ×3, first 2 shown]
	v_mul_f64_e32 v[101:102], v[57:58], v[53:54]
	v_mul_f64_e32 v[53:54], v[55:56], v[53:54]
	s_wait_dscnt 0x5
	v_mul_f64_e32 v[103:104], v[61:62], v[69:70]
	v_mul_f64_e32 v[105:106], v[59:60], v[69:70]
	s_wait_dscnt 0x4
	v_mul_f64_e32 v[107:108], v[61:62], v[73:74]
	v_mul_f64_e32 v[109:110], v[59:60], v[73:74]
	;; [unrolled: 1-line block ×6, first 2 shown]
	s_wait_dscnt 0x2
	v_mul_f64_e32 v[119:120], v[77:78], v[81:82]
	v_mul_f64_e32 v[121:122], v[75:76], v[81:82]
	s_wait_dscnt 0x1
	v_mul_f64_e32 v[123:124], v[77:78], v[85:86]
	v_mul_f64_e32 v[125:126], v[75:76], v[85:86]
	;; [unrolled: 3-line block ×3, first 2 shown]
	v_mul_f64_e32 v[129:130], v[89:90], v[85:86]
	v_mul_f64_e32 v[85:86], v[87:88], v[85:86]
	v_fma_f64 v[91:92], v[2:3], v[47:48], -v[91:92]
	v_fma_f64 v[93:94], v[4:5], v[47:48], v[93:94]
	v_fma_f64 v[95:96], v[2:3], v[51:52], -v[95:96]
	v_fma_f64 v[97:98], v[4:5], v[51:52], v[97:98]
	;; [unrolled: 2-line block ×8, first 2 shown]
	ds_load_b128 v[2:5], v41 offset:48
	ds_load_b128 v[47:50], v40 offset:1536
	;; [unrolled: 1-line block ×4, first 2 shown]
	v_fma_f64 v[119:120], v[75:76], v[79:80], -v[119:120]
	v_fma_f64 v[121:122], v[77:78], v[79:80], v[121:122]
	v_fma_f64 v[75:76], v[75:76], v[83:84], -v[123:124]
	v_fma_f64 v[77:78], v[77:78], v[83:84], v[125:126]
	v_fma_f64 v[123:124], v[87:88], v[79:80], -v[127:128]
	v_fma_f64 v[79:80], v[89:90], v[79:80], v[81:82]
	v_fma_f64 v[81:82], v[87:88], v[83:84], -v[129:130]
	v_fma_f64 v[83:84], v[89:90], v[83:84], v[85:86]
	s_wait_dscnt 0x2
	v_mul_f64_e32 v[109:110], v[2:3], v[49:50]
	s_wait_dscnt 0x1
	v_mul_f64_e32 v[111:112], v[4:5], v[53:54]
	v_mul_f64_e32 v[113:114], v[2:3], v[53:54]
	v_add_f64_e32 v[69:70], v[32:33], v[91:92]
	v_add_f64_e32 v[71:72], v[93:94], v[34:35]
	;; [unrolled: 1-line block ×8, first 2 shown]
	v_mul_f64_e32 v[101:102], v[4:5], v[49:50]
	s_wait_dscnt 0x0
	v_mul_f64_e32 v[115:116], v[57:58], v[49:50]
	v_mul_f64_e32 v[49:50], v[55:56], v[49:50]
	;; [unrolled: 1-line block ×4, first 2 shown]
	ds_load_b128 v[20:23], v41 offset:64
	ds_load_b128 v[24:27], v40 offset:2048
	;; [unrolled: 1-line block ×4, first 2 shown]
	s_wait_dscnt 0x1
	v_mul_f64_e32 v[125:126], v[20:21], v[30:31]
	s_wait_dscnt 0x0
	v_mul_f64_e32 v[127:128], v[34:35], v[26:27]
	v_mul_f64_e32 v[129:130], v[34:35], v[30:31]
	v_fma_f64 v[109:110], v[4:5], v[47:48], v[109:110]
	v_fma_f64 v[111:112], v[2:3], v[51:52], -v[111:112]
	v_fma_f64 v[113:114], v[4:5], v[51:52], v[113:114]
	v_add_f64_e32 v[85:86], v[69:70], v[103:104]
	v_add_f64_e32 v[87:88], v[105:106], v[71:72]
	;; [unrolled: 1-line block ×8, first 2 shown]
	v_mul_f64_e32 v[103:104], v[22:23], v[26:27]
	v_mul_f64_e32 v[105:106], v[20:21], v[26:27]
	;; [unrolled: 1-line block ×5, first 2 shown]
	v_fma_f64 v[101:102], v[2:3], v[47:48], -v[101:102]
	v_fma_f64 v[115:116], v[55:56], v[47:48], -v[115:116]
	v_fma_f64 v[131:132], v[57:58], v[47:48], v[49:50]
	v_fma_f64 v[117:118], v[55:56], v[51:52], -v[117:118]
	v_fma_f64 v[133:134], v[57:58], v[51:52], v[53:54]
	ds_load_b128 v[59:62], v41 offset:80
	ds_load_b128 v[63:66], v40 offset:2560
	;; [unrolled: 1-line block ×8, first 2 shown]
	v_add_f64_e32 v[85:86], v[85:86], v[119:120]
	v_add_f64_e32 v[87:88], v[121:122], v[87:88]
	;; [unrolled: 1-line block ×8, first 2 shown]
	s_wait_dscnt 0x6
	v_mul_f64_e32 v[91:92], v[61:62], v[65:66]
	v_mul_f64_e32 v[93:94], v[59:60], v[65:66]
	s_wait_dscnt 0x5
	v_mul_f64_e32 v[95:96], v[61:62], v[69:70]
	v_mul_f64_e32 v[97:98], v[59:60], v[69:70]
	;; [unrolled: 3-line block ×3, first 2 shown]
	v_mul_f64_e32 v[119:120], v[73:74], v[69:70]
	v_mul_f64_e32 v[69:70], v[71:72], v[69:70]
	v_fma_f64 v[103:104], v[20:21], v[24:25], -v[103:104]
	v_fma_f64 v[105:106], v[22:23], v[24:25], v[105:106]
	v_fma_f64 v[107:108], v[20:21], v[28:29], -v[107:108]
	v_fma_f64 v[121:122], v[22:23], v[28:29], v[125:126]
	v_fma_f64 v[123:124], v[32:33], v[24:25], -v[127:128]
	v_fma_f64 v[125:126], v[34:35], v[24:25], v[26:27]
	v_fma_f64 v[127:128], v[32:33], v[28:29], -v[129:130]
	v_fma_f64 v[129:130], v[34:35], v[28:29], v[30:31]
	ds_load_b128 v[20:23], v41 offset:112
	ds_load_b128 v[24:27], v40 offset:3584
	;; [unrolled: 1-line block ×4, first 2 shown]
	s_wait_loadcnt_dscnt 0x0
	s_barrier_signal -1
	s_barrier_wait -1
	global_inv scope:SCOPE_SE
	v_add_f64_e32 v[85:86], v[85:86], v[101:102]
	v_add_f64_e32 v[87:88], v[109:110], v[87:88]
	;; [unrolled: 1-line block ×8, first 2 shown]
	v_mul_f64_e32 v[101:102], v[4:5], v[49:50]
	v_mul_f64_e32 v[109:110], v[2:3], v[49:50]
	;; [unrolled: 1-line block ×8, first 2 shown]
	v_fma_f64 v[91:92], v[59:60], v[63:64], -v[91:92]
	v_fma_f64 v[93:94], v[61:62], v[63:64], v[93:94]
	v_fma_f64 v[59:60], v[59:60], v[67:68], -v[95:96]
	v_fma_f64 v[61:62], v[61:62], v[67:68], v[97:98]
	;; [unrolled: 2-line block ×4, first 2 shown]
	v_mul_f64_e32 v[97:98], v[20:21], v[30:31]
	v_mul_f64_e32 v[99:100], v[34:35], v[26:27]
	v_add_f64_e32 v[69:70], v[85:86], v[103:104]
	v_add_f64_e32 v[71:72], v[105:106], v[87:88]
	;; [unrolled: 1-line block ×8, first 2 shown]
	v_mul_f64_e32 v[85:86], v[22:23], v[26:27]
	v_mul_f64_e32 v[87:88], v[20:21], v[26:27]
	;; [unrolled: 1-line block ×6, first 2 shown]
	v_fma_f64 v[101:102], v[2:3], v[47:48], -v[101:102]
	v_fma_f64 v[105:106], v[4:5], v[47:48], v[109:110]
	v_fma_f64 v[2:3], v[2:3], v[51:52], -v[111:112]
	v_fma_f64 v[4:5], v[4:5], v[51:52], v[113:114]
	;; [unrolled: 2-line block ×4, first 2 shown]
	v_add_f64_e32 v[53:54], v[69:70], v[91:92]
	v_add_f64_e32 v[55:56], v[93:94], v[71:72]
	;; [unrolled: 1-line block ×8, first 2 shown]
	v_fma_f64 v[69:70], v[20:21], v[24:25], -v[85:86]
	v_fma_f64 v[71:72], v[22:23], v[24:25], v[87:88]
	v_fma_f64 v[20:21], v[20:21], v[28:29], -v[89:90]
	v_fma_f64 v[22:23], v[22:23], v[28:29], v[97:98]
	;; [unrolled: 2-line block ×4, first 2 shown]
	v_add_f64_e32 v[24:25], v[53:54], v[101:102]
	v_add_f64_e32 v[28:29], v[105:106], v[55:56]
	;; [unrolled: 1-line block ×16, first 2 shown]
	s_wait_alu 0xfffe
	s_cbranch_vccz .LBB572_19
.LBB572_10:                             ;   Parent Loop BB572_7 Depth=1
                                        ; =>  This Inner Loop Header: Depth=2
	s_mov_b32 s18, 0
	s_mov_b32 s24, s36
	s_and_saveexec_b32 s19, s0
	s_cbranch_execnz .LBB572_16
; %bb.11:                               ;   in Loop: Header=BB572_10 Depth=2
	s_or_b32 exec_lo, exec_lo, s19
	s_and_saveexec_b32 s19, s24
	s_delay_alu instid0(SALU_CYCLE_1)
	s_xor_b32 s19, exec_lo, s19
	s_cbranch_execnz .LBB572_17
.LBB572_12:                             ;   in Loop: Header=BB572_10 Depth=2
	s_or_b32 exec_lo, exec_lo, s19
	s_and_saveexec_b32 s19, s18
	s_cbranch_execz .LBB572_14
.LBB572_13:                             ;   in Loop: Header=BB572_10 Depth=2
	v_lshlrev_b64_e32 v[2:3], 4, v[16:17]
	s_delay_alu instid0(VALU_DEP_1) | instskip(SKIP_1) | instid1(VALU_DEP_2)
	v_add_co_u32 v2, vcc_lo, v43, v2
	s_wait_alu 0xfffd
	v_add_co_ci_u32_e64 v3, null, v44, v3, vcc_lo
	flat_load_b128 v[2:5], v[2:3]
	s_wait_loadcnt_dscnt 0x0
	ds_store_2addr_b64 v38, v[2:3], v[4:5] offset1:1
.LBB572_14:                             ;   in Loop: Header=BB572_10 Depth=2
	s_or_b32 exec_lo, exec_lo, s19
	s_wait_alu 0xfffe
	v_add_nc_u32_e32 v0, s16, v36
	v_mov_b32_e32 v2, 0
	v_dual_mov_b32 v3, 0 :: v_dual_mov_b32 v4, 0
	v_mov_b32_e32 v5, 0
	s_delay_alu instid0(VALU_DEP_4) | instskip(SKIP_1) | instid1(SALU_CYCLE_1)
	v_cmp_gt_u64_e32 vcc_lo, s[8:9], v[0:1]
	s_and_b32 s19, vcc_lo, s1
	s_and_saveexec_b32 s18, s19
	s_cbranch_execz .LBB572_9
; %bb.15:                               ;   in Loop: Header=BB572_10 Depth=2
	v_mad_co_u64_u32 v[2:3], null, s22, v0, 0
	s_delay_alu instid0(VALU_DEP_1) | instskip(NEXT) | instid1(VALU_DEP_1)
	v_mad_co_u64_u32 v[3:4], null, s23, v0, v[3:4]
	v_lshlrev_b64_e32 v[2:3], 4, v[2:3]
	s_delay_alu instid0(VALU_DEP_1) | instskip(SKIP_1) | instid1(VALU_DEP_2)
	v_add_co_u32 v2, vcc_lo, v45, v2
	s_wait_alu 0xfffd
	v_add_co_ci_u32_e64 v3, null, v46, v3, vcc_lo
	flat_load_b128 v[2:5], v[2:3]
	s_wait_loadcnt_dscnt 0x0
	v_xor_b32_e32 v5, 0x80000000, v5
	s_branch .LBB572_9
.LBB572_16:                             ;   in Loop: Header=BB572_10 Depth=2
	s_wait_alu 0xfffe
	v_add_nc_u32_e32 v0, s16, v37
	v_mov_b32_e32 v17, v1
	s_and_not1_b32 s24, s36, exec_lo
	s_mov_b32 s18, exec_lo
	s_delay_alu instid0(VALU_DEP_2) | instskip(SKIP_2) | instid1(SALU_CYCLE_1)
	v_cmp_le_u64_e32 vcc_lo, s[8:9], v[0:1]
	v_mov_b32_e32 v16, v0
	s_and_b32 s25, vcc_lo, exec_lo
	s_or_b32 s24, s24, s25
	s_or_b32 exec_lo, exec_lo, s19
	s_and_saveexec_b32 s19, s24
	s_delay_alu instid0(SALU_CYCLE_1)
	s_xor_b32 s19, exec_lo, s19
	s_cbranch_execz .LBB572_12
.LBB572_17:                             ;   in Loop: Header=BB572_10 Depth=2
	v_dual_mov_b32 v0, v1 :: v_dual_mov_b32 v3, v1
	v_mov_b32_e32 v2, v1
	s_and_not1_b32 s18, s18, exec_lo
	ds_store_b128 v38, v[0:3]
	s_or_b32 exec_lo, exec_lo, s19
	s_and_saveexec_b32 s19, s18
	s_cbranch_execnz .LBB572_13
	s_branch .LBB572_14
.LBB572_18:                             ;   in Loop: Header=BB572_7 Depth=1
	v_mov_b32_e32 v34, 0
	v_mov_b32_e32 v30, 0
	v_dual_mov_b32 v26, 0 :: v_dual_mov_b32 v35, 0
	v_dual_mov_b32 v28, 0 :: v_dual_mov_b32 v31, 0
	;; [unrolled: 1-line block ×3, first 2 shown]
	v_mov_b32_e32 v22, 0
	v_dual_mov_b32 v20, 0 :: v_dual_mov_b32 v29, 0
	v_mov_b32_e32 v25, 0
	v_mov_b32_e32 v23, 0
	;; [unrolled: 1-line block ×3, first 2 shown]
.LBB572_19:                             ;   in Loop: Header=BB572_7 Depth=1
	s_wait_loadcnt 0x0
	v_add_co_u32 v0, vcc_lo, v18, s6
	s_wait_alu 0xfffd
	v_add_co_ci_u32_e64 v18, null, s7, v19, vcc_lo
	s_delay_alu instid0(VALU_DEP_2) | instskip(SKIP_1) | instid1(VALU_DEP_2)
	v_add_co_u32 v19, vcc_lo, v0, v12
	s_wait_alu 0xfffd
	v_add_co_ci_u32_e64 v43, null, v18, v13, vcc_lo
	s_and_saveexec_b32 s16, s38
	s_cbranch_execz .LBB572_24
; %bb.20:                               ;   in Loop: Header=BB572_7 Depth=1
	v_mul_f64_e32 v[2:3], s[12:13], v[34:35]
	v_mul_f64_e32 v[4:5], s[10:11], v[34:35]
	s_and_b32 vcc_lo, exec_lo, s37
	s_mov_b32 s17, -1
	s_delay_alu instid0(VALU_DEP_2) | instskip(NEXT) | instid1(VALU_DEP_2)
	v_fma_f64 v[2:3], s[10:11], v[32:33], -v[2:3]
	v_fma_f64 v[4:5], s[12:13], v[32:33], v[4:5]
	s_wait_alu 0xfffe
	s_cbranch_vccz .LBB572_22
; %bb.21:                               ;   in Loop: Header=BB572_7 Depth=1
	v_lshlrev_b64_e32 v[32:33], 4, v[6:7]
	s_mov_b32 s17, 0
	s_delay_alu instid0(VALU_DEP_1) | instskip(SKIP_1) | instid1(VALU_DEP_2)
	v_add_co_u32 v44, vcc_lo, v19, v32
	s_wait_alu 0xfffd
	v_add_co_ci_u32_e64 v45, null, v43, v33, vcc_lo
	flat_load_b128 v[32:35], v[44:45]
	s_wait_loadcnt_dscnt 0x0
	v_mul_f64_e32 v[46:47], s[28:29], v[34:35]
	v_mul_f64_e32 v[34:35], s[26:27], v[34:35]
	s_delay_alu instid0(VALU_DEP_2) | instskip(NEXT) | instid1(VALU_DEP_2)
	v_fma_f64 v[46:47], s[26:27], v[32:33], -v[46:47]
	v_fma_f64 v[34:35], s[28:29], v[32:33], v[34:35]
	s_delay_alu instid0(VALU_DEP_2) | instskip(NEXT) | instid1(VALU_DEP_2)
	v_add_f64_e32 v[32:33], v[2:3], v[46:47]
	v_add_f64_e32 v[34:35], v[4:5], v[34:35]
	flat_store_b128 v[44:45], v[32:35]
.LBB572_22:                             ;   in Loop: Header=BB572_7 Depth=1
	s_wait_alu 0xfffe
	s_and_not1_b32 vcc_lo, exec_lo, s17
	s_wait_alu 0xfffe
	s_cbranch_vccnz .LBB572_24
; %bb.23:                               ;   in Loop: Header=BB572_7 Depth=1
	v_lshlrev_b64_e32 v[32:33], 4, v[6:7]
	s_delay_alu instid0(VALU_DEP_1) | instskip(SKIP_1) | instid1(VALU_DEP_2)
	v_add_co_u32 v32, vcc_lo, v19, v32
	s_wait_alu 0xfffd
	v_add_co_ci_u32_e64 v33, null, v43, v33, vcc_lo
	flat_store_b128 v[32:33], v[2:5]
.LBB572_24:                             ;   in Loop: Header=BB572_7 Depth=1
	s_wait_alu 0xfffe
	s_or_b32 exec_lo, exec_lo, s16
	s_and_saveexec_b32 s16, s39
	s_cbranch_execz .LBB572_29
; %bb.25:                               ;   in Loop: Header=BB572_7 Depth=1
	v_mul_f64_e32 v[2:3], s[12:13], v[30:31]
	v_mul_f64_e32 v[4:5], s[10:11], v[30:31]
	s_and_not1_b32 vcc_lo, exec_lo, s37
	s_mov_b32 s17, -1
	s_delay_alu instid0(VALU_DEP_2) | instskip(NEXT) | instid1(VALU_DEP_2)
	v_fma_f64 v[2:3], s[10:11], v[28:29], -v[2:3]
	v_fma_f64 v[4:5], s[12:13], v[28:29], v[4:5]
	s_wait_alu 0xfffe
	s_cbranch_vccnz .LBB572_27
; %bb.26:                               ;   in Loop: Header=BB572_7 Depth=1
	v_lshlrev_b64_e32 v[28:29], 4, v[8:9]
	s_mov_b32 s17, 0
	s_delay_alu instid0(VALU_DEP_1) | instskip(SKIP_1) | instid1(VALU_DEP_2)
	v_add_co_u32 v32, vcc_lo, v19, v28
	s_wait_alu 0xfffd
	v_add_co_ci_u32_e64 v33, null, v43, v29, vcc_lo
	flat_load_b128 v[28:31], v[32:33]
	s_wait_loadcnt_dscnt 0x0
	v_mul_f64_e32 v[34:35], s[28:29], v[30:31]
	v_mul_f64_e32 v[30:31], s[26:27], v[30:31]
	s_delay_alu instid0(VALU_DEP_2) | instskip(NEXT) | instid1(VALU_DEP_2)
	v_fma_f64 v[34:35], s[26:27], v[28:29], -v[34:35]
	v_fma_f64 v[30:31], s[28:29], v[28:29], v[30:31]
	s_delay_alu instid0(VALU_DEP_2) | instskip(NEXT) | instid1(VALU_DEP_2)
	v_add_f64_e32 v[28:29], v[2:3], v[34:35]
	v_add_f64_e32 v[30:31], v[4:5], v[30:31]
	flat_store_b128 v[32:33], v[28:31]
.LBB572_27:                             ;   in Loop: Header=BB572_7 Depth=1
	s_wait_alu 0xfffe
	s_and_not1_b32 vcc_lo, exec_lo, s17
	s_wait_alu 0xfffe
	s_cbranch_vccnz .LBB572_29
; %bb.28:                               ;   in Loop: Header=BB572_7 Depth=1
	v_lshlrev_b64_e32 v[28:29], 4, v[8:9]
	s_delay_alu instid0(VALU_DEP_1) | instskip(SKIP_1) | instid1(VALU_DEP_2)
	v_add_co_u32 v28, vcc_lo, v19, v28
	s_wait_alu 0xfffd
	v_add_co_ci_u32_e64 v29, null, v43, v29, vcc_lo
	flat_store_b128 v[28:29], v[2:5]
.LBB572_29:                             ;   in Loop: Header=BB572_7 Depth=1
	s_wait_alu 0xfffe
	s_or_b32 exec_lo, exec_lo, s16
	v_add_co_u32 v0, vcc_lo, v0, v14
	s_wait_alu 0xfffd
	v_add_co_ci_u32_e64 v28, null, v18, v15, vcc_lo
	s_and_saveexec_b32 s16, s40
	s_cbranch_execz .LBB572_34
; %bb.30:                               ;   in Loop: Header=BB572_7 Depth=1
	v_mul_f64_e32 v[2:3], s[12:13], v[26:27]
	v_mul_f64_e32 v[4:5], s[10:11], v[26:27]
	v_lshlrev_b64_e32 v[18:19], 4, v[6:7]
	s_and_not1_b32 vcc_lo, exec_lo, s37
	s_mov_b32 s17, -1
	s_delay_alu instid0(VALU_DEP_3) | instskip(NEXT) | instid1(VALU_DEP_3)
	v_fma_f64 v[2:3], s[10:11], v[24:25], -v[2:3]
	v_fma_f64 v[4:5], s[12:13], v[24:25], v[4:5]
	s_wait_alu 0xfffe
	s_cbranch_vccnz .LBB572_32
; %bb.31:                               ;   in Loop: Header=BB572_7 Depth=1
	v_add_co_u32 v29, vcc_lo, v0, v18
	s_wait_alu 0xfffd
	v_add_co_ci_u32_e64 v30, null, v28, v19, vcc_lo
	s_mov_b32 s17, 0
	flat_load_b128 v[24:27], v[29:30]
	s_wait_loadcnt_dscnt 0x0
	v_mul_f64_e32 v[31:32], s[28:29], v[26:27]
	v_mul_f64_e32 v[26:27], s[26:27], v[26:27]
	s_delay_alu instid0(VALU_DEP_2) | instskip(NEXT) | instid1(VALU_DEP_2)
	v_fma_f64 v[31:32], s[26:27], v[24:25], -v[31:32]
	v_fma_f64 v[26:27], s[28:29], v[24:25], v[26:27]
	s_delay_alu instid0(VALU_DEP_2) | instskip(NEXT) | instid1(VALU_DEP_2)
	v_add_f64_e32 v[24:25], v[2:3], v[31:32]
	v_add_f64_e32 v[26:27], v[4:5], v[26:27]
	flat_store_b128 v[29:30], v[24:27]
.LBB572_32:                             ;   in Loop: Header=BB572_7 Depth=1
	s_wait_alu 0xfffe
	s_and_not1_b32 vcc_lo, exec_lo, s17
	s_wait_alu 0xfffe
	s_cbranch_vccnz .LBB572_34
; %bb.33:                               ;   in Loop: Header=BB572_7 Depth=1
	v_add_co_u32 v18, vcc_lo, v0, v18
	s_wait_alu 0xfffd
	v_add_co_ci_u32_e64 v19, null, v28, v19, vcc_lo
	flat_store_b128 v[18:19], v[2:5]
.LBB572_34:                             ;   in Loop: Header=BB572_7 Depth=1
	s_wait_alu 0xfffe
	s_or_b32 exec_lo, exec_lo, s16
	s_and_saveexec_b32 s16, s41
	s_cbranch_execz .LBB572_6
; %bb.35:                               ;   in Loop: Header=BB572_7 Depth=1
	v_mul_f64_e32 v[2:3], s[12:13], v[20:21]
	v_mul_f64_e32 v[4:5], s[10:11], v[20:21]
	v_lshlrev_b64_e32 v[18:19], 4, v[8:9]
	s_and_not1_b32 vcc_lo, exec_lo, s37
	s_mov_b32 s17, -1
	s_delay_alu instid0(VALU_DEP_3) | instskip(NEXT) | instid1(VALU_DEP_3)
	v_fma_f64 v[2:3], s[10:11], v[22:23], -v[2:3]
	v_fma_f64 v[4:5], s[12:13], v[22:23], v[4:5]
	s_wait_alu 0xfffe
	s_cbranch_vccnz .LBB572_37
; %bb.36:                               ;   in Loop: Header=BB572_7 Depth=1
	v_add_co_u32 v24, vcc_lo, v0, v18
	s_wait_alu 0xfffd
	v_add_co_ci_u32_e64 v25, null, v28, v19, vcc_lo
	s_mov_b32 s17, 0
	flat_load_b128 v[20:23], v[24:25]
	s_wait_loadcnt_dscnt 0x0
	v_mul_f64_e32 v[26:27], s[28:29], v[22:23]
	v_mul_f64_e32 v[22:23], s[26:27], v[22:23]
	s_delay_alu instid0(VALU_DEP_2) | instskip(NEXT) | instid1(VALU_DEP_2)
	v_fma_f64 v[26:27], s[26:27], v[20:21], -v[26:27]
	v_fma_f64 v[22:23], s[28:29], v[20:21], v[22:23]
	s_delay_alu instid0(VALU_DEP_2) | instskip(NEXT) | instid1(VALU_DEP_2)
	v_add_f64_e32 v[20:21], v[2:3], v[26:27]
	v_add_f64_e32 v[22:23], v[4:5], v[22:23]
	flat_store_b128 v[24:25], v[20:23]
.LBB572_37:                             ;   in Loop: Header=BB572_7 Depth=1
	s_wait_alu 0xfffe
	s_and_not1_b32 vcc_lo, exec_lo, s17
	s_wait_alu 0xfffe
	s_cbranch_vccnz .LBB572_6
; %bb.38:                               ;   in Loop: Header=BB572_7 Depth=1
	v_add_co_u32 v18, vcc_lo, v0, v18
	s_wait_alu 0xfffd
	v_add_co_ci_u32_e64 v19, null, v28, v19, vcc_lo
	flat_store_b128 v[18:19], v[2:5]
	s_branch .LBB572_6
.LBB572_39:
.LBB572_40:
	s_nop 0
	s_sendmsg sendmsg(MSG_DEALLOC_VGPRS)
	s_endpgm
	.section	.rodata,"a",@progbits
	.p2align	6, 0x0
	.amdhsa_kernel _ZL29rocblas_internal_gemmt_kernelIlLi16ELi32ELi8ELc84ELc67ELc76ELb0ELb1E19rocblas_complex_numIdES1_PKPKS1_PKPS1_EviT_T9_T10_S9_lSB_S9_lSA_T11_S9_li
		.amdhsa_group_segment_fixed_size 8192
		.amdhsa_private_segment_fixed_size 0
		.amdhsa_kernarg_size 124
		.amdhsa_user_sgpr_count 2
		.amdhsa_user_sgpr_dispatch_ptr 0
		.amdhsa_user_sgpr_queue_ptr 0
		.amdhsa_user_sgpr_kernarg_segment_ptr 1
		.amdhsa_user_sgpr_dispatch_id 0
		.amdhsa_user_sgpr_private_segment_size 0
		.amdhsa_wavefront_size32 1
		.amdhsa_uses_dynamic_stack 0
		.amdhsa_enable_private_segment 0
		.amdhsa_system_sgpr_workgroup_id_x 1
		.amdhsa_system_sgpr_workgroup_id_y 1
		.amdhsa_system_sgpr_workgroup_id_z 1
		.amdhsa_system_sgpr_workgroup_info 0
		.amdhsa_system_vgpr_workitem_id 1
		.amdhsa_next_free_vgpr 135
		.amdhsa_next_free_sgpr 43
		.amdhsa_reserve_vcc 1
		.amdhsa_float_round_mode_32 0
		.amdhsa_float_round_mode_16_64 0
		.amdhsa_float_denorm_mode_32 3
		.amdhsa_float_denorm_mode_16_64 3
		.amdhsa_fp16_overflow 0
		.amdhsa_workgroup_processor_mode 1
		.amdhsa_memory_ordered 1
		.amdhsa_forward_progress 1
		.amdhsa_inst_pref_size 28
		.amdhsa_round_robin_scheduling 0
		.amdhsa_exception_fp_ieee_invalid_op 0
		.amdhsa_exception_fp_denorm_src 0
		.amdhsa_exception_fp_ieee_div_zero 0
		.amdhsa_exception_fp_ieee_overflow 0
		.amdhsa_exception_fp_ieee_underflow 0
		.amdhsa_exception_fp_ieee_inexact 0
		.amdhsa_exception_int_div_zero 0
	.end_amdhsa_kernel
	.section	.text._ZL29rocblas_internal_gemmt_kernelIlLi16ELi32ELi8ELc84ELc67ELc76ELb0ELb1E19rocblas_complex_numIdES1_PKPKS1_PKPS1_EviT_T9_T10_S9_lSB_S9_lSA_T11_S9_li,"axG",@progbits,_ZL29rocblas_internal_gemmt_kernelIlLi16ELi32ELi8ELc84ELc67ELc76ELb0ELb1E19rocblas_complex_numIdES1_PKPKS1_PKPS1_EviT_T9_T10_S9_lSB_S9_lSA_T11_S9_li,comdat
.Lfunc_end572:
	.size	_ZL29rocblas_internal_gemmt_kernelIlLi16ELi32ELi8ELc84ELc67ELc76ELb0ELb1E19rocblas_complex_numIdES1_PKPKS1_PKPS1_EviT_T9_T10_S9_lSB_S9_lSA_T11_S9_li, .Lfunc_end572-_ZL29rocblas_internal_gemmt_kernelIlLi16ELi32ELi8ELc84ELc67ELc76ELb0ELb1E19rocblas_complex_numIdES1_PKPKS1_PKPS1_EviT_T9_T10_S9_lSB_S9_lSA_T11_S9_li
                                        ; -- End function
	.set _ZL29rocblas_internal_gemmt_kernelIlLi16ELi32ELi8ELc84ELc67ELc76ELb0ELb1E19rocblas_complex_numIdES1_PKPKS1_PKPS1_EviT_T9_T10_S9_lSB_S9_lSA_T11_S9_li.num_vgpr, 135
	.set _ZL29rocblas_internal_gemmt_kernelIlLi16ELi32ELi8ELc84ELc67ELc76ELb0ELb1E19rocblas_complex_numIdES1_PKPKS1_PKPS1_EviT_T9_T10_S9_lSB_S9_lSA_T11_S9_li.num_agpr, 0
	.set _ZL29rocblas_internal_gemmt_kernelIlLi16ELi32ELi8ELc84ELc67ELc76ELb0ELb1E19rocblas_complex_numIdES1_PKPKS1_PKPS1_EviT_T9_T10_S9_lSB_S9_lSA_T11_S9_li.numbered_sgpr, 43
	.set _ZL29rocblas_internal_gemmt_kernelIlLi16ELi32ELi8ELc84ELc67ELc76ELb0ELb1E19rocblas_complex_numIdES1_PKPKS1_PKPS1_EviT_T9_T10_S9_lSB_S9_lSA_T11_S9_li.num_named_barrier, 0
	.set _ZL29rocblas_internal_gemmt_kernelIlLi16ELi32ELi8ELc84ELc67ELc76ELb0ELb1E19rocblas_complex_numIdES1_PKPKS1_PKPS1_EviT_T9_T10_S9_lSB_S9_lSA_T11_S9_li.private_seg_size, 0
	.set _ZL29rocblas_internal_gemmt_kernelIlLi16ELi32ELi8ELc84ELc67ELc76ELb0ELb1E19rocblas_complex_numIdES1_PKPKS1_PKPS1_EviT_T9_T10_S9_lSB_S9_lSA_T11_S9_li.uses_vcc, 1
	.set _ZL29rocblas_internal_gemmt_kernelIlLi16ELi32ELi8ELc84ELc67ELc76ELb0ELb1E19rocblas_complex_numIdES1_PKPKS1_PKPS1_EviT_T9_T10_S9_lSB_S9_lSA_T11_S9_li.uses_flat_scratch, 0
	.set _ZL29rocblas_internal_gemmt_kernelIlLi16ELi32ELi8ELc84ELc67ELc76ELb0ELb1E19rocblas_complex_numIdES1_PKPKS1_PKPS1_EviT_T9_T10_S9_lSB_S9_lSA_T11_S9_li.has_dyn_sized_stack, 0
	.set _ZL29rocblas_internal_gemmt_kernelIlLi16ELi32ELi8ELc84ELc67ELc76ELb0ELb1E19rocblas_complex_numIdES1_PKPKS1_PKPS1_EviT_T9_T10_S9_lSB_S9_lSA_T11_S9_li.has_recursion, 0
	.set _ZL29rocblas_internal_gemmt_kernelIlLi16ELi32ELi8ELc84ELc67ELc76ELb0ELb1E19rocblas_complex_numIdES1_PKPKS1_PKPS1_EviT_T9_T10_S9_lSB_S9_lSA_T11_S9_li.has_indirect_call, 0
	.section	.AMDGPU.csdata,"",@progbits
; Kernel info:
; codeLenInByte = 3540
; TotalNumSgprs: 45
; NumVgprs: 135
; ScratchSize: 0
; MemoryBound: 1
; FloatMode: 240
; IeeeMode: 1
; LDSByteSize: 8192 bytes/workgroup (compile time only)
; SGPRBlocks: 0
; VGPRBlocks: 16
; NumSGPRsForWavesPerEU: 45
; NumVGPRsForWavesPerEU: 135
; Occupancy: 10
; WaveLimiterHint : 1
; COMPUTE_PGM_RSRC2:SCRATCH_EN: 0
; COMPUTE_PGM_RSRC2:USER_SGPR: 2
; COMPUTE_PGM_RSRC2:TRAP_HANDLER: 0
; COMPUTE_PGM_RSRC2:TGID_X_EN: 1
; COMPUTE_PGM_RSRC2:TGID_Y_EN: 1
; COMPUTE_PGM_RSRC2:TGID_Z_EN: 1
; COMPUTE_PGM_RSRC2:TIDIG_COMP_CNT: 1
	.section	.text._ZL29rocblas_internal_gemmt_kernelIlLi16ELi32ELi8ELc67ELc78ELc76ELb1ELb0E19rocblas_complex_numIdES1_PKPKS1_PKPS1_EviT_T9_T10_S9_lSB_S9_lSA_T11_S9_li,"axG",@progbits,_ZL29rocblas_internal_gemmt_kernelIlLi16ELi32ELi8ELc67ELc78ELc76ELb1ELb0E19rocblas_complex_numIdES1_PKPKS1_PKPS1_EviT_T9_T10_S9_lSB_S9_lSA_T11_S9_li,comdat
	.globl	_ZL29rocblas_internal_gemmt_kernelIlLi16ELi32ELi8ELc67ELc78ELc76ELb1ELb0E19rocblas_complex_numIdES1_PKPKS1_PKPS1_EviT_T9_T10_S9_lSB_S9_lSA_T11_S9_li ; -- Begin function _ZL29rocblas_internal_gemmt_kernelIlLi16ELi32ELi8ELc67ELc78ELc76ELb1ELb0E19rocblas_complex_numIdES1_PKPKS1_PKPS1_EviT_T9_T10_S9_lSB_S9_lSA_T11_S9_li
	.p2align	8
	.type	_ZL29rocblas_internal_gemmt_kernelIlLi16ELi32ELi8ELc67ELc78ELc76ELb1ELb0E19rocblas_complex_numIdES1_PKPKS1_PKPS1_EviT_T9_T10_S9_lSB_S9_lSA_T11_S9_li,@function
_ZL29rocblas_internal_gemmt_kernelIlLi16ELi32ELi8ELc67ELc78ELc76ELb1ELb0E19rocblas_complex_numIdES1_PKPKS1_PKPS1_EviT_T9_T10_S9_lSB_S9_lSA_T11_S9_li: ; @_ZL29rocblas_internal_gemmt_kernelIlLi16ELi32ELi8ELc67ELc78ELc76ELb1ELb0E19rocblas_complex_numIdES1_PKPKS1_PKPS1_EviT_T9_T10_S9_lSB_S9_lSA_T11_S9_li
; %bb.0:
	s_clause 0x1
	s_load_b256 s[24:31], s[0:1], 0x48
	s_load_b512 s[8:23], s[0:1], 0x8
	s_wait_kmcnt 0x0
	v_cmp_eq_f64_e64 s3, s[26:27], 1.0
	v_cmp_eq_f64_e64 s2, s[28:29], 0
	s_and_b32 s3, s3, s2
	s_delay_alu instid0(SALU_CYCLE_1)
	s_and_not1_b32 vcc_lo, exec_lo, s3
	s_mov_b32 s3, -1
	s_cbranch_vccnz .LBB573_3
; %bb.1:
	s_cmp_lg_u64 s[8:9], 0
	s_cbranch_scc0 .LBB573_38
; %bb.2:
	v_cmp_neq_f64_e64 s3, s[10:11], 0
	v_cmp_neq_f64_e64 s4, s[12:13], 0
	s_or_b32 s3, s3, s4
.LBB573_3:
	s_delay_alu instid0(SALU_CYCLE_1)
	s_and_b32 vcc_lo, exec_lo, s3
	s_cbranch_vccz .LBB573_39
; %bb.4:
	s_load_b32 s33, s[0:1], 0x78
	s_lshr_b32 s34, ttmp7, 16
	s_wait_kmcnt 0x0
	s_cmp_ge_u32 s34, s33
	s_cbranch_scc1 .LBB573_39
; %bb.5:
	s_clause 0x1
	s_load_b128 s[4:7], s[0:1], 0x68
	s_load_b32 s36, s[0:1], 0x0
	v_bfe_u32 v8, v0, 10, 10
	s_lshl_b32 s0, ttmp7, 5
	v_and_b32_e32 v7, 0x3ff, v0
	s_and_b32 s0, s0, 0x1fffe0
	v_cmp_neq_f64_e64 s37, s[26:27], 0
	v_add_nc_u32_e32 v10, s0, v8
	v_cmp_neq_f64_e64 s3, s[10:11], 0
	v_cmp_neq_f64_e64 s35, s[12:13], 0
	s_lshl_b32 s1, ttmp9, 5
	v_lshl_add_u32 v41, v8, 7, 0x1000
	s_wait_alu 0xfffe
	s_ashr_i32 s39, s1, 31
	v_cmp_gt_i64_e64 s38, s[8:9], 0
	s_mul_i32 s39, s16, s39
	s_wait_kmcnt 0x0
	v_mad_co_u64_u32 v[14:15], null, s4, v10, 0
	v_and_b32_e32 v36, 7, v0
	v_lshl_add_u32 v0, v8, 4, v7
	s_lshl_b64 s[6:7], s[6:7], 4
	s_delay_alu instid0(VALU_DEP_2) | instskip(NEXT) | instid1(VALU_DEP_2)
	v_lshlrev_b32_e32 v5, 4, v36
	v_lshrrev_b32_e32 v1, 3, v0
	v_and_b32_e32 v4, 31, v0
	v_lshrrev_b32_e32 v37, 5, v0
	s_delay_alu instid0(VALU_DEP_3) | instskip(SKIP_1) | instid1(VALU_DEP_2)
	v_add_nc_u32_e32 v6, s0, v1
	v_lshl_or_b32 v12, v1, 7, v5
	v_mad_co_u64_u32 v[2:3], null, s22, v6, 0
	s_delay_alu instid0(VALU_DEP_1) | instskip(SKIP_1) | instid1(VALU_DEP_2)
	v_dual_mov_b32 v0, v3 :: v_dual_add_nc_u32 v39, 0x1000, v12
	v_lshlrev_b32_e32 v40, 4, v7
	v_mad_co_u64_u32 v[0:1], null, s23, v6, v[0:1]
	v_mov_b32_e32 v1, v15
	s_delay_alu instid0(VALU_DEP_2) | instskip(SKIP_2) | instid1(VALU_DEP_4)
	v_mov_b32_e32 v3, v0
	v_or_b32_e32 v9, s1, v4
	v_lshlrev_b32_e32 v11, 4, v4
	v_mad_co_u64_u32 v[0:1], null, s5, v10, v[1:2]
	s_delay_alu instid0(VALU_DEP_3)
	v_mul_lo_u32 v13, s17, v9
	v_mad_co_u64_u32 v[4:5], null, s16, v9, 0
	v_cmp_gt_i32_e64 s0, s36, v9
	v_add_nc_u32_e32 v9, 16, v10
	v_mov_b32_e32 v15, v0
	v_cmp_gt_i32_e32 vcc_lo, s36, v6
	v_add_nc_u32_e32 v6, s1, v7
	s_xor_b32 s1, s2, -1
	v_mad_co_u64_u32 v[16:17], null, s4, v9, 0
	s_wait_alu 0xfffe
	s_or_b32 s22, s37, s1
	v_add3_u32 v5, v5, s39, v13
	s_or_b32 s16, s3, s35
	v_lshl_or_b32 v38, v37, 9, v11
	v_lshlrev_b64_e32 v[12:13], 4, v[2:3]
	v_lshlrev_b64_e32 v[14:15], 4, v[14:15]
	v_mov_b32_e32 v0, v17
	s_mov_b32 s35, 0
	s_wait_alu 0xfffe
	s_and_b32 s38, s16, s38
	s_delay_alu instid0(VALU_DEP_1) | instskip(SKIP_3) | instid1(VALU_DEP_4)
	v_mad_co_u64_u32 v[0:1], null, s5, v9, v[0:1]
	v_dual_mov_b32 v1, 0 :: v_dual_add_nc_u32 v8, 16, v6
	v_cmp_gt_i32_e64 s2, s36, v6
	v_ashrrev_i32_e32 v7, 31, v6
	v_mov_b32_e32 v17, v0
	v_cmp_le_i32_e64 s1, v10, v6
	v_cmp_le_i32_e64 s3, v10, v8
	v_cmp_gt_i32_e64 s4, s36, v8
	v_cmp_le_i32_e64 s5, v9, v8
	v_lshlrev_b64_e32 v[10:11], 4, v[4:5]
	s_and_b32 s23, s1, s2
	v_cmp_le_i32_e64 s1, v9, v6
	v_lshlrev_b64_e32 v[16:17], 4, v[16:17]
	v_ashrrev_i32_e32 v9, 31, v8
	s_and_b32 s36, s3, s4
	s_and_b32 s37, s5, s4
	;; [unrolled: 1-line block ×3, first 2 shown]
	s_lshl_b64 s[2:3], s[24:25], 4
	s_lshl_b64 s[4:5], s[18:19], 4
	s_xor_b32 s18, vcc_lo, -1
	s_branch .LBB573_7
.LBB573_6:                              ;   in Loop: Header=BB573_7 Depth=1
	s_wait_alu 0xfffe
	s_or_b32 exec_lo, exec_lo, s16
	s_add_co_i32 s34, s34, 0x10000
	s_delay_alu instid0(SALU_CYCLE_1)
	s_cmp_lt_u32 s34, s33
	s_cbranch_scc0 .LBB573_39
.LBB573_7:                              ; =>This Loop Header: Depth=1
                                        ;     Child Loop BB573_10 Depth 2
	s_lshl_b64 s[16:17], s[34:35], 3
	v_mov_b32_e32 v32, 0
	s_wait_alu 0xfffe
	s_add_nc_u64 s[24:25], s[30:31], s[16:17]
	v_mov_b32_e32 v28, 0
	global_load_b64 v[18:19], v1, s[24:25]
	v_mov_b32_e32 v24, 0
	v_dual_mov_b32 v22, 0 :: v_dual_mov_b32 v33, 0
	v_dual_mov_b32 v34, 0 :: v_dual_mov_b32 v29, 0
	;; [unrolled: 1-line block ×5, first 2 shown]
	v_mov_b32_e32 v31, 0
	v_mov_b32_e32 v27, 0
	;; [unrolled: 1-line block ×3, first 2 shown]
	s_and_not1_b32 vcc_lo, exec_lo, s38
	s_wait_alu 0xfffe
	s_cbranch_vccnz .LBB573_18
; %bb.8:                                ;   in Loop: Header=BB573_7 Depth=1
	s_add_nc_u64 s[24:25], s[14:15], s[16:17]
	s_add_nc_u64 s[16:17], s[20:21], s[16:17]
	s_clause 0x1
	global_load_b64 v[2:3], v1, s[24:25]
	global_load_b64 v[4:5], v1, s[16:17]
	v_mov_b32_e32 v20, 0
	v_mov_b32_e32 v26, 0
	;; [unrolled: 1-line block ×3, first 2 shown]
	v_dual_mov_b32 v34, 0 :: v_dual_mov_b32 v21, 0
	v_dual_mov_b32 v22, 0 :: v_dual_mov_b32 v27, 0
	;; [unrolled: 1-line block ×5, first 2 shown]
	v_mov_b32_e32 v25, 0
	v_mov_b32_e32 v29, 0
	;; [unrolled: 1-line block ×3, first 2 shown]
	s_mov_b64 s[16:17], 0
	s_wait_loadcnt 0x1
	v_add_co_u32 v0, vcc_lo, v2, s4
	s_wait_alu 0xfffd
	v_add_co_ci_u32_e64 v2, null, s5, v3, vcc_lo
	s_wait_loadcnt 0x0
	v_add_co_u32 v3, vcc_lo, v4, s2
	s_wait_alu 0xfffd
	v_add_co_ci_u32_e64 v4, null, s3, v5, vcc_lo
	v_add_co_u32 v42, vcc_lo, v0, v10
	s_wait_alu 0xfffd
	v_add_co_ci_u32_e64 v43, null, v2, v11, vcc_lo
	;; [unrolled: 3-line block ×3, first 2 shown]
	s_branch .LBB573_10
.LBB573_9:                              ;   in Loop: Header=BB573_10 Depth=2
	s_or_b32 exec_lo, exec_lo, s19
	s_wait_dscnt 0x0
	s_barrier_signal -1
	s_barrier_wait -1
	global_inv scope:SCOPE_SE
	ds_load_b128 v[2:5], v41
	ds_load_b128 v[46:49], v40
	ds_load_b128 v[50:53], v40 offset:256
	ds_load_b128 v[54:57], v41 offset:2048
	ds_load_b128 v[58:61], v41 offset:16
	ds_load_b128 v[62:65], v41 offset:2064
	ds_load_b128 v[66:69], v40 offset:512
	ds_load_b128 v[70:73], v40 offset:768
	ds_load_b128 v[74:77], v41 offset:32
	ds_load_b128 v[78:81], v40 offset:1024
	ds_load_b128 v[82:85], v40 offset:1280
	ds_load_b128 v[86:89], v41 offset:2080
	s_add_nc_u64 s[16:17], s[16:17], 8
	s_wait_alu 0xfffe
	v_cmp_gt_i64_e64 s19, s[8:9], s[16:17]
	s_and_b32 vcc_lo, exec_lo, s19
	s_wait_dscnt 0xa
	v_mul_f64_e32 v[90:91], v[4:5], v[48:49]
	v_mul_f64_e32 v[92:93], v[2:3], v[48:49]
	s_wait_dscnt 0x9
	v_mul_f64_e32 v[94:95], v[4:5], v[52:53]
	v_mul_f64_e32 v[96:97], v[2:3], v[52:53]
	s_wait_dscnt 0x8
	v_mul_f64_e32 v[98:99], v[56:57], v[48:49]
	v_mul_f64_e32 v[48:49], v[54:55], v[48:49]
	v_mul_f64_e32 v[100:101], v[56:57], v[52:53]
	v_mul_f64_e32 v[52:53], v[54:55], v[52:53]
	s_wait_dscnt 0x5
	v_mul_f64_e32 v[102:103], v[60:61], v[68:69]
	v_mul_f64_e32 v[104:105], v[58:59], v[68:69]
	s_wait_dscnt 0x4
	v_mul_f64_e32 v[106:107], v[60:61], v[72:73]
	v_mul_f64_e32 v[108:109], v[58:59], v[72:73]
	;; [unrolled: 1-line block ×6, first 2 shown]
	s_wait_dscnt 0x2
	v_mul_f64_e32 v[118:119], v[76:77], v[80:81]
	v_mul_f64_e32 v[120:121], v[74:75], v[80:81]
	s_wait_dscnt 0x1
	v_mul_f64_e32 v[122:123], v[76:77], v[84:85]
	v_mul_f64_e32 v[124:125], v[74:75], v[84:85]
	;; [unrolled: 3-line block ×3, first 2 shown]
	v_mul_f64_e32 v[128:129], v[88:89], v[84:85]
	v_mul_f64_e32 v[84:85], v[86:87], v[84:85]
	v_fma_f64 v[90:91], v[2:3], v[46:47], -v[90:91]
	v_fma_f64 v[92:93], v[4:5], v[46:47], v[92:93]
	v_fma_f64 v[94:95], v[2:3], v[50:51], -v[94:95]
	v_fma_f64 v[96:97], v[4:5], v[50:51], v[96:97]
	;; [unrolled: 2-line block ×8, first 2 shown]
	ds_load_b128 v[2:5], v41 offset:48
	ds_load_b128 v[46:49], v40 offset:1536
	;; [unrolled: 1-line block ×4, first 2 shown]
	v_fma_f64 v[118:119], v[74:75], v[78:79], -v[118:119]
	v_fma_f64 v[120:121], v[76:77], v[78:79], v[120:121]
	v_fma_f64 v[74:75], v[74:75], v[82:83], -v[122:123]
	v_fma_f64 v[76:77], v[76:77], v[82:83], v[124:125]
	;; [unrolled: 2-line block ×4, first 2 shown]
	s_wait_dscnt 0x2
	v_mul_f64_e32 v[108:109], v[2:3], v[48:49]
	s_wait_dscnt 0x1
	v_mul_f64_e32 v[110:111], v[4:5], v[52:53]
	v_mul_f64_e32 v[112:113], v[2:3], v[52:53]
	v_add_f64_e32 v[68:69], v[32:33], v[90:91]
	v_add_f64_e32 v[70:71], v[92:93], v[34:35]
	;; [unrolled: 1-line block ×8, first 2 shown]
	v_mul_f64_e32 v[100:101], v[4:5], v[48:49]
	s_wait_dscnt 0x0
	v_mul_f64_e32 v[114:115], v[56:57], v[48:49]
	v_mul_f64_e32 v[48:49], v[54:55], v[48:49]
	;; [unrolled: 1-line block ×4, first 2 shown]
	ds_load_b128 v[20:23], v41 offset:64
	ds_load_b128 v[24:27], v40 offset:2048
	;; [unrolled: 1-line block ×4, first 2 shown]
	s_wait_dscnt 0x1
	v_mul_f64_e32 v[124:125], v[20:21], v[30:31]
	s_wait_dscnt 0x0
	v_mul_f64_e32 v[126:127], v[34:35], v[26:27]
	v_mul_f64_e32 v[128:129], v[34:35], v[30:31]
	v_fma_f64 v[108:109], v[4:5], v[46:47], v[108:109]
	v_fma_f64 v[110:111], v[2:3], v[50:51], -v[110:111]
	v_fma_f64 v[112:113], v[4:5], v[50:51], v[112:113]
	v_add_f64_e32 v[84:85], v[68:69], v[102:103]
	v_add_f64_e32 v[86:87], v[104:105], v[70:71]
	;; [unrolled: 1-line block ×8, first 2 shown]
	v_mul_f64_e32 v[102:103], v[22:23], v[26:27]
	v_mul_f64_e32 v[104:105], v[20:21], v[26:27]
	;; [unrolled: 1-line block ×5, first 2 shown]
	v_fma_f64 v[100:101], v[2:3], v[46:47], -v[100:101]
	v_fma_f64 v[114:115], v[54:55], v[46:47], -v[114:115]
	v_fma_f64 v[130:131], v[56:57], v[46:47], v[48:49]
	v_fma_f64 v[116:117], v[54:55], v[50:51], -v[116:117]
	v_fma_f64 v[132:133], v[56:57], v[50:51], v[52:53]
	ds_load_b128 v[58:61], v41 offset:80
	ds_load_b128 v[62:65], v40 offset:2560
	;; [unrolled: 1-line block ×8, first 2 shown]
	v_add_f64_e32 v[84:85], v[84:85], v[118:119]
	v_add_f64_e32 v[86:87], v[120:121], v[86:87]
	;; [unrolled: 1-line block ×8, first 2 shown]
	s_wait_dscnt 0x6
	v_mul_f64_e32 v[90:91], v[60:61], v[64:65]
	v_mul_f64_e32 v[92:93], v[58:59], v[64:65]
	s_wait_dscnt 0x5
	v_mul_f64_e32 v[94:95], v[60:61], v[68:69]
	v_mul_f64_e32 v[96:97], v[58:59], v[68:69]
	s_wait_dscnt 0x4
	v_mul_f64_e32 v[98:99], v[72:73], v[64:65]
	v_mul_f64_e32 v[64:65], v[70:71], v[64:65]
	v_mul_f64_e32 v[118:119], v[72:73], v[68:69]
	v_mul_f64_e32 v[68:69], v[70:71], v[68:69]
	v_fma_f64 v[102:103], v[20:21], v[24:25], -v[102:103]
	v_fma_f64 v[104:105], v[22:23], v[24:25], v[104:105]
	v_fma_f64 v[106:107], v[20:21], v[28:29], -v[106:107]
	v_fma_f64 v[120:121], v[22:23], v[28:29], v[124:125]
	;; [unrolled: 2-line block ×4, first 2 shown]
	ds_load_b128 v[20:23], v41 offset:112
	ds_load_b128 v[24:27], v40 offset:3584
	;; [unrolled: 1-line block ×4, first 2 shown]
	s_wait_loadcnt_dscnt 0x0
	s_barrier_signal -1
	s_barrier_wait -1
	global_inv scope:SCOPE_SE
	v_add_f64_e32 v[84:85], v[84:85], v[100:101]
	v_add_f64_e32 v[86:87], v[108:109], v[86:87]
	;; [unrolled: 1-line block ×8, first 2 shown]
	v_mul_f64_e32 v[100:101], v[4:5], v[48:49]
	v_mul_f64_e32 v[108:109], v[2:3], v[48:49]
	;; [unrolled: 1-line block ×8, first 2 shown]
	v_fma_f64 v[90:91], v[58:59], v[62:63], -v[90:91]
	v_fma_f64 v[92:93], v[60:61], v[62:63], v[92:93]
	v_fma_f64 v[58:59], v[58:59], v[66:67], -v[94:95]
	v_fma_f64 v[60:61], v[60:61], v[66:67], v[96:97]
	;; [unrolled: 2-line block ×4, first 2 shown]
	v_mul_f64_e32 v[96:97], v[20:21], v[30:31]
	v_mul_f64_e32 v[98:99], v[34:35], v[26:27]
	v_add_f64_e32 v[68:69], v[84:85], v[102:103]
	v_add_f64_e32 v[70:71], v[104:105], v[86:87]
	;; [unrolled: 1-line block ×8, first 2 shown]
	v_mul_f64_e32 v[84:85], v[22:23], v[26:27]
	v_mul_f64_e32 v[86:87], v[20:21], v[26:27]
	;; [unrolled: 1-line block ×6, first 2 shown]
	v_fma_f64 v[100:101], v[2:3], v[46:47], -v[100:101]
	v_fma_f64 v[104:105], v[4:5], v[46:47], v[108:109]
	v_fma_f64 v[2:3], v[2:3], v[50:51], -v[110:111]
	v_fma_f64 v[4:5], v[4:5], v[50:51], v[112:113]
	v_fma_f64 v[106:107], v[54:55], v[46:47], -v[114:115]
	v_fma_f64 v[46:47], v[56:57], v[46:47], v[48:49]
	v_fma_f64 v[48:49], v[54:55], v[50:51], -v[116:117]
	v_fma_f64 v[50:51], v[56:57], v[50:51], v[52:53]
	v_add_f64_e32 v[52:53], v[68:69], v[90:91]
	v_add_f64_e32 v[54:55], v[92:93], v[70:71]
	;; [unrolled: 1-line block ×8, first 2 shown]
	v_fma_f64 v[68:69], v[20:21], v[24:25], -v[84:85]
	v_fma_f64 v[70:71], v[22:23], v[24:25], v[86:87]
	v_fma_f64 v[20:21], v[20:21], v[28:29], -v[88:89]
	v_fma_f64 v[22:23], v[22:23], v[28:29], v[96:97]
	;; [unrolled: 2-line block ×4, first 2 shown]
	v_add_f64_e32 v[24:25], v[52:53], v[100:101]
	v_add_f64_e32 v[28:29], v[104:105], v[54:55]
	;; [unrolled: 1-line block ×16, first 2 shown]
	s_wait_alu 0xfffe
	s_cbranch_vccz .LBB573_18
.LBB573_10:                             ;   Parent Loop BB573_7 Depth=1
                                        ; =>  This Inner Loop Header: Depth=2
	v_mov_b32_e32 v2, 0
	v_dual_mov_b32 v3, 0 :: v_dual_mov_b32 v4, 0
	v_mov_b32_e32 v5, 0
	s_and_saveexec_b32 s19, s0
	s_cbranch_execz .LBB573_14
; %bb.11:                               ;   in Loop: Header=BB573_10 Depth=2
	v_mov_b32_e32 v4, 0
	v_mov_b32_e32 v2, 0
	s_wait_alu 0xfffe
	v_dual_mov_b32 v5, 0 :: v_dual_add_nc_u32 v0, s16, v37
	v_mov_b32_e32 v3, 0
	s_mov_b32 s24, exec_lo
	s_delay_alu instid0(VALU_DEP_2)
	v_cmpx_gt_u64_e64 s[8:9], v[0:1]
	s_cbranch_execz .LBB573_13
; %bb.12:                               ;   in Loop: Header=BB573_10 Depth=2
	v_lshlrev_b64_e32 v[2:3], 4, v[0:1]
	s_delay_alu instid0(VALU_DEP_1) | instskip(SKIP_1) | instid1(VALU_DEP_2)
	v_add_co_u32 v2, vcc_lo, v42, v2
	s_wait_alu 0xfffd
	v_add_co_ci_u32_e64 v3, null, v43, v3, vcc_lo
	flat_load_b128 v[2:5], v[2:3]
	s_wait_loadcnt_dscnt 0x0
	v_xor_b32_e32 v5, 0x80000000, v5
.LBB573_13:                             ;   in Loop: Header=BB573_10 Depth=2
	s_or_b32 exec_lo, exec_lo, s24
.LBB573_14:                             ;   in Loop: Header=BB573_10 Depth=2
	s_delay_alu instid0(SALU_CYCLE_1)
	s_or_b32 exec_lo, exec_lo, s19
	s_wait_alu 0xfffe
	v_add_nc_u32_e32 v0, s16, v36
	ds_store_b128 v38, v[2:5]
	v_cmp_le_u64_e32 vcc_lo, s[8:9], v[0:1]
	s_or_b32 s19, vcc_lo, s18
	s_delay_alu instid0(SALU_CYCLE_1) | instskip(NEXT) | instid1(SALU_CYCLE_1)
	s_and_saveexec_b32 s24, s19
	s_xor_b32 s19, exec_lo, s24
; %bb.15:                               ;   in Loop: Header=BB573_10 Depth=2
	v_dual_mov_b32 v0, v1 :: v_dual_mov_b32 v3, v1
	v_mov_b32_e32 v2, v1
	ds_store_b128 v39, v[0:3]
; %bb.16:                               ;   in Loop: Header=BB573_10 Depth=2
	s_and_not1_saveexec_b32 s19, s19
	s_cbranch_execz .LBB573_9
; %bb.17:                               ;   in Loop: Header=BB573_10 Depth=2
	v_lshlrev_b64_e32 v[2:3], 4, v[0:1]
	s_delay_alu instid0(VALU_DEP_1) | instskip(SKIP_1) | instid1(VALU_DEP_2)
	v_add_co_u32 v2, vcc_lo, v44, v2
	s_wait_alu 0xfffd
	v_add_co_ci_u32_e64 v3, null, v45, v3, vcc_lo
	flat_load_b128 v[2:5], v[2:3]
	s_wait_loadcnt_dscnt 0x0
	ds_store_2addr_b64 v39, v[2:3], v[4:5] offset1:1
	s_branch .LBB573_9
.LBB573_18:                             ;   in Loop: Header=BB573_7 Depth=1
	s_wait_loadcnt 0x0
	v_add_co_u32 v0, vcc_lo, v18, s6
	s_wait_alu 0xfffd
	v_add_co_ci_u32_e64 v18, null, s7, v19, vcc_lo
	s_delay_alu instid0(VALU_DEP_2) | instskip(SKIP_1) | instid1(VALU_DEP_2)
	v_add_co_u32 v19, vcc_lo, v0, v14
	s_wait_alu 0xfffd
	v_add_co_ci_u32_e64 v42, null, v18, v15, vcc_lo
	s_and_saveexec_b32 s16, s23
	s_cbranch_execz .LBB573_23
; %bb.19:                               ;   in Loop: Header=BB573_7 Depth=1
	v_mul_f64_e32 v[2:3], s[12:13], v[34:35]
	v_mul_f64_e32 v[4:5], s[10:11], v[34:35]
	s_and_b32 vcc_lo, exec_lo, s22
	s_mov_b32 s17, -1
	s_delay_alu instid0(VALU_DEP_2) | instskip(NEXT) | instid1(VALU_DEP_2)
	v_fma_f64 v[2:3], s[10:11], v[32:33], -v[2:3]
	v_fma_f64 v[4:5], s[12:13], v[32:33], v[4:5]
	s_wait_alu 0xfffe
	s_cbranch_vccz .LBB573_21
; %bb.20:                               ;   in Loop: Header=BB573_7 Depth=1
	v_lshlrev_b64_e32 v[32:33], 4, v[6:7]
	s_mov_b32 s17, 0
	s_delay_alu instid0(VALU_DEP_1) | instskip(SKIP_1) | instid1(VALU_DEP_2)
	v_add_co_u32 v43, vcc_lo, v19, v32
	s_wait_alu 0xfffd
	v_add_co_ci_u32_e64 v44, null, v42, v33, vcc_lo
	flat_load_b128 v[32:35], v[43:44]
	s_wait_loadcnt_dscnt 0x0
	v_mul_f64_e32 v[45:46], s[28:29], v[34:35]
	v_mul_f64_e32 v[34:35], s[26:27], v[34:35]
	s_delay_alu instid0(VALU_DEP_2) | instskip(NEXT) | instid1(VALU_DEP_2)
	v_fma_f64 v[45:46], s[26:27], v[32:33], -v[45:46]
	v_fma_f64 v[34:35], s[28:29], v[32:33], v[34:35]
	s_delay_alu instid0(VALU_DEP_2) | instskip(NEXT) | instid1(VALU_DEP_2)
	v_add_f64_e32 v[32:33], v[2:3], v[45:46]
	v_add_f64_e32 v[34:35], v[4:5], v[34:35]
	flat_store_b128 v[43:44], v[32:35]
.LBB573_21:                             ;   in Loop: Header=BB573_7 Depth=1
	s_wait_alu 0xfffe
	s_and_not1_b32 vcc_lo, exec_lo, s17
	s_wait_alu 0xfffe
	s_cbranch_vccnz .LBB573_23
; %bb.22:                               ;   in Loop: Header=BB573_7 Depth=1
	v_lshlrev_b64_e32 v[32:33], 4, v[6:7]
	s_delay_alu instid0(VALU_DEP_1) | instskip(SKIP_1) | instid1(VALU_DEP_2)
	v_add_co_u32 v32, vcc_lo, v19, v32
	s_wait_alu 0xfffd
	v_add_co_ci_u32_e64 v33, null, v42, v33, vcc_lo
	flat_store_b128 v[32:33], v[2:5]
.LBB573_23:                             ;   in Loop: Header=BB573_7 Depth=1
	s_wait_alu 0xfffe
	s_or_b32 exec_lo, exec_lo, s16
	s_and_saveexec_b32 s16, s36
	s_cbranch_execz .LBB573_28
; %bb.24:                               ;   in Loop: Header=BB573_7 Depth=1
	v_mul_f64_e32 v[2:3], s[12:13], v[30:31]
	v_mul_f64_e32 v[4:5], s[10:11], v[30:31]
	s_and_not1_b32 vcc_lo, exec_lo, s22
	s_mov_b32 s17, -1
	s_delay_alu instid0(VALU_DEP_2) | instskip(NEXT) | instid1(VALU_DEP_2)
	v_fma_f64 v[2:3], s[10:11], v[28:29], -v[2:3]
	v_fma_f64 v[4:5], s[12:13], v[28:29], v[4:5]
	s_wait_alu 0xfffe
	s_cbranch_vccnz .LBB573_26
; %bb.25:                               ;   in Loop: Header=BB573_7 Depth=1
	v_lshlrev_b64_e32 v[28:29], 4, v[8:9]
	s_mov_b32 s17, 0
	s_delay_alu instid0(VALU_DEP_1) | instskip(SKIP_1) | instid1(VALU_DEP_2)
	v_add_co_u32 v32, vcc_lo, v19, v28
	s_wait_alu 0xfffd
	v_add_co_ci_u32_e64 v33, null, v42, v29, vcc_lo
	flat_load_b128 v[28:31], v[32:33]
	s_wait_loadcnt_dscnt 0x0
	v_mul_f64_e32 v[34:35], s[28:29], v[30:31]
	v_mul_f64_e32 v[30:31], s[26:27], v[30:31]
	s_delay_alu instid0(VALU_DEP_2) | instskip(NEXT) | instid1(VALU_DEP_2)
	v_fma_f64 v[34:35], s[26:27], v[28:29], -v[34:35]
	v_fma_f64 v[30:31], s[28:29], v[28:29], v[30:31]
	s_delay_alu instid0(VALU_DEP_2) | instskip(NEXT) | instid1(VALU_DEP_2)
	v_add_f64_e32 v[28:29], v[2:3], v[34:35]
	v_add_f64_e32 v[30:31], v[4:5], v[30:31]
	flat_store_b128 v[32:33], v[28:31]
.LBB573_26:                             ;   in Loop: Header=BB573_7 Depth=1
	s_wait_alu 0xfffe
	s_and_not1_b32 vcc_lo, exec_lo, s17
	s_wait_alu 0xfffe
	s_cbranch_vccnz .LBB573_28
; %bb.27:                               ;   in Loop: Header=BB573_7 Depth=1
	v_lshlrev_b64_e32 v[28:29], 4, v[8:9]
	s_delay_alu instid0(VALU_DEP_1) | instskip(SKIP_1) | instid1(VALU_DEP_2)
	v_add_co_u32 v28, vcc_lo, v19, v28
	s_wait_alu 0xfffd
	v_add_co_ci_u32_e64 v29, null, v42, v29, vcc_lo
	flat_store_b128 v[28:29], v[2:5]
.LBB573_28:                             ;   in Loop: Header=BB573_7 Depth=1
	s_wait_alu 0xfffe
	s_or_b32 exec_lo, exec_lo, s16
	v_add_co_u32 v0, vcc_lo, v0, v16
	s_wait_alu 0xfffd
	v_add_co_ci_u32_e64 v28, null, v18, v17, vcc_lo
	s_and_saveexec_b32 s16, s1
	s_cbranch_execz .LBB573_33
; %bb.29:                               ;   in Loop: Header=BB573_7 Depth=1
	v_mul_f64_e32 v[2:3], s[12:13], v[26:27]
	v_mul_f64_e32 v[4:5], s[10:11], v[26:27]
	v_lshlrev_b64_e32 v[18:19], 4, v[6:7]
	s_and_not1_b32 vcc_lo, exec_lo, s22
	s_mov_b32 s17, -1
	s_delay_alu instid0(VALU_DEP_3) | instskip(NEXT) | instid1(VALU_DEP_3)
	v_fma_f64 v[2:3], s[10:11], v[24:25], -v[2:3]
	v_fma_f64 v[4:5], s[12:13], v[24:25], v[4:5]
	s_wait_alu 0xfffe
	s_cbranch_vccnz .LBB573_31
; %bb.30:                               ;   in Loop: Header=BB573_7 Depth=1
	v_add_co_u32 v29, vcc_lo, v0, v18
	s_wait_alu 0xfffd
	v_add_co_ci_u32_e64 v30, null, v28, v19, vcc_lo
	s_mov_b32 s17, 0
	flat_load_b128 v[24:27], v[29:30]
	s_wait_loadcnt_dscnt 0x0
	v_mul_f64_e32 v[31:32], s[28:29], v[26:27]
	v_mul_f64_e32 v[26:27], s[26:27], v[26:27]
	s_delay_alu instid0(VALU_DEP_2) | instskip(NEXT) | instid1(VALU_DEP_2)
	v_fma_f64 v[31:32], s[26:27], v[24:25], -v[31:32]
	v_fma_f64 v[26:27], s[28:29], v[24:25], v[26:27]
	s_delay_alu instid0(VALU_DEP_2) | instskip(NEXT) | instid1(VALU_DEP_2)
	v_add_f64_e32 v[24:25], v[2:3], v[31:32]
	v_add_f64_e32 v[26:27], v[4:5], v[26:27]
	flat_store_b128 v[29:30], v[24:27]
.LBB573_31:                             ;   in Loop: Header=BB573_7 Depth=1
	s_wait_alu 0xfffe
	s_and_not1_b32 vcc_lo, exec_lo, s17
	s_wait_alu 0xfffe
	s_cbranch_vccnz .LBB573_33
; %bb.32:                               ;   in Loop: Header=BB573_7 Depth=1
	v_add_co_u32 v18, vcc_lo, v0, v18
	s_wait_alu 0xfffd
	v_add_co_ci_u32_e64 v19, null, v28, v19, vcc_lo
	flat_store_b128 v[18:19], v[2:5]
.LBB573_33:                             ;   in Loop: Header=BB573_7 Depth=1
	s_wait_alu 0xfffe
	s_or_b32 exec_lo, exec_lo, s16
	s_and_saveexec_b32 s16, s37
	s_cbranch_execz .LBB573_6
; %bb.34:                               ;   in Loop: Header=BB573_7 Depth=1
	v_mul_f64_e32 v[2:3], s[12:13], v[20:21]
	v_mul_f64_e32 v[4:5], s[10:11], v[20:21]
	v_lshlrev_b64_e32 v[18:19], 4, v[8:9]
	s_and_not1_b32 vcc_lo, exec_lo, s22
	s_mov_b32 s17, -1
	s_delay_alu instid0(VALU_DEP_3) | instskip(NEXT) | instid1(VALU_DEP_3)
	v_fma_f64 v[2:3], s[10:11], v[22:23], -v[2:3]
	v_fma_f64 v[4:5], s[12:13], v[22:23], v[4:5]
	s_wait_alu 0xfffe
	s_cbranch_vccnz .LBB573_36
; %bb.35:                               ;   in Loop: Header=BB573_7 Depth=1
	v_add_co_u32 v24, vcc_lo, v0, v18
	s_wait_alu 0xfffd
	v_add_co_ci_u32_e64 v25, null, v28, v19, vcc_lo
	s_mov_b32 s17, 0
	flat_load_b128 v[20:23], v[24:25]
	s_wait_loadcnt_dscnt 0x0
	v_mul_f64_e32 v[26:27], s[28:29], v[22:23]
	v_mul_f64_e32 v[22:23], s[26:27], v[22:23]
	s_delay_alu instid0(VALU_DEP_2) | instskip(NEXT) | instid1(VALU_DEP_2)
	v_fma_f64 v[26:27], s[26:27], v[20:21], -v[26:27]
	v_fma_f64 v[22:23], s[28:29], v[20:21], v[22:23]
	s_delay_alu instid0(VALU_DEP_2) | instskip(NEXT) | instid1(VALU_DEP_2)
	v_add_f64_e32 v[20:21], v[2:3], v[26:27]
	v_add_f64_e32 v[22:23], v[4:5], v[22:23]
	flat_store_b128 v[24:25], v[20:23]
.LBB573_36:                             ;   in Loop: Header=BB573_7 Depth=1
	s_wait_alu 0xfffe
	s_and_not1_b32 vcc_lo, exec_lo, s17
	s_wait_alu 0xfffe
	s_cbranch_vccnz .LBB573_6
; %bb.37:                               ;   in Loop: Header=BB573_7 Depth=1
	v_add_co_u32 v18, vcc_lo, v0, v18
	s_wait_alu 0xfffd
	v_add_co_ci_u32_e64 v19, null, v28, v19, vcc_lo
	flat_store_b128 v[18:19], v[2:5]
	s_branch .LBB573_6
.LBB573_38:
.LBB573_39:
	s_nop 0
	s_sendmsg sendmsg(MSG_DEALLOC_VGPRS)
	s_endpgm
	.section	.rodata,"a",@progbits
	.p2align	6, 0x0
	.amdhsa_kernel _ZL29rocblas_internal_gemmt_kernelIlLi16ELi32ELi8ELc67ELc78ELc76ELb1ELb0E19rocblas_complex_numIdES1_PKPKS1_PKPS1_EviT_T9_T10_S9_lSB_S9_lSA_T11_S9_li
		.amdhsa_group_segment_fixed_size 8192
		.amdhsa_private_segment_fixed_size 0
		.amdhsa_kernarg_size 124
		.amdhsa_user_sgpr_count 2
		.amdhsa_user_sgpr_dispatch_ptr 0
		.amdhsa_user_sgpr_queue_ptr 0
		.amdhsa_user_sgpr_kernarg_segment_ptr 1
		.amdhsa_user_sgpr_dispatch_id 0
		.amdhsa_user_sgpr_private_segment_size 0
		.amdhsa_wavefront_size32 1
		.amdhsa_uses_dynamic_stack 0
		.amdhsa_enable_private_segment 0
		.amdhsa_system_sgpr_workgroup_id_x 1
		.amdhsa_system_sgpr_workgroup_id_y 1
		.amdhsa_system_sgpr_workgroup_id_z 1
		.amdhsa_system_sgpr_workgroup_info 0
		.amdhsa_system_vgpr_workitem_id 1
		.amdhsa_next_free_vgpr 134
		.amdhsa_next_free_sgpr 40
		.amdhsa_reserve_vcc 1
		.amdhsa_float_round_mode_32 0
		.amdhsa_float_round_mode_16_64 0
		.amdhsa_float_denorm_mode_32 3
		.amdhsa_float_denorm_mode_16_64 3
		.amdhsa_fp16_overflow 0
		.amdhsa_workgroup_processor_mode 1
		.amdhsa_memory_ordered 1
		.amdhsa_forward_progress 1
		.amdhsa_inst_pref_size 28
		.amdhsa_round_robin_scheduling 0
		.amdhsa_exception_fp_ieee_invalid_op 0
		.amdhsa_exception_fp_denorm_src 0
		.amdhsa_exception_fp_ieee_div_zero 0
		.amdhsa_exception_fp_ieee_overflow 0
		.amdhsa_exception_fp_ieee_underflow 0
		.amdhsa_exception_fp_ieee_inexact 0
		.amdhsa_exception_int_div_zero 0
	.end_amdhsa_kernel
	.section	.text._ZL29rocblas_internal_gemmt_kernelIlLi16ELi32ELi8ELc67ELc78ELc76ELb1ELb0E19rocblas_complex_numIdES1_PKPKS1_PKPS1_EviT_T9_T10_S9_lSB_S9_lSA_T11_S9_li,"axG",@progbits,_ZL29rocblas_internal_gemmt_kernelIlLi16ELi32ELi8ELc67ELc78ELc76ELb1ELb0E19rocblas_complex_numIdES1_PKPKS1_PKPS1_EviT_T9_T10_S9_lSB_S9_lSA_T11_S9_li,comdat
.Lfunc_end573:
	.size	_ZL29rocblas_internal_gemmt_kernelIlLi16ELi32ELi8ELc67ELc78ELc76ELb1ELb0E19rocblas_complex_numIdES1_PKPKS1_PKPS1_EviT_T9_T10_S9_lSB_S9_lSA_T11_S9_li, .Lfunc_end573-_ZL29rocblas_internal_gemmt_kernelIlLi16ELi32ELi8ELc67ELc78ELc76ELb1ELb0E19rocblas_complex_numIdES1_PKPKS1_PKPS1_EviT_T9_T10_S9_lSB_S9_lSA_T11_S9_li
                                        ; -- End function
	.set _ZL29rocblas_internal_gemmt_kernelIlLi16ELi32ELi8ELc67ELc78ELc76ELb1ELb0E19rocblas_complex_numIdES1_PKPKS1_PKPS1_EviT_T9_T10_S9_lSB_S9_lSA_T11_S9_li.num_vgpr, 134
	.set _ZL29rocblas_internal_gemmt_kernelIlLi16ELi32ELi8ELc67ELc78ELc76ELb1ELb0E19rocblas_complex_numIdES1_PKPKS1_PKPS1_EviT_T9_T10_S9_lSB_S9_lSA_T11_S9_li.num_agpr, 0
	.set _ZL29rocblas_internal_gemmt_kernelIlLi16ELi32ELi8ELc67ELc78ELc76ELb1ELb0E19rocblas_complex_numIdES1_PKPKS1_PKPS1_EviT_T9_T10_S9_lSB_S9_lSA_T11_S9_li.numbered_sgpr, 40
	.set _ZL29rocblas_internal_gemmt_kernelIlLi16ELi32ELi8ELc67ELc78ELc76ELb1ELb0E19rocblas_complex_numIdES1_PKPKS1_PKPS1_EviT_T9_T10_S9_lSB_S9_lSA_T11_S9_li.num_named_barrier, 0
	.set _ZL29rocblas_internal_gemmt_kernelIlLi16ELi32ELi8ELc67ELc78ELc76ELb1ELb0E19rocblas_complex_numIdES1_PKPKS1_PKPS1_EviT_T9_T10_S9_lSB_S9_lSA_T11_S9_li.private_seg_size, 0
	.set _ZL29rocblas_internal_gemmt_kernelIlLi16ELi32ELi8ELc67ELc78ELc76ELb1ELb0E19rocblas_complex_numIdES1_PKPKS1_PKPS1_EviT_T9_T10_S9_lSB_S9_lSA_T11_S9_li.uses_vcc, 1
	.set _ZL29rocblas_internal_gemmt_kernelIlLi16ELi32ELi8ELc67ELc78ELc76ELb1ELb0E19rocblas_complex_numIdES1_PKPKS1_PKPS1_EviT_T9_T10_S9_lSB_S9_lSA_T11_S9_li.uses_flat_scratch, 0
	.set _ZL29rocblas_internal_gemmt_kernelIlLi16ELi32ELi8ELc67ELc78ELc76ELb1ELb0E19rocblas_complex_numIdES1_PKPKS1_PKPS1_EviT_T9_T10_S9_lSB_S9_lSA_T11_S9_li.has_dyn_sized_stack, 0
	.set _ZL29rocblas_internal_gemmt_kernelIlLi16ELi32ELi8ELc67ELc78ELc76ELb1ELb0E19rocblas_complex_numIdES1_PKPKS1_PKPS1_EviT_T9_T10_S9_lSB_S9_lSA_T11_S9_li.has_recursion, 0
	.set _ZL29rocblas_internal_gemmt_kernelIlLi16ELi32ELi8ELc67ELc78ELc76ELb1ELb0E19rocblas_complex_numIdES1_PKPKS1_PKPS1_EviT_T9_T10_S9_lSB_S9_lSA_T11_S9_li.has_indirect_call, 0
	.section	.AMDGPU.csdata,"",@progbits
; Kernel info:
; codeLenInByte = 3508
; TotalNumSgprs: 42
; NumVgprs: 134
; ScratchSize: 0
; MemoryBound: 1
; FloatMode: 240
; IeeeMode: 1
; LDSByteSize: 8192 bytes/workgroup (compile time only)
; SGPRBlocks: 0
; VGPRBlocks: 16
; NumSGPRsForWavesPerEU: 42
; NumVGPRsForWavesPerEU: 134
; Occupancy: 10
; WaveLimiterHint : 1
; COMPUTE_PGM_RSRC2:SCRATCH_EN: 0
; COMPUTE_PGM_RSRC2:USER_SGPR: 2
; COMPUTE_PGM_RSRC2:TRAP_HANDLER: 0
; COMPUTE_PGM_RSRC2:TGID_X_EN: 1
; COMPUTE_PGM_RSRC2:TGID_Y_EN: 1
; COMPUTE_PGM_RSRC2:TGID_Z_EN: 1
; COMPUTE_PGM_RSRC2:TIDIG_COMP_CNT: 1
	.section	.text._ZL29rocblas_internal_gemmt_kernelIlLi16ELi32ELi8ELc67ELc84ELc76ELb1ELb0E19rocblas_complex_numIdES1_PKPKS1_PKPS1_EviT_T9_T10_S9_lSB_S9_lSA_T11_S9_li,"axG",@progbits,_ZL29rocblas_internal_gemmt_kernelIlLi16ELi32ELi8ELc67ELc84ELc76ELb1ELb0E19rocblas_complex_numIdES1_PKPKS1_PKPS1_EviT_T9_T10_S9_lSB_S9_lSA_T11_S9_li,comdat
	.globl	_ZL29rocblas_internal_gemmt_kernelIlLi16ELi32ELi8ELc67ELc84ELc76ELb1ELb0E19rocblas_complex_numIdES1_PKPKS1_PKPS1_EviT_T9_T10_S9_lSB_S9_lSA_T11_S9_li ; -- Begin function _ZL29rocblas_internal_gemmt_kernelIlLi16ELi32ELi8ELc67ELc84ELc76ELb1ELb0E19rocblas_complex_numIdES1_PKPKS1_PKPS1_EviT_T9_T10_S9_lSB_S9_lSA_T11_S9_li
	.p2align	8
	.type	_ZL29rocblas_internal_gemmt_kernelIlLi16ELi32ELi8ELc67ELc84ELc76ELb1ELb0E19rocblas_complex_numIdES1_PKPKS1_PKPS1_EviT_T9_T10_S9_lSB_S9_lSA_T11_S9_li,@function
_ZL29rocblas_internal_gemmt_kernelIlLi16ELi32ELi8ELc67ELc84ELc76ELb1ELb0E19rocblas_complex_numIdES1_PKPKS1_PKPS1_EviT_T9_T10_S9_lSB_S9_lSA_T11_S9_li: ; @_ZL29rocblas_internal_gemmt_kernelIlLi16ELi32ELi8ELc67ELc84ELc76ELb1ELb0E19rocblas_complex_numIdES1_PKPKS1_PKPS1_EviT_T9_T10_S9_lSB_S9_lSA_T11_S9_li
; %bb.0:
	s_clause 0x1
	s_load_b256 s[24:31], s[0:1], 0x48
	s_load_b512 s[8:23], s[0:1], 0x8
	s_wait_kmcnt 0x0
	v_cmp_eq_f64_e64 s3, s[26:27], 1.0
	v_cmp_eq_f64_e64 s2, s[28:29], 0
	s_and_b32 s3, s3, s2
	s_delay_alu instid0(SALU_CYCLE_1)
	s_and_not1_b32 vcc_lo, exec_lo, s3
	s_mov_b32 s3, -1
	s_cbranch_vccnz .LBB574_3
; %bb.1:
	s_cmp_lg_u64 s[8:9], 0
	s_cbranch_scc0 .LBB574_38
; %bb.2:
	v_cmp_neq_f64_e64 s3, s[10:11], 0
	v_cmp_neq_f64_e64 s4, s[12:13], 0
	s_or_b32 s3, s3, s4
.LBB574_3:
	s_delay_alu instid0(SALU_CYCLE_1)
	s_and_b32 vcc_lo, exec_lo, s3
	s_cbranch_vccz .LBB574_39
; %bb.4:
	s_load_b32 s33, s[0:1], 0x78
	s_lshr_b32 s34, ttmp7, 16
	s_wait_kmcnt 0x0
	s_cmp_ge_u32 s34, s33
	s_cbranch_scc1 .LBB574_39
; %bb.5:
	s_clause 0x1
	s_load_b128 s[4:7], s[0:1], 0x68
	s_load_b32 s37, s[0:1], 0x0
	v_cmp_neq_f64_e64 s3, s[10:11], 0
	v_cmp_neq_f64_e64 s35, s[12:13], 0
	;; [unrolled: 1-line block ×3, first 2 shown]
	v_bfe_u32 v10, v0, 10, 10
	v_and_b32_e32 v9, 0x3ff, v0
	s_lshl_b32 s0, ttmp7, 5
	v_dual_mov_b32 v1, 0 :: v_dual_and_b32 v34, 7, v0
	s_and_b32 s0, s0, 0x1fffe0
	s_delay_alu instid0(VALU_DEP_2)
	v_lshl_add_u32 v0, v10, 4, v9
	v_add_nc_u32_e32 v11, s0, v10
	s_lshl_b32 s1, ttmp9, 5
	v_lshl_add_u32 v39, v10, 7, 0x1000
	s_wait_alu 0xfffe
	s_ashr_i32 s38, s1, 31
	v_and_b32_e32 v2, 31, v0
	v_add_nc_u32_e32 v13, 16, v11
	v_lshrrev_b32_e32 v6, 3, v0
	v_lshrrev_b32_e32 v35, 5, v0
	s_mul_i32 s38, s16, s38
	v_or_b32_e32 v8, s1, v2
	s_wait_kmcnt 0x0
	v_mad_co_u64_u32 v[14:15], null, s4, v13, 0
	v_lshlrev_b32_e32 v7, 4, v34
	v_lshlrev_b32_e32 v0, 4, v2
	v_mad_co_u64_u32 v[2:3], null, s4, v11, 0
	v_add_nc_u32_e32 v16, s0, v6
	s_delay_alu instid0(VALU_DEP_4) | instskip(NEXT) | instid1(VALU_DEP_4)
	v_lshl_or_b32 v6, v6, 7, v7
	v_lshl_or_b32 v36, v35, 9, v0
	v_mul_lo_u32 v12, s17, v8
	v_mad_co_u64_u32 v[4:5], null, s16, v8, 0
	s_delay_alu instid0(VALU_DEP_4)
	v_dual_mov_b32 v0, v3 :: v_dual_add_nc_u32 v37, 0x1000, v6
	v_add_nc_u32_e32 v6, s1, v9
	v_cmp_gt_i32_e64 s0, s37, v8
	s_xor_b32 s1, s2, -1
	v_mad_co_u64_u32 v[7:8], null, s5, v11, v[0:1]
	v_add_nc_u32_e32 v8, 16, v6
	v_mov_b32_e32 v0, v15
	s_or_b32 s16, s3, s35
	s_wait_alu 0xfffe
	s_or_b32 s36, s36, s1
	v_cmp_le_i32_e64 s1, v11, v6
	v_cmp_le_i32_e64 s3, v11, v8
	v_mad_co_u64_u32 v[10:11], null, s5, v13, v[0:1]
	v_cmp_gt_i32_e64 s2, s37, v6
	v_add3_u32 v5, v5, s38, v12
	v_mov_b32_e32 v3, v7
	v_cmp_gt_i64_e64 s40, s[8:9], 0
	v_cmp_gt_i32_e64 s4, s37, v8
	v_cmp_le_i32_e64 s5, v13, v8
	v_mov_b32_e32 v15, v10
	v_cmp_gt_i32_e32 vcc_lo, s37, v16
	s_and_b32 s37, s1, s2
	v_cmp_le_i32_e64 s1, v13, v6
	v_lshlrev_b64_e32 v[10:11], 4, v[4:5]
	v_lshlrev_b64_e32 v[12:13], 4, v[2:3]
	v_lshlrev_b64_e32 v[14:15], 4, v[14:15]
	v_lshlrev_b32_e32 v38, 4, v9
	v_ashrrev_i32_e32 v7, 31, v6
	v_ashrrev_i32_e32 v9, 31, v8
	v_lshlrev_b32_e32 v40, 4, v16
	s_and_b32 s38, s3, s4
	s_and_b32 s1, s1, s2
	;; [unrolled: 1-line block ×3, first 2 shown]
	s_mov_b32 s35, 0
	s_and_b32 s40, s16, s40
	s_lshl_b64 s[2:3], s[24:25], 4
	s_lshl_b64 s[4:5], s[18:19], 4
	s_xor_b32 s18, vcc_lo, -1
	s_lshl_b64 s[6:7], s[6:7], 4
	s_branch .LBB574_7
.LBB574_6:                              ;   in Loop: Header=BB574_7 Depth=1
	s_wait_alu 0xfffe
	s_or_b32 exec_lo, exec_lo, s16
	s_add_co_i32 s34, s34, 0x10000
	s_delay_alu instid0(SALU_CYCLE_1)
	s_cmp_lt_u32 s34, s33
	s_cbranch_scc0 .LBB574_39
.LBB574_7:                              ; =>This Loop Header: Depth=1
                                        ;     Child Loop BB574_10 Depth 2
	s_lshl_b64 s[16:17], s[34:35], 3
	v_mov_b32_e32 v30, 0
	s_wait_alu 0xfffe
	s_add_nc_u64 s[24:25], s[30:31], s[16:17]
	v_mov_b32_e32 v26, 0
	global_load_b64 v[16:17], v1, s[24:25]
	v_mov_b32_e32 v22, 0
	v_dual_mov_b32 v20, 0 :: v_dual_mov_b32 v31, 0
	v_dual_mov_b32 v32, 0 :: v_dual_mov_b32 v27, 0
	;; [unrolled: 1-line block ×5, first 2 shown]
	v_mov_b32_e32 v29, 0
	v_mov_b32_e32 v25, 0
	;; [unrolled: 1-line block ×3, first 2 shown]
	s_and_not1_b32 vcc_lo, exec_lo, s40
	s_wait_alu 0xfffe
	s_cbranch_vccnz .LBB574_18
; %bb.8:                                ;   in Loop: Header=BB574_7 Depth=1
	s_add_nc_u64 s[24:25], s[14:15], s[16:17]
	s_add_nc_u64 s[16:17], s[20:21], s[16:17]
	s_clause 0x1
	global_load_b64 v[2:3], v1, s[24:25]
	global_load_b64 v[4:5], v1, s[16:17]
	v_mov_b32_e32 v18, 0
	v_mov_b32_e32 v24, 0
	;; [unrolled: 1-line block ×3, first 2 shown]
	v_dual_mov_b32 v32, 0 :: v_dual_mov_b32 v19, 0
	v_dual_mov_b32 v20, 0 :: v_dual_mov_b32 v25, 0
	;; [unrolled: 1-line block ×5, first 2 shown]
	v_mov_b32_e32 v23, 0
	v_mov_b32_e32 v27, 0
	v_mov_b32_e32 v31, 0
	s_mov_b64 s[16:17], 0
	s_wait_loadcnt 0x1
	v_add_co_u32 v0, vcc_lo, v2, s4
	s_wait_alu 0xfffd
	v_add_co_ci_u32_e64 v2, null, s5, v3, vcc_lo
	s_wait_loadcnt 0x0
	v_add_co_u32 v3, vcc_lo, v4, s2
	s_wait_alu 0xfffd
	v_add_co_ci_u32_e64 v4, null, s3, v5, vcc_lo
	v_add_co_u32 v41, vcc_lo, v0, v10
	s_wait_alu 0xfffd
	v_add_co_ci_u32_e64 v42, null, v2, v11, vcc_lo
	;; [unrolled: 3-line block ×3, first 2 shown]
	s_branch .LBB574_10
.LBB574_9:                              ;   in Loop: Header=BB574_10 Depth=2
	s_or_b32 exec_lo, exec_lo, s19
	s_wait_dscnt 0x0
	s_barrier_signal -1
	s_barrier_wait -1
	global_inv scope:SCOPE_SE
	ds_load_b128 v[2:5], v39
	ds_load_b128 v[45:48], v38
	ds_load_b128 v[49:52], v38 offset:256
	ds_load_b128 v[53:56], v39 offset:2048
	;; [unrolled: 1-line block ×10, first 2 shown]
	s_add_nc_u64 s[16:17], s[16:17], 8
	s_wait_alu 0xfffe
	v_cmp_gt_i64_e64 s19, s[8:9], s[16:17]
	s_and_b32 vcc_lo, exec_lo, s19
	s_wait_dscnt 0xa
	v_mul_f64_e32 v[89:90], v[4:5], v[47:48]
	v_mul_f64_e32 v[91:92], v[2:3], v[47:48]
	s_wait_dscnt 0x9
	v_mul_f64_e32 v[93:94], v[4:5], v[51:52]
	v_mul_f64_e32 v[95:96], v[2:3], v[51:52]
	;; [unrolled: 3-line block ×3, first 2 shown]
	v_mul_f64_e32 v[99:100], v[55:56], v[51:52]
	v_mul_f64_e32 v[51:52], v[53:54], v[51:52]
	s_wait_dscnt 0x5
	v_mul_f64_e32 v[101:102], v[59:60], v[67:68]
	v_mul_f64_e32 v[103:104], v[57:58], v[67:68]
	s_wait_dscnt 0x4
	v_mul_f64_e32 v[105:106], v[59:60], v[71:72]
	v_mul_f64_e32 v[107:108], v[57:58], v[71:72]
	v_mul_f64_e32 v[109:110], v[63:64], v[67:68]
	v_mul_f64_e32 v[67:68], v[61:62], v[67:68]
	v_mul_f64_e32 v[111:112], v[63:64], v[71:72]
	v_mul_f64_e32 v[71:72], v[61:62], v[71:72]
	s_wait_dscnt 0x2
	v_mul_f64_e32 v[117:118], v[75:76], v[79:80]
	v_mul_f64_e32 v[119:120], v[73:74], v[79:80]
	s_wait_dscnt 0x1
	v_mul_f64_e32 v[121:122], v[75:76], v[83:84]
	v_mul_f64_e32 v[123:124], v[73:74], v[83:84]
	;; [unrolled: 3-line block ×3, first 2 shown]
	v_mul_f64_e32 v[127:128], v[87:88], v[83:84]
	v_mul_f64_e32 v[83:84], v[85:86], v[83:84]
	v_fma_f64 v[89:90], v[2:3], v[45:46], -v[89:90]
	v_fma_f64 v[91:92], v[4:5], v[45:46], v[91:92]
	v_fma_f64 v[93:94], v[2:3], v[49:50], -v[93:94]
	v_fma_f64 v[95:96], v[4:5], v[49:50], v[95:96]
	;; [unrolled: 2-line block ×8, first 2 shown]
	ds_load_b128 v[2:5], v39 offset:48
	ds_load_b128 v[45:48], v38 offset:1536
	;; [unrolled: 1-line block ×4, first 2 shown]
	v_fma_f64 v[117:118], v[73:74], v[77:78], -v[117:118]
	v_fma_f64 v[119:120], v[75:76], v[77:78], v[119:120]
	v_fma_f64 v[73:74], v[73:74], v[81:82], -v[121:122]
	v_fma_f64 v[75:76], v[75:76], v[81:82], v[123:124]
	;; [unrolled: 2-line block ×4, first 2 shown]
	s_wait_dscnt 0x2
	v_mul_f64_e32 v[107:108], v[2:3], v[47:48]
	s_wait_dscnt 0x1
	v_mul_f64_e32 v[109:110], v[4:5], v[51:52]
	v_mul_f64_e32 v[111:112], v[2:3], v[51:52]
	v_add_f64_e32 v[67:68], v[30:31], v[89:90]
	v_add_f64_e32 v[69:70], v[91:92], v[32:33]
	;; [unrolled: 1-line block ×8, first 2 shown]
	v_mul_f64_e32 v[99:100], v[4:5], v[47:48]
	s_wait_dscnt 0x0
	v_mul_f64_e32 v[113:114], v[55:56], v[47:48]
	v_mul_f64_e32 v[47:48], v[53:54], v[47:48]
	v_mul_f64_e32 v[115:116], v[55:56], v[51:52]
	v_mul_f64_e32 v[51:52], v[53:54], v[51:52]
	ds_load_b128 v[18:21], v39 offset:64
	ds_load_b128 v[22:25], v38 offset:2048
	;; [unrolled: 1-line block ×4, first 2 shown]
	s_wait_dscnt 0x1
	v_mul_f64_e32 v[123:124], v[18:19], v[28:29]
	s_wait_dscnt 0x0
	v_mul_f64_e32 v[125:126], v[32:33], v[24:25]
	v_mul_f64_e32 v[127:128], v[32:33], v[28:29]
	v_fma_f64 v[107:108], v[4:5], v[45:46], v[107:108]
	v_fma_f64 v[109:110], v[2:3], v[49:50], -v[109:110]
	v_fma_f64 v[111:112], v[4:5], v[49:50], v[111:112]
	v_add_f64_e32 v[83:84], v[67:68], v[101:102]
	v_add_f64_e32 v[85:86], v[103:104], v[69:70]
	;; [unrolled: 1-line block ×8, first 2 shown]
	v_mul_f64_e32 v[101:102], v[20:21], v[24:25]
	v_mul_f64_e32 v[103:104], v[18:19], v[24:25]
	;; [unrolled: 1-line block ×5, first 2 shown]
	v_fma_f64 v[99:100], v[2:3], v[45:46], -v[99:100]
	v_fma_f64 v[113:114], v[53:54], v[45:46], -v[113:114]
	v_fma_f64 v[129:130], v[55:56], v[45:46], v[47:48]
	v_fma_f64 v[115:116], v[53:54], v[49:50], -v[115:116]
	v_fma_f64 v[131:132], v[55:56], v[49:50], v[51:52]
	ds_load_b128 v[57:60], v39 offset:80
	ds_load_b128 v[61:64], v38 offset:2560
	;; [unrolled: 1-line block ×8, first 2 shown]
	v_add_f64_e32 v[83:84], v[83:84], v[117:118]
	v_add_f64_e32 v[85:86], v[119:120], v[85:86]
	;; [unrolled: 1-line block ×8, first 2 shown]
	s_wait_dscnt 0x6
	v_mul_f64_e32 v[89:90], v[59:60], v[63:64]
	v_mul_f64_e32 v[91:92], v[57:58], v[63:64]
	s_wait_dscnt 0x5
	v_mul_f64_e32 v[93:94], v[59:60], v[67:68]
	v_mul_f64_e32 v[95:96], v[57:58], v[67:68]
	;; [unrolled: 3-line block ×3, first 2 shown]
	v_mul_f64_e32 v[117:118], v[71:72], v[67:68]
	v_mul_f64_e32 v[67:68], v[69:70], v[67:68]
	v_fma_f64 v[101:102], v[18:19], v[22:23], -v[101:102]
	v_fma_f64 v[103:104], v[20:21], v[22:23], v[103:104]
	v_fma_f64 v[105:106], v[18:19], v[26:27], -v[105:106]
	v_fma_f64 v[119:120], v[20:21], v[26:27], v[123:124]
	;; [unrolled: 2-line block ×4, first 2 shown]
	ds_load_b128 v[18:21], v39 offset:112
	ds_load_b128 v[22:25], v38 offset:3584
	;; [unrolled: 1-line block ×4, first 2 shown]
	s_wait_loadcnt_dscnt 0x0
	s_barrier_signal -1
	s_barrier_wait -1
	global_inv scope:SCOPE_SE
	v_add_f64_e32 v[83:84], v[83:84], v[99:100]
	v_add_f64_e32 v[85:86], v[107:108], v[85:86]
	;; [unrolled: 1-line block ×8, first 2 shown]
	v_mul_f64_e32 v[99:100], v[4:5], v[47:48]
	v_mul_f64_e32 v[107:108], v[2:3], v[47:48]
	;; [unrolled: 1-line block ×8, first 2 shown]
	v_fma_f64 v[89:90], v[57:58], v[61:62], -v[89:90]
	v_fma_f64 v[91:92], v[59:60], v[61:62], v[91:92]
	v_fma_f64 v[57:58], v[57:58], v[65:66], -v[93:94]
	v_fma_f64 v[59:60], v[59:60], v[65:66], v[95:96]
	;; [unrolled: 2-line block ×4, first 2 shown]
	v_mul_f64_e32 v[95:96], v[18:19], v[28:29]
	v_mul_f64_e32 v[97:98], v[32:33], v[24:25]
	v_add_f64_e32 v[67:68], v[83:84], v[101:102]
	v_add_f64_e32 v[69:70], v[103:104], v[85:86]
	;; [unrolled: 1-line block ×8, first 2 shown]
	v_mul_f64_e32 v[83:84], v[20:21], v[24:25]
	v_mul_f64_e32 v[85:86], v[18:19], v[24:25]
	;; [unrolled: 1-line block ×6, first 2 shown]
	v_fma_f64 v[99:100], v[2:3], v[45:46], -v[99:100]
	v_fma_f64 v[103:104], v[4:5], v[45:46], v[107:108]
	v_fma_f64 v[2:3], v[2:3], v[49:50], -v[109:110]
	v_fma_f64 v[4:5], v[4:5], v[49:50], v[111:112]
	;; [unrolled: 2-line block ×4, first 2 shown]
	v_add_f64_e32 v[51:52], v[67:68], v[89:90]
	v_add_f64_e32 v[53:54], v[91:92], v[69:70]
	;; [unrolled: 1-line block ×8, first 2 shown]
	v_fma_f64 v[67:68], v[18:19], v[22:23], -v[83:84]
	v_fma_f64 v[69:70], v[20:21], v[22:23], v[85:86]
	v_fma_f64 v[18:19], v[18:19], v[26:27], -v[87:88]
	v_fma_f64 v[20:21], v[20:21], v[26:27], v[95:96]
	;; [unrolled: 2-line block ×4, first 2 shown]
	v_add_f64_e32 v[22:23], v[51:52], v[99:100]
	v_add_f64_e32 v[26:27], v[103:104], v[53:54]
	;; [unrolled: 1-line block ×16, first 2 shown]
	s_wait_alu 0xfffe
	s_cbranch_vccz .LBB574_18
.LBB574_10:                             ;   Parent Loop BB574_7 Depth=1
                                        ; =>  This Inner Loop Header: Depth=2
	v_mov_b32_e32 v2, 0
	v_dual_mov_b32 v3, 0 :: v_dual_mov_b32 v4, 0
	v_mov_b32_e32 v5, 0
	s_and_saveexec_b32 s19, s0
	s_cbranch_execz .LBB574_14
; %bb.11:                               ;   in Loop: Header=BB574_10 Depth=2
	v_mov_b32_e32 v4, 0
	v_mov_b32_e32 v2, 0
	s_wait_alu 0xfffe
	v_dual_mov_b32 v5, 0 :: v_dual_add_nc_u32 v0, s16, v35
	v_mov_b32_e32 v3, 0
	s_mov_b32 s24, exec_lo
	s_delay_alu instid0(VALU_DEP_2)
	v_cmpx_gt_u64_e64 s[8:9], v[0:1]
	s_cbranch_execz .LBB574_13
; %bb.12:                               ;   in Loop: Header=BB574_10 Depth=2
	v_lshlrev_b64_e32 v[2:3], 4, v[0:1]
	s_delay_alu instid0(VALU_DEP_1) | instskip(SKIP_1) | instid1(VALU_DEP_2)
	v_add_co_u32 v2, vcc_lo, v41, v2
	s_wait_alu 0xfffd
	v_add_co_ci_u32_e64 v3, null, v42, v3, vcc_lo
	flat_load_b128 v[2:5], v[2:3]
	s_wait_loadcnt_dscnt 0x0
	v_xor_b32_e32 v5, 0x80000000, v5
.LBB574_13:                             ;   in Loop: Header=BB574_10 Depth=2
	s_or_b32 exec_lo, exec_lo, s24
.LBB574_14:                             ;   in Loop: Header=BB574_10 Depth=2
	s_delay_alu instid0(SALU_CYCLE_1)
	s_or_b32 exec_lo, exec_lo, s19
	s_wait_alu 0xfffe
	v_add_nc_u32_e32 v0, s16, v34
	ds_store_b128 v36, v[2:5]
	v_cmp_le_u64_e32 vcc_lo, s[8:9], v[0:1]
	s_or_b32 s19, vcc_lo, s18
	s_delay_alu instid0(SALU_CYCLE_1) | instskip(NEXT) | instid1(SALU_CYCLE_1)
	s_and_saveexec_b32 s24, s19
	s_xor_b32 s19, exec_lo, s24
; %bb.15:                               ;   in Loop: Header=BB574_10 Depth=2
	v_dual_mov_b32 v0, v1 :: v_dual_mov_b32 v3, v1
	v_mov_b32_e32 v2, v1
	ds_store_b128 v37, v[0:3]
; %bb.16:                               ;   in Loop: Header=BB574_10 Depth=2
	s_and_not1_saveexec_b32 s19, s19
	s_cbranch_execz .LBB574_9
; %bb.17:                               ;   in Loop: Header=BB574_10 Depth=2
	v_mad_co_u64_u32 v[2:3], null, s22, v0, 0
	s_delay_alu instid0(VALU_DEP_1) | instskip(NEXT) | instid1(VALU_DEP_1)
	v_mad_co_u64_u32 v[3:4], null, s23, v0, v[3:4]
	v_lshlrev_b64_e32 v[2:3], 4, v[2:3]
	s_delay_alu instid0(VALU_DEP_1) | instskip(SKIP_1) | instid1(VALU_DEP_2)
	v_add_co_u32 v2, vcc_lo, v43, v2
	s_wait_alu 0xfffd
	v_add_co_ci_u32_e64 v3, null, v44, v3, vcc_lo
	flat_load_b128 v[2:5], v[2:3]
	s_wait_loadcnt_dscnt 0x0
	ds_store_2addr_b64 v37, v[2:3], v[4:5] offset1:1
	s_branch .LBB574_9
.LBB574_18:                             ;   in Loop: Header=BB574_7 Depth=1
	s_wait_loadcnt 0x0
	v_add_co_u32 v0, vcc_lo, v16, s6
	s_wait_alu 0xfffd
	v_add_co_ci_u32_e64 v16, null, s7, v17, vcc_lo
	s_delay_alu instid0(VALU_DEP_2) | instskip(SKIP_1) | instid1(VALU_DEP_2)
	v_add_co_u32 v17, vcc_lo, v0, v12
	s_wait_alu 0xfffd
	v_add_co_ci_u32_e64 v41, null, v16, v13, vcc_lo
	s_and_saveexec_b32 s16, s37
	s_cbranch_execz .LBB574_23
; %bb.19:                               ;   in Loop: Header=BB574_7 Depth=1
	v_mul_f64_e32 v[2:3], s[12:13], v[32:33]
	v_mul_f64_e32 v[4:5], s[10:11], v[32:33]
	s_and_b32 vcc_lo, exec_lo, s36
	s_mov_b32 s17, -1
	s_delay_alu instid0(VALU_DEP_2) | instskip(NEXT) | instid1(VALU_DEP_2)
	v_fma_f64 v[2:3], s[10:11], v[30:31], -v[2:3]
	v_fma_f64 v[4:5], s[12:13], v[30:31], v[4:5]
	s_wait_alu 0xfffe
	s_cbranch_vccz .LBB574_21
; %bb.20:                               ;   in Loop: Header=BB574_7 Depth=1
	v_lshlrev_b64_e32 v[30:31], 4, v[6:7]
	s_mov_b32 s17, 0
	s_delay_alu instid0(VALU_DEP_1) | instskip(SKIP_1) | instid1(VALU_DEP_2)
	v_add_co_u32 v42, vcc_lo, v17, v30
	s_wait_alu 0xfffd
	v_add_co_ci_u32_e64 v43, null, v41, v31, vcc_lo
	flat_load_b128 v[30:33], v[42:43]
	s_wait_loadcnt_dscnt 0x0
	v_mul_f64_e32 v[44:45], s[28:29], v[32:33]
	v_mul_f64_e32 v[32:33], s[26:27], v[32:33]
	s_delay_alu instid0(VALU_DEP_2) | instskip(NEXT) | instid1(VALU_DEP_2)
	v_fma_f64 v[44:45], s[26:27], v[30:31], -v[44:45]
	v_fma_f64 v[32:33], s[28:29], v[30:31], v[32:33]
	s_delay_alu instid0(VALU_DEP_2) | instskip(NEXT) | instid1(VALU_DEP_2)
	v_add_f64_e32 v[30:31], v[2:3], v[44:45]
	v_add_f64_e32 v[32:33], v[4:5], v[32:33]
	flat_store_b128 v[42:43], v[30:33]
.LBB574_21:                             ;   in Loop: Header=BB574_7 Depth=1
	s_wait_alu 0xfffe
	s_and_not1_b32 vcc_lo, exec_lo, s17
	s_wait_alu 0xfffe
	s_cbranch_vccnz .LBB574_23
; %bb.22:                               ;   in Loop: Header=BB574_7 Depth=1
	v_lshlrev_b64_e32 v[30:31], 4, v[6:7]
	s_delay_alu instid0(VALU_DEP_1) | instskip(SKIP_1) | instid1(VALU_DEP_2)
	v_add_co_u32 v30, vcc_lo, v17, v30
	s_wait_alu 0xfffd
	v_add_co_ci_u32_e64 v31, null, v41, v31, vcc_lo
	flat_store_b128 v[30:31], v[2:5]
.LBB574_23:                             ;   in Loop: Header=BB574_7 Depth=1
	s_wait_alu 0xfffe
	s_or_b32 exec_lo, exec_lo, s16
	s_and_saveexec_b32 s16, s38
	s_cbranch_execz .LBB574_28
; %bb.24:                               ;   in Loop: Header=BB574_7 Depth=1
	v_mul_f64_e32 v[2:3], s[12:13], v[28:29]
	v_mul_f64_e32 v[4:5], s[10:11], v[28:29]
	s_and_not1_b32 vcc_lo, exec_lo, s36
	s_mov_b32 s17, -1
	s_delay_alu instid0(VALU_DEP_2) | instskip(NEXT) | instid1(VALU_DEP_2)
	v_fma_f64 v[2:3], s[10:11], v[26:27], -v[2:3]
	v_fma_f64 v[4:5], s[12:13], v[26:27], v[4:5]
	s_wait_alu 0xfffe
	s_cbranch_vccnz .LBB574_26
; %bb.25:                               ;   in Loop: Header=BB574_7 Depth=1
	v_lshlrev_b64_e32 v[26:27], 4, v[8:9]
	s_mov_b32 s17, 0
	s_delay_alu instid0(VALU_DEP_1) | instskip(SKIP_1) | instid1(VALU_DEP_2)
	v_add_co_u32 v30, vcc_lo, v17, v26
	s_wait_alu 0xfffd
	v_add_co_ci_u32_e64 v31, null, v41, v27, vcc_lo
	flat_load_b128 v[26:29], v[30:31]
	s_wait_loadcnt_dscnt 0x0
	v_mul_f64_e32 v[32:33], s[28:29], v[28:29]
	v_mul_f64_e32 v[28:29], s[26:27], v[28:29]
	s_delay_alu instid0(VALU_DEP_2) | instskip(NEXT) | instid1(VALU_DEP_2)
	v_fma_f64 v[32:33], s[26:27], v[26:27], -v[32:33]
	v_fma_f64 v[28:29], s[28:29], v[26:27], v[28:29]
	s_delay_alu instid0(VALU_DEP_2) | instskip(NEXT) | instid1(VALU_DEP_2)
	v_add_f64_e32 v[26:27], v[2:3], v[32:33]
	v_add_f64_e32 v[28:29], v[4:5], v[28:29]
	flat_store_b128 v[30:31], v[26:29]
.LBB574_26:                             ;   in Loop: Header=BB574_7 Depth=1
	s_wait_alu 0xfffe
	s_and_not1_b32 vcc_lo, exec_lo, s17
	s_wait_alu 0xfffe
	s_cbranch_vccnz .LBB574_28
; %bb.27:                               ;   in Loop: Header=BB574_7 Depth=1
	v_lshlrev_b64_e32 v[26:27], 4, v[8:9]
	s_delay_alu instid0(VALU_DEP_1) | instskip(SKIP_1) | instid1(VALU_DEP_2)
	v_add_co_u32 v26, vcc_lo, v17, v26
	s_wait_alu 0xfffd
	v_add_co_ci_u32_e64 v27, null, v41, v27, vcc_lo
	flat_store_b128 v[26:27], v[2:5]
.LBB574_28:                             ;   in Loop: Header=BB574_7 Depth=1
	s_wait_alu 0xfffe
	s_or_b32 exec_lo, exec_lo, s16
	v_add_co_u32 v0, vcc_lo, v0, v14
	s_wait_alu 0xfffd
	v_add_co_ci_u32_e64 v26, null, v16, v15, vcc_lo
	s_and_saveexec_b32 s16, s1
	s_cbranch_execz .LBB574_33
; %bb.29:                               ;   in Loop: Header=BB574_7 Depth=1
	v_mul_f64_e32 v[2:3], s[12:13], v[24:25]
	v_mul_f64_e32 v[4:5], s[10:11], v[24:25]
	v_lshlrev_b64_e32 v[16:17], 4, v[6:7]
	s_and_not1_b32 vcc_lo, exec_lo, s36
	s_mov_b32 s17, -1
	s_delay_alu instid0(VALU_DEP_3) | instskip(NEXT) | instid1(VALU_DEP_3)
	v_fma_f64 v[2:3], s[10:11], v[22:23], -v[2:3]
	v_fma_f64 v[4:5], s[12:13], v[22:23], v[4:5]
	s_wait_alu 0xfffe
	s_cbranch_vccnz .LBB574_31
; %bb.30:                               ;   in Loop: Header=BB574_7 Depth=1
	v_add_co_u32 v27, vcc_lo, v0, v16
	s_wait_alu 0xfffd
	v_add_co_ci_u32_e64 v28, null, v26, v17, vcc_lo
	s_mov_b32 s17, 0
	flat_load_b128 v[22:25], v[27:28]
	s_wait_loadcnt_dscnt 0x0
	v_mul_f64_e32 v[29:30], s[28:29], v[24:25]
	v_mul_f64_e32 v[24:25], s[26:27], v[24:25]
	s_delay_alu instid0(VALU_DEP_2) | instskip(NEXT) | instid1(VALU_DEP_2)
	v_fma_f64 v[29:30], s[26:27], v[22:23], -v[29:30]
	v_fma_f64 v[24:25], s[28:29], v[22:23], v[24:25]
	s_delay_alu instid0(VALU_DEP_2) | instskip(NEXT) | instid1(VALU_DEP_2)
	v_add_f64_e32 v[22:23], v[2:3], v[29:30]
	v_add_f64_e32 v[24:25], v[4:5], v[24:25]
	flat_store_b128 v[27:28], v[22:25]
.LBB574_31:                             ;   in Loop: Header=BB574_7 Depth=1
	s_wait_alu 0xfffe
	s_and_not1_b32 vcc_lo, exec_lo, s17
	s_wait_alu 0xfffe
	s_cbranch_vccnz .LBB574_33
; %bb.32:                               ;   in Loop: Header=BB574_7 Depth=1
	v_add_co_u32 v16, vcc_lo, v0, v16
	s_wait_alu 0xfffd
	v_add_co_ci_u32_e64 v17, null, v26, v17, vcc_lo
	flat_store_b128 v[16:17], v[2:5]
.LBB574_33:                             ;   in Loop: Header=BB574_7 Depth=1
	s_wait_alu 0xfffe
	s_or_b32 exec_lo, exec_lo, s16
	s_and_saveexec_b32 s16, s39
	s_cbranch_execz .LBB574_6
; %bb.34:                               ;   in Loop: Header=BB574_7 Depth=1
	v_mul_f64_e32 v[2:3], s[12:13], v[18:19]
	v_mul_f64_e32 v[4:5], s[10:11], v[18:19]
	v_lshlrev_b64_e32 v[16:17], 4, v[8:9]
	s_and_not1_b32 vcc_lo, exec_lo, s36
	s_mov_b32 s17, -1
	s_delay_alu instid0(VALU_DEP_3) | instskip(NEXT) | instid1(VALU_DEP_3)
	v_fma_f64 v[2:3], s[10:11], v[20:21], -v[2:3]
	v_fma_f64 v[4:5], s[12:13], v[20:21], v[4:5]
	s_wait_alu 0xfffe
	s_cbranch_vccnz .LBB574_36
; %bb.35:                               ;   in Loop: Header=BB574_7 Depth=1
	v_add_co_u32 v22, vcc_lo, v0, v16
	s_wait_alu 0xfffd
	v_add_co_ci_u32_e64 v23, null, v26, v17, vcc_lo
	s_mov_b32 s17, 0
	flat_load_b128 v[18:21], v[22:23]
	s_wait_loadcnt_dscnt 0x0
	v_mul_f64_e32 v[24:25], s[28:29], v[20:21]
	v_mul_f64_e32 v[20:21], s[26:27], v[20:21]
	s_delay_alu instid0(VALU_DEP_2) | instskip(NEXT) | instid1(VALU_DEP_2)
	v_fma_f64 v[24:25], s[26:27], v[18:19], -v[24:25]
	v_fma_f64 v[20:21], s[28:29], v[18:19], v[20:21]
	s_delay_alu instid0(VALU_DEP_2) | instskip(NEXT) | instid1(VALU_DEP_2)
	v_add_f64_e32 v[18:19], v[2:3], v[24:25]
	v_add_f64_e32 v[20:21], v[4:5], v[20:21]
	flat_store_b128 v[22:23], v[18:21]
.LBB574_36:                             ;   in Loop: Header=BB574_7 Depth=1
	s_wait_alu 0xfffe
	s_and_not1_b32 vcc_lo, exec_lo, s17
	s_wait_alu 0xfffe
	s_cbranch_vccnz .LBB574_6
; %bb.37:                               ;   in Loop: Header=BB574_7 Depth=1
	v_add_co_u32 v16, vcc_lo, v0, v16
	s_wait_alu 0xfffd
	v_add_co_ci_u32_e64 v17, null, v26, v17, vcc_lo
	flat_store_b128 v[16:17], v[2:5]
	s_branch .LBB574_6
.LBB574_38:
.LBB574_39:
	s_nop 0
	s_sendmsg sendmsg(MSG_DEALLOC_VGPRS)
	s_endpgm
	.section	.rodata,"a",@progbits
	.p2align	6, 0x0
	.amdhsa_kernel _ZL29rocblas_internal_gemmt_kernelIlLi16ELi32ELi8ELc67ELc84ELc76ELb1ELb0E19rocblas_complex_numIdES1_PKPKS1_PKPS1_EviT_T9_T10_S9_lSB_S9_lSA_T11_S9_li
		.amdhsa_group_segment_fixed_size 8192
		.amdhsa_private_segment_fixed_size 0
		.amdhsa_kernarg_size 124
		.amdhsa_user_sgpr_count 2
		.amdhsa_user_sgpr_dispatch_ptr 0
		.amdhsa_user_sgpr_queue_ptr 0
		.amdhsa_user_sgpr_kernarg_segment_ptr 1
		.amdhsa_user_sgpr_dispatch_id 0
		.amdhsa_user_sgpr_private_segment_size 0
		.amdhsa_wavefront_size32 1
		.amdhsa_uses_dynamic_stack 0
		.amdhsa_enable_private_segment 0
		.amdhsa_system_sgpr_workgroup_id_x 1
		.amdhsa_system_sgpr_workgroup_id_y 1
		.amdhsa_system_sgpr_workgroup_id_z 1
		.amdhsa_system_sgpr_workgroup_info 0
		.amdhsa_system_vgpr_workitem_id 1
		.amdhsa_next_free_vgpr 133
		.amdhsa_next_free_sgpr 41
		.amdhsa_reserve_vcc 1
		.amdhsa_float_round_mode_32 0
		.amdhsa_float_round_mode_16_64 0
		.amdhsa_float_denorm_mode_32 3
		.amdhsa_float_denorm_mode_16_64 3
		.amdhsa_fp16_overflow 0
		.amdhsa_workgroup_processor_mode 1
		.amdhsa_memory_ordered 1
		.amdhsa_forward_progress 1
		.amdhsa_inst_pref_size 28
		.amdhsa_round_robin_scheduling 0
		.amdhsa_exception_fp_ieee_invalid_op 0
		.amdhsa_exception_fp_denorm_src 0
		.amdhsa_exception_fp_ieee_div_zero 0
		.amdhsa_exception_fp_ieee_overflow 0
		.amdhsa_exception_fp_ieee_underflow 0
		.amdhsa_exception_fp_ieee_inexact 0
		.amdhsa_exception_int_div_zero 0
	.end_amdhsa_kernel
	.section	.text._ZL29rocblas_internal_gemmt_kernelIlLi16ELi32ELi8ELc67ELc84ELc76ELb1ELb0E19rocblas_complex_numIdES1_PKPKS1_PKPS1_EviT_T9_T10_S9_lSB_S9_lSA_T11_S9_li,"axG",@progbits,_ZL29rocblas_internal_gemmt_kernelIlLi16ELi32ELi8ELc67ELc84ELc76ELb1ELb0E19rocblas_complex_numIdES1_PKPKS1_PKPS1_EviT_T9_T10_S9_lSB_S9_lSA_T11_S9_li,comdat
.Lfunc_end574:
	.size	_ZL29rocblas_internal_gemmt_kernelIlLi16ELi32ELi8ELc67ELc84ELc76ELb1ELb0E19rocblas_complex_numIdES1_PKPKS1_PKPS1_EviT_T9_T10_S9_lSB_S9_lSA_T11_S9_li, .Lfunc_end574-_ZL29rocblas_internal_gemmt_kernelIlLi16ELi32ELi8ELc67ELc84ELc76ELb1ELb0E19rocblas_complex_numIdES1_PKPKS1_PKPS1_EviT_T9_T10_S9_lSB_S9_lSA_T11_S9_li
                                        ; -- End function
	.set _ZL29rocblas_internal_gemmt_kernelIlLi16ELi32ELi8ELc67ELc84ELc76ELb1ELb0E19rocblas_complex_numIdES1_PKPKS1_PKPS1_EviT_T9_T10_S9_lSB_S9_lSA_T11_S9_li.num_vgpr, 133
	.set _ZL29rocblas_internal_gemmt_kernelIlLi16ELi32ELi8ELc67ELc84ELc76ELb1ELb0E19rocblas_complex_numIdES1_PKPKS1_PKPS1_EviT_T9_T10_S9_lSB_S9_lSA_T11_S9_li.num_agpr, 0
	.set _ZL29rocblas_internal_gemmt_kernelIlLi16ELi32ELi8ELc67ELc84ELc76ELb1ELb0E19rocblas_complex_numIdES1_PKPKS1_PKPS1_EviT_T9_T10_S9_lSB_S9_lSA_T11_S9_li.numbered_sgpr, 41
	.set _ZL29rocblas_internal_gemmt_kernelIlLi16ELi32ELi8ELc67ELc84ELc76ELb1ELb0E19rocblas_complex_numIdES1_PKPKS1_PKPS1_EviT_T9_T10_S9_lSB_S9_lSA_T11_S9_li.num_named_barrier, 0
	.set _ZL29rocblas_internal_gemmt_kernelIlLi16ELi32ELi8ELc67ELc84ELc76ELb1ELb0E19rocblas_complex_numIdES1_PKPKS1_PKPS1_EviT_T9_T10_S9_lSB_S9_lSA_T11_S9_li.private_seg_size, 0
	.set _ZL29rocblas_internal_gemmt_kernelIlLi16ELi32ELi8ELc67ELc84ELc76ELb1ELb0E19rocblas_complex_numIdES1_PKPKS1_PKPS1_EviT_T9_T10_S9_lSB_S9_lSA_T11_S9_li.uses_vcc, 1
	.set _ZL29rocblas_internal_gemmt_kernelIlLi16ELi32ELi8ELc67ELc84ELc76ELb1ELb0E19rocblas_complex_numIdES1_PKPKS1_PKPS1_EviT_T9_T10_S9_lSB_S9_lSA_T11_S9_li.uses_flat_scratch, 0
	.set _ZL29rocblas_internal_gemmt_kernelIlLi16ELi32ELi8ELc67ELc84ELc76ELb1ELb0E19rocblas_complex_numIdES1_PKPKS1_PKPS1_EviT_T9_T10_S9_lSB_S9_lSA_T11_S9_li.has_dyn_sized_stack, 0
	.set _ZL29rocblas_internal_gemmt_kernelIlLi16ELi32ELi8ELc67ELc84ELc76ELb1ELb0E19rocblas_complex_numIdES1_PKPKS1_PKPS1_EviT_T9_T10_S9_lSB_S9_lSA_T11_S9_li.has_recursion, 0
	.set _ZL29rocblas_internal_gemmt_kernelIlLi16ELi32ELi8ELc67ELc84ELc76ELb1ELb0E19rocblas_complex_numIdES1_PKPKS1_PKPS1_EviT_T9_T10_S9_lSB_S9_lSA_T11_S9_li.has_indirect_call, 0
	.section	.AMDGPU.csdata,"",@progbits
; Kernel info:
; codeLenInByte = 3488
; TotalNumSgprs: 43
; NumVgprs: 133
; ScratchSize: 0
; MemoryBound: 1
; FloatMode: 240
; IeeeMode: 1
; LDSByteSize: 8192 bytes/workgroup (compile time only)
; SGPRBlocks: 0
; VGPRBlocks: 16
; NumSGPRsForWavesPerEU: 43
; NumVGPRsForWavesPerEU: 133
; Occupancy: 10
; WaveLimiterHint : 1
; COMPUTE_PGM_RSRC2:SCRATCH_EN: 0
; COMPUTE_PGM_RSRC2:USER_SGPR: 2
; COMPUTE_PGM_RSRC2:TRAP_HANDLER: 0
; COMPUTE_PGM_RSRC2:TGID_X_EN: 1
; COMPUTE_PGM_RSRC2:TGID_Y_EN: 1
; COMPUTE_PGM_RSRC2:TGID_Z_EN: 1
; COMPUTE_PGM_RSRC2:TIDIG_COMP_CNT: 1
	.section	.text._ZL29rocblas_internal_gemmt_kernelIlLi16ELi32ELi8ELc67ELc67ELc76ELb1ELb1E19rocblas_complex_numIdES1_PKPKS1_PKPS1_EviT_T9_T10_S9_lSB_S9_lSA_T11_S9_li,"axG",@progbits,_ZL29rocblas_internal_gemmt_kernelIlLi16ELi32ELi8ELc67ELc67ELc76ELb1ELb1E19rocblas_complex_numIdES1_PKPKS1_PKPS1_EviT_T9_T10_S9_lSB_S9_lSA_T11_S9_li,comdat
	.globl	_ZL29rocblas_internal_gemmt_kernelIlLi16ELi32ELi8ELc67ELc67ELc76ELb1ELb1E19rocblas_complex_numIdES1_PKPKS1_PKPS1_EviT_T9_T10_S9_lSB_S9_lSA_T11_S9_li ; -- Begin function _ZL29rocblas_internal_gemmt_kernelIlLi16ELi32ELi8ELc67ELc67ELc76ELb1ELb1E19rocblas_complex_numIdES1_PKPKS1_PKPS1_EviT_T9_T10_S9_lSB_S9_lSA_T11_S9_li
	.p2align	8
	.type	_ZL29rocblas_internal_gemmt_kernelIlLi16ELi32ELi8ELc67ELc67ELc76ELb1ELb1E19rocblas_complex_numIdES1_PKPKS1_PKPS1_EviT_T9_T10_S9_lSB_S9_lSA_T11_S9_li,@function
_ZL29rocblas_internal_gemmt_kernelIlLi16ELi32ELi8ELc67ELc67ELc76ELb1ELb1E19rocblas_complex_numIdES1_PKPKS1_PKPS1_EviT_T9_T10_S9_lSB_S9_lSA_T11_S9_li: ; @_ZL29rocblas_internal_gemmt_kernelIlLi16ELi32ELi8ELc67ELc67ELc76ELb1ELb1E19rocblas_complex_numIdES1_PKPKS1_PKPS1_EviT_T9_T10_S9_lSB_S9_lSA_T11_S9_li
; %bb.0:
	s_clause 0x1
	s_load_b256 s[24:31], s[0:1], 0x48
	s_load_b512 s[8:23], s[0:1], 0x8
	s_wait_kmcnt 0x0
	v_cmp_eq_f64_e64 s3, s[26:27], 1.0
	v_cmp_eq_f64_e64 s2, s[28:29], 0
	s_and_b32 s3, s3, s2
	s_delay_alu instid0(SALU_CYCLE_1)
	s_and_not1_b32 vcc_lo, exec_lo, s3
	s_mov_b32 s3, -1
	s_cbranch_vccnz .LBB575_3
; %bb.1:
	s_cmp_lg_u64 s[8:9], 0
	s_cbranch_scc0 .LBB575_36
; %bb.2:
	v_cmp_neq_f64_e64 s3, s[10:11], 0
	v_cmp_neq_f64_e64 s4, s[12:13], 0
	s_or_b32 s3, s3, s4
.LBB575_3:
	s_delay_alu instid0(SALU_CYCLE_1)
	s_and_b32 vcc_lo, exec_lo, s3
	s_cbranch_vccz .LBB575_37
; %bb.4:
	s_load_b32 s33, s[0:1], 0x78
	s_lshr_b32 s34, ttmp7, 16
	s_wait_kmcnt 0x0
	s_cmp_ge_u32 s34, s33
	s_cbranch_scc1 .LBB575_37
; %bb.5:
	v_and_b32_e32 v7, 0x3ff, v0
	v_bfe_u32 v8, v0, 10, 10
	s_clause 0x1
	s_load_b128 s[4:7], s[0:1], 0x68
	s_load_b32 s37, s[0:1], 0x0
	v_dual_mov_b32 v9, 0 :: v_dual_and_b32 v38, 7, v0
	v_cmp_neq_f64_e64 s38, s[26:27], 0
	v_lshl_add_u32 v0, v8, 4, v7
	v_cmp_neq_f64_e64 s3, s[10:11], 0
	v_cmp_neq_f64_e64 s35, s[12:13], 0
	s_lshl_b32 s0, ttmp7, 5
	s_lshl_b32 s36, ttmp9, 5
	v_and_b32_e32 v1, 31, v0
	s_and_b32 s0, s0, 0x1fffe0
	v_lshrrev_b32_e32 v4, 3, v0
	v_add_nc_u32_e32 v11, s0, v8
	v_lshlrev_b32_e32 v5, 4, v38
	v_or_b32_e32 v6, s36, v1
	v_lshrrev_b32_e32 v39, 5, v0
	v_lshlrev_b32_e32 v10, 4, v1
	v_add_nc_u32_e32 v20, s0, v4
	v_lshl_or_b32 v4, v4, 7, v5
	s_wait_kmcnt 0x0
	v_mad_co_u64_u32 v[0:1], null, s4, v11, 0
	v_mad_co_u64_u32 v[2:3], null, s16, v6, 0
	v_add_nc_u32_e32 v13, 16, v11
	v_add_nc_u32_e32 v41, 0x1000, v4
	v_mul_lo_u32 v12, s17, v6
	v_cmp_gt_i32_e64 s0, s37, v6
	v_lshl_or_b32 v40, v39, 9, v10
	s_ashr_i32 s1, s36, 31
	v_mad_co_u64_u32 v[4:5], null, s5, v11, v[1:2]
	v_mad_co_u64_u32 v[5:6], null, s4, v13, 0
	s_wait_alu 0xfffe
	s_mul_i32 s39, s16, s1
	s_xor_b32 s2, s2, -1
	v_add3_u32 v3, v3, s39, v12
	v_cmp_gt_i64_e64 s41, s[8:9], 0
	s_delay_alu instid0(VALU_DEP_4)
	v_mov_b32_e32 v1, v4
	v_cmp_gt_i32_e64 s1, s37, v20
	v_mov_b32_e32 v4, v6
	v_add_nc_u32_e32 v10, s36, v7
	v_lshlrev_b32_e32 v42, 4, v7
	s_or_b32 s36, s38, s2
	v_lshlrev_b64_e32 v[14:15], 4, v[2:3]
	v_mad_co_u64_u32 v[6:7], null, s5, v13, v[4:5]
	v_add_nc_u32_e32 v12, 16, v10
	v_cmp_le_i32_e32 vcc_lo, v11, v10
	v_cmp_gt_i32_e64 s2, s37, v10
	s_or_b32 s16, s3, s35
	v_lshlrev_b64_e32 v[16:17], 4, v[0:1]
	v_cmp_le_i32_e64 s3, v11, v12
	v_cmp_gt_i32_e64 s4, s37, v12
	s_and_b32 s37, vcc_lo, s2
	v_cmp_le_i32_e32 vcc_lo, v13, v10
	v_cmp_le_i32_e64 s5, v13, v12
	v_lshlrev_b64_e32 v[18:19], 4, v[5:6]
	v_lshl_add_u32 v43, v8, 7, 0x1000
	v_ashrrev_i32_e32 v11, 31, v10
	v_ashrrev_i32_e32 v13, 31, v12
	v_lshlrev_b32_e32 v44, 4, v20
	s_and_b32 s38, s3, s4
	s_and_b32 s39, vcc_lo, s2
	s_and_b32 s40, s5, s4
	s_mov_b32 s35, 0
	s_wait_alu 0xfffe
	s_and_b32 s41, s16, s41
	s_lshl_b64 s[2:3], s[24:25], 4
	s_lshl_b64 s[4:5], s[18:19], 4
	;; [unrolled: 1-line block ×3, first 2 shown]
	s_branch .LBB575_7
.LBB575_6:                              ;   in Loop: Header=BB575_7 Depth=1
	s_wait_alu 0xfffe
	s_or_b32 exec_lo, exec_lo, s16
	s_add_co_i32 s34, s34, 0x10000
	s_delay_alu instid0(SALU_CYCLE_1)
	s_cmp_lt_u32 s34, s33
	s_cbranch_scc0 .LBB575_37
.LBB575_7:                              ; =>This Loop Header: Depth=1
                                        ;     Child Loop BB575_10 Depth 2
	s_lshl_b64 s[16:17], s[34:35], 3
	v_mov_b32_e32 v34, 0
	s_wait_alu 0xfffe
	s_add_nc_u64 s[18:19], s[30:31], s[16:17]
	v_mov_b32_e32 v30, 0
	global_load_b64 v[20:21], v9, s[18:19]
	v_mov_b32_e32 v26, 0
	v_dual_mov_b32 v24, 0 :: v_dual_mov_b32 v35, 0
	v_dual_mov_b32 v36, 0 :: v_dual_mov_b32 v31, 0
	;; [unrolled: 1-line block ×5, first 2 shown]
	v_mov_b32_e32 v33, 0
	v_mov_b32_e32 v29, 0
	v_mov_b32_e32 v23, 0
	s_and_not1_b32 vcc_lo, exec_lo, s41
	s_wait_alu 0xfffe
	s_cbranch_vccnz .LBB575_16
; %bb.8:                                ;   in Loop: Header=BB575_7 Depth=1
	s_add_nc_u64 s[18:19], s[14:15], s[16:17]
	s_add_nc_u64 s[16:17], s[20:21], s[16:17]
	s_clause 0x1
	global_load_b64 v[0:1], v9, s[18:19]
	global_load_b64 v[2:3], v9, s[16:17]
	v_mov_b32_e32 v22, 0
	v_mov_b32_e32 v28, 0
	;; [unrolled: 1-line block ×3, first 2 shown]
	v_dual_mov_b32 v36, 0 :: v_dual_mov_b32 v23, 0
	v_dual_mov_b32 v24, 0 :: v_dual_mov_b32 v29, 0
	;; [unrolled: 1-line block ×5, first 2 shown]
	v_mov_b32_e32 v27, 0
	v_mov_b32_e32 v31, 0
	;; [unrolled: 1-line block ×3, first 2 shown]
	s_mov_b64 s[16:17], 0
	s_wait_loadcnt 0x1
	v_add_co_u32 v0, vcc_lo, v0, s4
	s_wait_alu 0xfffd
	v_add_co_ci_u32_e64 v1, null, s5, v1, vcc_lo
	s_wait_loadcnt 0x0
	v_add_co_u32 v2, vcc_lo, v2, s2
	s_wait_alu 0xfffd
	v_add_co_ci_u32_e64 v3, null, s3, v3, vcc_lo
	v_add_co_u32 v45, vcc_lo, v0, v14
	s_wait_alu 0xfffd
	v_add_co_ci_u32_e64 v46, null, v1, v15, vcc_lo
	;; [unrolled: 3-line block ×3, first 2 shown]
	s_branch .LBB575_10
.LBB575_9:                              ;   in Loop: Header=BB575_10 Depth=2
	s_or_b32 exec_lo, exec_lo, s18
	ds_store_b128 v41, v[4:7]
	s_wait_dscnt 0x0
	s_barrier_signal -1
	s_barrier_wait -1
	global_inv scope:SCOPE_SE
	ds_load_b128 v[0:3], v43
	ds_load_b128 v[4:7], v42
	ds_load_b128 v[49:52], v42 offset:256
	ds_load_b128 v[53:56], v43 offset:2048
	ds_load_b128 v[57:60], v43 offset:16
	ds_load_b128 v[61:64], v43 offset:2064
	ds_load_b128 v[65:68], v42 offset:512
	ds_load_b128 v[69:72], v42 offset:768
	ds_load_b128 v[73:76], v43 offset:32
	ds_load_b128 v[77:80], v42 offset:1024
	ds_load_b128 v[81:84], v42 offset:1280
	ds_load_b128 v[85:88], v43 offset:2080
	s_add_nc_u64 s[16:17], s[16:17], 8
	s_wait_alu 0xfffe
	v_cmp_gt_i64_e64 s18, s[8:9], s[16:17]
	s_and_b32 vcc_lo, exec_lo, s18
	s_wait_dscnt 0xa
	v_mul_f64_e32 v[89:90], v[2:3], v[6:7]
	v_mul_f64_e32 v[91:92], v[0:1], v[6:7]
	s_wait_dscnt 0x9
	v_mul_f64_e32 v[93:94], v[2:3], v[51:52]
	v_mul_f64_e32 v[95:96], v[0:1], v[51:52]
	;; [unrolled: 3-line block ×3, first 2 shown]
	v_mul_f64_e32 v[99:100], v[55:56], v[51:52]
	v_mul_f64_e32 v[51:52], v[53:54], v[51:52]
	s_wait_dscnt 0x5
	v_mul_f64_e32 v[101:102], v[59:60], v[67:68]
	v_mul_f64_e32 v[103:104], v[57:58], v[67:68]
	s_wait_dscnt 0x4
	v_mul_f64_e32 v[105:106], v[59:60], v[71:72]
	v_mul_f64_e32 v[107:108], v[57:58], v[71:72]
	;; [unrolled: 1-line block ×6, first 2 shown]
	s_wait_dscnt 0x2
	v_mul_f64_e32 v[117:118], v[75:76], v[79:80]
	v_mul_f64_e32 v[119:120], v[73:74], v[79:80]
	s_wait_dscnt 0x1
	v_mul_f64_e32 v[121:122], v[75:76], v[83:84]
	v_mul_f64_e32 v[123:124], v[73:74], v[83:84]
	;; [unrolled: 3-line block ×3, first 2 shown]
	v_mul_f64_e32 v[127:128], v[87:88], v[83:84]
	v_mul_f64_e32 v[83:84], v[85:86], v[83:84]
	v_fma_f64 v[89:90], v[0:1], v[4:5], -v[89:90]
	v_fma_f64 v[91:92], v[2:3], v[4:5], v[91:92]
	v_fma_f64 v[93:94], v[0:1], v[49:50], -v[93:94]
	v_fma_f64 v[95:96], v[2:3], v[49:50], v[95:96]
	;; [unrolled: 2-line block ×8, first 2 shown]
	ds_load_b128 v[0:3], v43 offset:48
	ds_load_b128 v[4:7], v42 offset:1536
	;; [unrolled: 1-line block ×4, first 2 shown]
	v_fma_f64 v[117:118], v[73:74], v[77:78], -v[117:118]
	v_fma_f64 v[119:120], v[75:76], v[77:78], v[119:120]
	v_fma_f64 v[73:74], v[73:74], v[81:82], -v[121:122]
	v_fma_f64 v[75:76], v[75:76], v[81:82], v[123:124]
	;; [unrolled: 2-line block ×4, first 2 shown]
	s_wait_dscnt 0x2
	v_mul_f64_e32 v[107:108], v[0:1], v[6:7]
	s_wait_dscnt 0x1
	v_mul_f64_e32 v[109:110], v[2:3], v[51:52]
	v_mul_f64_e32 v[111:112], v[0:1], v[51:52]
	v_add_f64_e32 v[67:68], v[34:35], v[89:90]
	v_add_f64_e32 v[69:70], v[91:92], v[36:37]
	;; [unrolled: 1-line block ×8, first 2 shown]
	v_mul_f64_e32 v[99:100], v[2:3], v[6:7]
	s_wait_dscnt 0x0
	v_mul_f64_e32 v[113:114], v[55:56], v[6:7]
	v_mul_f64_e32 v[6:7], v[53:54], v[6:7]
	;; [unrolled: 1-line block ×4, first 2 shown]
	ds_load_b128 v[22:25], v43 offset:64
	ds_load_b128 v[26:29], v42 offset:2048
	;; [unrolled: 1-line block ×4, first 2 shown]
	s_wait_dscnt 0x1
	v_mul_f64_e32 v[123:124], v[22:23], v[32:33]
	s_wait_dscnt 0x0
	v_mul_f64_e32 v[125:126], v[36:37], v[28:29]
	v_mul_f64_e32 v[127:128], v[36:37], v[32:33]
	v_fma_f64 v[107:108], v[2:3], v[4:5], v[107:108]
	v_fma_f64 v[109:110], v[0:1], v[49:50], -v[109:110]
	v_fma_f64 v[111:112], v[2:3], v[49:50], v[111:112]
	v_add_f64_e32 v[83:84], v[67:68], v[101:102]
	v_add_f64_e32 v[85:86], v[103:104], v[69:70]
	;; [unrolled: 1-line block ×8, first 2 shown]
	v_mul_f64_e32 v[101:102], v[24:25], v[28:29]
	v_mul_f64_e32 v[103:104], v[22:23], v[28:29]
	;; [unrolled: 1-line block ×5, first 2 shown]
	v_fma_f64 v[99:100], v[0:1], v[4:5], -v[99:100]
	v_fma_f64 v[113:114], v[53:54], v[4:5], -v[113:114]
	v_fma_f64 v[129:130], v[55:56], v[4:5], v[6:7]
	v_fma_f64 v[115:116], v[53:54], v[49:50], -v[115:116]
	v_fma_f64 v[131:132], v[55:56], v[49:50], v[51:52]
	ds_load_b128 v[57:60], v43 offset:80
	ds_load_b128 v[61:64], v42 offset:2560
	;; [unrolled: 1-line block ×8, first 2 shown]
	v_add_f64_e32 v[83:84], v[83:84], v[117:118]
	v_add_f64_e32 v[85:86], v[119:120], v[85:86]
	;; [unrolled: 1-line block ×8, first 2 shown]
	s_wait_dscnt 0x6
	v_mul_f64_e32 v[89:90], v[59:60], v[63:64]
	v_mul_f64_e32 v[91:92], v[57:58], v[63:64]
	s_wait_dscnt 0x5
	v_mul_f64_e32 v[93:94], v[59:60], v[67:68]
	v_mul_f64_e32 v[95:96], v[57:58], v[67:68]
	;; [unrolled: 3-line block ×3, first 2 shown]
	v_mul_f64_e32 v[117:118], v[71:72], v[67:68]
	v_mul_f64_e32 v[67:68], v[69:70], v[67:68]
	v_fma_f64 v[101:102], v[22:23], v[26:27], -v[101:102]
	v_fma_f64 v[103:104], v[24:25], v[26:27], v[103:104]
	v_fma_f64 v[105:106], v[22:23], v[30:31], -v[105:106]
	v_fma_f64 v[119:120], v[24:25], v[30:31], v[123:124]
	;; [unrolled: 2-line block ×4, first 2 shown]
	ds_load_b128 v[22:25], v43 offset:112
	ds_load_b128 v[26:29], v42 offset:3584
	;; [unrolled: 1-line block ×4, first 2 shown]
	s_wait_loadcnt_dscnt 0x0
	s_barrier_signal -1
	s_barrier_wait -1
	global_inv scope:SCOPE_SE
	v_add_f64_e32 v[83:84], v[83:84], v[99:100]
	v_add_f64_e32 v[85:86], v[107:108], v[85:86]
	;; [unrolled: 1-line block ×8, first 2 shown]
	v_mul_f64_e32 v[99:100], v[2:3], v[6:7]
	v_mul_f64_e32 v[107:108], v[0:1], v[6:7]
	;; [unrolled: 1-line block ×8, first 2 shown]
	v_fma_f64 v[89:90], v[57:58], v[61:62], -v[89:90]
	v_fma_f64 v[91:92], v[59:60], v[61:62], v[91:92]
	v_fma_f64 v[57:58], v[57:58], v[65:66], -v[93:94]
	v_fma_f64 v[59:60], v[59:60], v[65:66], v[95:96]
	;; [unrolled: 2-line block ×4, first 2 shown]
	v_mul_f64_e32 v[95:96], v[22:23], v[32:33]
	v_mul_f64_e32 v[97:98], v[36:37], v[28:29]
	v_add_f64_e32 v[67:68], v[83:84], v[101:102]
	v_add_f64_e32 v[69:70], v[103:104], v[85:86]
	v_add_f64_e32 v[71:72], v[73:74], v[105:106]
	v_add_f64_e32 v[73:74], v[119:120], v[75:76]
	v_add_f64_e32 v[75:76], v[87:88], v[121:122]
	v_add_f64_e32 v[77:78], v[123:124], v[77:78]
	v_add_f64_e32 v[79:80], v[79:80], v[125:126]
	v_add_f64_e32 v[81:82], v[127:128], v[81:82]
	v_mul_f64_e32 v[83:84], v[24:25], v[28:29]
	v_mul_f64_e32 v[85:86], v[22:23], v[28:29]
	;; [unrolled: 1-line block ×6, first 2 shown]
	v_fma_f64 v[99:100], v[0:1], v[4:5], -v[99:100]
	v_fma_f64 v[103:104], v[2:3], v[4:5], v[107:108]
	v_fma_f64 v[0:1], v[0:1], v[49:50], -v[109:110]
	v_fma_f64 v[2:3], v[2:3], v[49:50], v[111:112]
	v_fma_f64 v[105:106], v[53:54], v[4:5], -v[113:114]
	v_fma_f64 v[4:5], v[55:56], v[4:5], v[6:7]
	v_fma_f64 v[6:7], v[53:54], v[49:50], -v[115:116]
	v_fma_f64 v[49:50], v[55:56], v[49:50], v[51:52]
	v_add_f64_e32 v[51:52], v[67:68], v[89:90]
	v_add_f64_e32 v[53:54], v[91:92], v[69:70]
	;; [unrolled: 1-line block ×8, first 2 shown]
	v_fma_f64 v[67:68], v[22:23], v[26:27], -v[83:84]
	v_fma_f64 v[69:70], v[24:25], v[26:27], v[85:86]
	v_fma_f64 v[22:23], v[22:23], v[30:31], -v[87:88]
	v_fma_f64 v[24:25], v[24:25], v[30:31], v[95:96]
	;; [unrolled: 2-line block ×4, first 2 shown]
	v_add_f64_e32 v[26:27], v[51:52], v[99:100]
	v_add_f64_e32 v[30:31], v[103:104], v[53:54]
	;; [unrolled: 1-line block ×16, first 2 shown]
	s_wait_alu 0xfffe
	s_cbranch_vccz .LBB575_16
.LBB575_10:                             ;   Parent Loop BB575_7 Depth=1
                                        ; =>  This Inner Loop Header: Depth=2
	v_mov_b32_e32 v0, 0
	v_dual_mov_b32 v1, 0 :: v_dual_mov_b32 v2, 0
	v_mov_b32_e32 v3, 0
	s_and_saveexec_b32 s18, s0
	s_cbranch_execz .LBB575_14
; %bb.11:                               ;   in Loop: Header=BB575_10 Depth=2
	v_mov_b32_e32 v2, 0
	v_mov_b32_e32 v0, 0
	s_wait_alu 0xfffe
	v_dual_mov_b32 v3, 0 :: v_dual_add_nc_u32 v8, s16, v39
	v_mov_b32_e32 v1, 0
	s_mov_b32 s19, exec_lo
	s_delay_alu instid0(VALU_DEP_2)
	v_cmpx_gt_u64_e64 s[8:9], v[8:9]
	s_cbranch_execz .LBB575_13
; %bb.12:                               ;   in Loop: Header=BB575_10 Depth=2
	v_lshlrev_b64_e32 v[0:1], 4, v[8:9]
	s_delay_alu instid0(VALU_DEP_1) | instskip(SKIP_1) | instid1(VALU_DEP_2)
	v_add_co_u32 v0, vcc_lo, v45, v0
	s_wait_alu 0xfffd
	v_add_co_ci_u32_e64 v1, null, v46, v1, vcc_lo
	flat_load_b128 v[0:3], v[0:1]
	s_wait_loadcnt_dscnt 0x0
	v_xor_b32_e32 v3, 0x80000000, v3
.LBB575_13:                             ;   in Loop: Header=BB575_10 Depth=2
	s_or_b32 exec_lo, exec_lo, s19
.LBB575_14:                             ;   in Loop: Header=BB575_10 Depth=2
	s_delay_alu instid0(SALU_CYCLE_1)
	s_or_b32 exec_lo, exec_lo, s18
	s_wait_alu 0xfffe
	v_add_nc_u32_e32 v8, s16, v38
	v_mov_b32_e32 v4, 0
	v_dual_mov_b32 v5, 0 :: v_dual_mov_b32 v6, 0
	v_mov_b32_e32 v7, 0
	s_delay_alu instid0(VALU_DEP_4) | instskip(SKIP_2) | instid1(SALU_CYCLE_1)
	v_cmp_gt_u64_e32 vcc_lo, s[8:9], v[8:9]
	ds_store_b128 v40, v[0:3]
	s_and_b32 s19, vcc_lo, s1
	s_and_saveexec_b32 s18, s19
	s_cbranch_execz .LBB575_9
; %bb.15:                               ;   in Loop: Header=BB575_10 Depth=2
	v_mad_co_u64_u32 v[0:1], null, s22, v8, 0
	s_delay_alu instid0(VALU_DEP_1) | instskip(NEXT) | instid1(VALU_DEP_1)
	v_mad_co_u64_u32 v[1:2], null, s23, v8, v[1:2]
	v_lshlrev_b64_e32 v[0:1], 4, v[0:1]
	s_delay_alu instid0(VALU_DEP_1) | instskip(SKIP_1) | instid1(VALU_DEP_2)
	v_add_co_u32 v0, vcc_lo, v47, v0
	s_wait_alu 0xfffd
	v_add_co_ci_u32_e64 v1, null, v48, v1, vcc_lo
	flat_load_b128 v[4:7], v[0:1]
	s_wait_loadcnt_dscnt 0x0
	v_xor_b32_e32 v7, 0x80000000, v7
	s_branch .LBB575_9
.LBB575_16:                             ;   in Loop: Header=BB575_7 Depth=1
	s_wait_loadcnt 0x0
	v_add_co_u32 v4, vcc_lo, v20, s6
	s_wait_alu 0xfffd
	v_add_co_ci_u32_e64 v5, null, s7, v21, vcc_lo
	s_delay_alu instid0(VALU_DEP_2) | instskip(SKIP_1) | instid1(VALU_DEP_2)
	v_add_co_u32 v6, vcc_lo, v4, v16
	s_wait_alu 0xfffd
	v_add_co_ci_u32_e64 v7, null, v5, v17, vcc_lo
	s_and_saveexec_b32 s16, s37
	s_cbranch_execz .LBB575_21
; %bb.17:                               ;   in Loop: Header=BB575_7 Depth=1
	v_mul_f64_e32 v[0:1], s[12:13], v[36:37]
	v_mul_f64_e32 v[2:3], s[10:11], v[36:37]
	s_and_b32 vcc_lo, exec_lo, s36
	s_mov_b32 s17, -1
	s_delay_alu instid0(VALU_DEP_2) | instskip(NEXT) | instid1(VALU_DEP_2)
	v_fma_f64 v[0:1], s[10:11], v[34:35], -v[0:1]
	v_fma_f64 v[2:3], s[12:13], v[34:35], v[2:3]
	s_wait_alu 0xfffe
	s_cbranch_vccz .LBB575_19
; %bb.18:                               ;   in Loop: Header=BB575_7 Depth=1
	v_lshlrev_b64_e32 v[20:21], 4, v[10:11]
	s_mov_b32 s17, 0
	s_delay_alu instid0(VALU_DEP_1) | instskip(SKIP_1) | instid1(VALU_DEP_2)
	v_add_co_u32 v20, vcc_lo, v6, v20
	s_wait_alu 0xfffd
	v_add_co_ci_u32_e64 v21, null, v7, v21, vcc_lo
	flat_load_b128 v[34:37], v[20:21]
	s_wait_loadcnt_dscnt 0x0
	v_mul_f64_e32 v[45:46], s[28:29], v[36:37]
	v_mul_f64_e32 v[36:37], s[26:27], v[36:37]
	s_delay_alu instid0(VALU_DEP_2) | instskip(NEXT) | instid1(VALU_DEP_2)
	v_fma_f64 v[45:46], s[26:27], v[34:35], -v[45:46]
	v_fma_f64 v[36:37], s[28:29], v[34:35], v[36:37]
	s_delay_alu instid0(VALU_DEP_2) | instskip(NEXT) | instid1(VALU_DEP_2)
	v_add_f64_e32 v[34:35], v[0:1], v[45:46]
	v_add_f64_e32 v[36:37], v[2:3], v[36:37]
	flat_store_b128 v[20:21], v[34:37]
.LBB575_19:                             ;   in Loop: Header=BB575_7 Depth=1
	s_wait_alu 0xfffe
	s_and_not1_b32 vcc_lo, exec_lo, s17
	s_wait_alu 0xfffe
	s_cbranch_vccnz .LBB575_21
; %bb.20:                               ;   in Loop: Header=BB575_7 Depth=1
	v_lshlrev_b64_e32 v[20:21], 4, v[10:11]
	s_delay_alu instid0(VALU_DEP_1) | instskip(SKIP_1) | instid1(VALU_DEP_2)
	v_add_co_u32 v20, vcc_lo, v6, v20
	s_wait_alu 0xfffd
	v_add_co_ci_u32_e64 v21, null, v7, v21, vcc_lo
	flat_store_b128 v[20:21], v[0:3]
.LBB575_21:                             ;   in Loop: Header=BB575_7 Depth=1
	s_wait_alu 0xfffe
	s_or_b32 exec_lo, exec_lo, s16
	s_and_saveexec_b32 s16, s38
	s_cbranch_execz .LBB575_26
; %bb.22:                               ;   in Loop: Header=BB575_7 Depth=1
	v_mul_f64_e32 v[0:1], s[12:13], v[32:33]
	v_mul_f64_e32 v[2:3], s[10:11], v[32:33]
	s_and_not1_b32 vcc_lo, exec_lo, s36
	s_mov_b32 s17, -1
	s_delay_alu instid0(VALU_DEP_2) | instskip(NEXT) | instid1(VALU_DEP_2)
	v_fma_f64 v[0:1], s[10:11], v[30:31], -v[0:1]
	v_fma_f64 v[2:3], s[12:13], v[30:31], v[2:3]
	s_wait_alu 0xfffe
	s_cbranch_vccnz .LBB575_24
; %bb.23:                               ;   in Loop: Header=BB575_7 Depth=1
	v_lshlrev_b64_e32 v[20:21], 4, v[12:13]
	s_mov_b32 s17, 0
	s_delay_alu instid0(VALU_DEP_1) | instskip(SKIP_1) | instid1(VALU_DEP_2)
	v_add_co_u32 v20, vcc_lo, v6, v20
	s_wait_alu 0xfffd
	v_add_co_ci_u32_e64 v21, null, v7, v21, vcc_lo
	flat_load_b128 v[30:33], v[20:21]
	s_wait_loadcnt_dscnt 0x0
	v_mul_f64_e32 v[34:35], s[28:29], v[32:33]
	v_mul_f64_e32 v[32:33], s[26:27], v[32:33]
	s_delay_alu instid0(VALU_DEP_2) | instskip(NEXT) | instid1(VALU_DEP_2)
	v_fma_f64 v[34:35], s[26:27], v[30:31], -v[34:35]
	v_fma_f64 v[32:33], s[28:29], v[30:31], v[32:33]
	s_delay_alu instid0(VALU_DEP_2) | instskip(NEXT) | instid1(VALU_DEP_2)
	v_add_f64_e32 v[30:31], v[0:1], v[34:35]
	v_add_f64_e32 v[32:33], v[2:3], v[32:33]
	flat_store_b128 v[20:21], v[30:33]
.LBB575_24:                             ;   in Loop: Header=BB575_7 Depth=1
	s_wait_alu 0xfffe
	s_and_not1_b32 vcc_lo, exec_lo, s17
	s_wait_alu 0xfffe
	s_cbranch_vccnz .LBB575_26
; %bb.25:                               ;   in Loop: Header=BB575_7 Depth=1
	v_lshlrev_b64_e32 v[20:21], 4, v[12:13]
	s_delay_alu instid0(VALU_DEP_1) | instskip(SKIP_1) | instid1(VALU_DEP_2)
	v_add_co_u32 v6, vcc_lo, v6, v20
	s_wait_alu 0xfffd
	v_add_co_ci_u32_e64 v7, null, v7, v21, vcc_lo
	flat_store_b128 v[6:7], v[0:3]
.LBB575_26:                             ;   in Loop: Header=BB575_7 Depth=1
	s_wait_alu 0xfffe
	s_or_b32 exec_lo, exec_lo, s16
	v_add_co_u32 v6, vcc_lo, v4, v18
	s_wait_alu 0xfffd
	v_add_co_ci_u32_e64 v7, null, v5, v19, vcc_lo
	s_and_saveexec_b32 s16, s39
	s_cbranch_execz .LBB575_31
; %bb.27:                               ;   in Loop: Header=BB575_7 Depth=1
	v_mul_f64_e32 v[0:1], s[12:13], v[28:29]
	v_mul_f64_e32 v[2:3], s[10:11], v[28:29]
	v_lshlrev_b64_e32 v[4:5], 4, v[10:11]
	s_and_not1_b32 vcc_lo, exec_lo, s36
	s_mov_b32 s17, -1
	s_delay_alu instid0(VALU_DEP_3) | instskip(NEXT) | instid1(VALU_DEP_3)
	v_fma_f64 v[0:1], s[10:11], v[26:27], -v[0:1]
	v_fma_f64 v[2:3], s[12:13], v[26:27], v[2:3]
	s_wait_alu 0xfffe
	s_cbranch_vccnz .LBB575_29
; %bb.28:                               ;   in Loop: Header=BB575_7 Depth=1
	v_add_co_u32 v20, vcc_lo, v6, v4
	s_wait_alu 0xfffd
	v_add_co_ci_u32_e64 v21, null, v7, v5, vcc_lo
	s_mov_b32 s17, 0
	flat_load_b128 v[26:29], v[20:21]
	s_wait_loadcnt_dscnt 0x0
	v_mul_f64_e32 v[30:31], s[28:29], v[28:29]
	v_mul_f64_e32 v[28:29], s[26:27], v[28:29]
	s_delay_alu instid0(VALU_DEP_2) | instskip(NEXT) | instid1(VALU_DEP_2)
	v_fma_f64 v[30:31], s[26:27], v[26:27], -v[30:31]
	v_fma_f64 v[28:29], s[28:29], v[26:27], v[28:29]
	s_delay_alu instid0(VALU_DEP_2) | instskip(NEXT) | instid1(VALU_DEP_2)
	v_add_f64_e32 v[26:27], v[0:1], v[30:31]
	v_add_f64_e32 v[28:29], v[2:3], v[28:29]
	flat_store_b128 v[20:21], v[26:29]
.LBB575_29:                             ;   in Loop: Header=BB575_7 Depth=1
	s_wait_alu 0xfffe
	s_and_not1_b32 vcc_lo, exec_lo, s17
	s_wait_alu 0xfffe
	s_cbranch_vccnz .LBB575_31
; %bb.30:                               ;   in Loop: Header=BB575_7 Depth=1
	v_add_co_u32 v4, vcc_lo, v6, v4
	s_wait_alu 0xfffd
	v_add_co_ci_u32_e64 v5, null, v7, v5, vcc_lo
	flat_store_b128 v[4:5], v[0:3]
.LBB575_31:                             ;   in Loop: Header=BB575_7 Depth=1
	s_wait_alu 0xfffe
	s_or_b32 exec_lo, exec_lo, s16
	s_and_saveexec_b32 s16, s40
	s_cbranch_execz .LBB575_6
; %bb.32:                               ;   in Loop: Header=BB575_7 Depth=1
	v_mul_f64_e32 v[0:1], s[12:13], v[22:23]
	v_mul_f64_e32 v[2:3], s[10:11], v[22:23]
	v_lshlrev_b64_e32 v[4:5], 4, v[12:13]
	s_and_not1_b32 vcc_lo, exec_lo, s36
	s_mov_b32 s17, -1
	s_delay_alu instid0(VALU_DEP_3) | instskip(NEXT) | instid1(VALU_DEP_3)
	v_fma_f64 v[0:1], s[10:11], v[24:25], -v[0:1]
	v_fma_f64 v[2:3], s[12:13], v[24:25], v[2:3]
	s_wait_alu 0xfffe
	s_cbranch_vccnz .LBB575_34
; %bb.33:                               ;   in Loop: Header=BB575_7 Depth=1
	v_add_co_u32 v24, vcc_lo, v6, v4
	s_wait_alu 0xfffd
	v_add_co_ci_u32_e64 v25, null, v7, v5, vcc_lo
	s_mov_b32 s17, 0
	flat_load_b128 v[20:23], v[24:25]
	s_wait_loadcnt_dscnt 0x0
	v_mul_f64_e32 v[26:27], s[28:29], v[22:23]
	v_mul_f64_e32 v[22:23], s[26:27], v[22:23]
	s_delay_alu instid0(VALU_DEP_2) | instskip(NEXT) | instid1(VALU_DEP_2)
	v_fma_f64 v[26:27], s[26:27], v[20:21], -v[26:27]
	v_fma_f64 v[22:23], s[28:29], v[20:21], v[22:23]
	s_delay_alu instid0(VALU_DEP_2) | instskip(NEXT) | instid1(VALU_DEP_2)
	v_add_f64_e32 v[20:21], v[0:1], v[26:27]
	v_add_f64_e32 v[22:23], v[2:3], v[22:23]
	flat_store_b128 v[24:25], v[20:23]
.LBB575_34:                             ;   in Loop: Header=BB575_7 Depth=1
	s_wait_alu 0xfffe
	s_and_not1_b32 vcc_lo, exec_lo, s17
	s_wait_alu 0xfffe
	s_cbranch_vccnz .LBB575_6
; %bb.35:                               ;   in Loop: Header=BB575_7 Depth=1
	v_add_co_u32 v4, vcc_lo, v6, v4
	s_wait_alu 0xfffd
	v_add_co_ci_u32_e64 v5, null, v7, v5, vcc_lo
	flat_store_b128 v[4:5], v[0:3]
	s_branch .LBB575_6
.LBB575_36:
.LBB575_37:
	s_nop 0
	s_sendmsg sendmsg(MSG_DEALLOC_VGPRS)
	s_endpgm
	.section	.rodata,"a",@progbits
	.p2align	6, 0x0
	.amdhsa_kernel _ZL29rocblas_internal_gemmt_kernelIlLi16ELi32ELi8ELc67ELc67ELc76ELb1ELb1E19rocblas_complex_numIdES1_PKPKS1_PKPS1_EviT_T9_T10_S9_lSB_S9_lSA_T11_S9_li
		.amdhsa_group_segment_fixed_size 8192
		.amdhsa_private_segment_fixed_size 0
		.amdhsa_kernarg_size 124
		.amdhsa_user_sgpr_count 2
		.amdhsa_user_sgpr_dispatch_ptr 0
		.amdhsa_user_sgpr_queue_ptr 0
		.amdhsa_user_sgpr_kernarg_segment_ptr 1
		.amdhsa_user_sgpr_dispatch_id 0
		.amdhsa_user_sgpr_private_segment_size 0
		.amdhsa_wavefront_size32 1
		.amdhsa_uses_dynamic_stack 0
		.amdhsa_enable_private_segment 0
		.amdhsa_system_sgpr_workgroup_id_x 1
		.amdhsa_system_sgpr_workgroup_id_y 1
		.amdhsa_system_sgpr_workgroup_id_z 1
		.amdhsa_system_sgpr_workgroup_info 0
		.amdhsa_system_vgpr_workitem_id 1
		.amdhsa_next_free_vgpr 133
		.amdhsa_next_free_sgpr 42
		.amdhsa_reserve_vcc 1
		.amdhsa_float_round_mode_32 0
		.amdhsa_float_round_mode_16_64 0
		.amdhsa_float_denorm_mode_32 3
		.amdhsa_float_denorm_mode_16_64 3
		.amdhsa_fp16_overflow 0
		.amdhsa_workgroup_processor_mode 1
		.amdhsa_memory_ordered 1
		.amdhsa_forward_progress 1
		.amdhsa_inst_pref_size 28
		.amdhsa_round_robin_scheduling 0
		.amdhsa_exception_fp_ieee_invalid_op 0
		.amdhsa_exception_fp_denorm_src 0
		.amdhsa_exception_fp_ieee_div_zero 0
		.amdhsa_exception_fp_ieee_overflow 0
		.amdhsa_exception_fp_ieee_underflow 0
		.amdhsa_exception_fp_ieee_inexact 0
		.amdhsa_exception_int_div_zero 0
	.end_amdhsa_kernel
	.section	.text._ZL29rocblas_internal_gemmt_kernelIlLi16ELi32ELi8ELc67ELc67ELc76ELb1ELb1E19rocblas_complex_numIdES1_PKPKS1_PKPS1_EviT_T9_T10_S9_lSB_S9_lSA_T11_S9_li,"axG",@progbits,_ZL29rocblas_internal_gemmt_kernelIlLi16ELi32ELi8ELc67ELc67ELc76ELb1ELb1E19rocblas_complex_numIdES1_PKPKS1_PKPS1_EviT_T9_T10_S9_lSB_S9_lSA_T11_S9_li,comdat
.Lfunc_end575:
	.size	_ZL29rocblas_internal_gemmt_kernelIlLi16ELi32ELi8ELc67ELc67ELc76ELb1ELb1E19rocblas_complex_numIdES1_PKPKS1_PKPS1_EviT_T9_T10_S9_lSB_S9_lSA_T11_S9_li, .Lfunc_end575-_ZL29rocblas_internal_gemmt_kernelIlLi16ELi32ELi8ELc67ELc67ELc76ELb1ELb1E19rocblas_complex_numIdES1_PKPKS1_PKPS1_EviT_T9_T10_S9_lSB_S9_lSA_T11_S9_li
                                        ; -- End function
	.set _ZL29rocblas_internal_gemmt_kernelIlLi16ELi32ELi8ELc67ELc67ELc76ELb1ELb1E19rocblas_complex_numIdES1_PKPKS1_PKPS1_EviT_T9_T10_S9_lSB_S9_lSA_T11_S9_li.num_vgpr, 133
	.set _ZL29rocblas_internal_gemmt_kernelIlLi16ELi32ELi8ELc67ELc67ELc76ELb1ELb1E19rocblas_complex_numIdES1_PKPKS1_PKPS1_EviT_T9_T10_S9_lSB_S9_lSA_T11_S9_li.num_agpr, 0
	.set _ZL29rocblas_internal_gemmt_kernelIlLi16ELi32ELi8ELc67ELc67ELc76ELb1ELb1E19rocblas_complex_numIdES1_PKPKS1_PKPS1_EviT_T9_T10_S9_lSB_S9_lSA_T11_S9_li.numbered_sgpr, 42
	.set _ZL29rocblas_internal_gemmt_kernelIlLi16ELi32ELi8ELc67ELc67ELc76ELb1ELb1E19rocblas_complex_numIdES1_PKPKS1_PKPS1_EviT_T9_T10_S9_lSB_S9_lSA_T11_S9_li.num_named_barrier, 0
	.set _ZL29rocblas_internal_gemmt_kernelIlLi16ELi32ELi8ELc67ELc67ELc76ELb1ELb1E19rocblas_complex_numIdES1_PKPKS1_PKPS1_EviT_T9_T10_S9_lSB_S9_lSA_T11_S9_li.private_seg_size, 0
	.set _ZL29rocblas_internal_gemmt_kernelIlLi16ELi32ELi8ELc67ELc67ELc76ELb1ELb1E19rocblas_complex_numIdES1_PKPKS1_PKPS1_EviT_T9_T10_S9_lSB_S9_lSA_T11_S9_li.uses_vcc, 1
	.set _ZL29rocblas_internal_gemmt_kernelIlLi16ELi32ELi8ELc67ELc67ELc76ELb1ELb1E19rocblas_complex_numIdES1_PKPKS1_PKPS1_EviT_T9_T10_S9_lSB_S9_lSA_T11_S9_li.uses_flat_scratch, 0
	.set _ZL29rocblas_internal_gemmt_kernelIlLi16ELi32ELi8ELc67ELc67ELc76ELb1ELb1E19rocblas_complex_numIdES1_PKPKS1_PKPS1_EviT_T9_T10_S9_lSB_S9_lSA_T11_S9_li.has_dyn_sized_stack, 0
	.set _ZL29rocblas_internal_gemmt_kernelIlLi16ELi32ELi8ELc67ELc67ELc76ELb1ELb1E19rocblas_complex_numIdES1_PKPKS1_PKPS1_EviT_T9_T10_S9_lSB_S9_lSA_T11_S9_li.has_recursion, 0
	.set _ZL29rocblas_internal_gemmt_kernelIlLi16ELi32ELi8ELc67ELc67ELc76ELb1ELb1E19rocblas_complex_numIdES1_PKPKS1_PKPS1_EviT_T9_T10_S9_lSB_S9_lSA_T11_S9_li.has_indirect_call, 0
	.section	.AMDGPU.csdata,"",@progbits
; Kernel info:
; codeLenInByte = 3460
; TotalNumSgprs: 44
; NumVgprs: 133
; ScratchSize: 0
; MemoryBound: 1
; FloatMode: 240
; IeeeMode: 1
; LDSByteSize: 8192 bytes/workgroup (compile time only)
; SGPRBlocks: 0
; VGPRBlocks: 16
; NumSGPRsForWavesPerEU: 44
; NumVGPRsForWavesPerEU: 133
; Occupancy: 10
; WaveLimiterHint : 1
; COMPUTE_PGM_RSRC2:SCRATCH_EN: 0
; COMPUTE_PGM_RSRC2:USER_SGPR: 2
; COMPUTE_PGM_RSRC2:TRAP_HANDLER: 0
; COMPUTE_PGM_RSRC2:TGID_X_EN: 1
; COMPUTE_PGM_RSRC2:TGID_Y_EN: 1
; COMPUTE_PGM_RSRC2:TGID_Z_EN: 1
; COMPUTE_PGM_RSRC2:TIDIG_COMP_CNT: 1
	.section	.AMDGPU.gpr_maximums,"",@progbits
	.set amdgpu.max_num_vgpr, 0
	.set amdgpu.max_num_agpr, 0
	.set amdgpu.max_num_sgpr, 0
	.section	.AMDGPU.csdata,"",@progbits
	.type	__hip_cuid_a2a45a9dfccb5a0d,@object ; @__hip_cuid_a2a45a9dfccb5a0d
	.section	.bss,"aw",@nobits
	.globl	__hip_cuid_a2a45a9dfccb5a0d
__hip_cuid_a2a45a9dfccb5a0d:
	.byte	0                               ; 0x0
	.size	__hip_cuid_a2a45a9dfccb5a0d, 1

	.ident	"AMD clang version 22.0.0git (https://github.com/RadeonOpenCompute/llvm-project roc-7.2.4 26084 f58b06dce1f9c15707c5f808fd002e18c2accf7e)"
	.section	".note.GNU-stack","",@progbits
	.addrsig
	.addrsig_sym __hip_cuid_a2a45a9dfccb5a0d
	.amdgpu_metadata
---
amdhsa.kernels:
  - .args:
      - .offset:         0
        .size:           4
        .value_kind:     by_value
      - .offset:         4
        .size:           4
        .value_kind:     by_value
      - .address_space:  global
        .offset:         8
        .size:           8
        .value_kind:     global_buffer
      - .address_space:  global
        .offset:         16
        .size:           8
        .value_kind:     global_buffer
      - .offset:         24
        .size:           4
        .value_kind:     by_value
      - .offset:         32
        .size:           8
        .value_kind:     by_value
      - .address_space:  global
        .offset:         40
        .size:           8
        .value_kind:     global_buffer
      - .offset:         48
        .size:           4
        .value_kind:     by_value
      - .offset:         56
        .size:           8
        .value_kind:     by_value
      - .address_space:  global
        .offset:         64
        .size:           8
        .value_kind:     global_buffer
      - .address_space:  global
        .offset:         72
        .size:           8
        .value_kind:     global_buffer
      - .offset:         80
        .size:           4
        .value_kind:     by_value
      - .offset:         88
        .size:           8
        .value_kind:     by_value
      - .offset:         96
        .size:           4
        .value_kind:     by_value
    .group_segment_fixed_size: 2048
    .kernarg_segment_align: 8
    .kernarg_segment_size: 100
    .language:       OpenCL C
    .language_version:
      - 2
      - 0
    .max_flat_workgroup_size: 256
    .name:           _ZL29rocblas_internal_gemmt_kernelIiLi16ELi32ELi8ELc78ELc78ELc85ELb0ELb0EfPKfS1_PfEviT_T9_T10_S3_lS5_S3_lS4_T11_S3_li
    .private_segment_fixed_size: 0
    .sgpr_count:     34
    .sgpr_spill_count: 0
    .symbol:         _ZL29rocblas_internal_gemmt_kernelIiLi16ELi32ELi8ELc78ELc78ELc85ELb0ELb0EfPKfS1_PfEviT_T9_T10_S3_lS5_S3_lS4_T11_S3_li.kd
    .uniform_work_group_size: 1
    .uses_dynamic_stack: false
    .vgpr_count:     52
    .vgpr_spill_count: 0
    .wavefront_size: 32
    .workgroup_processor_mode: 1
  - .args:
      - .offset:         0
        .size:           4
        .value_kind:     by_value
      - .offset:         4
        .size:           4
        .value_kind:     by_value
      - .address_space:  global
        .offset:         8
        .size:           8
        .value_kind:     global_buffer
      - .address_space:  global
        .offset:         16
        .size:           8
        .value_kind:     global_buffer
      - .offset:         24
        .size:           4
        .value_kind:     by_value
      - .offset:         32
        .size:           8
        .value_kind:     by_value
      - .address_space:  global
        .offset:         40
        .size:           8
        .value_kind:     global_buffer
      - .offset:         48
        .size:           4
        .value_kind:     by_value
      - .offset:         56
        .size:           8
        .value_kind:     by_value
      - .address_space:  global
        .offset:         64
        .size:           8
        .value_kind:     global_buffer
      - .address_space:  global
        .offset:         72
        .size:           8
        .value_kind:     global_buffer
      - .offset:         80
        .size:           4
        .value_kind:     by_value
      - .offset:         88
        .size:           8
        .value_kind:     by_value
      - .offset:         96
        .size:           4
        .value_kind:     by_value
    .group_segment_fixed_size: 2048
    .kernarg_segment_align: 8
    .kernarg_segment_size: 100
    .language:       OpenCL C
    .language_version:
      - 2
      - 0
    .max_flat_workgroup_size: 256
    .name:           _ZL29rocblas_internal_gemmt_kernelIiLi16ELi32ELi8ELc78ELc84ELc85ELb0ELb0EfPKfS1_PfEviT_T9_T10_S3_lS5_S3_lS4_T11_S3_li
    .private_segment_fixed_size: 0
    .sgpr_count:     36
    .sgpr_spill_count: 0
    .symbol:         _ZL29rocblas_internal_gemmt_kernelIiLi16ELi32ELi8ELc78ELc84ELc85ELb0ELb0EfPKfS1_PfEviT_T9_T10_S3_lS5_S3_lS4_T11_S3_li.kd
    .uniform_work_group_size: 1
    .uses_dynamic_stack: false
    .vgpr_count:     52
    .vgpr_spill_count: 0
    .wavefront_size: 32
    .workgroup_processor_mode: 1
  - .args:
      - .offset:         0
        .size:           4
        .value_kind:     by_value
      - .offset:         4
        .size:           4
        .value_kind:     by_value
      - .address_space:  global
        .offset:         8
        .size:           8
        .value_kind:     global_buffer
      - .address_space:  global
        .offset:         16
        .size:           8
        .value_kind:     global_buffer
      - .offset:         24
        .size:           4
        .value_kind:     by_value
      - .offset:         32
        .size:           8
        .value_kind:     by_value
      - .address_space:  global
        .offset:         40
        .size:           8
        .value_kind:     global_buffer
      - .offset:         48
        .size:           4
        .value_kind:     by_value
      - .offset:         56
        .size:           8
        .value_kind:     by_value
      - .address_space:  global
        .offset:         64
        .size:           8
        .value_kind:     global_buffer
      - .address_space:  global
        .offset:         72
        .size:           8
        .value_kind:     global_buffer
      - .offset:         80
        .size:           4
        .value_kind:     by_value
      - .offset:         88
        .size:           8
        .value_kind:     by_value
      - .offset:         96
        .size:           4
        .value_kind:     by_value
    .group_segment_fixed_size: 2048
    .kernarg_segment_align: 8
    .kernarg_segment_size: 100
    .language:       OpenCL C
    .language_version:
      - 2
      - 0
    .max_flat_workgroup_size: 256
    .name:           _ZL29rocblas_internal_gemmt_kernelIiLi16ELi32ELi8ELc78ELc67ELc85ELb0ELb0EfPKfS1_PfEviT_T9_T10_S3_lS5_S3_lS4_T11_S3_li
    .private_segment_fixed_size: 0
    .sgpr_count:     36
    .sgpr_spill_count: 0
    .symbol:         _ZL29rocblas_internal_gemmt_kernelIiLi16ELi32ELi8ELc78ELc67ELc85ELb0ELb0EfPKfS1_PfEviT_T9_T10_S3_lS5_S3_lS4_T11_S3_li.kd
    .uniform_work_group_size: 1
    .uses_dynamic_stack: false
    .vgpr_count:     52
    .vgpr_spill_count: 0
    .wavefront_size: 32
    .workgroup_processor_mode: 1
  - .args:
      - .offset:         0
        .size:           4
        .value_kind:     by_value
      - .offset:         4
        .size:           4
        .value_kind:     by_value
      - .address_space:  global
        .offset:         8
        .size:           8
        .value_kind:     global_buffer
      - .address_space:  global
        .offset:         16
        .size:           8
        .value_kind:     global_buffer
      - .offset:         24
        .size:           4
        .value_kind:     by_value
      - .offset:         32
        .size:           8
        .value_kind:     by_value
      - .address_space:  global
        .offset:         40
        .size:           8
        .value_kind:     global_buffer
      - .offset:         48
        .size:           4
        .value_kind:     by_value
      - .offset:         56
        .size:           8
        .value_kind:     by_value
      - .address_space:  global
        .offset:         64
        .size:           8
        .value_kind:     global_buffer
      - .address_space:  global
        .offset:         72
        .size:           8
        .value_kind:     global_buffer
      - .offset:         80
        .size:           4
        .value_kind:     by_value
      - .offset:         88
        .size:           8
        .value_kind:     by_value
      - .offset:         96
        .size:           4
        .value_kind:     by_value
    .group_segment_fixed_size: 2048
    .kernarg_segment_align: 8
    .kernarg_segment_size: 100
    .language:       OpenCL C
    .language_version:
      - 2
      - 0
    .max_flat_workgroup_size: 256
    .name:           _ZL29rocblas_internal_gemmt_kernelIiLi16ELi32ELi8ELc84ELc78ELc85ELb0ELb0EfPKfS1_PfEviT_T9_T10_S3_lS5_S3_lS4_T11_S3_li
    .private_segment_fixed_size: 0
    .sgpr_count:     33
    .sgpr_spill_count: 0
    .symbol:         _ZL29rocblas_internal_gemmt_kernelIiLi16ELi32ELi8ELc84ELc78ELc85ELb0ELb0EfPKfS1_PfEviT_T9_T10_S3_lS5_S3_lS4_T11_S3_li.kd
    .uniform_work_group_size: 1
    .uses_dynamic_stack: false
    .vgpr_count:     52
    .vgpr_spill_count: 0
    .wavefront_size: 32
    .workgroup_processor_mode: 1
  - .args:
      - .offset:         0
        .size:           4
        .value_kind:     by_value
      - .offset:         4
        .size:           4
        .value_kind:     by_value
      - .address_space:  global
        .offset:         8
        .size:           8
        .value_kind:     global_buffer
      - .address_space:  global
        .offset:         16
        .size:           8
        .value_kind:     global_buffer
      - .offset:         24
        .size:           4
        .value_kind:     by_value
      - .offset:         32
        .size:           8
        .value_kind:     by_value
      - .address_space:  global
        .offset:         40
        .size:           8
        .value_kind:     global_buffer
      - .offset:         48
        .size:           4
        .value_kind:     by_value
      - .offset:         56
        .size:           8
        .value_kind:     by_value
      - .address_space:  global
        .offset:         64
        .size:           8
        .value_kind:     global_buffer
      - .address_space:  global
        .offset:         72
        .size:           8
        .value_kind:     global_buffer
      - .offset:         80
        .size:           4
        .value_kind:     by_value
      - .offset:         88
        .size:           8
        .value_kind:     by_value
      - .offset:         96
        .size:           4
        .value_kind:     by_value
    .group_segment_fixed_size: 2048
    .kernarg_segment_align: 8
    .kernarg_segment_size: 100
    .language:       OpenCL C
    .language_version:
      - 2
      - 0
    .max_flat_workgroup_size: 256
    .name:           _ZL29rocblas_internal_gemmt_kernelIiLi16ELi32ELi8ELc84ELc84ELc85ELb0ELb0EfPKfS1_PfEviT_T9_T10_S3_lS5_S3_lS4_T11_S3_li
    .private_segment_fixed_size: 0
    .sgpr_count:     34
    .sgpr_spill_count: 0
    .symbol:         _ZL29rocblas_internal_gemmt_kernelIiLi16ELi32ELi8ELc84ELc84ELc85ELb0ELb0EfPKfS1_PfEviT_T9_T10_S3_lS5_S3_lS4_T11_S3_li.kd
    .uniform_work_group_size: 1
    .uses_dynamic_stack: false
    .vgpr_count:     52
    .vgpr_spill_count: 0
    .wavefront_size: 32
    .workgroup_processor_mode: 1
  - .args:
      - .offset:         0
        .size:           4
        .value_kind:     by_value
      - .offset:         4
        .size:           4
        .value_kind:     by_value
      - .address_space:  global
        .offset:         8
        .size:           8
        .value_kind:     global_buffer
      - .address_space:  global
        .offset:         16
        .size:           8
        .value_kind:     global_buffer
      - .offset:         24
        .size:           4
        .value_kind:     by_value
      - .offset:         32
        .size:           8
        .value_kind:     by_value
      - .address_space:  global
        .offset:         40
        .size:           8
        .value_kind:     global_buffer
      - .offset:         48
        .size:           4
        .value_kind:     by_value
      - .offset:         56
        .size:           8
        .value_kind:     by_value
      - .address_space:  global
        .offset:         64
        .size:           8
        .value_kind:     global_buffer
      - .address_space:  global
        .offset:         72
        .size:           8
        .value_kind:     global_buffer
      - .offset:         80
        .size:           4
        .value_kind:     by_value
      - .offset:         88
        .size:           8
        .value_kind:     by_value
      - .offset:         96
        .size:           4
        .value_kind:     by_value
    .group_segment_fixed_size: 2048
    .kernarg_segment_align: 8
    .kernarg_segment_size: 100
    .language:       OpenCL C
    .language_version:
      - 2
      - 0
    .max_flat_workgroup_size: 256
    .name:           _ZL29rocblas_internal_gemmt_kernelIiLi16ELi32ELi8ELc84ELc67ELc85ELb0ELb0EfPKfS1_PfEviT_T9_T10_S3_lS5_S3_lS4_T11_S3_li
    .private_segment_fixed_size: 0
    .sgpr_count:     34
    .sgpr_spill_count: 0
    .symbol:         _ZL29rocblas_internal_gemmt_kernelIiLi16ELi32ELi8ELc84ELc67ELc85ELb0ELb0EfPKfS1_PfEviT_T9_T10_S3_lS5_S3_lS4_T11_S3_li.kd
    .uniform_work_group_size: 1
    .uses_dynamic_stack: false
    .vgpr_count:     52
    .vgpr_spill_count: 0
    .wavefront_size: 32
    .workgroup_processor_mode: 1
  - .args:
      - .offset:         0
        .size:           4
        .value_kind:     by_value
      - .offset:         4
        .size:           4
        .value_kind:     by_value
      - .address_space:  global
        .offset:         8
        .size:           8
        .value_kind:     global_buffer
      - .address_space:  global
        .offset:         16
        .size:           8
        .value_kind:     global_buffer
      - .offset:         24
        .size:           4
        .value_kind:     by_value
      - .offset:         32
        .size:           8
        .value_kind:     by_value
      - .address_space:  global
        .offset:         40
        .size:           8
        .value_kind:     global_buffer
      - .offset:         48
        .size:           4
        .value_kind:     by_value
      - .offset:         56
        .size:           8
        .value_kind:     by_value
      - .address_space:  global
        .offset:         64
        .size:           8
        .value_kind:     global_buffer
      - .address_space:  global
        .offset:         72
        .size:           8
        .value_kind:     global_buffer
      - .offset:         80
        .size:           4
        .value_kind:     by_value
      - .offset:         88
        .size:           8
        .value_kind:     by_value
      - .offset:         96
        .size:           4
        .value_kind:     by_value
    .group_segment_fixed_size: 2048
    .kernarg_segment_align: 8
    .kernarg_segment_size: 100
    .language:       OpenCL C
    .language_version:
      - 2
      - 0
    .max_flat_workgroup_size: 256
    .name:           _ZL29rocblas_internal_gemmt_kernelIiLi16ELi32ELi8ELc67ELc78ELc85ELb0ELb0EfPKfS1_PfEviT_T9_T10_S3_lS5_S3_lS4_T11_S3_li
    .private_segment_fixed_size: 0
    .sgpr_count:     33
    .sgpr_spill_count: 0
    .symbol:         _ZL29rocblas_internal_gemmt_kernelIiLi16ELi32ELi8ELc67ELc78ELc85ELb0ELb0EfPKfS1_PfEviT_T9_T10_S3_lS5_S3_lS4_T11_S3_li.kd
    .uniform_work_group_size: 1
    .uses_dynamic_stack: false
    .vgpr_count:     52
    .vgpr_spill_count: 0
    .wavefront_size: 32
    .workgroup_processor_mode: 1
  - .args:
      - .offset:         0
        .size:           4
        .value_kind:     by_value
      - .offset:         4
        .size:           4
        .value_kind:     by_value
      - .address_space:  global
        .offset:         8
        .size:           8
        .value_kind:     global_buffer
      - .address_space:  global
        .offset:         16
        .size:           8
        .value_kind:     global_buffer
      - .offset:         24
        .size:           4
        .value_kind:     by_value
      - .offset:         32
        .size:           8
        .value_kind:     by_value
      - .address_space:  global
        .offset:         40
        .size:           8
        .value_kind:     global_buffer
      - .offset:         48
        .size:           4
        .value_kind:     by_value
      - .offset:         56
        .size:           8
        .value_kind:     by_value
      - .address_space:  global
        .offset:         64
        .size:           8
        .value_kind:     global_buffer
      - .address_space:  global
        .offset:         72
        .size:           8
        .value_kind:     global_buffer
      - .offset:         80
        .size:           4
        .value_kind:     by_value
      - .offset:         88
        .size:           8
        .value_kind:     by_value
      - .offset:         96
        .size:           4
        .value_kind:     by_value
    .group_segment_fixed_size: 2048
    .kernarg_segment_align: 8
    .kernarg_segment_size: 100
    .language:       OpenCL C
    .language_version:
      - 2
      - 0
    .max_flat_workgroup_size: 256
    .name:           _ZL29rocblas_internal_gemmt_kernelIiLi16ELi32ELi8ELc67ELc84ELc85ELb0ELb0EfPKfS1_PfEviT_T9_T10_S3_lS5_S3_lS4_T11_S3_li
    .private_segment_fixed_size: 0
    .sgpr_count:     34
    .sgpr_spill_count: 0
    .symbol:         _ZL29rocblas_internal_gemmt_kernelIiLi16ELi32ELi8ELc67ELc84ELc85ELb0ELb0EfPKfS1_PfEviT_T9_T10_S3_lS5_S3_lS4_T11_S3_li.kd
    .uniform_work_group_size: 1
    .uses_dynamic_stack: false
    .vgpr_count:     52
    .vgpr_spill_count: 0
    .wavefront_size: 32
    .workgroup_processor_mode: 1
  - .args:
      - .offset:         0
        .size:           4
        .value_kind:     by_value
      - .offset:         4
        .size:           4
        .value_kind:     by_value
      - .address_space:  global
        .offset:         8
        .size:           8
        .value_kind:     global_buffer
      - .address_space:  global
        .offset:         16
        .size:           8
        .value_kind:     global_buffer
      - .offset:         24
        .size:           4
        .value_kind:     by_value
      - .offset:         32
        .size:           8
        .value_kind:     by_value
      - .address_space:  global
        .offset:         40
        .size:           8
        .value_kind:     global_buffer
      - .offset:         48
        .size:           4
        .value_kind:     by_value
      - .offset:         56
        .size:           8
        .value_kind:     by_value
      - .address_space:  global
        .offset:         64
        .size:           8
        .value_kind:     global_buffer
      - .address_space:  global
        .offset:         72
        .size:           8
        .value_kind:     global_buffer
      - .offset:         80
        .size:           4
        .value_kind:     by_value
      - .offset:         88
        .size:           8
        .value_kind:     by_value
      - .offset:         96
        .size:           4
        .value_kind:     by_value
    .group_segment_fixed_size: 2048
    .kernarg_segment_align: 8
    .kernarg_segment_size: 100
    .language:       OpenCL C
    .language_version:
      - 2
      - 0
    .max_flat_workgroup_size: 256
    .name:           _ZL29rocblas_internal_gemmt_kernelIiLi16ELi32ELi8ELc67ELc67ELc85ELb0ELb0EfPKfS1_PfEviT_T9_T10_S3_lS5_S3_lS4_T11_S3_li
    .private_segment_fixed_size: 0
    .sgpr_count:     34
    .sgpr_spill_count: 0
    .symbol:         _ZL29rocblas_internal_gemmt_kernelIiLi16ELi32ELi8ELc67ELc67ELc85ELb0ELb0EfPKfS1_PfEviT_T9_T10_S3_lS5_S3_lS4_T11_S3_li.kd
    .uniform_work_group_size: 1
    .uses_dynamic_stack: false
    .vgpr_count:     52
    .vgpr_spill_count: 0
    .wavefront_size: 32
    .workgroup_processor_mode: 1
  - .args:
      - .offset:         0
        .size:           4
        .value_kind:     by_value
      - .offset:         4
        .size:           4
        .value_kind:     by_value
      - .address_space:  global
        .offset:         8
        .size:           8
        .value_kind:     global_buffer
      - .address_space:  global
        .offset:         16
        .size:           8
        .value_kind:     global_buffer
      - .offset:         24
        .size:           4
        .value_kind:     by_value
      - .offset:         32
        .size:           8
        .value_kind:     by_value
      - .address_space:  global
        .offset:         40
        .size:           8
        .value_kind:     global_buffer
      - .offset:         48
        .size:           4
        .value_kind:     by_value
      - .offset:         56
        .size:           8
        .value_kind:     by_value
      - .address_space:  global
        .offset:         64
        .size:           8
        .value_kind:     global_buffer
      - .address_space:  global
        .offset:         72
        .size:           8
        .value_kind:     global_buffer
      - .offset:         80
        .size:           4
        .value_kind:     by_value
      - .offset:         88
        .size:           8
        .value_kind:     by_value
      - .offset:         96
        .size:           4
        .value_kind:     by_value
    .group_segment_fixed_size: 2048
    .kernarg_segment_align: 8
    .kernarg_segment_size: 100
    .language:       OpenCL C
    .language_version:
      - 2
      - 0
    .max_flat_workgroup_size: 256
    .name:           _ZL29rocblas_internal_gemmt_kernelIiLi16ELi32ELi8ELc78ELc78ELc76ELb0ELb0EfPKfS1_PfEviT_T9_T10_S3_lS5_S3_lS4_T11_S3_li
    .private_segment_fixed_size: 0
    .sgpr_count:     34
    .sgpr_spill_count: 0
    .symbol:         _ZL29rocblas_internal_gemmt_kernelIiLi16ELi32ELi8ELc78ELc78ELc76ELb0ELb0EfPKfS1_PfEviT_T9_T10_S3_lS5_S3_lS4_T11_S3_li.kd
    .uniform_work_group_size: 1
    .uses_dynamic_stack: false
    .vgpr_count:     52
    .vgpr_spill_count: 0
    .wavefront_size: 32
    .workgroup_processor_mode: 1
  - .args:
      - .offset:         0
        .size:           4
        .value_kind:     by_value
      - .offset:         4
        .size:           4
        .value_kind:     by_value
      - .address_space:  global
        .offset:         8
        .size:           8
        .value_kind:     global_buffer
      - .address_space:  global
        .offset:         16
        .size:           8
        .value_kind:     global_buffer
      - .offset:         24
        .size:           4
        .value_kind:     by_value
      - .offset:         32
        .size:           8
        .value_kind:     by_value
      - .address_space:  global
        .offset:         40
        .size:           8
        .value_kind:     global_buffer
      - .offset:         48
        .size:           4
        .value_kind:     by_value
      - .offset:         56
        .size:           8
        .value_kind:     by_value
      - .address_space:  global
        .offset:         64
        .size:           8
        .value_kind:     global_buffer
      - .address_space:  global
        .offset:         72
        .size:           8
        .value_kind:     global_buffer
      - .offset:         80
        .size:           4
        .value_kind:     by_value
      - .offset:         88
        .size:           8
        .value_kind:     by_value
      - .offset:         96
        .size:           4
        .value_kind:     by_value
    .group_segment_fixed_size: 2048
    .kernarg_segment_align: 8
    .kernarg_segment_size: 100
    .language:       OpenCL C
    .language_version:
      - 2
      - 0
    .max_flat_workgroup_size: 256
    .name:           _ZL29rocblas_internal_gemmt_kernelIiLi16ELi32ELi8ELc78ELc84ELc76ELb0ELb0EfPKfS1_PfEviT_T9_T10_S3_lS5_S3_lS4_T11_S3_li
    .private_segment_fixed_size: 0
    .sgpr_count:     37
    .sgpr_spill_count: 0
    .symbol:         _ZL29rocblas_internal_gemmt_kernelIiLi16ELi32ELi8ELc78ELc84ELc76ELb0ELb0EfPKfS1_PfEviT_T9_T10_S3_lS5_S3_lS4_T11_S3_li.kd
    .uniform_work_group_size: 1
    .uses_dynamic_stack: false
    .vgpr_count:     52
    .vgpr_spill_count: 0
    .wavefront_size: 32
    .workgroup_processor_mode: 1
  - .args:
      - .offset:         0
        .size:           4
        .value_kind:     by_value
      - .offset:         4
        .size:           4
        .value_kind:     by_value
      - .address_space:  global
        .offset:         8
        .size:           8
        .value_kind:     global_buffer
      - .address_space:  global
        .offset:         16
        .size:           8
        .value_kind:     global_buffer
      - .offset:         24
        .size:           4
        .value_kind:     by_value
      - .offset:         32
        .size:           8
        .value_kind:     by_value
      - .address_space:  global
        .offset:         40
        .size:           8
        .value_kind:     global_buffer
      - .offset:         48
        .size:           4
        .value_kind:     by_value
      - .offset:         56
        .size:           8
        .value_kind:     by_value
      - .address_space:  global
        .offset:         64
        .size:           8
        .value_kind:     global_buffer
      - .address_space:  global
        .offset:         72
        .size:           8
        .value_kind:     global_buffer
      - .offset:         80
        .size:           4
        .value_kind:     by_value
      - .offset:         88
        .size:           8
        .value_kind:     by_value
      - .offset:         96
        .size:           4
        .value_kind:     by_value
    .group_segment_fixed_size: 2048
    .kernarg_segment_align: 8
    .kernarg_segment_size: 100
    .language:       OpenCL C
    .language_version:
      - 2
      - 0
    .max_flat_workgroup_size: 256
    .name:           _ZL29rocblas_internal_gemmt_kernelIiLi16ELi32ELi8ELc78ELc67ELc76ELb0ELb0EfPKfS1_PfEviT_T9_T10_S3_lS5_S3_lS4_T11_S3_li
    .private_segment_fixed_size: 0
    .sgpr_count:     37
    .sgpr_spill_count: 0
    .symbol:         _ZL29rocblas_internal_gemmt_kernelIiLi16ELi32ELi8ELc78ELc67ELc76ELb0ELb0EfPKfS1_PfEviT_T9_T10_S3_lS5_S3_lS4_T11_S3_li.kd
    .uniform_work_group_size: 1
    .uses_dynamic_stack: false
    .vgpr_count:     52
    .vgpr_spill_count: 0
    .wavefront_size: 32
    .workgroup_processor_mode: 1
  - .args:
      - .offset:         0
        .size:           4
        .value_kind:     by_value
      - .offset:         4
        .size:           4
        .value_kind:     by_value
      - .address_space:  global
        .offset:         8
        .size:           8
        .value_kind:     global_buffer
      - .address_space:  global
        .offset:         16
        .size:           8
        .value_kind:     global_buffer
      - .offset:         24
        .size:           4
        .value_kind:     by_value
      - .offset:         32
        .size:           8
        .value_kind:     by_value
      - .address_space:  global
        .offset:         40
        .size:           8
        .value_kind:     global_buffer
      - .offset:         48
        .size:           4
        .value_kind:     by_value
      - .offset:         56
        .size:           8
        .value_kind:     by_value
      - .address_space:  global
        .offset:         64
        .size:           8
        .value_kind:     global_buffer
      - .address_space:  global
        .offset:         72
        .size:           8
        .value_kind:     global_buffer
      - .offset:         80
        .size:           4
        .value_kind:     by_value
      - .offset:         88
        .size:           8
        .value_kind:     by_value
      - .offset:         96
        .size:           4
        .value_kind:     by_value
    .group_segment_fixed_size: 2048
    .kernarg_segment_align: 8
    .kernarg_segment_size: 100
    .language:       OpenCL C
    .language_version:
      - 2
      - 0
    .max_flat_workgroup_size: 256
    .name:           _ZL29rocblas_internal_gemmt_kernelIiLi16ELi32ELi8ELc84ELc78ELc76ELb0ELb0EfPKfS1_PfEviT_T9_T10_S3_lS5_S3_lS4_T11_S3_li
    .private_segment_fixed_size: 0
    .sgpr_count:     32
    .sgpr_spill_count: 0
    .symbol:         _ZL29rocblas_internal_gemmt_kernelIiLi16ELi32ELi8ELc84ELc78ELc76ELb0ELb0EfPKfS1_PfEviT_T9_T10_S3_lS5_S3_lS4_T11_S3_li.kd
    .uniform_work_group_size: 1
    .uses_dynamic_stack: false
    .vgpr_count:     52
    .vgpr_spill_count: 0
    .wavefront_size: 32
    .workgroup_processor_mode: 1
  - .args:
      - .offset:         0
        .size:           4
        .value_kind:     by_value
      - .offset:         4
        .size:           4
        .value_kind:     by_value
      - .address_space:  global
        .offset:         8
        .size:           8
        .value_kind:     global_buffer
      - .address_space:  global
        .offset:         16
        .size:           8
        .value_kind:     global_buffer
      - .offset:         24
        .size:           4
        .value_kind:     by_value
      - .offset:         32
        .size:           8
        .value_kind:     by_value
      - .address_space:  global
        .offset:         40
        .size:           8
        .value_kind:     global_buffer
      - .offset:         48
        .size:           4
        .value_kind:     by_value
      - .offset:         56
        .size:           8
        .value_kind:     by_value
      - .address_space:  global
        .offset:         64
        .size:           8
        .value_kind:     global_buffer
      - .address_space:  global
        .offset:         72
        .size:           8
        .value_kind:     global_buffer
      - .offset:         80
        .size:           4
        .value_kind:     by_value
      - .offset:         88
        .size:           8
        .value_kind:     by_value
      - .offset:         96
        .size:           4
        .value_kind:     by_value
    .group_segment_fixed_size: 2048
    .kernarg_segment_align: 8
    .kernarg_segment_size: 100
    .language:       OpenCL C
    .language_version:
      - 2
      - 0
    .max_flat_workgroup_size: 256
    .name:           _ZL29rocblas_internal_gemmt_kernelIiLi16ELi32ELi8ELc84ELc84ELc76ELb0ELb0EfPKfS1_PfEviT_T9_T10_S3_lS5_S3_lS4_T11_S3_li
    .private_segment_fixed_size: 0
    .sgpr_count:     36
    .sgpr_spill_count: 0
    .symbol:         _ZL29rocblas_internal_gemmt_kernelIiLi16ELi32ELi8ELc84ELc84ELc76ELb0ELb0EfPKfS1_PfEviT_T9_T10_S3_lS5_S3_lS4_T11_S3_li.kd
    .uniform_work_group_size: 1
    .uses_dynamic_stack: false
    .vgpr_count:     52
    .vgpr_spill_count: 0
    .wavefront_size: 32
    .workgroup_processor_mode: 1
  - .args:
      - .offset:         0
        .size:           4
        .value_kind:     by_value
      - .offset:         4
        .size:           4
        .value_kind:     by_value
      - .address_space:  global
        .offset:         8
        .size:           8
        .value_kind:     global_buffer
      - .address_space:  global
        .offset:         16
        .size:           8
        .value_kind:     global_buffer
      - .offset:         24
        .size:           4
        .value_kind:     by_value
      - .offset:         32
        .size:           8
        .value_kind:     by_value
      - .address_space:  global
        .offset:         40
        .size:           8
        .value_kind:     global_buffer
      - .offset:         48
        .size:           4
        .value_kind:     by_value
      - .offset:         56
        .size:           8
        .value_kind:     by_value
      - .address_space:  global
        .offset:         64
        .size:           8
        .value_kind:     global_buffer
      - .address_space:  global
        .offset:         72
        .size:           8
        .value_kind:     global_buffer
      - .offset:         80
        .size:           4
        .value_kind:     by_value
      - .offset:         88
        .size:           8
        .value_kind:     by_value
      - .offset:         96
        .size:           4
        .value_kind:     by_value
    .group_segment_fixed_size: 2048
    .kernarg_segment_align: 8
    .kernarg_segment_size: 100
    .language:       OpenCL C
    .language_version:
      - 2
      - 0
    .max_flat_workgroup_size: 256
    .name:           _ZL29rocblas_internal_gemmt_kernelIiLi16ELi32ELi8ELc84ELc67ELc76ELb0ELb0EfPKfS1_PfEviT_T9_T10_S3_lS5_S3_lS4_T11_S3_li
    .private_segment_fixed_size: 0
    .sgpr_count:     36
    .sgpr_spill_count: 0
    .symbol:         _ZL29rocblas_internal_gemmt_kernelIiLi16ELi32ELi8ELc84ELc67ELc76ELb0ELb0EfPKfS1_PfEviT_T9_T10_S3_lS5_S3_lS4_T11_S3_li.kd
    .uniform_work_group_size: 1
    .uses_dynamic_stack: false
    .vgpr_count:     52
    .vgpr_spill_count: 0
    .wavefront_size: 32
    .workgroup_processor_mode: 1
  - .args:
      - .offset:         0
        .size:           4
        .value_kind:     by_value
      - .offset:         4
        .size:           4
        .value_kind:     by_value
      - .address_space:  global
        .offset:         8
        .size:           8
        .value_kind:     global_buffer
      - .address_space:  global
        .offset:         16
        .size:           8
        .value_kind:     global_buffer
      - .offset:         24
        .size:           4
        .value_kind:     by_value
      - .offset:         32
        .size:           8
        .value_kind:     by_value
      - .address_space:  global
        .offset:         40
        .size:           8
        .value_kind:     global_buffer
      - .offset:         48
        .size:           4
        .value_kind:     by_value
      - .offset:         56
        .size:           8
        .value_kind:     by_value
      - .address_space:  global
        .offset:         64
        .size:           8
        .value_kind:     global_buffer
      - .address_space:  global
        .offset:         72
        .size:           8
        .value_kind:     global_buffer
      - .offset:         80
        .size:           4
        .value_kind:     by_value
      - .offset:         88
        .size:           8
        .value_kind:     by_value
      - .offset:         96
        .size:           4
        .value_kind:     by_value
    .group_segment_fixed_size: 2048
    .kernarg_segment_align: 8
    .kernarg_segment_size: 100
    .language:       OpenCL C
    .language_version:
      - 2
      - 0
    .max_flat_workgroup_size: 256
    .name:           _ZL29rocblas_internal_gemmt_kernelIiLi16ELi32ELi8ELc67ELc78ELc76ELb0ELb0EfPKfS1_PfEviT_T9_T10_S3_lS5_S3_lS4_T11_S3_li
    .private_segment_fixed_size: 0
    .sgpr_count:     32
    .sgpr_spill_count: 0
    .symbol:         _ZL29rocblas_internal_gemmt_kernelIiLi16ELi32ELi8ELc67ELc78ELc76ELb0ELb0EfPKfS1_PfEviT_T9_T10_S3_lS5_S3_lS4_T11_S3_li.kd
    .uniform_work_group_size: 1
    .uses_dynamic_stack: false
    .vgpr_count:     52
    .vgpr_spill_count: 0
    .wavefront_size: 32
    .workgroup_processor_mode: 1
  - .args:
      - .offset:         0
        .size:           4
        .value_kind:     by_value
      - .offset:         4
        .size:           4
        .value_kind:     by_value
      - .address_space:  global
        .offset:         8
        .size:           8
        .value_kind:     global_buffer
      - .address_space:  global
        .offset:         16
        .size:           8
        .value_kind:     global_buffer
      - .offset:         24
        .size:           4
        .value_kind:     by_value
      - .offset:         32
        .size:           8
        .value_kind:     by_value
      - .address_space:  global
        .offset:         40
        .size:           8
        .value_kind:     global_buffer
      - .offset:         48
        .size:           4
        .value_kind:     by_value
      - .offset:         56
        .size:           8
        .value_kind:     by_value
      - .address_space:  global
        .offset:         64
        .size:           8
        .value_kind:     global_buffer
      - .address_space:  global
        .offset:         72
        .size:           8
        .value_kind:     global_buffer
      - .offset:         80
        .size:           4
        .value_kind:     by_value
      - .offset:         88
        .size:           8
        .value_kind:     by_value
      - .offset:         96
        .size:           4
        .value_kind:     by_value
    .group_segment_fixed_size: 2048
    .kernarg_segment_align: 8
    .kernarg_segment_size: 100
    .language:       OpenCL C
    .language_version:
      - 2
      - 0
    .max_flat_workgroup_size: 256
    .name:           _ZL29rocblas_internal_gemmt_kernelIiLi16ELi32ELi8ELc67ELc84ELc76ELb0ELb0EfPKfS1_PfEviT_T9_T10_S3_lS5_S3_lS4_T11_S3_li
    .private_segment_fixed_size: 0
    .sgpr_count:     36
    .sgpr_spill_count: 0
    .symbol:         _ZL29rocblas_internal_gemmt_kernelIiLi16ELi32ELi8ELc67ELc84ELc76ELb0ELb0EfPKfS1_PfEviT_T9_T10_S3_lS5_S3_lS4_T11_S3_li.kd
    .uniform_work_group_size: 1
    .uses_dynamic_stack: false
    .vgpr_count:     52
    .vgpr_spill_count: 0
    .wavefront_size: 32
    .workgroup_processor_mode: 1
  - .args:
      - .offset:         0
        .size:           4
        .value_kind:     by_value
      - .offset:         4
        .size:           4
        .value_kind:     by_value
      - .address_space:  global
        .offset:         8
        .size:           8
        .value_kind:     global_buffer
      - .address_space:  global
        .offset:         16
        .size:           8
        .value_kind:     global_buffer
      - .offset:         24
        .size:           4
        .value_kind:     by_value
      - .offset:         32
        .size:           8
        .value_kind:     by_value
      - .address_space:  global
        .offset:         40
        .size:           8
        .value_kind:     global_buffer
      - .offset:         48
        .size:           4
        .value_kind:     by_value
      - .offset:         56
        .size:           8
        .value_kind:     by_value
      - .address_space:  global
        .offset:         64
        .size:           8
        .value_kind:     global_buffer
      - .address_space:  global
        .offset:         72
        .size:           8
        .value_kind:     global_buffer
      - .offset:         80
        .size:           4
        .value_kind:     by_value
      - .offset:         88
        .size:           8
        .value_kind:     by_value
      - .offset:         96
        .size:           4
        .value_kind:     by_value
    .group_segment_fixed_size: 2048
    .kernarg_segment_align: 8
    .kernarg_segment_size: 100
    .language:       OpenCL C
    .language_version:
      - 2
      - 0
    .max_flat_workgroup_size: 256
    .name:           _ZL29rocblas_internal_gemmt_kernelIiLi16ELi32ELi8ELc67ELc67ELc76ELb0ELb0EfPKfS1_PfEviT_T9_T10_S3_lS5_S3_lS4_T11_S3_li
    .private_segment_fixed_size: 0
    .sgpr_count:     36
    .sgpr_spill_count: 0
    .symbol:         _ZL29rocblas_internal_gemmt_kernelIiLi16ELi32ELi8ELc67ELc67ELc76ELb0ELb0EfPKfS1_PfEviT_T9_T10_S3_lS5_S3_lS4_T11_S3_li.kd
    .uniform_work_group_size: 1
    .uses_dynamic_stack: false
    .vgpr_count:     52
    .vgpr_spill_count: 0
    .wavefront_size: 32
    .workgroup_processor_mode: 1
  - .args:
      - .offset:         0
        .size:           4
        .value_kind:     by_value
      - .offset:         4
        .size:           4
        .value_kind:     by_value
      - .offset:         8
        .size:           4
        .value_kind:     by_value
      - .address_space:  global
        .offset:         16
        .size:           8
        .value_kind:     global_buffer
      - .offset:         24
        .size:           4
        .value_kind:     by_value
      - .offset:         32
        .size:           8
        .value_kind:     by_value
      - .address_space:  global
        .offset:         40
        .size:           8
        .value_kind:     global_buffer
      - .offset:         48
        .size:           4
        .value_kind:     by_value
      - .offset:         56
        .size:           8
        .value_kind:     by_value
      - .offset:         64
        .size:           4
        .value_kind:     by_value
      - .address_space:  global
        .offset:         72
        .size:           8
        .value_kind:     global_buffer
      - .offset:         80
        .size:           4
        .value_kind:     by_value
      - .offset:         88
        .size:           8
        .value_kind:     by_value
      - .offset:         96
        .size:           4
        .value_kind:     by_value
    .group_segment_fixed_size: 2048
    .kernarg_segment_align: 8
    .kernarg_segment_size: 100
    .language:       OpenCL C
    .language_version:
      - 2
      - 0
    .max_flat_workgroup_size: 256
    .name:           _ZL29rocblas_internal_gemmt_kernelIiLi16ELi32ELi8ELc78ELc78ELc85ELb0ELb0EffPKfPfEviT_T9_T10_S3_lS5_S3_lS4_T11_S3_li
    .private_segment_fixed_size: 0
    .sgpr_count:     36
    .sgpr_spill_count: 0
    .symbol:         _ZL29rocblas_internal_gemmt_kernelIiLi16ELi32ELi8ELc78ELc78ELc85ELb0ELb0EffPKfPfEviT_T9_T10_S3_lS5_S3_lS4_T11_S3_li.kd
    .uniform_work_group_size: 1
    .uses_dynamic_stack: false
    .vgpr_count:     52
    .vgpr_spill_count: 0
    .wavefront_size: 32
    .workgroup_processor_mode: 1
  - .args:
      - .offset:         0
        .size:           4
        .value_kind:     by_value
      - .offset:         4
        .size:           4
        .value_kind:     by_value
      - .offset:         8
        .size:           4
        .value_kind:     by_value
      - .address_space:  global
        .offset:         16
        .size:           8
        .value_kind:     global_buffer
      - .offset:         24
        .size:           4
        .value_kind:     by_value
      - .offset:         32
        .size:           8
        .value_kind:     by_value
      - .address_space:  global
        .offset:         40
        .size:           8
        .value_kind:     global_buffer
      - .offset:         48
        .size:           4
        .value_kind:     by_value
      - .offset:         56
        .size:           8
        .value_kind:     by_value
      - .offset:         64
        .size:           4
        .value_kind:     by_value
      - .address_space:  global
        .offset:         72
        .size:           8
        .value_kind:     global_buffer
      - .offset:         80
        .size:           4
        .value_kind:     by_value
      - .offset:         88
        .size:           8
        .value_kind:     by_value
      - .offset:         96
        .size:           4
        .value_kind:     by_value
    .group_segment_fixed_size: 2048
    .kernarg_segment_align: 8
    .kernarg_segment_size: 100
    .language:       OpenCL C
    .language_version:
      - 2
      - 0
    .max_flat_workgroup_size: 256
    .name:           _ZL29rocblas_internal_gemmt_kernelIiLi16ELi32ELi8ELc78ELc84ELc85ELb0ELb0EffPKfPfEviT_T9_T10_S3_lS5_S3_lS4_T11_S3_li
    .private_segment_fixed_size: 0
    .sgpr_count:     38
    .sgpr_spill_count: 0
    .symbol:         _ZL29rocblas_internal_gemmt_kernelIiLi16ELi32ELi8ELc78ELc84ELc85ELb0ELb0EffPKfPfEviT_T9_T10_S3_lS5_S3_lS4_T11_S3_li.kd
    .uniform_work_group_size: 1
    .uses_dynamic_stack: false
    .vgpr_count:     52
    .vgpr_spill_count: 0
    .wavefront_size: 32
    .workgroup_processor_mode: 1
  - .args:
      - .offset:         0
        .size:           4
        .value_kind:     by_value
      - .offset:         4
        .size:           4
        .value_kind:     by_value
      - .offset:         8
        .size:           4
        .value_kind:     by_value
      - .address_space:  global
        .offset:         16
        .size:           8
        .value_kind:     global_buffer
      - .offset:         24
        .size:           4
        .value_kind:     by_value
      - .offset:         32
        .size:           8
        .value_kind:     by_value
      - .address_space:  global
        .offset:         40
        .size:           8
        .value_kind:     global_buffer
      - .offset:         48
        .size:           4
        .value_kind:     by_value
      - .offset:         56
        .size:           8
        .value_kind:     by_value
      - .offset:         64
        .size:           4
        .value_kind:     by_value
      - .address_space:  global
        .offset:         72
        .size:           8
        .value_kind:     global_buffer
      - .offset:         80
        .size:           4
        .value_kind:     by_value
      - .offset:         88
        .size:           8
        .value_kind:     by_value
      - .offset:         96
        .size:           4
        .value_kind:     by_value
    .group_segment_fixed_size: 2048
    .kernarg_segment_align: 8
    .kernarg_segment_size: 100
    .language:       OpenCL C
    .language_version:
      - 2
      - 0
    .max_flat_workgroup_size: 256
    .name:           _ZL29rocblas_internal_gemmt_kernelIiLi16ELi32ELi8ELc78ELc67ELc85ELb0ELb0EffPKfPfEviT_T9_T10_S3_lS5_S3_lS4_T11_S3_li
    .private_segment_fixed_size: 0
    .sgpr_count:     38
    .sgpr_spill_count: 0
    .symbol:         _ZL29rocblas_internal_gemmt_kernelIiLi16ELi32ELi8ELc78ELc67ELc85ELb0ELb0EffPKfPfEviT_T9_T10_S3_lS5_S3_lS4_T11_S3_li.kd
    .uniform_work_group_size: 1
    .uses_dynamic_stack: false
    .vgpr_count:     52
    .vgpr_spill_count: 0
    .wavefront_size: 32
    .workgroup_processor_mode: 1
  - .args:
      - .offset:         0
        .size:           4
        .value_kind:     by_value
      - .offset:         4
        .size:           4
        .value_kind:     by_value
      - .offset:         8
        .size:           4
        .value_kind:     by_value
      - .address_space:  global
        .offset:         16
        .size:           8
        .value_kind:     global_buffer
      - .offset:         24
        .size:           4
        .value_kind:     by_value
      - .offset:         32
        .size:           8
        .value_kind:     by_value
      - .address_space:  global
        .offset:         40
        .size:           8
        .value_kind:     global_buffer
      - .offset:         48
        .size:           4
        .value_kind:     by_value
      - .offset:         56
        .size:           8
        .value_kind:     by_value
      - .offset:         64
        .size:           4
        .value_kind:     by_value
      - .address_space:  global
        .offset:         72
        .size:           8
        .value_kind:     global_buffer
      - .offset:         80
        .size:           4
        .value_kind:     by_value
      - .offset:         88
        .size:           8
        .value_kind:     by_value
      - .offset:         96
        .size:           4
        .value_kind:     by_value
    .group_segment_fixed_size: 2048
    .kernarg_segment_align: 8
    .kernarg_segment_size: 100
    .language:       OpenCL C
    .language_version:
      - 2
      - 0
    .max_flat_workgroup_size: 256
    .name:           _ZL29rocblas_internal_gemmt_kernelIiLi16ELi32ELi8ELc84ELc78ELc85ELb0ELb0EffPKfPfEviT_T9_T10_S3_lS5_S3_lS4_T11_S3_li
    .private_segment_fixed_size: 0
    .sgpr_count:     33
    .sgpr_spill_count: 0
    .symbol:         _ZL29rocblas_internal_gemmt_kernelIiLi16ELi32ELi8ELc84ELc78ELc85ELb0ELb0EffPKfPfEviT_T9_T10_S3_lS5_S3_lS4_T11_S3_li.kd
    .uniform_work_group_size: 1
    .uses_dynamic_stack: false
    .vgpr_count:     52
    .vgpr_spill_count: 0
    .wavefront_size: 32
    .workgroup_processor_mode: 1
  - .args:
      - .offset:         0
        .size:           4
        .value_kind:     by_value
      - .offset:         4
        .size:           4
        .value_kind:     by_value
      - .offset:         8
        .size:           4
        .value_kind:     by_value
      - .address_space:  global
        .offset:         16
        .size:           8
        .value_kind:     global_buffer
      - .offset:         24
        .size:           4
        .value_kind:     by_value
      - .offset:         32
        .size:           8
        .value_kind:     by_value
      - .address_space:  global
        .offset:         40
        .size:           8
        .value_kind:     global_buffer
      - .offset:         48
        .size:           4
        .value_kind:     by_value
      - .offset:         56
        .size:           8
        .value_kind:     by_value
      - .offset:         64
        .size:           4
        .value_kind:     by_value
      - .address_space:  global
        .offset:         72
        .size:           8
        .value_kind:     global_buffer
      - .offset:         80
        .size:           4
        .value_kind:     by_value
      - .offset:         88
        .size:           8
        .value_kind:     by_value
      - .offset:         96
        .size:           4
        .value_kind:     by_value
    .group_segment_fixed_size: 2048
    .kernarg_segment_align: 8
    .kernarg_segment_size: 100
    .language:       OpenCL C
    .language_version:
      - 2
      - 0
    .max_flat_workgroup_size: 256
    .name:           _ZL29rocblas_internal_gemmt_kernelIiLi16ELi32ELi8ELc84ELc84ELc85ELb0ELb0EffPKfPfEviT_T9_T10_S3_lS5_S3_lS4_T11_S3_li
    .private_segment_fixed_size: 0
    .sgpr_count:     34
    .sgpr_spill_count: 0
    .symbol:         _ZL29rocblas_internal_gemmt_kernelIiLi16ELi32ELi8ELc84ELc84ELc85ELb0ELb0EffPKfPfEviT_T9_T10_S3_lS5_S3_lS4_T11_S3_li.kd
    .uniform_work_group_size: 1
    .uses_dynamic_stack: false
    .vgpr_count:     52
    .vgpr_spill_count: 0
    .wavefront_size: 32
    .workgroup_processor_mode: 1
  - .args:
      - .offset:         0
        .size:           4
        .value_kind:     by_value
      - .offset:         4
        .size:           4
        .value_kind:     by_value
      - .offset:         8
        .size:           4
        .value_kind:     by_value
      - .address_space:  global
        .offset:         16
        .size:           8
        .value_kind:     global_buffer
      - .offset:         24
        .size:           4
        .value_kind:     by_value
      - .offset:         32
        .size:           8
        .value_kind:     by_value
      - .address_space:  global
        .offset:         40
        .size:           8
        .value_kind:     global_buffer
      - .offset:         48
        .size:           4
        .value_kind:     by_value
      - .offset:         56
        .size:           8
        .value_kind:     by_value
      - .offset:         64
        .size:           4
        .value_kind:     by_value
      - .address_space:  global
        .offset:         72
        .size:           8
        .value_kind:     global_buffer
      - .offset:         80
        .size:           4
        .value_kind:     by_value
      - .offset:         88
        .size:           8
        .value_kind:     by_value
      - .offset:         96
        .size:           4
        .value_kind:     by_value
    .group_segment_fixed_size: 2048
    .kernarg_segment_align: 8
    .kernarg_segment_size: 100
    .language:       OpenCL C
    .language_version:
      - 2
      - 0
    .max_flat_workgroup_size: 256
    .name:           _ZL29rocblas_internal_gemmt_kernelIiLi16ELi32ELi8ELc84ELc67ELc85ELb0ELb0EffPKfPfEviT_T9_T10_S3_lS5_S3_lS4_T11_S3_li
    .private_segment_fixed_size: 0
    .sgpr_count:     34
    .sgpr_spill_count: 0
    .symbol:         _ZL29rocblas_internal_gemmt_kernelIiLi16ELi32ELi8ELc84ELc67ELc85ELb0ELb0EffPKfPfEviT_T9_T10_S3_lS5_S3_lS4_T11_S3_li.kd
    .uniform_work_group_size: 1
    .uses_dynamic_stack: false
    .vgpr_count:     52
    .vgpr_spill_count: 0
    .wavefront_size: 32
    .workgroup_processor_mode: 1
  - .args:
      - .offset:         0
        .size:           4
        .value_kind:     by_value
      - .offset:         4
        .size:           4
        .value_kind:     by_value
      - .offset:         8
        .size:           4
        .value_kind:     by_value
      - .address_space:  global
        .offset:         16
        .size:           8
        .value_kind:     global_buffer
      - .offset:         24
        .size:           4
        .value_kind:     by_value
      - .offset:         32
        .size:           8
        .value_kind:     by_value
      - .address_space:  global
        .offset:         40
        .size:           8
        .value_kind:     global_buffer
      - .offset:         48
        .size:           4
        .value_kind:     by_value
      - .offset:         56
        .size:           8
        .value_kind:     by_value
      - .offset:         64
        .size:           4
        .value_kind:     by_value
      - .address_space:  global
        .offset:         72
        .size:           8
        .value_kind:     global_buffer
      - .offset:         80
        .size:           4
        .value_kind:     by_value
      - .offset:         88
        .size:           8
        .value_kind:     by_value
      - .offset:         96
        .size:           4
        .value_kind:     by_value
    .group_segment_fixed_size: 2048
    .kernarg_segment_align: 8
    .kernarg_segment_size: 100
    .language:       OpenCL C
    .language_version:
      - 2
      - 0
    .max_flat_workgroup_size: 256
    .name:           _ZL29rocblas_internal_gemmt_kernelIiLi16ELi32ELi8ELc67ELc78ELc85ELb0ELb0EffPKfPfEviT_T9_T10_S3_lS5_S3_lS4_T11_S3_li
    .private_segment_fixed_size: 0
    .sgpr_count:     33
    .sgpr_spill_count: 0
    .symbol:         _ZL29rocblas_internal_gemmt_kernelIiLi16ELi32ELi8ELc67ELc78ELc85ELb0ELb0EffPKfPfEviT_T9_T10_S3_lS5_S3_lS4_T11_S3_li.kd
    .uniform_work_group_size: 1
    .uses_dynamic_stack: false
    .vgpr_count:     52
    .vgpr_spill_count: 0
    .wavefront_size: 32
    .workgroup_processor_mode: 1
  - .args:
      - .offset:         0
        .size:           4
        .value_kind:     by_value
      - .offset:         4
        .size:           4
        .value_kind:     by_value
      - .offset:         8
        .size:           4
        .value_kind:     by_value
      - .address_space:  global
        .offset:         16
        .size:           8
        .value_kind:     global_buffer
      - .offset:         24
        .size:           4
        .value_kind:     by_value
      - .offset:         32
        .size:           8
        .value_kind:     by_value
      - .address_space:  global
        .offset:         40
        .size:           8
        .value_kind:     global_buffer
      - .offset:         48
        .size:           4
        .value_kind:     by_value
      - .offset:         56
        .size:           8
        .value_kind:     by_value
      - .offset:         64
        .size:           4
        .value_kind:     by_value
      - .address_space:  global
        .offset:         72
        .size:           8
        .value_kind:     global_buffer
      - .offset:         80
        .size:           4
        .value_kind:     by_value
      - .offset:         88
        .size:           8
        .value_kind:     by_value
      - .offset:         96
        .size:           4
        .value_kind:     by_value
    .group_segment_fixed_size: 2048
    .kernarg_segment_align: 8
    .kernarg_segment_size: 100
    .language:       OpenCL C
    .language_version:
      - 2
      - 0
    .max_flat_workgroup_size: 256
    .name:           _ZL29rocblas_internal_gemmt_kernelIiLi16ELi32ELi8ELc67ELc84ELc85ELb0ELb0EffPKfPfEviT_T9_T10_S3_lS5_S3_lS4_T11_S3_li
    .private_segment_fixed_size: 0
    .sgpr_count:     34
    .sgpr_spill_count: 0
    .symbol:         _ZL29rocblas_internal_gemmt_kernelIiLi16ELi32ELi8ELc67ELc84ELc85ELb0ELb0EffPKfPfEviT_T9_T10_S3_lS5_S3_lS4_T11_S3_li.kd
    .uniform_work_group_size: 1
    .uses_dynamic_stack: false
    .vgpr_count:     52
    .vgpr_spill_count: 0
    .wavefront_size: 32
    .workgroup_processor_mode: 1
  - .args:
      - .offset:         0
        .size:           4
        .value_kind:     by_value
      - .offset:         4
        .size:           4
        .value_kind:     by_value
      - .offset:         8
        .size:           4
        .value_kind:     by_value
      - .address_space:  global
        .offset:         16
        .size:           8
        .value_kind:     global_buffer
      - .offset:         24
        .size:           4
        .value_kind:     by_value
      - .offset:         32
        .size:           8
        .value_kind:     by_value
      - .address_space:  global
        .offset:         40
        .size:           8
        .value_kind:     global_buffer
      - .offset:         48
        .size:           4
        .value_kind:     by_value
      - .offset:         56
        .size:           8
        .value_kind:     by_value
      - .offset:         64
        .size:           4
        .value_kind:     by_value
      - .address_space:  global
        .offset:         72
        .size:           8
        .value_kind:     global_buffer
      - .offset:         80
        .size:           4
        .value_kind:     by_value
      - .offset:         88
        .size:           8
        .value_kind:     by_value
      - .offset:         96
        .size:           4
        .value_kind:     by_value
    .group_segment_fixed_size: 2048
    .kernarg_segment_align: 8
    .kernarg_segment_size: 100
    .language:       OpenCL C
    .language_version:
      - 2
      - 0
    .max_flat_workgroup_size: 256
    .name:           _ZL29rocblas_internal_gemmt_kernelIiLi16ELi32ELi8ELc67ELc67ELc85ELb0ELb0EffPKfPfEviT_T9_T10_S3_lS5_S3_lS4_T11_S3_li
    .private_segment_fixed_size: 0
    .sgpr_count:     34
    .sgpr_spill_count: 0
    .symbol:         _ZL29rocblas_internal_gemmt_kernelIiLi16ELi32ELi8ELc67ELc67ELc85ELb0ELb0EffPKfPfEviT_T9_T10_S3_lS5_S3_lS4_T11_S3_li.kd
    .uniform_work_group_size: 1
    .uses_dynamic_stack: false
    .vgpr_count:     52
    .vgpr_spill_count: 0
    .wavefront_size: 32
    .workgroup_processor_mode: 1
  - .args:
      - .offset:         0
        .size:           4
        .value_kind:     by_value
      - .offset:         4
        .size:           4
        .value_kind:     by_value
      - .offset:         8
        .size:           4
        .value_kind:     by_value
      - .address_space:  global
        .offset:         16
        .size:           8
        .value_kind:     global_buffer
      - .offset:         24
        .size:           4
        .value_kind:     by_value
      - .offset:         32
        .size:           8
        .value_kind:     by_value
      - .address_space:  global
        .offset:         40
        .size:           8
        .value_kind:     global_buffer
      - .offset:         48
        .size:           4
        .value_kind:     by_value
      - .offset:         56
        .size:           8
        .value_kind:     by_value
      - .offset:         64
        .size:           4
        .value_kind:     by_value
      - .address_space:  global
        .offset:         72
        .size:           8
        .value_kind:     global_buffer
      - .offset:         80
        .size:           4
        .value_kind:     by_value
      - .offset:         88
        .size:           8
        .value_kind:     by_value
      - .offset:         96
        .size:           4
        .value_kind:     by_value
    .group_segment_fixed_size: 2048
    .kernarg_segment_align: 8
    .kernarg_segment_size: 100
    .language:       OpenCL C
    .language_version:
      - 2
      - 0
    .max_flat_workgroup_size: 256
    .name:           _ZL29rocblas_internal_gemmt_kernelIiLi16ELi32ELi8ELc78ELc78ELc76ELb0ELb0EffPKfPfEviT_T9_T10_S3_lS5_S3_lS4_T11_S3_li
    .private_segment_fixed_size: 0
    .sgpr_count:     36
    .sgpr_spill_count: 0
    .symbol:         _ZL29rocblas_internal_gemmt_kernelIiLi16ELi32ELi8ELc78ELc78ELc76ELb0ELb0EffPKfPfEviT_T9_T10_S3_lS5_S3_lS4_T11_S3_li.kd
    .uniform_work_group_size: 1
    .uses_dynamic_stack: false
    .vgpr_count:     52
    .vgpr_spill_count: 0
    .wavefront_size: 32
    .workgroup_processor_mode: 1
  - .args:
      - .offset:         0
        .size:           4
        .value_kind:     by_value
      - .offset:         4
        .size:           4
        .value_kind:     by_value
      - .offset:         8
        .size:           4
        .value_kind:     by_value
      - .address_space:  global
        .offset:         16
        .size:           8
        .value_kind:     global_buffer
      - .offset:         24
        .size:           4
        .value_kind:     by_value
      - .offset:         32
        .size:           8
        .value_kind:     by_value
      - .address_space:  global
        .offset:         40
        .size:           8
        .value_kind:     global_buffer
      - .offset:         48
        .size:           4
        .value_kind:     by_value
      - .offset:         56
        .size:           8
        .value_kind:     by_value
      - .offset:         64
        .size:           4
        .value_kind:     by_value
      - .address_space:  global
        .offset:         72
        .size:           8
        .value_kind:     global_buffer
      - .offset:         80
        .size:           4
        .value_kind:     by_value
      - .offset:         88
        .size:           8
        .value_kind:     by_value
      - .offset:         96
        .size:           4
        .value_kind:     by_value
    .group_segment_fixed_size: 2048
    .kernarg_segment_align: 8
    .kernarg_segment_size: 100
    .language:       OpenCL C
    .language_version:
      - 2
      - 0
    .max_flat_workgroup_size: 256
    .name:           _ZL29rocblas_internal_gemmt_kernelIiLi16ELi32ELi8ELc78ELc84ELc76ELb0ELb0EffPKfPfEviT_T9_T10_S3_lS5_S3_lS4_T11_S3_li
    .private_segment_fixed_size: 0
    .sgpr_count:     38
    .sgpr_spill_count: 0
    .symbol:         _ZL29rocblas_internal_gemmt_kernelIiLi16ELi32ELi8ELc78ELc84ELc76ELb0ELb0EffPKfPfEviT_T9_T10_S3_lS5_S3_lS4_T11_S3_li.kd
    .uniform_work_group_size: 1
    .uses_dynamic_stack: false
    .vgpr_count:     52
    .vgpr_spill_count: 0
    .wavefront_size: 32
    .workgroup_processor_mode: 1
  - .args:
      - .offset:         0
        .size:           4
        .value_kind:     by_value
      - .offset:         4
        .size:           4
        .value_kind:     by_value
      - .offset:         8
        .size:           4
        .value_kind:     by_value
      - .address_space:  global
        .offset:         16
        .size:           8
        .value_kind:     global_buffer
      - .offset:         24
        .size:           4
        .value_kind:     by_value
      - .offset:         32
        .size:           8
        .value_kind:     by_value
      - .address_space:  global
        .offset:         40
        .size:           8
        .value_kind:     global_buffer
      - .offset:         48
        .size:           4
        .value_kind:     by_value
      - .offset:         56
        .size:           8
        .value_kind:     by_value
      - .offset:         64
        .size:           4
        .value_kind:     by_value
      - .address_space:  global
        .offset:         72
        .size:           8
        .value_kind:     global_buffer
      - .offset:         80
        .size:           4
        .value_kind:     by_value
      - .offset:         88
        .size:           8
        .value_kind:     by_value
      - .offset:         96
        .size:           4
        .value_kind:     by_value
    .group_segment_fixed_size: 2048
    .kernarg_segment_align: 8
    .kernarg_segment_size: 100
    .language:       OpenCL C
    .language_version:
      - 2
      - 0
    .max_flat_workgroup_size: 256
    .name:           _ZL29rocblas_internal_gemmt_kernelIiLi16ELi32ELi8ELc78ELc67ELc76ELb0ELb0EffPKfPfEviT_T9_T10_S3_lS5_S3_lS4_T11_S3_li
    .private_segment_fixed_size: 0
    .sgpr_count:     38
    .sgpr_spill_count: 0
    .symbol:         _ZL29rocblas_internal_gemmt_kernelIiLi16ELi32ELi8ELc78ELc67ELc76ELb0ELb0EffPKfPfEviT_T9_T10_S3_lS5_S3_lS4_T11_S3_li.kd
    .uniform_work_group_size: 1
    .uses_dynamic_stack: false
    .vgpr_count:     52
    .vgpr_spill_count: 0
    .wavefront_size: 32
    .workgroup_processor_mode: 1
  - .args:
      - .offset:         0
        .size:           4
        .value_kind:     by_value
      - .offset:         4
        .size:           4
        .value_kind:     by_value
      - .offset:         8
        .size:           4
        .value_kind:     by_value
      - .address_space:  global
        .offset:         16
        .size:           8
        .value_kind:     global_buffer
      - .offset:         24
        .size:           4
        .value_kind:     by_value
      - .offset:         32
        .size:           8
        .value_kind:     by_value
      - .address_space:  global
        .offset:         40
        .size:           8
        .value_kind:     global_buffer
      - .offset:         48
        .size:           4
        .value_kind:     by_value
      - .offset:         56
        .size:           8
        .value_kind:     by_value
      - .offset:         64
        .size:           4
        .value_kind:     by_value
      - .address_space:  global
        .offset:         72
        .size:           8
        .value_kind:     global_buffer
      - .offset:         80
        .size:           4
        .value_kind:     by_value
      - .offset:         88
        .size:           8
        .value_kind:     by_value
      - .offset:         96
        .size:           4
        .value_kind:     by_value
    .group_segment_fixed_size: 2048
    .kernarg_segment_align: 8
    .kernarg_segment_size: 100
    .language:       OpenCL C
    .language_version:
      - 2
      - 0
    .max_flat_workgroup_size: 256
    .name:           _ZL29rocblas_internal_gemmt_kernelIiLi16ELi32ELi8ELc84ELc78ELc76ELb0ELb0EffPKfPfEviT_T9_T10_S3_lS5_S3_lS4_T11_S3_li
    .private_segment_fixed_size: 0
    .sgpr_count:     32
    .sgpr_spill_count: 0
    .symbol:         _ZL29rocblas_internal_gemmt_kernelIiLi16ELi32ELi8ELc84ELc78ELc76ELb0ELb0EffPKfPfEviT_T9_T10_S3_lS5_S3_lS4_T11_S3_li.kd
    .uniform_work_group_size: 1
    .uses_dynamic_stack: false
    .vgpr_count:     52
    .vgpr_spill_count: 0
    .wavefront_size: 32
    .workgroup_processor_mode: 1
  - .args:
      - .offset:         0
        .size:           4
        .value_kind:     by_value
      - .offset:         4
        .size:           4
        .value_kind:     by_value
      - .offset:         8
        .size:           4
        .value_kind:     by_value
      - .address_space:  global
        .offset:         16
        .size:           8
        .value_kind:     global_buffer
      - .offset:         24
        .size:           4
        .value_kind:     by_value
      - .offset:         32
        .size:           8
        .value_kind:     by_value
      - .address_space:  global
        .offset:         40
        .size:           8
        .value_kind:     global_buffer
      - .offset:         48
        .size:           4
        .value_kind:     by_value
      - .offset:         56
        .size:           8
        .value_kind:     by_value
      - .offset:         64
        .size:           4
        .value_kind:     by_value
      - .address_space:  global
        .offset:         72
        .size:           8
        .value_kind:     global_buffer
      - .offset:         80
        .size:           4
        .value_kind:     by_value
      - .offset:         88
        .size:           8
        .value_kind:     by_value
      - .offset:         96
        .size:           4
        .value_kind:     by_value
    .group_segment_fixed_size: 2048
    .kernarg_segment_align: 8
    .kernarg_segment_size: 100
    .language:       OpenCL C
    .language_version:
      - 2
      - 0
    .max_flat_workgroup_size: 256
    .name:           _ZL29rocblas_internal_gemmt_kernelIiLi16ELi32ELi8ELc84ELc84ELc76ELb0ELb0EffPKfPfEviT_T9_T10_S3_lS5_S3_lS4_T11_S3_li
    .private_segment_fixed_size: 0
    .sgpr_count:     34
    .sgpr_spill_count: 0
    .symbol:         _ZL29rocblas_internal_gemmt_kernelIiLi16ELi32ELi8ELc84ELc84ELc76ELb0ELb0EffPKfPfEviT_T9_T10_S3_lS5_S3_lS4_T11_S3_li.kd
    .uniform_work_group_size: 1
    .uses_dynamic_stack: false
    .vgpr_count:     52
    .vgpr_spill_count: 0
    .wavefront_size: 32
    .workgroup_processor_mode: 1
  - .args:
      - .offset:         0
        .size:           4
        .value_kind:     by_value
      - .offset:         4
        .size:           4
        .value_kind:     by_value
      - .offset:         8
        .size:           4
        .value_kind:     by_value
      - .address_space:  global
        .offset:         16
        .size:           8
        .value_kind:     global_buffer
      - .offset:         24
        .size:           4
        .value_kind:     by_value
      - .offset:         32
        .size:           8
        .value_kind:     by_value
      - .address_space:  global
        .offset:         40
        .size:           8
        .value_kind:     global_buffer
      - .offset:         48
        .size:           4
        .value_kind:     by_value
      - .offset:         56
        .size:           8
        .value_kind:     by_value
      - .offset:         64
        .size:           4
        .value_kind:     by_value
      - .address_space:  global
        .offset:         72
        .size:           8
        .value_kind:     global_buffer
      - .offset:         80
        .size:           4
        .value_kind:     by_value
      - .offset:         88
        .size:           8
        .value_kind:     by_value
      - .offset:         96
        .size:           4
        .value_kind:     by_value
    .group_segment_fixed_size: 2048
    .kernarg_segment_align: 8
    .kernarg_segment_size: 100
    .language:       OpenCL C
    .language_version:
      - 2
      - 0
    .max_flat_workgroup_size: 256
    .name:           _ZL29rocblas_internal_gemmt_kernelIiLi16ELi32ELi8ELc84ELc67ELc76ELb0ELb0EffPKfPfEviT_T9_T10_S3_lS5_S3_lS4_T11_S3_li
    .private_segment_fixed_size: 0
    .sgpr_count:     34
    .sgpr_spill_count: 0
    .symbol:         _ZL29rocblas_internal_gemmt_kernelIiLi16ELi32ELi8ELc84ELc67ELc76ELb0ELb0EffPKfPfEviT_T9_T10_S3_lS5_S3_lS4_T11_S3_li.kd
    .uniform_work_group_size: 1
    .uses_dynamic_stack: false
    .vgpr_count:     52
    .vgpr_spill_count: 0
    .wavefront_size: 32
    .workgroup_processor_mode: 1
  - .args:
      - .offset:         0
        .size:           4
        .value_kind:     by_value
      - .offset:         4
        .size:           4
        .value_kind:     by_value
      - .offset:         8
        .size:           4
        .value_kind:     by_value
      - .address_space:  global
        .offset:         16
        .size:           8
        .value_kind:     global_buffer
      - .offset:         24
        .size:           4
        .value_kind:     by_value
      - .offset:         32
        .size:           8
        .value_kind:     by_value
      - .address_space:  global
        .offset:         40
        .size:           8
        .value_kind:     global_buffer
      - .offset:         48
        .size:           4
        .value_kind:     by_value
      - .offset:         56
        .size:           8
        .value_kind:     by_value
      - .offset:         64
        .size:           4
        .value_kind:     by_value
      - .address_space:  global
        .offset:         72
        .size:           8
        .value_kind:     global_buffer
      - .offset:         80
        .size:           4
        .value_kind:     by_value
      - .offset:         88
        .size:           8
        .value_kind:     by_value
      - .offset:         96
        .size:           4
        .value_kind:     by_value
    .group_segment_fixed_size: 2048
    .kernarg_segment_align: 8
    .kernarg_segment_size: 100
    .language:       OpenCL C
    .language_version:
      - 2
      - 0
    .max_flat_workgroup_size: 256
    .name:           _ZL29rocblas_internal_gemmt_kernelIiLi16ELi32ELi8ELc67ELc78ELc76ELb0ELb0EffPKfPfEviT_T9_T10_S3_lS5_S3_lS4_T11_S3_li
    .private_segment_fixed_size: 0
    .sgpr_count:     32
    .sgpr_spill_count: 0
    .symbol:         _ZL29rocblas_internal_gemmt_kernelIiLi16ELi32ELi8ELc67ELc78ELc76ELb0ELb0EffPKfPfEviT_T9_T10_S3_lS5_S3_lS4_T11_S3_li.kd
    .uniform_work_group_size: 1
    .uses_dynamic_stack: false
    .vgpr_count:     52
    .vgpr_spill_count: 0
    .wavefront_size: 32
    .workgroup_processor_mode: 1
  - .args:
      - .offset:         0
        .size:           4
        .value_kind:     by_value
      - .offset:         4
        .size:           4
        .value_kind:     by_value
      - .offset:         8
        .size:           4
        .value_kind:     by_value
      - .address_space:  global
        .offset:         16
        .size:           8
        .value_kind:     global_buffer
      - .offset:         24
        .size:           4
        .value_kind:     by_value
      - .offset:         32
        .size:           8
        .value_kind:     by_value
      - .address_space:  global
        .offset:         40
        .size:           8
        .value_kind:     global_buffer
      - .offset:         48
        .size:           4
        .value_kind:     by_value
      - .offset:         56
        .size:           8
        .value_kind:     by_value
      - .offset:         64
        .size:           4
        .value_kind:     by_value
      - .address_space:  global
        .offset:         72
        .size:           8
        .value_kind:     global_buffer
      - .offset:         80
        .size:           4
        .value_kind:     by_value
      - .offset:         88
        .size:           8
        .value_kind:     by_value
      - .offset:         96
        .size:           4
        .value_kind:     by_value
    .group_segment_fixed_size: 2048
    .kernarg_segment_align: 8
    .kernarg_segment_size: 100
    .language:       OpenCL C
    .language_version:
      - 2
      - 0
    .max_flat_workgroup_size: 256
    .name:           _ZL29rocblas_internal_gemmt_kernelIiLi16ELi32ELi8ELc67ELc84ELc76ELb0ELb0EffPKfPfEviT_T9_T10_S3_lS5_S3_lS4_T11_S3_li
    .private_segment_fixed_size: 0
    .sgpr_count:     34
    .sgpr_spill_count: 0
    .symbol:         _ZL29rocblas_internal_gemmt_kernelIiLi16ELi32ELi8ELc67ELc84ELc76ELb0ELb0EffPKfPfEviT_T9_T10_S3_lS5_S3_lS4_T11_S3_li.kd
    .uniform_work_group_size: 1
    .uses_dynamic_stack: false
    .vgpr_count:     52
    .vgpr_spill_count: 0
    .wavefront_size: 32
    .workgroup_processor_mode: 1
  - .args:
      - .offset:         0
        .size:           4
        .value_kind:     by_value
      - .offset:         4
        .size:           4
        .value_kind:     by_value
      - .offset:         8
        .size:           4
        .value_kind:     by_value
      - .address_space:  global
        .offset:         16
        .size:           8
        .value_kind:     global_buffer
      - .offset:         24
        .size:           4
        .value_kind:     by_value
      - .offset:         32
        .size:           8
        .value_kind:     by_value
      - .address_space:  global
        .offset:         40
        .size:           8
        .value_kind:     global_buffer
      - .offset:         48
        .size:           4
        .value_kind:     by_value
      - .offset:         56
        .size:           8
        .value_kind:     by_value
      - .offset:         64
        .size:           4
        .value_kind:     by_value
      - .address_space:  global
        .offset:         72
        .size:           8
        .value_kind:     global_buffer
      - .offset:         80
        .size:           4
        .value_kind:     by_value
      - .offset:         88
        .size:           8
        .value_kind:     by_value
      - .offset:         96
        .size:           4
        .value_kind:     by_value
    .group_segment_fixed_size: 2048
    .kernarg_segment_align: 8
    .kernarg_segment_size: 100
    .language:       OpenCL C
    .language_version:
      - 2
      - 0
    .max_flat_workgroup_size: 256
    .name:           _ZL29rocblas_internal_gemmt_kernelIiLi16ELi32ELi8ELc67ELc67ELc76ELb0ELb0EffPKfPfEviT_T9_T10_S3_lS5_S3_lS4_T11_S3_li
    .private_segment_fixed_size: 0
    .sgpr_count:     34
    .sgpr_spill_count: 0
    .symbol:         _ZL29rocblas_internal_gemmt_kernelIiLi16ELi32ELi8ELc67ELc67ELc76ELb0ELb0EffPKfPfEviT_T9_T10_S3_lS5_S3_lS4_T11_S3_li.kd
    .uniform_work_group_size: 1
    .uses_dynamic_stack: false
    .vgpr_count:     52
    .vgpr_spill_count: 0
    .wavefront_size: 32
    .workgroup_processor_mode: 1
  - .args:
      - .offset:         0
        .size:           4
        .value_kind:     by_value
      - .offset:         4
        .size:           4
        .value_kind:     by_value
      - .address_space:  global
        .offset:         8
        .size:           8
        .value_kind:     global_buffer
      - .address_space:  global
        .offset:         16
        .size:           8
        .value_kind:     global_buffer
      - .offset:         24
        .size:           4
        .value_kind:     by_value
      - .offset:         32
        .size:           8
        .value_kind:     by_value
      - .address_space:  global
        .offset:         40
        .size:           8
        .value_kind:     global_buffer
      - .offset:         48
        .size:           4
        .value_kind:     by_value
      - .offset:         56
        .size:           8
        .value_kind:     by_value
      - .address_space:  global
        .offset:         64
        .size:           8
        .value_kind:     global_buffer
      - .address_space:  global
        .offset:         72
        .size:           8
        .value_kind:     global_buffer
      - .offset:         80
        .size:           4
        .value_kind:     by_value
      - .offset:         88
        .size:           8
        .value_kind:     by_value
      - .offset:         96
        .size:           4
        .value_kind:     by_value
    .group_segment_fixed_size: 4096
    .kernarg_segment_align: 8
    .kernarg_segment_size: 100
    .language:       OpenCL C
    .language_version:
      - 2
      - 0
    .max_flat_workgroup_size: 256
    .name:           _ZL29rocblas_internal_gemmt_kernelIiLi16ELi32ELi8ELc78ELc78ELc85ELb0ELb0EdPKdS1_PdEviT_T9_T10_S3_lS5_S3_lS4_T11_S3_li
    .private_segment_fixed_size: 0
    .sgpr_count:     37
    .sgpr_spill_count: 0
    .symbol:         _ZL29rocblas_internal_gemmt_kernelIiLi16ELi32ELi8ELc78ELc78ELc85ELb0ELb0EdPKdS1_PdEviT_T9_T10_S3_lS5_S3_lS4_T11_S3_li.kd
    .uniform_work_group_size: 1
    .uses_dynamic_stack: false
    .vgpr_count:     50
    .vgpr_spill_count: 0
    .wavefront_size: 32
    .workgroup_processor_mode: 1
  - .args:
      - .offset:         0
        .size:           4
        .value_kind:     by_value
      - .offset:         4
        .size:           4
        .value_kind:     by_value
      - .address_space:  global
        .offset:         8
        .size:           8
        .value_kind:     global_buffer
      - .address_space:  global
        .offset:         16
        .size:           8
        .value_kind:     global_buffer
      - .offset:         24
        .size:           4
        .value_kind:     by_value
      - .offset:         32
        .size:           8
        .value_kind:     by_value
      - .address_space:  global
        .offset:         40
        .size:           8
        .value_kind:     global_buffer
      - .offset:         48
        .size:           4
        .value_kind:     by_value
      - .offset:         56
        .size:           8
        .value_kind:     by_value
      - .address_space:  global
        .offset:         64
        .size:           8
        .value_kind:     global_buffer
      - .address_space:  global
        .offset:         72
        .size:           8
        .value_kind:     global_buffer
      - .offset:         80
        .size:           4
        .value_kind:     by_value
      - .offset:         88
        .size:           8
        .value_kind:     by_value
      - .offset:         96
        .size:           4
        .value_kind:     by_value
    .group_segment_fixed_size: 4096
    .kernarg_segment_align: 8
    .kernarg_segment_size: 100
    .language:       OpenCL C
    .language_version:
      - 2
      - 0
    .max_flat_workgroup_size: 256
    .name:           _ZL29rocblas_internal_gemmt_kernelIiLi16ELi32ELi8ELc78ELc84ELc85ELb0ELb0EdPKdS1_PdEviT_T9_T10_S3_lS5_S3_lS4_T11_S3_li
    .private_segment_fixed_size: 0
    .sgpr_count:     38
    .sgpr_spill_count: 0
    .symbol:         _ZL29rocblas_internal_gemmt_kernelIiLi16ELi32ELi8ELc78ELc84ELc85ELb0ELb0EdPKdS1_PdEviT_T9_T10_S3_lS5_S3_lS4_T11_S3_li.kd
    .uniform_work_group_size: 1
    .uses_dynamic_stack: false
    .vgpr_count:     50
    .vgpr_spill_count: 0
    .wavefront_size: 32
    .workgroup_processor_mode: 1
  - .args:
      - .offset:         0
        .size:           4
        .value_kind:     by_value
      - .offset:         4
        .size:           4
        .value_kind:     by_value
      - .address_space:  global
        .offset:         8
        .size:           8
        .value_kind:     global_buffer
      - .address_space:  global
        .offset:         16
        .size:           8
        .value_kind:     global_buffer
      - .offset:         24
        .size:           4
        .value_kind:     by_value
      - .offset:         32
        .size:           8
        .value_kind:     by_value
      - .address_space:  global
        .offset:         40
        .size:           8
        .value_kind:     global_buffer
      - .offset:         48
        .size:           4
        .value_kind:     by_value
      - .offset:         56
        .size:           8
        .value_kind:     by_value
      - .address_space:  global
        .offset:         64
        .size:           8
        .value_kind:     global_buffer
      - .address_space:  global
        .offset:         72
        .size:           8
        .value_kind:     global_buffer
      - .offset:         80
        .size:           4
        .value_kind:     by_value
      - .offset:         88
        .size:           8
        .value_kind:     by_value
      - .offset:         96
        .size:           4
        .value_kind:     by_value
    .group_segment_fixed_size: 4096
    .kernarg_segment_align: 8
    .kernarg_segment_size: 100
    .language:       OpenCL C
    .language_version:
      - 2
      - 0
    .max_flat_workgroup_size: 256
    .name:           _ZL29rocblas_internal_gemmt_kernelIiLi16ELi32ELi8ELc78ELc67ELc85ELb0ELb0EdPKdS1_PdEviT_T9_T10_S3_lS5_S3_lS4_T11_S3_li
    .private_segment_fixed_size: 0
    .sgpr_count:     38
    .sgpr_spill_count: 0
    .symbol:         _ZL29rocblas_internal_gemmt_kernelIiLi16ELi32ELi8ELc78ELc67ELc85ELb0ELb0EdPKdS1_PdEviT_T9_T10_S3_lS5_S3_lS4_T11_S3_li.kd
    .uniform_work_group_size: 1
    .uses_dynamic_stack: false
    .vgpr_count:     50
    .vgpr_spill_count: 0
    .wavefront_size: 32
    .workgroup_processor_mode: 1
  - .args:
      - .offset:         0
        .size:           4
        .value_kind:     by_value
      - .offset:         4
        .size:           4
        .value_kind:     by_value
      - .address_space:  global
        .offset:         8
        .size:           8
        .value_kind:     global_buffer
      - .address_space:  global
        .offset:         16
        .size:           8
        .value_kind:     global_buffer
      - .offset:         24
        .size:           4
        .value_kind:     by_value
      - .offset:         32
        .size:           8
        .value_kind:     by_value
      - .address_space:  global
        .offset:         40
        .size:           8
        .value_kind:     global_buffer
      - .offset:         48
        .size:           4
        .value_kind:     by_value
      - .offset:         56
        .size:           8
        .value_kind:     by_value
      - .address_space:  global
        .offset:         64
        .size:           8
        .value_kind:     global_buffer
      - .address_space:  global
        .offset:         72
        .size:           8
        .value_kind:     global_buffer
      - .offset:         80
        .size:           4
        .value_kind:     by_value
      - .offset:         88
        .size:           8
        .value_kind:     by_value
      - .offset:         96
        .size:           4
        .value_kind:     by_value
    .group_segment_fixed_size: 4096
    .kernarg_segment_align: 8
    .kernarg_segment_size: 100
    .language:       OpenCL C
    .language_version:
      - 2
      - 0
    .max_flat_workgroup_size: 256
    .name:           _ZL29rocblas_internal_gemmt_kernelIiLi16ELi32ELi8ELc84ELc78ELc85ELb0ELb0EdPKdS1_PdEviT_T9_T10_S3_lS5_S3_lS4_T11_S3_li
    .private_segment_fixed_size: 0
    .sgpr_count:     36
    .sgpr_spill_count: 0
    .symbol:         _ZL29rocblas_internal_gemmt_kernelIiLi16ELi32ELi8ELc84ELc78ELc85ELb0ELb0EdPKdS1_PdEviT_T9_T10_S3_lS5_S3_lS4_T11_S3_li.kd
    .uniform_work_group_size: 1
    .uses_dynamic_stack: false
    .vgpr_count:     50
    .vgpr_spill_count: 0
    .wavefront_size: 32
    .workgroup_processor_mode: 1
  - .args:
      - .offset:         0
        .size:           4
        .value_kind:     by_value
      - .offset:         4
        .size:           4
        .value_kind:     by_value
      - .address_space:  global
        .offset:         8
        .size:           8
        .value_kind:     global_buffer
      - .address_space:  global
        .offset:         16
        .size:           8
        .value_kind:     global_buffer
      - .offset:         24
        .size:           4
        .value_kind:     by_value
      - .offset:         32
        .size:           8
        .value_kind:     by_value
      - .address_space:  global
        .offset:         40
        .size:           8
        .value_kind:     global_buffer
      - .offset:         48
        .size:           4
        .value_kind:     by_value
      - .offset:         56
        .size:           8
        .value_kind:     by_value
      - .address_space:  global
        .offset:         64
        .size:           8
        .value_kind:     global_buffer
      - .address_space:  global
        .offset:         72
        .size:           8
        .value_kind:     global_buffer
      - .offset:         80
        .size:           4
        .value_kind:     by_value
      - .offset:         88
        .size:           8
        .value_kind:     by_value
      - .offset:         96
        .size:           4
        .value_kind:     by_value
    .group_segment_fixed_size: 4096
    .kernarg_segment_align: 8
    .kernarg_segment_size: 100
    .language:       OpenCL C
    .language_version:
      - 2
      - 0
    .max_flat_workgroup_size: 256
    .name:           _ZL29rocblas_internal_gemmt_kernelIiLi16ELi32ELi8ELc84ELc84ELc85ELb0ELb0EdPKdS1_PdEviT_T9_T10_S3_lS5_S3_lS4_T11_S3_li
    .private_segment_fixed_size: 0
    .sgpr_count:     37
    .sgpr_spill_count: 0
    .symbol:         _ZL29rocblas_internal_gemmt_kernelIiLi16ELi32ELi8ELc84ELc84ELc85ELb0ELb0EdPKdS1_PdEviT_T9_T10_S3_lS5_S3_lS4_T11_S3_li.kd
    .uniform_work_group_size: 1
    .uses_dynamic_stack: false
    .vgpr_count:     50
    .vgpr_spill_count: 0
    .wavefront_size: 32
    .workgroup_processor_mode: 1
  - .args:
      - .offset:         0
        .size:           4
        .value_kind:     by_value
      - .offset:         4
        .size:           4
        .value_kind:     by_value
      - .address_space:  global
        .offset:         8
        .size:           8
        .value_kind:     global_buffer
      - .address_space:  global
        .offset:         16
        .size:           8
        .value_kind:     global_buffer
      - .offset:         24
        .size:           4
        .value_kind:     by_value
      - .offset:         32
        .size:           8
        .value_kind:     by_value
      - .address_space:  global
        .offset:         40
        .size:           8
        .value_kind:     global_buffer
      - .offset:         48
        .size:           4
        .value_kind:     by_value
      - .offset:         56
        .size:           8
        .value_kind:     by_value
      - .address_space:  global
        .offset:         64
        .size:           8
        .value_kind:     global_buffer
      - .address_space:  global
        .offset:         72
        .size:           8
        .value_kind:     global_buffer
      - .offset:         80
        .size:           4
        .value_kind:     by_value
      - .offset:         88
        .size:           8
        .value_kind:     by_value
      - .offset:         96
        .size:           4
        .value_kind:     by_value
    .group_segment_fixed_size: 4096
    .kernarg_segment_align: 8
    .kernarg_segment_size: 100
    .language:       OpenCL C
    .language_version:
      - 2
      - 0
    .max_flat_workgroup_size: 256
    .name:           _ZL29rocblas_internal_gemmt_kernelIiLi16ELi32ELi8ELc84ELc67ELc85ELb0ELb0EdPKdS1_PdEviT_T9_T10_S3_lS5_S3_lS4_T11_S3_li
    .private_segment_fixed_size: 0
    .sgpr_count:     37
    .sgpr_spill_count: 0
    .symbol:         _ZL29rocblas_internal_gemmt_kernelIiLi16ELi32ELi8ELc84ELc67ELc85ELb0ELb0EdPKdS1_PdEviT_T9_T10_S3_lS5_S3_lS4_T11_S3_li.kd
    .uniform_work_group_size: 1
    .uses_dynamic_stack: false
    .vgpr_count:     50
    .vgpr_spill_count: 0
    .wavefront_size: 32
    .workgroup_processor_mode: 1
  - .args:
      - .offset:         0
        .size:           4
        .value_kind:     by_value
      - .offset:         4
        .size:           4
        .value_kind:     by_value
      - .address_space:  global
        .offset:         8
        .size:           8
        .value_kind:     global_buffer
      - .address_space:  global
        .offset:         16
        .size:           8
        .value_kind:     global_buffer
      - .offset:         24
        .size:           4
        .value_kind:     by_value
      - .offset:         32
        .size:           8
        .value_kind:     by_value
      - .address_space:  global
        .offset:         40
        .size:           8
        .value_kind:     global_buffer
      - .offset:         48
        .size:           4
        .value_kind:     by_value
      - .offset:         56
        .size:           8
        .value_kind:     by_value
      - .address_space:  global
        .offset:         64
        .size:           8
        .value_kind:     global_buffer
      - .address_space:  global
        .offset:         72
        .size:           8
        .value_kind:     global_buffer
      - .offset:         80
        .size:           4
        .value_kind:     by_value
      - .offset:         88
        .size:           8
        .value_kind:     by_value
      - .offset:         96
        .size:           4
        .value_kind:     by_value
    .group_segment_fixed_size: 4096
    .kernarg_segment_align: 8
    .kernarg_segment_size: 100
    .language:       OpenCL C
    .language_version:
      - 2
      - 0
    .max_flat_workgroup_size: 256
    .name:           _ZL29rocblas_internal_gemmt_kernelIiLi16ELi32ELi8ELc67ELc78ELc85ELb0ELb0EdPKdS1_PdEviT_T9_T10_S3_lS5_S3_lS4_T11_S3_li
    .private_segment_fixed_size: 0
    .sgpr_count:     36
    .sgpr_spill_count: 0
    .symbol:         _ZL29rocblas_internal_gemmt_kernelIiLi16ELi32ELi8ELc67ELc78ELc85ELb0ELb0EdPKdS1_PdEviT_T9_T10_S3_lS5_S3_lS4_T11_S3_li.kd
    .uniform_work_group_size: 1
    .uses_dynamic_stack: false
    .vgpr_count:     50
    .vgpr_spill_count: 0
    .wavefront_size: 32
    .workgroup_processor_mode: 1
  - .args:
      - .offset:         0
        .size:           4
        .value_kind:     by_value
      - .offset:         4
        .size:           4
        .value_kind:     by_value
      - .address_space:  global
        .offset:         8
        .size:           8
        .value_kind:     global_buffer
      - .address_space:  global
        .offset:         16
        .size:           8
        .value_kind:     global_buffer
      - .offset:         24
        .size:           4
        .value_kind:     by_value
      - .offset:         32
        .size:           8
        .value_kind:     by_value
      - .address_space:  global
        .offset:         40
        .size:           8
        .value_kind:     global_buffer
      - .offset:         48
        .size:           4
        .value_kind:     by_value
      - .offset:         56
        .size:           8
        .value_kind:     by_value
      - .address_space:  global
        .offset:         64
        .size:           8
        .value_kind:     global_buffer
      - .address_space:  global
        .offset:         72
        .size:           8
        .value_kind:     global_buffer
      - .offset:         80
        .size:           4
        .value_kind:     by_value
      - .offset:         88
        .size:           8
        .value_kind:     by_value
      - .offset:         96
        .size:           4
        .value_kind:     by_value
    .group_segment_fixed_size: 4096
    .kernarg_segment_align: 8
    .kernarg_segment_size: 100
    .language:       OpenCL C
    .language_version:
      - 2
      - 0
    .max_flat_workgroup_size: 256
    .name:           _ZL29rocblas_internal_gemmt_kernelIiLi16ELi32ELi8ELc67ELc84ELc85ELb0ELb0EdPKdS1_PdEviT_T9_T10_S3_lS5_S3_lS4_T11_S3_li
    .private_segment_fixed_size: 0
    .sgpr_count:     37
    .sgpr_spill_count: 0
    .symbol:         _ZL29rocblas_internal_gemmt_kernelIiLi16ELi32ELi8ELc67ELc84ELc85ELb0ELb0EdPKdS1_PdEviT_T9_T10_S3_lS5_S3_lS4_T11_S3_li.kd
    .uniform_work_group_size: 1
    .uses_dynamic_stack: false
    .vgpr_count:     50
    .vgpr_spill_count: 0
    .wavefront_size: 32
    .workgroup_processor_mode: 1
  - .args:
      - .offset:         0
        .size:           4
        .value_kind:     by_value
      - .offset:         4
        .size:           4
        .value_kind:     by_value
      - .address_space:  global
        .offset:         8
        .size:           8
        .value_kind:     global_buffer
      - .address_space:  global
        .offset:         16
        .size:           8
        .value_kind:     global_buffer
      - .offset:         24
        .size:           4
        .value_kind:     by_value
      - .offset:         32
        .size:           8
        .value_kind:     by_value
      - .address_space:  global
        .offset:         40
        .size:           8
        .value_kind:     global_buffer
      - .offset:         48
        .size:           4
        .value_kind:     by_value
      - .offset:         56
        .size:           8
        .value_kind:     by_value
      - .address_space:  global
        .offset:         64
        .size:           8
        .value_kind:     global_buffer
      - .address_space:  global
        .offset:         72
        .size:           8
        .value_kind:     global_buffer
      - .offset:         80
        .size:           4
        .value_kind:     by_value
      - .offset:         88
        .size:           8
        .value_kind:     by_value
      - .offset:         96
        .size:           4
        .value_kind:     by_value
    .group_segment_fixed_size: 4096
    .kernarg_segment_align: 8
    .kernarg_segment_size: 100
    .language:       OpenCL C
    .language_version:
      - 2
      - 0
    .max_flat_workgroup_size: 256
    .name:           _ZL29rocblas_internal_gemmt_kernelIiLi16ELi32ELi8ELc67ELc67ELc85ELb0ELb0EdPKdS1_PdEviT_T9_T10_S3_lS5_S3_lS4_T11_S3_li
    .private_segment_fixed_size: 0
    .sgpr_count:     37
    .sgpr_spill_count: 0
    .symbol:         _ZL29rocblas_internal_gemmt_kernelIiLi16ELi32ELi8ELc67ELc67ELc85ELb0ELb0EdPKdS1_PdEviT_T9_T10_S3_lS5_S3_lS4_T11_S3_li.kd
    .uniform_work_group_size: 1
    .uses_dynamic_stack: false
    .vgpr_count:     50
    .vgpr_spill_count: 0
    .wavefront_size: 32
    .workgroup_processor_mode: 1
  - .args:
      - .offset:         0
        .size:           4
        .value_kind:     by_value
      - .offset:         4
        .size:           4
        .value_kind:     by_value
      - .address_space:  global
        .offset:         8
        .size:           8
        .value_kind:     global_buffer
      - .address_space:  global
        .offset:         16
        .size:           8
        .value_kind:     global_buffer
      - .offset:         24
        .size:           4
        .value_kind:     by_value
      - .offset:         32
        .size:           8
        .value_kind:     by_value
      - .address_space:  global
        .offset:         40
        .size:           8
        .value_kind:     global_buffer
      - .offset:         48
        .size:           4
        .value_kind:     by_value
      - .offset:         56
        .size:           8
        .value_kind:     by_value
      - .address_space:  global
        .offset:         64
        .size:           8
        .value_kind:     global_buffer
      - .address_space:  global
        .offset:         72
        .size:           8
        .value_kind:     global_buffer
      - .offset:         80
        .size:           4
        .value_kind:     by_value
      - .offset:         88
        .size:           8
        .value_kind:     by_value
      - .offset:         96
        .size:           4
        .value_kind:     by_value
    .group_segment_fixed_size: 4096
    .kernarg_segment_align: 8
    .kernarg_segment_size: 100
    .language:       OpenCL C
    .language_version:
      - 2
      - 0
    .max_flat_workgroup_size: 256
    .name:           _ZL29rocblas_internal_gemmt_kernelIiLi16ELi32ELi8ELc78ELc78ELc76ELb0ELb0EdPKdS1_PdEviT_T9_T10_S3_lS5_S3_lS4_T11_S3_li
    .private_segment_fixed_size: 0
    .sgpr_count:     37
    .sgpr_spill_count: 0
    .symbol:         _ZL29rocblas_internal_gemmt_kernelIiLi16ELi32ELi8ELc78ELc78ELc76ELb0ELb0EdPKdS1_PdEviT_T9_T10_S3_lS5_S3_lS4_T11_S3_li.kd
    .uniform_work_group_size: 1
    .uses_dynamic_stack: false
    .vgpr_count:     50
    .vgpr_spill_count: 0
    .wavefront_size: 32
    .workgroup_processor_mode: 1
  - .args:
      - .offset:         0
        .size:           4
        .value_kind:     by_value
      - .offset:         4
        .size:           4
        .value_kind:     by_value
      - .address_space:  global
        .offset:         8
        .size:           8
        .value_kind:     global_buffer
      - .address_space:  global
        .offset:         16
        .size:           8
        .value_kind:     global_buffer
      - .offset:         24
        .size:           4
        .value_kind:     by_value
      - .offset:         32
        .size:           8
        .value_kind:     by_value
      - .address_space:  global
        .offset:         40
        .size:           8
        .value_kind:     global_buffer
      - .offset:         48
        .size:           4
        .value_kind:     by_value
      - .offset:         56
        .size:           8
        .value_kind:     by_value
      - .address_space:  global
        .offset:         64
        .size:           8
        .value_kind:     global_buffer
      - .address_space:  global
        .offset:         72
        .size:           8
        .value_kind:     global_buffer
      - .offset:         80
        .size:           4
        .value_kind:     by_value
      - .offset:         88
        .size:           8
        .value_kind:     by_value
      - .offset:         96
        .size:           4
        .value_kind:     by_value
    .group_segment_fixed_size: 4096
    .kernarg_segment_align: 8
    .kernarg_segment_size: 100
    .language:       OpenCL C
    .language_version:
      - 2
      - 0
    .max_flat_workgroup_size: 256
    .name:           _ZL29rocblas_internal_gemmt_kernelIiLi16ELi32ELi8ELc78ELc84ELc76ELb0ELb0EdPKdS1_PdEviT_T9_T10_S3_lS5_S3_lS4_T11_S3_li
    .private_segment_fixed_size: 0
    .sgpr_count:     39
    .sgpr_spill_count: 0
    .symbol:         _ZL29rocblas_internal_gemmt_kernelIiLi16ELi32ELi8ELc78ELc84ELc76ELb0ELb0EdPKdS1_PdEviT_T9_T10_S3_lS5_S3_lS4_T11_S3_li.kd
    .uniform_work_group_size: 1
    .uses_dynamic_stack: false
    .vgpr_count:     50
    .vgpr_spill_count: 0
    .wavefront_size: 32
    .workgroup_processor_mode: 1
  - .args:
      - .offset:         0
        .size:           4
        .value_kind:     by_value
      - .offset:         4
        .size:           4
        .value_kind:     by_value
      - .address_space:  global
        .offset:         8
        .size:           8
        .value_kind:     global_buffer
      - .address_space:  global
        .offset:         16
        .size:           8
        .value_kind:     global_buffer
      - .offset:         24
        .size:           4
        .value_kind:     by_value
      - .offset:         32
        .size:           8
        .value_kind:     by_value
      - .address_space:  global
        .offset:         40
        .size:           8
        .value_kind:     global_buffer
      - .offset:         48
        .size:           4
        .value_kind:     by_value
      - .offset:         56
        .size:           8
        .value_kind:     by_value
      - .address_space:  global
        .offset:         64
        .size:           8
        .value_kind:     global_buffer
      - .address_space:  global
        .offset:         72
        .size:           8
        .value_kind:     global_buffer
      - .offset:         80
        .size:           4
        .value_kind:     by_value
      - .offset:         88
        .size:           8
        .value_kind:     by_value
      - .offset:         96
        .size:           4
        .value_kind:     by_value
    .group_segment_fixed_size: 4096
    .kernarg_segment_align: 8
    .kernarg_segment_size: 100
    .language:       OpenCL C
    .language_version:
      - 2
      - 0
    .max_flat_workgroup_size: 256
    .name:           _ZL29rocblas_internal_gemmt_kernelIiLi16ELi32ELi8ELc78ELc67ELc76ELb0ELb0EdPKdS1_PdEviT_T9_T10_S3_lS5_S3_lS4_T11_S3_li
    .private_segment_fixed_size: 0
    .sgpr_count:     39
    .sgpr_spill_count: 0
    .symbol:         _ZL29rocblas_internal_gemmt_kernelIiLi16ELi32ELi8ELc78ELc67ELc76ELb0ELb0EdPKdS1_PdEviT_T9_T10_S3_lS5_S3_lS4_T11_S3_li.kd
    .uniform_work_group_size: 1
    .uses_dynamic_stack: false
    .vgpr_count:     50
    .vgpr_spill_count: 0
    .wavefront_size: 32
    .workgroup_processor_mode: 1
  - .args:
      - .offset:         0
        .size:           4
        .value_kind:     by_value
      - .offset:         4
        .size:           4
        .value_kind:     by_value
      - .address_space:  global
        .offset:         8
        .size:           8
        .value_kind:     global_buffer
      - .address_space:  global
        .offset:         16
        .size:           8
        .value_kind:     global_buffer
      - .offset:         24
        .size:           4
        .value_kind:     by_value
      - .offset:         32
        .size:           8
        .value_kind:     by_value
      - .address_space:  global
        .offset:         40
        .size:           8
        .value_kind:     global_buffer
      - .offset:         48
        .size:           4
        .value_kind:     by_value
      - .offset:         56
        .size:           8
        .value_kind:     by_value
      - .address_space:  global
        .offset:         64
        .size:           8
        .value_kind:     global_buffer
      - .address_space:  global
        .offset:         72
        .size:           8
        .value_kind:     global_buffer
      - .offset:         80
        .size:           4
        .value_kind:     by_value
      - .offset:         88
        .size:           8
        .value_kind:     by_value
      - .offset:         96
        .size:           4
        .value_kind:     by_value
    .group_segment_fixed_size: 4096
    .kernarg_segment_align: 8
    .kernarg_segment_size: 100
    .language:       OpenCL C
    .language_version:
      - 2
      - 0
    .max_flat_workgroup_size: 256
    .name:           _ZL29rocblas_internal_gemmt_kernelIiLi16ELi32ELi8ELc84ELc78ELc76ELb0ELb0EdPKdS1_PdEviT_T9_T10_S3_lS5_S3_lS4_T11_S3_li
    .private_segment_fixed_size: 0
    .sgpr_count:     34
    .sgpr_spill_count: 0
    .symbol:         _ZL29rocblas_internal_gemmt_kernelIiLi16ELi32ELi8ELc84ELc78ELc76ELb0ELb0EdPKdS1_PdEviT_T9_T10_S3_lS5_S3_lS4_T11_S3_li.kd
    .uniform_work_group_size: 1
    .uses_dynamic_stack: false
    .vgpr_count:     50
    .vgpr_spill_count: 0
    .wavefront_size: 32
    .workgroup_processor_mode: 1
  - .args:
      - .offset:         0
        .size:           4
        .value_kind:     by_value
      - .offset:         4
        .size:           4
        .value_kind:     by_value
      - .address_space:  global
        .offset:         8
        .size:           8
        .value_kind:     global_buffer
      - .address_space:  global
        .offset:         16
        .size:           8
        .value_kind:     global_buffer
      - .offset:         24
        .size:           4
        .value_kind:     by_value
      - .offset:         32
        .size:           8
        .value_kind:     by_value
      - .address_space:  global
        .offset:         40
        .size:           8
        .value_kind:     global_buffer
      - .offset:         48
        .size:           4
        .value_kind:     by_value
      - .offset:         56
        .size:           8
        .value_kind:     by_value
      - .address_space:  global
        .offset:         64
        .size:           8
        .value_kind:     global_buffer
      - .address_space:  global
        .offset:         72
        .size:           8
        .value_kind:     global_buffer
      - .offset:         80
        .size:           4
        .value_kind:     by_value
      - .offset:         88
        .size:           8
        .value_kind:     by_value
      - .offset:         96
        .size:           4
        .value_kind:     by_value
    .group_segment_fixed_size: 4096
    .kernarg_segment_align: 8
    .kernarg_segment_size: 100
    .language:       OpenCL C
    .language_version:
      - 2
      - 0
    .max_flat_workgroup_size: 256
    .name:           _ZL29rocblas_internal_gemmt_kernelIiLi16ELi32ELi8ELc84ELc84ELc76ELb0ELb0EdPKdS1_PdEviT_T9_T10_S3_lS5_S3_lS4_T11_S3_li
    .private_segment_fixed_size: 0
    .sgpr_count:     38
    .sgpr_spill_count: 0
    .symbol:         _ZL29rocblas_internal_gemmt_kernelIiLi16ELi32ELi8ELc84ELc84ELc76ELb0ELb0EdPKdS1_PdEviT_T9_T10_S3_lS5_S3_lS4_T11_S3_li.kd
    .uniform_work_group_size: 1
    .uses_dynamic_stack: false
    .vgpr_count:     50
    .vgpr_spill_count: 0
    .wavefront_size: 32
    .workgroup_processor_mode: 1
  - .args:
      - .offset:         0
        .size:           4
        .value_kind:     by_value
      - .offset:         4
        .size:           4
        .value_kind:     by_value
      - .address_space:  global
        .offset:         8
        .size:           8
        .value_kind:     global_buffer
      - .address_space:  global
        .offset:         16
        .size:           8
        .value_kind:     global_buffer
      - .offset:         24
        .size:           4
        .value_kind:     by_value
      - .offset:         32
        .size:           8
        .value_kind:     by_value
      - .address_space:  global
        .offset:         40
        .size:           8
        .value_kind:     global_buffer
      - .offset:         48
        .size:           4
        .value_kind:     by_value
      - .offset:         56
        .size:           8
        .value_kind:     by_value
      - .address_space:  global
        .offset:         64
        .size:           8
        .value_kind:     global_buffer
      - .address_space:  global
        .offset:         72
        .size:           8
        .value_kind:     global_buffer
      - .offset:         80
        .size:           4
        .value_kind:     by_value
      - .offset:         88
        .size:           8
        .value_kind:     by_value
      - .offset:         96
        .size:           4
        .value_kind:     by_value
    .group_segment_fixed_size: 4096
    .kernarg_segment_align: 8
    .kernarg_segment_size: 100
    .language:       OpenCL C
    .language_version:
      - 2
      - 0
    .max_flat_workgroup_size: 256
    .name:           _ZL29rocblas_internal_gemmt_kernelIiLi16ELi32ELi8ELc84ELc67ELc76ELb0ELb0EdPKdS1_PdEviT_T9_T10_S3_lS5_S3_lS4_T11_S3_li
    .private_segment_fixed_size: 0
    .sgpr_count:     38
    .sgpr_spill_count: 0
    .symbol:         _ZL29rocblas_internal_gemmt_kernelIiLi16ELi32ELi8ELc84ELc67ELc76ELb0ELb0EdPKdS1_PdEviT_T9_T10_S3_lS5_S3_lS4_T11_S3_li.kd
    .uniform_work_group_size: 1
    .uses_dynamic_stack: false
    .vgpr_count:     50
    .vgpr_spill_count: 0
    .wavefront_size: 32
    .workgroup_processor_mode: 1
  - .args:
      - .offset:         0
        .size:           4
        .value_kind:     by_value
      - .offset:         4
        .size:           4
        .value_kind:     by_value
      - .address_space:  global
        .offset:         8
        .size:           8
        .value_kind:     global_buffer
      - .address_space:  global
        .offset:         16
        .size:           8
        .value_kind:     global_buffer
      - .offset:         24
        .size:           4
        .value_kind:     by_value
      - .offset:         32
        .size:           8
        .value_kind:     by_value
      - .address_space:  global
        .offset:         40
        .size:           8
        .value_kind:     global_buffer
      - .offset:         48
        .size:           4
        .value_kind:     by_value
      - .offset:         56
        .size:           8
        .value_kind:     by_value
      - .address_space:  global
        .offset:         64
        .size:           8
        .value_kind:     global_buffer
      - .address_space:  global
        .offset:         72
        .size:           8
        .value_kind:     global_buffer
      - .offset:         80
        .size:           4
        .value_kind:     by_value
      - .offset:         88
        .size:           8
        .value_kind:     by_value
      - .offset:         96
        .size:           4
        .value_kind:     by_value
    .group_segment_fixed_size: 4096
    .kernarg_segment_align: 8
    .kernarg_segment_size: 100
    .language:       OpenCL C
    .language_version:
      - 2
      - 0
    .max_flat_workgroup_size: 256
    .name:           _ZL29rocblas_internal_gemmt_kernelIiLi16ELi32ELi8ELc67ELc78ELc76ELb0ELb0EdPKdS1_PdEviT_T9_T10_S3_lS5_S3_lS4_T11_S3_li
    .private_segment_fixed_size: 0
    .sgpr_count:     34
    .sgpr_spill_count: 0
    .symbol:         _ZL29rocblas_internal_gemmt_kernelIiLi16ELi32ELi8ELc67ELc78ELc76ELb0ELb0EdPKdS1_PdEviT_T9_T10_S3_lS5_S3_lS4_T11_S3_li.kd
    .uniform_work_group_size: 1
    .uses_dynamic_stack: false
    .vgpr_count:     50
    .vgpr_spill_count: 0
    .wavefront_size: 32
    .workgroup_processor_mode: 1
  - .args:
      - .offset:         0
        .size:           4
        .value_kind:     by_value
      - .offset:         4
        .size:           4
        .value_kind:     by_value
      - .address_space:  global
        .offset:         8
        .size:           8
        .value_kind:     global_buffer
      - .address_space:  global
        .offset:         16
        .size:           8
        .value_kind:     global_buffer
      - .offset:         24
        .size:           4
        .value_kind:     by_value
      - .offset:         32
        .size:           8
        .value_kind:     by_value
      - .address_space:  global
        .offset:         40
        .size:           8
        .value_kind:     global_buffer
      - .offset:         48
        .size:           4
        .value_kind:     by_value
      - .offset:         56
        .size:           8
        .value_kind:     by_value
      - .address_space:  global
        .offset:         64
        .size:           8
        .value_kind:     global_buffer
      - .address_space:  global
        .offset:         72
        .size:           8
        .value_kind:     global_buffer
      - .offset:         80
        .size:           4
        .value_kind:     by_value
      - .offset:         88
        .size:           8
        .value_kind:     by_value
      - .offset:         96
        .size:           4
        .value_kind:     by_value
    .group_segment_fixed_size: 4096
    .kernarg_segment_align: 8
    .kernarg_segment_size: 100
    .language:       OpenCL C
    .language_version:
      - 2
      - 0
    .max_flat_workgroup_size: 256
    .name:           _ZL29rocblas_internal_gemmt_kernelIiLi16ELi32ELi8ELc67ELc84ELc76ELb0ELb0EdPKdS1_PdEviT_T9_T10_S3_lS5_S3_lS4_T11_S3_li
    .private_segment_fixed_size: 0
    .sgpr_count:     38
    .sgpr_spill_count: 0
    .symbol:         _ZL29rocblas_internal_gemmt_kernelIiLi16ELi32ELi8ELc67ELc84ELc76ELb0ELb0EdPKdS1_PdEviT_T9_T10_S3_lS5_S3_lS4_T11_S3_li.kd
    .uniform_work_group_size: 1
    .uses_dynamic_stack: false
    .vgpr_count:     50
    .vgpr_spill_count: 0
    .wavefront_size: 32
    .workgroup_processor_mode: 1
  - .args:
      - .offset:         0
        .size:           4
        .value_kind:     by_value
      - .offset:         4
        .size:           4
        .value_kind:     by_value
      - .address_space:  global
        .offset:         8
        .size:           8
        .value_kind:     global_buffer
      - .address_space:  global
        .offset:         16
        .size:           8
        .value_kind:     global_buffer
      - .offset:         24
        .size:           4
        .value_kind:     by_value
      - .offset:         32
        .size:           8
        .value_kind:     by_value
      - .address_space:  global
        .offset:         40
        .size:           8
        .value_kind:     global_buffer
      - .offset:         48
        .size:           4
        .value_kind:     by_value
      - .offset:         56
        .size:           8
        .value_kind:     by_value
      - .address_space:  global
        .offset:         64
        .size:           8
        .value_kind:     global_buffer
      - .address_space:  global
        .offset:         72
        .size:           8
        .value_kind:     global_buffer
      - .offset:         80
        .size:           4
        .value_kind:     by_value
      - .offset:         88
        .size:           8
        .value_kind:     by_value
      - .offset:         96
        .size:           4
        .value_kind:     by_value
    .group_segment_fixed_size: 4096
    .kernarg_segment_align: 8
    .kernarg_segment_size: 100
    .language:       OpenCL C
    .language_version:
      - 2
      - 0
    .max_flat_workgroup_size: 256
    .name:           _ZL29rocblas_internal_gemmt_kernelIiLi16ELi32ELi8ELc67ELc67ELc76ELb0ELb0EdPKdS1_PdEviT_T9_T10_S3_lS5_S3_lS4_T11_S3_li
    .private_segment_fixed_size: 0
    .sgpr_count:     38
    .sgpr_spill_count: 0
    .symbol:         _ZL29rocblas_internal_gemmt_kernelIiLi16ELi32ELi8ELc67ELc67ELc76ELb0ELb0EdPKdS1_PdEviT_T9_T10_S3_lS5_S3_lS4_T11_S3_li.kd
    .uniform_work_group_size: 1
    .uses_dynamic_stack: false
    .vgpr_count:     50
    .vgpr_spill_count: 0
    .wavefront_size: 32
    .workgroup_processor_mode: 1
  - .args:
      - .offset:         0
        .size:           4
        .value_kind:     by_value
      - .offset:         4
        .size:           4
        .value_kind:     by_value
      - .offset:         8
        .size:           8
        .value_kind:     by_value
      - .address_space:  global
        .offset:         16
        .size:           8
        .value_kind:     global_buffer
      - .offset:         24
        .size:           4
        .value_kind:     by_value
      - .offset:         32
        .size:           8
        .value_kind:     by_value
      - .address_space:  global
        .offset:         40
        .size:           8
        .value_kind:     global_buffer
      - .offset:         48
        .size:           4
        .value_kind:     by_value
      - .offset:         56
        .size:           8
        .value_kind:     by_value
      - .offset:         64
        .size:           8
        .value_kind:     by_value
      - .address_space:  global
        .offset:         72
        .size:           8
        .value_kind:     global_buffer
      - .offset:         80
        .size:           4
        .value_kind:     by_value
      - .offset:         88
        .size:           8
        .value_kind:     by_value
      - .offset:         96
        .size:           4
        .value_kind:     by_value
    .group_segment_fixed_size: 4096
    .kernarg_segment_align: 8
    .kernarg_segment_size: 100
    .language:       OpenCL C
    .language_version:
      - 2
      - 0
    .max_flat_workgroup_size: 256
    .name:           _ZL29rocblas_internal_gemmt_kernelIiLi16ELi32ELi8ELc78ELc78ELc85ELb0ELb0EddPKdPdEviT_T9_T10_S3_lS5_S3_lS4_T11_S3_li
    .private_segment_fixed_size: 0
    .sgpr_count:     37
    .sgpr_spill_count: 0
    .symbol:         _ZL29rocblas_internal_gemmt_kernelIiLi16ELi32ELi8ELc78ELc78ELc85ELb0ELb0EddPKdPdEviT_T9_T10_S3_lS5_S3_lS4_T11_S3_li.kd
    .uniform_work_group_size: 1
    .uses_dynamic_stack: false
    .vgpr_count:     50
    .vgpr_spill_count: 0
    .wavefront_size: 32
    .workgroup_processor_mode: 1
  - .args:
      - .offset:         0
        .size:           4
        .value_kind:     by_value
      - .offset:         4
        .size:           4
        .value_kind:     by_value
      - .offset:         8
        .size:           8
        .value_kind:     by_value
      - .address_space:  global
        .offset:         16
        .size:           8
        .value_kind:     global_buffer
      - .offset:         24
        .size:           4
        .value_kind:     by_value
      - .offset:         32
        .size:           8
        .value_kind:     by_value
      - .address_space:  global
        .offset:         40
        .size:           8
        .value_kind:     global_buffer
      - .offset:         48
        .size:           4
        .value_kind:     by_value
      - .offset:         56
        .size:           8
        .value_kind:     by_value
      - .offset:         64
        .size:           8
        .value_kind:     by_value
      - .address_space:  global
        .offset:         72
        .size:           8
        .value_kind:     global_buffer
      - .offset:         80
        .size:           4
        .value_kind:     by_value
      - .offset:         88
        .size:           8
        .value_kind:     by_value
      - .offset:         96
        .size:           4
        .value_kind:     by_value
    .group_segment_fixed_size: 4096
    .kernarg_segment_align: 8
    .kernarg_segment_size: 100
    .language:       OpenCL C
    .language_version:
      - 2
      - 0
    .max_flat_workgroup_size: 256
    .name:           _ZL29rocblas_internal_gemmt_kernelIiLi16ELi32ELi8ELc78ELc84ELc85ELb0ELb0EddPKdPdEviT_T9_T10_S3_lS5_S3_lS4_T11_S3_li
    .private_segment_fixed_size: 0
    .sgpr_count:     38
    .sgpr_spill_count: 0
    .symbol:         _ZL29rocblas_internal_gemmt_kernelIiLi16ELi32ELi8ELc78ELc84ELc85ELb0ELb0EddPKdPdEviT_T9_T10_S3_lS5_S3_lS4_T11_S3_li.kd
    .uniform_work_group_size: 1
    .uses_dynamic_stack: false
    .vgpr_count:     50
    .vgpr_spill_count: 0
    .wavefront_size: 32
    .workgroup_processor_mode: 1
  - .args:
      - .offset:         0
        .size:           4
        .value_kind:     by_value
      - .offset:         4
        .size:           4
        .value_kind:     by_value
      - .offset:         8
        .size:           8
        .value_kind:     by_value
      - .address_space:  global
        .offset:         16
        .size:           8
        .value_kind:     global_buffer
      - .offset:         24
        .size:           4
        .value_kind:     by_value
      - .offset:         32
        .size:           8
        .value_kind:     by_value
      - .address_space:  global
        .offset:         40
        .size:           8
        .value_kind:     global_buffer
      - .offset:         48
        .size:           4
        .value_kind:     by_value
      - .offset:         56
        .size:           8
        .value_kind:     by_value
      - .offset:         64
        .size:           8
        .value_kind:     by_value
      - .address_space:  global
        .offset:         72
        .size:           8
        .value_kind:     global_buffer
      - .offset:         80
        .size:           4
        .value_kind:     by_value
      - .offset:         88
        .size:           8
        .value_kind:     by_value
      - .offset:         96
        .size:           4
        .value_kind:     by_value
    .group_segment_fixed_size: 4096
    .kernarg_segment_align: 8
    .kernarg_segment_size: 100
    .language:       OpenCL C
    .language_version:
      - 2
      - 0
    .max_flat_workgroup_size: 256
    .name:           _ZL29rocblas_internal_gemmt_kernelIiLi16ELi32ELi8ELc78ELc67ELc85ELb0ELb0EddPKdPdEviT_T9_T10_S3_lS5_S3_lS4_T11_S3_li
    .private_segment_fixed_size: 0
    .sgpr_count:     38
    .sgpr_spill_count: 0
    .symbol:         _ZL29rocblas_internal_gemmt_kernelIiLi16ELi32ELi8ELc78ELc67ELc85ELb0ELb0EddPKdPdEviT_T9_T10_S3_lS5_S3_lS4_T11_S3_li.kd
    .uniform_work_group_size: 1
    .uses_dynamic_stack: false
    .vgpr_count:     50
    .vgpr_spill_count: 0
    .wavefront_size: 32
    .workgroup_processor_mode: 1
  - .args:
      - .offset:         0
        .size:           4
        .value_kind:     by_value
      - .offset:         4
        .size:           4
        .value_kind:     by_value
      - .offset:         8
        .size:           8
        .value_kind:     by_value
      - .address_space:  global
        .offset:         16
        .size:           8
        .value_kind:     global_buffer
      - .offset:         24
        .size:           4
        .value_kind:     by_value
      - .offset:         32
        .size:           8
        .value_kind:     by_value
      - .address_space:  global
        .offset:         40
        .size:           8
        .value_kind:     global_buffer
      - .offset:         48
        .size:           4
        .value_kind:     by_value
      - .offset:         56
        .size:           8
        .value_kind:     by_value
      - .offset:         64
        .size:           8
        .value_kind:     by_value
      - .address_space:  global
        .offset:         72
        .size:           8
        .value_kind:     global_buffer
      - .offset:         80
        .size:           4
        .value_kind:     by_value
      - .offset:         88
        .size:           8
        .value_kind:     by_value
      - .offset:         96
        .size:           4
        .value_kind:     by_value
    .group_segment_fixed_size: 4096
    .kernarg_segment_align: 8
    .kernarg_segment_size: 100
    .language:       OpenCL C
    .language_version:
      - 2
      - 0
    .max_flat_workgroup_size: 256
    .name:           _ZL29rocblas_internal_gemmt_kernelIiLi16ELi32ELi8ELc84ELc78ELc85ELb0ELb0EddPKdPdEviT_T9_T10_S3_lS5_S3_lS4_T11_S3_li
    .private_segment_fixed_size: 0
    .sgpr_count:     36
    .sgpr_spill_count: 0
    .symbol:         _ZL29rocblas_internal_gemmt_kernelIiLi16ELi32ELi8ELc84ELc78ELc85ELb0ELb0EddPKdPdEviT_T9_T10_S3_lS5_S3_lS4_T11_S3_li.kd
    .uniform_work_group_size: 1
    .uses_dynamic_stack: false
    .vgpr_count:     50
    .vgpr_spill_count: 0
    .wavefront_size: 32
    .workgroup_processor_mode: 1
  - .args:
      - .offset:         0
        .size:           4
        .value_kind:     by_value
      - .offset:         4
        .size:           4
        .value_kind:     by_value
      - .offset:         8
        .size:           8
        .value_kind:     by_value
      - .address_space:  global
        .offset:         16
        .size:           8
        .value_kind:     global_buffer
      - .offset:         24
        .size:           4
        .value_kind:     by_value
      - .offset:         32
        .size:           8
        .value_kind:     by_value
      - .address_space:  global
        .offset:         40
        .size:           8
        .value_kind:     global_buffer
      - .offset:         48
        .size:           4
        .value_kind:     by_value
      - .offset:         56
        .size:           8
        .value_kind:     by_value
      - .offset:         64
        .size:           8
        .value_kind:     by_value
      - .address_space:  global
        .offset:         72
        .size:           8
        .value_kind:     global_buffer
      - .offset:         80
        .size:           4
        .value_kind:     by_value
      - .offset:         88
        .size:           8
        .value_kind:     by_value
      - .offset:         96
        .size:           4
        .value_kind:     by_value
    .group_segment_fixed_size: 4096
    .kernarg_segment_align: 8
    .kernarg_segment_size: 100
    .language:       OpenCL C
    .language_version:
      - 2
      - 0
    .max_flat_workgroup_size: 256
    .name:           _ZL29rocblas_internal_gemmt_kernelIiLi16ELi32ELi8ELc84ELc84ELc85ELb0ELb0EddPKdPdEviT_T9_T10_S3_lS5_S3_lS4_T11_S3_li
    .private_segment_fixed_size: 0
    .sgpr_count:     37
    .sgpr_spill_count: 0
    .symbol:         _ZL29rocblas_internal_gemmt_kernelIiLi16ELi32ELi8ELc84ELc84ELc85ELb0ELb0EddPKdPdEviT_T9_T10_S3_lS5_S3_lS4_T11_S3_li.kd
    .uniform_work_group_size: 1
    .uses_dynamic_stack: false
    .vgpr_count:     50
    .vgpr_spill_count: 0
    .wavefront_size: 32
    .workgroup_processor_mode: 1
  - .args:
      - .offset:         0
        .size:           4
        .value_kind:     by_value
      - .offset:         4
        .size:           4
        .value_kind:     by_value
      - .offset:         8
        .size:           8
        .value_kind:     by_value
      - .address_space:  global
        .offset:         16
        .size:           8
        .value_kind:     global_buffer
      - .offset:         24
        .size:           4
        .value_kind:     by_value
      - .offset:         32
        .size:           8
        .value_kind:     by_value
      - .address_space:  global
        .offset:         40
        .size:           8
        .value_kind:     global_buffer
      - .offset:         48
        .size:           4
        .value_kind:     by_value
      - .offset:         56
        .size:           8
        .value_kind:     by_value
      - .offset:         64
        .size:           8
        .value_kind:     by_value
      - .address_space:  global
        .offset:         72
        .size:           8
        .value_kind:     global_buffer
      - .offset:         80
        .size:           4
        .value_kind:     by_value
      - .offset:         88
        .size:           8
        .value_kind:     by_value
      - .offset:         96
        .size:           4
        .value_kind:     by_value
    .group_segment_fixed_size: 4096
    .kernarg_segment_align: 8
    .kernarg_segment_size: 100
    .language:       OpenCL C
    .language_version:
      - 2
      - 0
    .max_flat_workgroup_size: 256
    .name:           _ZL29rocblas_internal_gemmt_kernelIiLi16ELi32ELi8ELc84ELc67ELc85ELb0ELb0EddPKdPdEviT_T9_T10_S3_lS5_S3_lS4_T11_S3_li
    .private_segment_fixed_size: 0
    .sgpr_count:     37
    .sgpr_spill_count: 0
    .symbol:         _ZL29rocblas_internal_gemmt_kernelIiLi16ELi32ELi8ELc84ELc67ELc85ELb0ELb0EddPKdPdEviT_T9_T10_S3_lS5_S3_lS4_T11_S3_li.kd
    .uniform_work_group_size: 1
    .uses_dynamic_stack: false
    .vgpr_count:     50
    .vgpr_spill_count: 0
    .wavefront_size: 32
    .workgroup_processor_mode: 1
  - .args:
      - .offset:         0
        .size:           4
        .value_kind:     by_value
      - .offset:         4
        .size:           4
        .value_kind:     by_value
      - .offset:         8
        .size:           8
        .value_kind:     by_value
      - .address_space:  global
        .offset:         16
        .size:           8
        .value_kind:     global_buffer
      - .offset:         24
        .size:           4
        .value_kind:     by_value
      - .offset:         32
        .size:           8
        .value_kind:     by_value
      - .address_space:  global
        .offset:         40
        .size:           8
        .value_kind:     global_buffer
      - .offset:         48
        .size:           4
        .value_kind:     by_value
      - .offset:         56
        .size:           8
        .value_kind:     by_value
      - .offset:         64
        .size:           8
        .value_kind:     by_value
      - .address_space:  global
        .offset:         72
        .size:           8
        .value_kind:     global_buffer
      - .offset:         80
        .size:           4
        .value_kind:     by_value
      - .offset:         88
        .size:           8
        .value_kind:     by_value
      - .offset:         96
        .size:           4
        .value_kind:     by_value
    .group_segment_fixed_size: 4096
    .kernarg_segment_align: 8
    .kernarg_segment_size: 100
    .language:       OpenCL C
    .language_version:
      - 2
      - 0
    .max_flat_workgroup_size: 256
    .name:           _ZL29rocblas_internal_gemmt_kernelIiLi16ELi32ELi8ELc67ELc78ELc85ELb0ELb0EddPKdPdEviT_T9_T10_S3_lS5_S3_lS4_T11_S3_li
    .private_segment_fixed_size: 0
    .sgpr_count:     36
    .sgpr_spill_count: 0
    .symbol:         _ZL29rocblas_internal_gemmt_kernelIiLi16ELi32ELi8ELc67ELc78ELc85ELb0ELb0EddPKdPdEviT_T9_T10_S3_lS5_S3_lS4_T11_S3_li.kd
    .uniform_work_group_size: 1
    .uses_dynamic_stack: false
    .vgpr_count:     50
    .vgpr_spill_count: 0
    .wavefront_size: 32
    .workgroup_processor_mode: 1
  - .args:
      - .offset:         0
        .size:           4
        .value_kind:     by_value
      - .offset:         4
        .size:           4
        .value_kind:     by_value
      - .offset:         8
        .size:           8
        .value_kind:     by_value
      - .address_space:  global
        .offset:         16
        .size:           8
        .value_kind:     global_buffer
      - .offset:         24
        .size:           4
        .value_kind:     by_value
      - .offset:         32
        .size:           8
        .value_kind:     by_value
      - .address_space:  global
        .offset:         40
        .size:           8
        .value_kind:     global_buffer
      - .offset:         48
        .size:           4
        .value_kind:     by_value
      - .offset:         56
        .size:           8
        .value_kind:     by_value
      - .offset:         64
        .size:           8
        .value_kind:     by_value
      - .address_space:  global
        .offset:         72
        .size:           8
        .value_kind:     global_buffer
      - .offset:         80
        .size:           4
        .value_kind:     by_value
      - .offset:         88
        .size:           8
        .value_kind:     by_value
      - .offset:         96
        .size:           4
        .value_kind:     by_value
    .group_segment_fixed_size: 4096
    .kernarg_segment_align: 8
    .kernarg_segment_size: 100
    .language:       OpenCL C
    .language_version:
      - 2
      - 0
    .max_flat_workgroup_size: 256
    .name:           _ZL29rocblas_internal_gemmt_kernelIiLi16ELi32ELi8ELc67ELc84ELc85ELb0ELb0EddPKdPdEviT_T9_T10_S3_lS5_S3_lS4_T11_S3_li
    .private_segment_fixed_size: 0
    .sgpr_count:     37
    .sgpr_spill_count: 0
    .symbol:         _ZL29rocblas_internal_gemmt_kernelIiLi16ELi32ELi8ELc67ELc84ELc85ELb0ELb0EddPKdPdEviT_T9_T10_S3_lS5_S3_lS4_T11_S3_li.kd
    .uniform_work_group_size: 1
    .uses_dynamic_stack: false
    .vgpr_count:     50
    .vgpr_spill_count: 0
    .wavefront_size: 32
    .workgroup_processor_mode: 1
  - .args:
      - .offset:         0
        .size:           4
        .value_kind:     by_value
      - .offset:         4
        .size:           4
        .value_kind:     by_value
      - .offset:         8
        .size:           8
        .value_kind:     by_value
      - .address_space:  global
        .offset:         16
        .size:           8
        .value_kind:     global_buffer
      - .offset:         24
        .size:           4
        .value_kind:     by_value
      - .offset:         32
        .size:           8
        .value_kind:     by_value
      - .address_space:  global
        .offset:         40
        .size:           8
        .value_kind:     global_buffer
      - .offset:         48
        .size:           4
        .value_kind:     by_value
      - .offset:         56
        .size:           8
        .value_kind:     by_value
      - .offset:         64
        .size:           8
        .value_kind:     by_value
      - .address_space:  global
        .offset:         72
        .size:           8
        .value_kind:     global_buffer
      - .offset:         80
        .size:           4
        .value_kind:     by_value
      - .offset:         88
        .size:           8
        .value_kind:     by_value
      - .offset:         96
        .size:           4
        .value_kind:     by_value
    .group_segment_fixed_size: 4096
    .kernarg_segment_align: 8
    .kernarg_segment_size: 100
    .language:       OpenCL C
    .language_version:
      - 2
      - 0
    .max_flat_workgroup_size: 256
    .name:           _ZL29rocblas_internal_gemmt_kernelIiLi16ELi32ELi8ELc67ELc67ELc85ELb0ELb0EddPKdPdEviT_T9_T10_S3_lS5_S3_lS4_T11_S3_li
    .private_segment_fixed_size: 0
    .sgpr_count:     37
    .sgpr_spill_count: 0
    .symbol:         _ZL29rocblas_internal_gemmt_kernelIiLi16ELi32ELi8ELc67ELc67ELc85ELb0ELb0EddPKdPdEviT_T9_T10_S3_lS5_S3_lS4_T11_S3_li.kd
    .uniform_work_group_size: 1
    .uses_dynamic_stack: false
    .vgpr_count:     50
    .vgpr_spill_count: 0
    .wavefront_size: 32
    .workgroup_processor_mode: 1
  - .args:
      - .offset:         0
        .size:           4
        .value_kind:     by_value
      - .offset:         4
        .size:           4
        .value_kind:     by_value
      - .offset:         8
        .size:           8
        .value_kind:     by_value
      - .address_space:  global
        .offset:         16
        .size:           8
        .value_kind:     global_buffer
      - .offset:         24
        .size:           4
        .value_kind:     by_value
      - .offset:         32
        .size:           8
        .value_kind:     by_value
      - .address_space:  global
        .offset:         40
        .size:           8
        .value_kind:     global_buffer
      - .offset:         48
        .size:           4
        .value_kind:     by_value
      - .offset:         56
        .size:           8
        .value_kind:     by_value
      - .offset:         64
        .size:           8
        .value_kind:     by_value
      - .address_space:  global
        .offset:         72
        .size:           8
        .value_kind:     global_buffer
      - .offset:         80
        .size:           4
        .value_kind:     by_value
      - .offset:         88
        .size:           8
        .value_kind:     by_value
      - .offset:         96
        .size:           4
        .value_kind:     by_value
    .group_segment_fixed_size: 4096
    .kernarg_segment_align: 8
    .kernarg_segment_size: 100
    .language:       OpenCL C
    .language_version:
      - 2
      - 0
    .max_flat_workgroup_size: 256
    .name:           _ZL29rocblas_internal_gemmt_kernelIiLi16ELi32ELi8ELc78ELc78ELc76ELb0ELb0EddPKdPdEviT_T9_T10_S3_lS5_S3_lS4_T11_S3_li
    .private_segment_fixed_size: 0
    .sgpr_count:     37
    .sgpr_spill_count: 0
    .symbol:         _ZL29rocblas_internal_gemmt_kernelIiLi16ELi32ELi8ELc78ELc78ELc76ELb0ELb0EddPKdPdEviT_T9_T10_S3_lS5_S3_lS4_T11_S3_li.kd
    .uniform_work_group_size: 1
    .uses_dynamic_stack: false
    .vgpr_count:     50
    .vgpr_spill_count: 0
    .wavefront_size: 32
    .workgroup_processor_mode: 1
  - .args:
      - .offset:         0
        .size:           4
        .value_kind:     by_value
      - .offset:         4
        .size:           4
        .value_kind:     by_value
      - .offset:         8
        .size:           8
        .value_kind:     by_value
      - .address_space:  global
        .offset:         16
        .size:           8
        .value_kind:     global_buffer
      - .offset:         24
        .size:           4
        .value_kind:     by_value
      - .offset:         32
        .size:           8
        .value_kind:     by_value
      - .address_space:  global
        .offset:         40
        .size:           8
        .value_kind:     global_buffer
      - .offset:         48
        .size:           4
        .value_kind:     by_value
      - .offset:         56
        .size:           8
        .value_kind:     by_value
      - .offset:         64
        .size:           8
        .value_kind:     by_value
      - .address_space:  global
        .offset:         72
        .size:           8
        .value_kind:     global_buffer
      - .offset:         80
        .size:           4
        .value_kind:     by_value
      - .offset:         88
        .size:           8
        .value_kind:     by_value
      - .offset:         96
        .size:           4
        .value_kind:     by_value
    .group_segment_fixed_size: 4096
    .kernarg_segment_align: 8
    .kernarg_segment_size: 100
    .language:       OpenCL C
    .language_version:
      - 2
      - 0
    .max_flat_workgroup_size: 256
    .name:           _ZL29rocblas_internal_gemmt_kernelIiLi16ELi32ELi8ELc78ELc84ELc76ELb0ELb0EddPKdPdEviT_T9_T10_S3_lS5_S3_lS4_T11_S3_li
    .private_segment_fixed_size: 0
    .sgpr_count:     38
    .sgpr_spill_count: 0
    .symbol:         _ZL29rocblas_internal_gemmt_kernelIiLi16ELi32ELi8ELc78ELc84ELc76ELb0ELb0EddPKdPdEviT_T9_T10_S3_lS5_S3_lS4_T11_S3_li.kd
    .uniform_work_group_size: 1
    .uses_dynamic_stack: false
    .vgpr_count:     50
    .vgpr_spill_count: 0
    .wavefront_size: 32
    .workgroup_processor_mode: 1
  - .args:
      - .offset:         0
        .size:           4
        .value_kind:     by_value
      - .offset:         4
        .size:           4
        .value_kind:     by_value
      - .offset:         8
        .size:           8
        .value_kind:     by_value
      - .address_space:  global
        .offset:         16
        .size:           8
        .value_kind:     global_buffer
      - .offset:         24
        .size:           4
        .value_kind:     by_value
      - .offset:         32
        .size:           8
        .value_kind:     by_value
      - .address_space:  global
        .offset:         40
        .size:           8
        .value_kind:     global_buffer
      - .offset:         48
        .size:           4
        .value_kind:     by_value
      - .offset:         56
        .size:           8
        .value_kind:     by_value
      - .offset:         64
        .size:           8
        .value_kind:     by_value
      - .address_space:  global
        .offset:         72
        .size:           8
        .value_kind:     global_buffer
      - .offset:         80
        .size:           4
        .value_kind:     by_value
      - .offset:         88
        .size:           8
        .value_kind:     by_value
      - .offset:         96
        .size:           4
        .value_kind:     by_value
    .group_segment_fixed_size: 4096
    .kernarg_segment_align: 8
    .kernarg_segment_size: 100
    .language:       OpenCL C
    .language_version:
      - 2
      - 0
    .max_flat_workgroup_size: 256
    .name:           _ZL29rocblas_internal_gemmt_kernelIiLi16ELi32ELi8ELc78ELc67ELc76ELb0ELb0EddPKdPdEviT_T9_T10_S3_lS5_S3_lS4_T11_S3_li
    .private_segment_fixed_size: 0
    .sgpr_count:     38
    .sgpr_spill_count: 0
    .symbol:         _ZL29rocblas_internal_gemmt_kernelIiLi16ELi32ELi8ELc78ELc67ELc76ELb0ELb0EddPKdPdEviT_T9_T10_S3_lS5_S3_lS4_T11_S3_li.kd
    .uniform_work_group_size: 1
    .uses_dynamic_stack: false
    .vgpr_count:     50
    .vgpr_spill_count: 0
    .wavefront_size: 32
    .workgroup_processor_mode: 1
  - .args:
      - .offset:         0
        .size:           4
        .value_kind:     by_value
      - .offset:         4
        .size:           4
        .value_kind:     by_value
      - .offset:         8
        .size:           8
        .value_kind:     by_value
      - .address_space:  global
        .offset:         16
        .size:           8
        .value_kind:     global_buffer
      - .offset:         24
        .size:           4
        .value_kind:     by_value
      - .offset:         32
        .size:           8
        .value_kind:     by_value
      - .address_space:  global
        .offset:         40
        .size:           8
        .value_kind:     global_buffer
      - .offset:         48
        .size:           4
        .value_kind:     by_value
      - .offset:         56
        .size:           8
        .value_kind:     by_value
      - .offset:         64
        .size:           8
        .value_kind:     by_value
      - .address_space:  global
        .offset:         72
        .size:           8
        .value_kind:     global_buffer
      - .offset:         80
        .size:           4
        .value_kind:     by_value
      - .offset:         88
        .size:           8
        .value_kind:     by_value
      - .offset:         96
        .size:           4
        .value_kind:     by_value
    .group_segment_fixed_size: 4096
    .kernarg_segment_align: 8
    .kernarg_segment_size: 100
    .language:       OpenCL C
    .language_version:
      - 2
      - 0
    .max_flat_workgroup_size: 256
    .name:           _ZL29rocblas_internal_gemmt_kernelIiLi16ELi32ELi8ELc84ELc78ELc76ELb0ELb0EddPKdPdEviT_T9_T10_S3_lS5_S3_lS4_T11_S3_li
    .private_segment_fixed_size: 0
    .sgpr_count:     34
    .sgpr_spill_count: 0
    .symbol:         _ZL29rocblas_internal_gemmt_kernelIiLi16ELi32ELi8ELc84ELc78ELc76ELb0ELb0EddPKdPdEviT_T9_T10_S3_lS5_S3_lS4_T11_S3_li.kd
    .uniform_work_group_size: 1
    .uses_dynamic_stack: false
    .vgpr_count:     50
    .vgpr_spill_count: 0
    .wavefront_size: 32
    .workgroup_processor_mode: 1
  - .args:
      - .offset:         0
        .size:           4
        .value_kind:     by_value
      - .offset:         4
        .size:           4
        .value_kind:     by_value
      - .offset:         8
        .size:           8
        .value_kind:     by_value
      - .address_space:  global
        .offset:         16
        .size:           8
        .value_kind:     global_buffer
      - .offset:         24
        .size:           4
        .value_kind:     by_value
      - .offset:         32
        .size:           8
        .value_kind:     by_value
      - .address_space:  global
        .offset:         40
        .size:           8
        .value_kind:     global_buffer
      - .offset:         48
        .size:           4
        .value_kind:     by_value
      - .offset:         56
        .size:           8
        .value_kind:     by_value
      - .offset:         64
        .size:           8
        .value_kind:     by_value
      - .address_space:  global
        .offset:         72
        .size:           8
        .value_kind:     global_buffer
      - .offset:         80
        .size:           4
        .value_kind:     by_value
      - .offset:         88
        .size:           8
        .value_kind:     by_value
      - .offset:         96
        .size:           4
        .value_kind:     by_value
    .group_segment_fixed_size: 4096
    .kernarg_segment_align: 8
    .kernarg_segment_size: 100
    .language:       OpenCL C
    .language_version:
      - 2
      - 0
    .max_flat_workgroup_size: 256
    .name:           _ZL29rocblas_internal_gemmt_kernelIiLi16ELi32ELi8ELc84ELc84ELc76ELb0ELb0EddPKdPdEviT_T9_T10_S3_lS5_S3_lS4_T11_S3_li
    .private_segment_fixed_size: 0
    .sgpr_count:     37
    .sgpr_spill_count: 0
    .symbol:         _ZL29rocblas_internal_gemmt_kernelIiLi16ELi32ELi8ELc84ELc84ELc76ELb0ELb0EddPKdPdEviT_T9_T10_S3_lS5_S3_lS4_T11_S3_li.kd
    .uniform_work_group_size: 1
    .uses_dynamic_stack: false
    .vgpr_count:     50
    .vgpr_spill_count: 0
    .wavefront_size: 32
    .workgroup_processor_mode: 1
  - .args:
      - .offset:         0
        .size:           4
        .value_kind:     by_value
      - .offset:         4
        .size:           4
        .value_kind:     by_value
      - .offset:         8
        .size:           8
        .value_kind:     by_value
      - .address_space:  global
        .offset:         16
        .size:           8
        .value_kind:     global_buffer
      - .offset:         24
        .size:           4
        .value_kind:     by_value
      - .offset:         32
        .size:           8
        .value_kind:     by_value
      - .address_space:  global
        .offset:         40
        .size:           8
        .value_kind:     global_buffer
      - .offset:         48
        .size:           4
        .value_kind:     by_value
      - .offset:         56
        .size:           8
        .value_kind:     by_value
      - .offset:         64
        .size:           8
        .value_kind:     by_value
      - .address_space:  global
        .offset:         72
        .size:           8
        .value_kind:     global_buffer
      - .offset:         80
        .size:           4
        .value_kind:     by_value
      - .offset:         88
        .size:           8
        .value_kind:     by_value
      - .offset:         96
        .size:           4
        .value_kind:     by_value
    .group_segment_fixed_size: 4096
    .kernarg_segment_align: 8
    .kernarg_segment_size: 100
    .language:       OpenCL C
    .language_version:
      - 2
      - 0
    .max_flat_workgroup_size: 256
    .name:           _ZL29rocblas_internal_gemmt_kernelIiLi16ELi32ELi8ELc84ELc67ELc76ELb0ELb0EddPKdPdEviT_T9_T10_S3_lS5_S3_lS4_T11_S3_li
    .private_segment_fixed_size: 0
    .sgpr_count:     37
    .sgpr_spill_count: 0
    .symbol:         _ZL29rocblas_internal_gemmt_kernelIiLi16ELi32ELi8ELc84ELc67ELc76ELb0ELb0EddPKdPdEviT_T9_T10_S3_lS5_S3_lS4_T11_S3_li.kd
    .uniform_work_group_size: 1
    .uses_dynamic_stack: false
    .vgpr_count:     50
    .vgpr_spill_count: 0
    .wavefront_size: 32
    .workgroup_processor_mode: 1
  - .args:
      - .offset:         0
        .size:           4
        .value_kind:     by_value
      - .offset:         4
        .size:           4
        .value_kind:     by_value
      - .offset:         8
        .size:           8
        .value_kind:     by_value
      - .address_space:  global
        .offset:         16
        .size:           8
        .value_kind:     global_buffer
      - .offset:         24
        .size:           4
        .value_kind:     by_value
      - .offset:         32
        .size:           8
        .value_kind:     by_value
      - .address_space:  global
        .offset:         40
        .size:           8
        .value_kind:     global_buffer
      - .offset:         48
        .size:           4
        .value_kind:     by_value
      - .offset:         56
        .size:           8
        .value_kind:     by_value
      - .offset:         64
        .size:           8
        .value_kind:     by_value
      - .address_space:  global
        .offset:         72
        .size:           8
        .value_kind:     global_buffer
      - .offset:         80
        .size:           4
        .value_kind:     by_value
      - .offset:         88
        .size:           8
        .value_kind:     by_value
      - .offset:         96
        .size:           4
        .value_kind:     by_value
    .group_segment_fixed_size: 4096
    .kernarg_segment_align: 8
    .kernarg_segment_size: 100
    .language:       OpenCL C
    .language_version:
      - 2
      - 0
    .max_flat_workgroup_size: 256
    .name:           _ZL29rocblas_internal_gemmt_kernelIiLi16ELi32ELi8ELc67ELc78ELc76ELb0ELb0EddPKdPdEviT_T9_T10_S3_lS5_S3_lS4_T11_S3_li
    .private_segment_fixed_size: 0
    .sgpr_count:     34
    .sgpr_spill_count: 0
    .symbol:         _ZL29rocblas_internal_gemmt_kernelIiLi16ELi32ELi8ELc67ELc78ELc76ELb0ELb0EddPKdPdEviT_T9_T10_S3_lS5_S3_lS4_T11_S3_li.kd
    .uniform_work_group_size: 1
    .uses_dynamic_stack: false
    .vgpr_count:     50
    .vgpr_spill_count: 0
    .wavefront_size: 32
    .workgroup_processor_mode: 1
  - .args:
      - .offset:         0
        .size:           4
        .value_kind:     by_value
      - .offset:         4
        .size:           4
        .value_kind:     by_value
      - .offset:         8
        .size:           8
        .value_kind:     by_value
      - .address_space:  global
        .offset:         16
        .size:           8
        .value_kind:     global_buffer
      - .offset:         24
        .size:           4
        .value_kind:     by_value
      - .offset:         32
        .size:           8
        .value_kind:     by_value
      - .address_space:  global
        .offset:         40
        .size:           8
        .value_kind:     global_buffer
      - .offset:         48
        .size:           4
        .value_kind:     by_value
      - .offset:         56
        .size:           8
        .value_kind:     by_value
      - .offset:         64
        .size:           8
        .value_kind:     by_value
      - .address_space:  global
        .offset:         72
        .size:           8
        .value_kind:     global_buffer
      - .offset:         80
        .size:           4
        .value_kind:     by_value
      - .offset:         88
        .size:           8
        .value_kind:     by_value
      - .offset:         96
        .size:           4
        .value_kind:     by_value
    .group_segment_fixed_size: 4096
    .kernarg_segment_align: 8
    .kernarg_segment_size: 100
    .language:       OpenCL C
    .language_version:
      - 2
      - 0
    .max_flat_workgroup_size: 256
    .name:           _ZL29rocblas_internal_gemmt_kernelIiLi16ELi32ELi8ELc67ELc84ELc76ELb0ELb0EddPKdPdEviT_T9_T10_S3_lS5_S3_lS4_T11_S3_li
    .private_segment_fixed_size: 0
    .sgpr_count:     37
    .sgpr_spill_count: 0
    .symbol:         _ZL29rocblas_internal_gemmt_kernelIiLi16ELi32ELi8ELc67ELc84ELc76ELb0ELb0EddPKdPdEviT_T9_T10_S3_lS5_S3_lS4_T11_S3_li.kd
    .uniform_work_group_size: 1
    .uses_dynamic_stack: false
    .vgpr_count:     50
    .vgpr_spill_count: 0
    .wavefront_size: 32
    .workgroup_processor_mode: 1
  - .args:
      - .offset:         0
        .size:           4
        .value_kind:     by_value
      - .offset:         4
        .size:           4
        .value_kind:     by_value
      - .offset:         8
        .size:           8
        .value_kind:     by_value
      - .address_space:  global
        .offset:         16
        .size:           8
        .value_kind:     global_buffer
      - .offset:         24
        .size:           4
        .value_kind:     by_value
      - .offset:         32
        .size:           8
        .value_kind:     by_value
      - .address_space:  global
        .offset:         40
        .size:           8
        .value_kind:     global_buffer
      - .offset:         48
        .size:           4
        .value_kind:     by_value
      - .offset:         56
        .size:           8
        .value_kind:     by_value
      - .offset:         64
        .size:           8
        .value_kind:     by_value
      - .address_space:  global
        .offset:         72
        .size:           8
        .value_kind:     global_buffer
      - .offset:         80
        .size:           4
        .value_kind:     by_value
      - .offset:         88
        .size:           8
        .value_kind:     by_value
      - .offset:         96
        .size:           4
        .value_kind:     by_value
    .group_segment_fixed_size: 4096
    .kernarg_segment_align: 8
    .kernarg_segment_size: 100
    .language:       OpenCL C
    .language_version:
      - 2
      - 0
    .max_flat_workgroup_size: 256
    .name:           _ZL29rocblas_internal_gemmt_kernelIiLi16ELi32ELi8ELc67ELc67ELc76ELb0ELb0EddPKdPdEviT_T9_T10_S3_lS5_S3_lS4_T11_S3_li
    .private_segment_fixed_size: 0
    .sgpr_count:     37
    .sgpr_spill_count: 0
    .symbol:         _ZL29rocblas_internal_gemmt_kernelIiLi16ELi32ELi8ELc67ELc67ELc76ELb0ELb0EddPKdPdEviT_T9_T10_S3_lS5_S3_lS4_T11_S3_li.kd
    .uniform_work_group_size: 1
    .uses_dynamic_stack: false
    .vgpr_count:     50
    .vgpr_spill_count: 0
    .wavefront_size: 32
    .workgroup_processor_mode: 1
  - .args:
      - .offset:         0
        .size:           4
        .value_kind:     by_value
      - .offset:         4
        .size:           4
        .value_kind:     by_value
      - .address_space:  global
        .offset:         8
        .size:           8
        .value_kind:     global_buffer
      - .address_space:  global
        .offset:         16
        .size:           8
        .value_kind:     global_buffer
      - .offset:         24
        .size:           4
        .value_kind:     by_value
      - .offset:         32
        .size:           8
        .value_kind:     by_value
      - .address_space:  global
        .offset:         40
        .size:           8
        .value_kind:     global_buffer
      - .offset:         48
        .size:           4
        .value_kind:     by_value
      - .offset:         56
        .size:           8
        .value_kind:     by_value
      - .address_space:  global
        .offset:         64
        .size:           8
        .value_kind:     global_buffer
      - .address_space:  global
        .offset:         72
        .size:           8
        .value_kind:     global_buffer
      - .offset:         80
        .size:           4
        .value_kind:     by_value
      - .offset:         88
        .size:           8
        .value_kind:     by_value
      - .offset:         96
        .size:           4
        .value_kind:     by_value
    .group_segment_fixed_size: 4096
    .kernarg_segment_align: 8
    .kernarg_segment_size: 100
    .language:       OpenCL C
    .language_version:
      - 2
      - 0
    .max_flat_workgroup_size: 256
    .name:           _ZL29rocblas_internal_gemmt_kernelIiLi16ELi32ELi8ELc78ELc78ELc85ELb0ELb0E19rocblas_complex_numIfEPKS1_S3_PS1_EviT_T9_T10_S5_lS7_S5_lS6_T11_S5_li
    .private_segment_fixed_size: 0
    .sgpr_count:     38
    .sgpr_spill_count: 0
    .symbol:         _ZL29rocblas_internal_gemmt_kernelIiLi16ELi32ELi8ELc78ELc78ELc85ELb0ELb0E19rocblas_complex_numIfEPKS1_S3_PS1_EviT_T9_T10_S5_lS7_S5_lS6_T11_S5_li.kd
    .uniform_work_group_size: 1
    .uses_dynamic_stack: false
    .vgpr_count:     69
    .vgpr_spill_count: 0
    .wavefront_size: 32
    .workgroup_processor_mode: 1
  - .args:
      - .offset:         0
        .size:           4
        .value_kind:     by_value
      - .offset:         4
        .size:           4
        .value_kind:     by_value
      - .address_space:  global
        .offset:         8
        .size:           8
        .value_kind:     global_buffer
      - .address_space:  global
        .offset:         16
        .size:           8
        .value_kind:     global_buffer
      - .offset:         24
        .size:           4
        .value_kind:     by_value
      - .offset:         32
        .size:           8
        .value_kind:     by_value
      - .address_space:  global
        .offset:         40
        .size:           8
        .value_kind:     global_buffer
      - .offset:         48
        .size:           4
        .value_kind:     by_value
      - .offset:         56
        .size:           8
        .value_kind:     by_value
      - .address_space:  global
        .offset:         64
        .size:           8
        .value_kind:     global_buffer
      - .address_space:  global
        .offset:         72
        .size:           8
        .value_kind:     global_buffer
      - .offset:         80
        .size:           4
        .value_kind:     by_value
      - .offset:         88
        .size:           8
        .value_kind:     by_value
      - .offset:         96
        .size:           4
        .value_kind:     by_value
    .group_segment_fixed_size: 4096
    .kernarg_segment_align: 8
    .kernarg_segment_size: 100
    .language:       OpenCL C
    .language_version:
      - 2
      - 0
    .max_flat_workgroup_size: 256
    .name:           _ZL29rocblas_internal_gemmt_kernelIiLi16ELi32ELi8ELc78ELc84ELc85ELb0ELb0E19rocblas_complex_numIfEPKS1_S3_PS1_EviT_T9_T10_S5_lS7_S5_lS6_T11_S5_li
    .private_segment_fixed_size: 0
    .sgpr_count:     39
    .sgpr_spill_count: 0
    .symbol:         _ZL29rocblas_internal_gemmt_kernelIiLi16ELi32ELi8ELc78ELc84ELc85ELb0ELb0E19rocblas_complex_numIfEPKS1_S3_PS1_EviT_T9_T10_S5_lS7_S5_lS6_T11_S5_li.kd
    .uniform_work_group_size: 1
    .uses_dynamic_stack: false
    .vgpr_count:     69
    .vgpr_spill_count: 0
    .wavefront_size: 32
    .workgroup_processor_mode: 1
  - .args:
      - .offset:         0
        .size:           4
        .value_kind:     by_value
      - .offset:         4
        .size:           4
        .value_kind:     by_value
      - .address_space:  global
        .offset:         8
        .size:           8
        .value_kind:     global_buffer
      - .address_space:  global
        .offset:         16
        .size:           8
        .value_kind:     global_buffer
      - .offset:         24
        .size:           4
        .value_kind:     by_value
      - .offset:         32
        .size:           8
        .value_kind:     by_value
      - .address_space:  global
        .offset:         40
        .size:           8
        .value_kind:     global_buffer
      - .offset:         48
        .size:           4
        .value_kind:     by_value
      - .offset:         56
        .size:           8
        .value_kind:     by_value
      - .address_space:  global
        .offset:         64
        .size:           8
        .value_kind:     global_buffer
      - .address_space:  global
        .offset:         72
        .size:           8
        .value_kind:     global_buffer
      - .offset:         80
        .size:           4
        .value_kind:     by_value
      - .offset:         88
        .size:           8
        .value_kind:     by_value
      - .offset:         96
        .size:           4
        .value_kind:     by_value
    .group_segment_fixed_size: 4096
    .kernarg_segment_align: 8
    .kernarg_segment_size: 100
    .language:       OpenCL C
    .language_version:
      - 2
      - 0
    .max_flat_workgroup_size: 256
    .name:           _ZL29rocblas_internal_gemmt_kernelIiLi16ELi32ELi8ELc78ELc67ELc85ELb0ELb1E19rocblas_complex_numIfEPKS1_S3_PS1_EviT_T9_T10_S5_lS7_S5_lS6_T11_S5_li
    .private_segment_fixed_size: 0
    .sgpr_count:     39
    .sgpr_spill_count: 0
    .symbol:         _ZL29rocblas_internal_gemmt_kernelIiLi16ELi32ELi8ELc78ELc67ELc85ELb0ELb1E19rocblas_complex_numIfEPKS1_S3_PS1_EviT_T9_T10_S5_lS7_S5_lS6_T11_S5_li.kd
    .uniform_work_group_size: 1
    .uses_dynamic_stack: false
    .vgpr_count:     69
    .vgpr_spill_count: 0
    .wavefront_size: 32
    .workgroup_processor_mode: 1
  - .args:
      - .offset:         0
        .size:           4
        .value_kind:     by_value
      - .offset:         4
        .size:           4
        .value_kind:     by_value
      - .address_space:  global
        .offset:         8
        .size:           8
        .value_kind:     global_buffer
      - .address_space:  global
        .offset:         16
        .size:           8
        .value_kind:     global_buffer
      - .offset:         24
        .size:           4
        .value_kind:     by_value
      - .offset:         32
        .size:           8
        .value_kind:     by_value
      - .address_space:  global
        .offset:         40
        .size:           8
        .value_kind:     global_buffer
      - .offset:         48
        .size:           4
        .value_kind:     by_value
      - .offset:         56
        .size:           8
        .value_kind:     by_value
      - .address_space:  global
        .offset:         64
        .size:           8
        .value_kind:     global_buffer
      - .address_space:  global
        .offset:         72
        .size:           8
        .value_kind:     global_buffer
      - .offset:         80
        .size:           4
        .value_kind:     by_value
      - .offset:         88
        .size:           8
        .value_kind:     by_value
      - .offset:         96
        .size:           4
        .value_kind:     by_value
    .group_segment_fixed_size: 4096
    .kernarg_segment_align: 8
    .kernarg_segment_size: 100
    .language:       OpenCL C
    .language_version:
      - 2
      - 0
    .max_flat_workgroup_size: 256
    .name:           _ZL29rocblas_internal_gemmt_kernelIiLi16ELi32ELi8ELc84ELc78ELc85ELb0ELb0E19rocblas_complex_numIfEPKS1_S3_PS1_EviT_T9_T10_S5_lS7_S5_lS6_T11_S5_li
    .private_segment_fixed_size: 0
    .sgpr_count:     36
    .sgpr_spill_count: 0
    .symbol:         _ZL29rocblas_internal_gemmt_kernelIiLi16ELi32ELi8ELc84ELc78ELc85ELb0ELb0E19rocblas_complex_numIfEPKS1_S3_PS1_EviT_T9_T10_S5_lS7_S5_lS6_T11_S5_li.kd
    .uniform_work_group_size: 1
    .uses_dynamic_stack: false
    .vgpr_count:     69
    .vgpr_spill_count: 0
    .wavefront_size: 32
    .workgroup_processor_mode: 1
  - .args:
      - .offset:         0
        .size:           4
        .value_kind:     by_value
      - .offset:         4
        .size:           4
        .value_kind:     by_value
      - .address_space:  global
        .offset:         8
        .size:           8
        .value_kind:     global_buffer
      - .address_space:  global
        .offset:         16
        .size:           8
        .value_kind:     global_buffer
      - .offset:         24
        .size:           4
        .value_kind:     by_value
      - .offset:         32
        .size:           8
        .value_kind:     by_value
      - .address_space:  global
        .offset:         40
        .size:           8
        .value_kind:     global_buffer
      - .offset:         48
        .size:           4
        .value_kind:     by_value
      - .offset:         56
        .size:           8
        .value_kind:     by_value
      - .address_space:  global
        .offset:         64
        .size:           8
        .value_kind:     global_buffer
      - .address_space:  global
        .offset:         72
        .size:           8
        .value_kind:     global_buffer
      - .offset:         80
        .size:           4
        .value_kind:     by_value
      - .offset:         88
        .size:           8
        .value_kind:     by_value
      - .offset:         96
        .size:           4
        .value_kind:     by_value
    .group_segment_fixed_size: 4096
    .kernarg_segment_align: 8
    .kernarg_segment_size: 100
    .language:       OpenCL C
    .language_version:
      - 2
      - 0
    .max_flat_workgroup_size: 256
    .name:           _ZL29rocblas_internal_gemmt_kernelIiLi16ELi32ELi8ELc84ELc84ELc85ELb0ELb0E19rocblas_complex_numIfEPKS1_S3_PS1_EviT_T9_T10_S5_lS7_S5_lS6_T11_S5_li
    .private_segment_fixed_size: 0
    .sgpr_count:     37
    .sgpr_spill_count: 0
    .symbol:         _ZL29rocblas_internal_gemmt_kernelIiLi16ELi32ELi8ELc84ELc84ELc85ELb0ELb0E19rocblas_complex_numIfEPKS1_S3_PS1_EviT_T9_T10_S5_lS7_S5_lS6_T11_S5_li.kd
    .uniform_work_group_size: 1
    .uses_dynamic_stack: false
    .vgpr_count:     69
    .vgpr_spill_count: 0
    .wavefront_size: 32
    .workgroup_processor_mode: 1
  - .args:
      - .offset:         0
        .size:           4
        .value_kind:     by_value
      - .offset:         4
        .size:           4
        .value_kind:     by_value
      - .address_space:  global
        .offset:         8
        .size:           8
        .value_kind:     global_buffer
      - .address_space:  global
        .offset:         16
        .size:           8
        .value_kind:     global_buffer
      - .offset:         24
        .size:           4
        .value_kind:     by_value
      - .offset:         32
        .size:           8
        .value_kind:     by_value
      - .address_space:  global
        .offset:         40
        .size:           8
        .value_kind:     global_buffer
      - .offset:         48
        .size:           4
        .value_kind:     by_value
      - .offset:         56
        .size:           8
        .value_kind:     by_value
      - .address_space:  global
        .offset:         64
        .size:           8
        .value_kind:     global_buffer
      - .address_space:  global
        .offset:         72
        .size:           8
        .value_kind:     global_buffer
      - .offset:         80
        .size:           4
        .value_kind:     by_value
      - .offset:         88
        .size:           8
        .value_kind:     by_value
      - .offset:         96
        .size:           4
        .value_kind:     by_value
    .group_segment_fixed_size: 4096
    .kernarg_segment_align: 8
    .kernarg_segment_size: 100
    .language:       OpenCL C
    .language_version:
      - 2
      - 0
    .max_flat_workgroup_size: 256
    .name:           _ZL29rocblas_internal_gemmt_kernelIiLi16ELi32ELi8ELc84ELc67ELc85ELb0ELb1E19rocblas_complex_numIfEPKS1_S3_PS1_EviT_T9_T10_S5_lS7_S5_lS6_T11_S5_li
    .private_segment_fixed_size: 0
    .sgpr_count:     38
    .sgpr_spill_count: 0
    .symbol:         _ZL29rocblas_internal_gemmt_kernelIiLi16ELi32ELi8ELc84ELc67ELc85ELb0ELb1E19rocblas_complex_numIfEPKS1_S3_PS1_EviT_T9_T10_S5_lS7_S5_lS6_T11_S5_li.kd
    .uniform_work_group_size: 1
    .uses_dynamic_stack: false
    .vgpr_count:     69
    .vgpr_spill_count: 0
    .wavefront_size: 32
    .workgroup_processor_mode: 1
  - .args:
      - .offset:         0
        .size:           4
        .value_kind:     by_value
      - .offset:         4
        .size:           4
        .value_kind:     by_value
      - .address_space:  global
        .offset:         8
        .size:           8
        .value_kind:     global_buffer
      - .address_space:  global
        .offset:         16
        .size:           8
        .value_kind:     global_buffer
      - .offset:         24
        .size:           4
        .value_kind:     by_value
      - .offset:         32
        .size:           8
        .value_kind:     by_value
      - .address_space:  global
        .offset:         40
        .size:           8
        .value_kind:     global_buffer
      - .offset:         48
        .size:           4
        .value_kind:     by_value
      - .offset:         56
        .size:           8
        .value_kind:     by_value
      - .address_space:  global
        .offset:         64
        .size:           8
        .value_kind:     global_buffer
      - .address_space:  global
        .offset:         72
        .size:           8
        .value_kind:     global_buffer
      - .offset:         80
        .size:           4
        .value_kind:     by_value
      - .offset:         88
        .size:           8
        .value_kind:     by_value
      - .offset:         96
        .size:           4
        .value_kind:     by_value
    .group_segment_fixed_size: 4096
    .kernarg_segment_align: 8
    .kernarg_segment_size: 100
    .language:       OpenCL C
    .language_version:
      - 2
      - 0
    .max_flat_workgroup_size: 256
    .name:           _ZL29rocblas_internal_gemmt_kernelIiLi16ELi32ELi8ELc67ELc78ELc85ELb1ELb0E19rocblas_complex_numIfEPKS1_S3_PS1_EviT_T9_T10_S5_lS7_S5_lS6_T11_S5_li
    .private_segment_fixed_size: 0
    .sgpr_count:     37
    .sgpr_spill_count: 0
    .symbol:         _ZL29rocblas_internal_gemmt_kernelIiLi16ELi32ELi8ELc67ELc78ELc85ELb1ELb0E19rocblas_complex_numIfEPKS1_S3_PS1_EviT_T9_T10_S5_lS7_S5_lS6_T11_S5_li.kd
    .uniform_work_group_size: 1
    .uses_dynamic_stack: false
    .vgpr_count:     69
    .vgpr_spill_count: 0
    .wavefront_size: 32
    .workgroup_processor_mode: 1
  - .args:
      - .offset:         0
        .size:           4
        .value_kind:     by_value
      - .offset:         4
        .size:           4
        .value_kind:     by_value
      - .address_space:  global
        .offset:         8
        .size:           8
        .value_kind:     global_buffer
      - .address_space:  global
        .offset:         16
        .size:           8
        .value_kind:     global_buffer
      - .offset:         24
        .size:           4
        .value_kind:     by_value
      - .offset:         32
        .size:           8
        .value_kind:     by_value
      - .address_space:  global
        .offset:         40
        .size:           8
        .value_kind:     global_buffer
      - .offset:         48
        .size:           4
        .value_kind:     by_value
      - .offset:         56
        .size:           8
        .value_kind:     by_value
      - .address_space:  global
        .offset:         64
        .size:           8
        .value_kind:     global_buffer
      - .address_space:  global
        .offset:         72
        .size:           8
        .value_kind:     global_buffer
      - .offset:         80
        .size:           4
        .value_kind:     by_value
      - .offset:         88
        .size:           8
        .value_kind:     by_value
      - .offset:         96
        .size:           4
        .value_kind:     by_value
    .group_segment_fixed_size: 4096
    .kernarg_segment_align: 8
    .kernarg_segment_size: 100
    .language:       OpenCL C
    .language_version:
      - 2
      - 0
    .max_flat_workgroup_size: 256
    .name:           _ZL29rocblas_internal_gemmt_kernelIiLi16ELi32ELi8ELc67ELc84ELc85ELb1ELb0E19rocblas_complex_numIfEPKS1_S3_PS1_EviT_T9_T10_S5_lS7_S5_lS6_T11_S5_li
    .private_segment_fixed_size: 0
    .sgpr_count:     38
    .sgpr_spill_count: 0
    .symbol:         _ZL29rocblas_internal_gemmt_kernelIiLi16ELi32ELi8ELc67ELc84ELc85ELb1ELb0E19rocblas_complex_numIfEPKS1_S3_PS1_EviT_T9_T10_S5_lS7_S5_lS6_T11_S5_li.kd
    .uniform_work_group_size: 1
    .uses_dynamic_stack: false
    .vgpr_count:     69
    .vgpr_spill_count: 0
    .wavefront_size: 32
    .workgroup_processor_mode: 1
  - .args:
      - .offset:         0
        .size:           4
        .value_kind:     by_value
      - .offset:         4
        .size:           4
        .value_kind:     by_value
      - .address_space:  global
        .offset:         8
        .size:           8
        .value_kind:     global_buffer
      - .address_space:  global
        .offset:         16
        .size:           8
        .value_kind:     global_buffer
      - .offset:         24
        .size:           4
        .value_kind:     by_value
      - .offset:         32
        .size:           8
        .value_kind:     by_value
      - .address_space:  global
        .offset:         40
        .size:           8
        .value_kind:     global_buffer
      - .offset:         48
        .size:           4
        .value_kind:     by_value
      - .offset:         56
        .size:           8
        .value_kind:     by_value
      - .address_space:  global
        .offset:         64
        .size:           8
        .value_kind:     global_buffer
      - .address_space:  global
        .offset:         72
        .size:           8
        .value_kind:     global_buffer
      - .offset:         80
        .size:           4
        .value_kind:     by_value
      - .offset:         88
        .size:           8
        .value_kind:     by_value
      - .offset:         96
        .size:           4
        .value_kind:     by_value
    .group_segment_fixed_size: 4096
    .kernarg_segment_align: 8
    .kernarg_segment_size: 100
    .language:       OpenCL C
    .language_version:
      - 2
      - 0
    .max_flat_workgroup_size: 256
    .name:           _ZL29rocblas_internal_gemmt_kernelIiLi16ELi32ELi8ELc67ELc67ELc85ELb1ELb1E19rocblas_complex_numIfEPKS1_S3_PS1_EviT_T9_T10_S5_lS7_S5_lS6_T11_S5_li
    .private_segment_fixed_size: 0
    .sgpr_count:     38
    .sgpr_spill_count: 0
    .symbol:         _ZL29rocblas_internal_gemmt_kernelIiLi16ELi32ELi8ELc67ELc67ELc85ELb1ELb1E19rocblas_complex_numIfEPKS1_S3_PS1_EviT_T9_T10_S5_lS7_S5_lS6_T11_S5_li.kd
    .uniform_work_group_size: 1
    .uses_dynamic_stack: false
    .vgpr_count:     69
    .vgpr_spill_count: 0
    .wavefront_size: 32
    .workgroup_processor_mode: 1
  - .args:
      - .offset:         0
        .size:           4
        .value_kind:     by_value
      - .offset:         4
        .size:           4
        .value_kind:     by_value
      - .address_space:  global
        .offset:         8
        .size:           8
        .value_kind:     global_buffer
      - .address_space:  global
        .offset:         16
        .size:           8
        .value_kind:     global_buffer
      - .offset:         24
        .size:           4
        .value_kind:     by_value
      - .offset:         32
        .size:           8
        .value_kind:     by_value
      - .address_space:  global
        .offset:         40
        .size:           8
        .value_kind:     global_buffer
      - .offset:         48
        .size:           4
        .value_kind:     by_value
      - .offset:         56
        .size:           8
        .value_kind:     by_value
      - .address_space:  global
        .offset:         64
        .size:           8
        .value_kind:     global_buffer
      - .address_space:  global
        .offset:         72
        .size:           8
        .value_kind:     global_buffer
      - .offset:         80
        .size:           4
        .value_kind:     by_value
      - .offset:         88
        .size:           8
        .value_kind:     by_value
      - .offset:         96
        .size:           4
        .value_kind:     by_value
    .group_segment_fixed_size: 4096
    .kernarg_segment_align: 8
    .kernarg_segment_size: 100
    .language:       OpenCL C
    .language_version:
      - 2
      - 0
    .max_flat_workgroup_size: 256
    .name:           _ZL29rocblas_internal_gemmt_kernelIiLi16ELi32ELi8ELc78ELc78ELc76ELb0ELb0E19rocblas_complex_numIfEPKS1_S3_PS1_EviT_T9_T10_S5_lS7_S5_lS6_T11_S5_li
    .private_segment_fixed_size: 0
    .sgpr_count:     39
    .sgpr_spill_count: 0
    .symbol:         _ZL29rocblas_internal_gemmt_kernelIiLi16ELi32ELi8ELc78ELc78ELc76ELb0ELb0E19rocblas_complex_numIfEPKS1_S3_PS1_EviT_T9_T10_S5_lS7_S5_lS6_T11_S5_li.kd
    .uniform_work_group_size: 1
    .uses_dynamic_stack: false
    .vgpr_count:     69
    .vgpr_spill_count: 0
    .wavefront_size: 32
    .workgroup_processor_mode: 1
  - .args:
      - .offset:         0
        .size:           4
        .value_kind:     by_value
      - .offset:         4
        .size:           4
        .value_kind:     by_value
      - .address_space:  global
        .offset:         8
        .size:           8
        .value_kind:     global_buffer
      - .address_space:  global
        .offset:         16
        .size:           8
        .value_kind:     global_buffer
      - .offset:         24
        .size:           4
        .value_kind:     by_value
      - .offset:         32
        .size:           8
        .value_kind:     by_value
      - .address_space:  global
        .offset:         40
        .size:           8
        .value_kind:     global_buffer
      - .offset:         48
        .size:           4
        .value_kind:     by_value
      - .offset:         56
        .size:           8
        .value_kind:     by_value
      - .address_space:  global
        .offset:         64
        .size:           8
        .value_kind:     global_buffer
      - .address_space:  global
        .offset:         72
        .size:           8
        .value_kind:     global_buffer
      - .offset:         80
        .size:           4
        .value_kind:     by_value
      - .offset:         88
        .size:           8
        .value_kind:     by_value
      - .offset:         96
        .size:           4
        .value_kind:     by_value
    .group_segment_fixed_size: 4096
    .kernarg_segment_align: 8
    .kernarg_segment_size: 100
    .language:       OpenCL C
    .language_version:
      - 2
      - 0
    .max_flat_workgroup_size: 256
    .name:           _ZL29rocblas_internal_gemmt_kernelIiLi16ELi32ELi8ELc78ELc84ELc76ELb0ELb0E19rocblas_complex_numIfEPKS1_S3_PS1_EviT_T9_T10_S5_lS7_S5_lS6_T11_S5_li
    .private_segment_fixed_size: 0
    .sgpr_count:     41
    .sgpr_spill_count: 0
    .symbol:         _ZL29rocblas_internal_gemmt_kernelIiLi16ELi32ELi8ELc78ELc84ELc76ELb0ELb0E19rocblas_complex_numIfEPKS1_S3_PS1_EviT_T9_T10_S5_lS7_S5_lS6_T11_S5_li.kd
    .uniform_work_group_size: 1
    .uses_dynamic_stack: false
    .vgpr_count:     69
    .vgpr_spill_count: 0
    .wavefront_size: 32
    .workgroup_processor_mode: 1
  - .args:
      - .offset:         0
        .size:           4
        .value_kind:     by_value
      - .offset:         4
        .size:           4
        .value_kind:     by_value
      - .address_space:  global
        .offset:         8
        .size:           8
        .value_kind:     global_buffer
      - .address_space:  global
        .offset:         16
        .size:           8
        .value_kind:     global_buffer
      - .offset:         24
        .size:           4
        .value_kind:     by_value
      - .offset:         32
        .size:           8
        .value_kind:     by_value
      - .address_space:  global
        .offset:         40
        .size:           8
        .value_kind:     global_buffer
      - .offset:         48
        .size:           4
        .value_kind:     by_value
      - .offset:         56
        .size:           8
        .value_kind:     by_value
      - .address_space:  global
        .offset:         64
        .size:           8
        .value_kind:     global_buffer
      - .address_space:  global
        .offset:         72
        .size:           8
        .value_kind:     global_buffer
      - .offset:         80
        .size:           4
        .value_kind:     by_value
      - .offset:         88
        .size:           8
        .value_kind:     by_value
      - .offset:         96
        .size:           4
        .value_kind:     by_value
    .group_segment_fixed_size: 4096
    .kernarg_segment_align: 8
    .kernarg_segment_size: 100
    .language:       OpenCL C
    .language_version:
      - 2
      - 0
    .max_flat_workgroup_size: 256
    .name:           _ZL29rocblas_internal_gemmt_kernelIiLi16ELi32ELi8ELc78ELc67ELc76ELb0ELb1E19rocblas_complex_numIfEPKS1_S3_PS1_EviT_T9_T10_S5_lS7_S5_lS6_T11_S5_li
    .private_segment_fixed_size: 0
    .sgpr_count:     41
    .sgpr_spill_count: 0
    .symbol:         _ZL29rocblas_internal_gemmt_kernelIiLi16ELi32ELi8ELc78ELc67ELc76ELb0ELb1E19rocblas_complex_numIfEPKS1_S3_PS1_EviT_T9_T10_S5_lS7_S5_lS6_T11_S5_li.kd
    .uniform_work_group_size: 1
    .uses_dynamic_stack: false
    .vgpr_count:     69
    .vgpr_spill_count: 0
    .wavefront_size: 32
    .workgroup_processor_mode: 1
  - .args:
      - .offset:         0
        .size:           4
        .value_kind:     by_value
      - .offset:         4
        .size:           4
        .value_kind:     by_value
      - .address_space:  global
        .offset:         8
        .size:           8
        .value_kind:     global_buffer
      - .address_space:  global
        .offset:         16
        .size:           8
        .value_kind:     global_buffer
      - .offset:         24
        .size:           4
        .value_kind:     by_value
      - .offset:         32
        .size:           8
        .value_kind:     by_value
      - .address_space:  global
        .offset:         40
        .size:           8
        .value_kind:     global_buffer
      - .offset:         48
        .size:           4
        .value_kind:     by_value
      - .offset:         56
        .size:           8
        .value_kind:     by_value
      - .address_space:  global
        .offset:         64
        .size:           8
        .value_kind:     global_buffer
      - .address_space:  global
        .offset:         72
        .size:           8
        .value_kind:     global_buffer
      - .offset:         80
        .size:           4
        .value_kind:     by_value
      - .offset:         88
        .size:           8
        .value_kind:     by_value
      - .offset:         96
        .size:           4
        .value_kind:     by_value
    .group_segment_fixed_size: 4096
    .kernarg_segment_align: 8
    .kernarg_segment_size: 100
    .language:       OpenCL C
    .language_version:
      - 2
      - 0
    .max_flat_workgroup_size: 256
    .name:           _ZL29rocblas_internal_gemmt_kernelIiLi16ELi32ELi8ELc84ELc78ELc76ELb0ELb0E19rocblas_complex_numIfEPKS1_S3_PS1_EviT_T9_T10_S5_lS7_S5_lS6_T11_S5_li
    .private_segment_fixed_size: 0
    .sgpr_count:     37
    .sgpr_spill_count: 0
    .symbol:         _ZL29rocblas_internal_gemmt_kernelIiLi16ELi32ELi8ELc84ELc78ELc76ELb0ELb0E19rocblas_complex_numIfEPKS1_S3_PS1_EviT_T9_T10_S5_lS7_S5_lS6_T11_S5_li.kd
    .uniform_work_group_size: 1
    .uses_dynamic_stack: false
    .vgpr_count:     69
    .vgpr_spill_count: 0
    .wavefront_size: 32
    .workgroup_processor_mode: 1
  - .args:
      - .offset:         0
        .size:           4
        .value_kind:     by_value
      - .offset:         4
        .size:           4
        .value_kind:     by_value
      - .address_space:  global
        .offset:         8
        .size:           8
        .value_kind:     global_buffer
      - .address_space:  global
        .offset:         16
        .size:           8
        .value_kind:     global_buffer
      - .offset:         24
        .size:           4
        .value_kind:     by_value
      - .offset:         32
        .size:           8
        .value_kind:     by_value
      - .address_space:  global
        .offset:         40
        .size:           8
        .value_kind:     global_buffer
      - .offset:         48
        .size:           4
        .value_kind:     by_value
      - .offset:         56
        .size:           8
        .value_kind:     by_value
      - .address_space:  global
        .offset:         64
        .size:           8
        .value_kind:     global_buffer
      - .address_space:  global
        .offset:         72
        .size:           8
        .value_kind:     global_buffer
      - .offset:         80
        .size:           4
        .value_kind:     by_value
      - .offset:         88
        .size:           8
        .value_kind:     by_value
      - .offset:         96
        .size:           4
        .value_kind:     by_value
    .group_segment_fixed_size: 4096
    .kernarg_segment_align: 8
    .kernarg_segment_size: 100
    .language:       OpenCL C
    .language_version:
      - 2
      - 0
    .max_flat_workgroup_size: 256
    .name:           _ZL29rocblas_internal_gemmt_kernelIiLi16ELi32ELi8ELc84ELc84ELc76ELb0ELb0E19rocblas_complex_numIfEPKS1_S3_PS1_EviT_T9_T10_S5_lS7_S5_lS6_T11_S5_li
    .private_segment_fixed_size: 0
    .sgpr_count:     39
    .sgpr_spill_count: 0
    .symbol:         _ZL29rocblas_internal_gemmt_kernelIiLi16ELi32ELi8ELc84ELc84ELc76ELb0ELb0E19rocblas_complex_numIfEPKS1_S3_PS1_EviT_T9_T10_S5_lS7_S5_lS6_T11_S5_li.kd
    .uniform_work_group_size: 1
    .uses_dynamic_stack: false
    .vgpr_count:     69
    .vgpr_spill_count: 0
    .wavefront_size: 32
    .workgroup_processor_mode: 1
  - .args:
      - .offset:         0
        .size:           4
        .value_kind:     by_value
      - .offset:         4
        .size:           4
        .value_kind:     by_value
      - .address_space:  global
        .offset:         8
        .size:           8
        .value_kind:     global_buffer
      - .address_space:  global
        .offset:         16
        .size:           8
        .value_kind:     global_buffer
      - .offset:         24
        .size:           4
        .value_kind:     by_value
      - .offset:         32
        .size:           8
        .value_kind:     by_value
      - .address_space:  global
        .offset:         40
        .size:           8
        .value_kind:     global_buffer
      - .offset:         48
        .size:           4
        .value_kind:     by_value
      - .offset:         56
        .size:           8
        .value_kind:     by_value
      - .address_space:  global
        .offset:         64
        .size:           8
        .value_kind:     global_buffer
      - .address_space:  global
        .offset:         72
        .size:           8
        .value_kind:     global_buffer
      - .offset:         80
        .size:           4
        .value_kind:     by_value
      - .offset:         88
        .size:           8
        .value_kind:     by_value
      - .offset:         96
        .size:           4
        .value_kind:     by_value
    .group_segment_fixed_size: 4096
    .kernarg_segment_align: 8
    .kernarg_segment_size: 100
    .language:       OpenCL C
    .language_version:
      - 2
      - 0
    .max_flat_workgroup_size: 256
    .name:           _ZL29rocblas_internal_gemmt_kernelIiLi16ELi32ELi8ELc84ELc67ELc76ELb0ELb1E19rocblas_complex_numIfEPKS1_S3_PS1_EviT_T9_T10_S5_lS7_S5_lS6_T11_S5_li
    .private_segment_fixed_size: 0
    .sgpr_count:     39
    .sgpr_spill_count: 0
    .symbol:         _ZL29rocblas_internal_gemmt_kernelIiLi16ELi32ELi8ELc84ELc67ELc76ELb0ELb1E19rocblas_complex_numIfEPKS1_S3_PS1_EviT_T9_T10_S5_lS7_S5_lS6_T11_S5_li.kd
    .uniform_work_group_size: 1
    .uses_dynamic_stack: false
    .vgpr_count:     69
    .vgpr_spill_count: 0
    .wavefront_size: 32
    .workgroup_processor_mode: 1
  - .args:
      - .offset:         0
        .size:           4
        .value_kind:     by_value
      - .offset:         4
        .size:           4
        .value_kind:     by_value
      - .address_space:  global
        .offset:         8
        .size:           8
        .value_kind:     global_buffer
      - .address_space:  global
        .offset:         16
        .size:           8
        .value_kind:     global_buffer
      - .offset:         24
        .size:           4
        .value_kind:     by_value
      - .offset:         32
        .size:           8
        .value_kind:     by_value
      - .address_space:  global
        .offset:         40
        .size:           8
        .value_kind:     global_buffer
      - .offset:         48
        .size:           4
        .value_kind:     by_value
      - .offset:         56
        .size:           8
        .value_kind:     by_value
      - .address_space:  global
        .offset:         64
        .size:           8
        .value_kind:     global_buffer
      - .address_space:  global
        .offset:         72
        .size:           8
        .value_kind:     global_buffer
      - .offset:         80
        .size:           4
        .value_kind:     by_value
      - .offset:         88
        .size:           8
        .value_kind:     by_value
      - .offset:         96
        .size:           4
        .value_kind:     by_value
    .group_segment_fixed_size: 4096
    .kernarg_segment_align: 8
    .kernarg_segment_size: 100
    .language:       OpenCL C
    .language_version:
      - 2
      - 0
    .max_flat_workgroup_size: 256
    .name:           _ZL29rocblas_internal_gemmt_kernelIiLi16ELi32ELi8ELc67ELc78ELc76ELb1ELb0E19rocblas_complex_numIfEPKS1_S3_PS1_EviT_T9_T10_S5_lS7_S5_lS6_T11_S5_li
    .private_segment_fixed_size: 0
    .sgpr_count:     38
    .sgpr_spill_count: 0
    .symbol:         _ZL29rocblas_internal_gemmt_kernelIiLi16ELi32ELi8ELc67ELc78ELc76ELb1ELb0E19rocblas_complex_numIfEPKS1_S3_PS1_EviT_T9_T10_S5_lS7_S5_lS6_T11_S5_li.kd
    .uniform_work_group_size: 1
    .uses_dynamic_stack: false
    .vgpr_count:     69
    .vgpr_spill_count: 0
    .wavefront_size: 32
    .workgroup_processor_mode: 1
  - .args:
      - .offset:         0
        .size:           4
        .value_kind:     by_value
      - .offset:         4
        .size:           4
        .value_kind:     by_value
      - .address_space:  global
        .offset:         8
        .size:           8
        .value_kind:     global_buffer
      - .address_space:  global
        .offset:         16
        .size:           8
        .value_kind:     global_buffer
      - .offset:         24
        .size:           4
        .value_kind:     by_value
      - .offset:         32
        .size:           8
        .value_kind:     by_value
      - .address_space:  global
        .offset:         40
        .size:           8
        .value_kind:     global_buffer
      - .offset:         48
        .size:           4
        .value_kind:     by_value
      - .offset:         56
        .size:           8
        .value_kind:     by_value
      - .address_space:  global
        .offset:         64
        .size:           8
        .value_kind:     global_buffer
      - .address_space:  global
        .offset:         72
        .size:           8
        .value_kind:     global_buffer
      - .offset:         80
        .size:           4
        .value_kind:     by_value
      - .offset:         88
        .size:           8
        .value_kind:     by_value
      - .offset:         96
        .size:           4
        .value_kind:     by_value
    .group_segment_fixed_size: 4096
    .kernarg_segment_align: 8
    .kernarg_segment_size: 100
    .language:       OpenCL C
    .language_version:
      - 2
      - 0
    .max_flat_workgroup_size: 256
    .name:           _ZL29rocblas_internal_gemmt_kernelIiLi16ELi32ELi8ELc67ELc84ELc76ELb1ELb0E19rocblas_complex_numIfEPKS1_S3_PS1_EviT_T9_T10_S5_lS7_S5_lS6_T11_S5_li
    .private_segment_fixed_size: 0
    .sgpr_count:     39
    .sgpr_spill_count: 0
    .symbol:         _ZL29rocblas_internal_gemmt_kernelIiLi16ELi32ELi8ELc67ELc84ELc76ELb1ELb0E19rocblas_complex_numIfEPKS1_S3_PS1_EviT_T9_T10_S5_lS7_S5_lS6_T11_S5_li.kd
    .uniform_work_group_size: 1
    .uses_dynamic_stack: false
    .vgpr_count:     69
    .vgpr_spill_count: 0
    .wavefront_size: 32
    .workgroup_processor_mode: 1
  - .args:
      - .offset:         0
        .size:           4
        .value_kind:     by_value
      - .offset:         4
        .size:           4
        .value_kind:     by_value
      - .address_space:  global
        .offset:         8
        .size:           8
        .value_kind:     global_buffer
      - .address_space:  global
        .offset:         16
        .size:           8
        .value_kind:     global_buffer
      - .offset:         24
        .size:           4
        .value_kind:     by_value
      - .offset:         32
        .size:           8
        .value_kind:     by_value
      - .address_space:  global
        .offset:         40
        .size:           8
        .value_kind:     global_buffer
      - .offset:         48
        .size:           4
        .value_kind:     by_value
      - .offset:         56
        .size:           8
        .value_kind:     by_value
      - .address_space:  global
        .offset:         64
        .size:           8
        .value_kind:     global_buffer
      - .address_space:  global
        .offset:         72
        .size:           8
        .value_kind:     global_buffer
      - .offset:         80
        .size:           4
        .value_kind:     by_value
      - .offset:         88
        .size:           8
        .value_kind:     by_value
      - .offset:         96
        .size:           4
        .value_kind:     by_value
    .group_segment_fixed_size: 4096
    .kernarg_segment_align: 8
    .kernarg_segment_size: 100
    .language:       OpenCL C
    .language_version:
      - 2
      - 0
    .max_flat_workgroup_size: 256
    .name:           _ZL29rocblas_internal_gemmt_kernelIiLi16ELi32ELi8ELc67ELc67ELc76ELb1ELb1E19rocblas_complex_numIfEPKS1_S3_PS1_EviT_T9_T10_S5_lS7_S5_lS6_T11_S5_li
    .private_segment_fixed_size: 0
    .sgpr_count:     39
    .sgpr_spill_count: 0
    .symbol:         _ZL29rocblas_internal_gemmt_kernelIiLi16ELi32ELi8ELc67ELc67ELc76ELb1ELb1E19rocblas_complex_numIfEPKS1_S3_PS1_EviT_T9_T10_S5_lS7_S5_lS6_T11_S5_li.kd
    .uniform_work_group_size: 1
    .uses_dynamic_stack: false
    .vgpr_count:     69
    .vgpr_spill_count: 0
    .wavefront_size: 32
    .workgroup_processor_mode: 1
  - .args:
      - .offset:         0
        .size:           4
        .value_kind:     by_value
      - .offset:         4
        .size:           4
        .value_kind:     by_value
      - .offset:         8
        .size:           8
        .value_kind:     by_value
      - .address_space:  global
        .offset:         16
        .size:           8
        .value_kind:     global_buffer
      - .offset:         24
        .size:           4
        .value_kind:     by_value
      - .offset:         32
        .size:           8
        .value_kind:     by_value
      - .address_space:  global
        .offset:         40
        .size:           8
        .value_kind:     global_buffer
      - .offset:         48
        .size:           4
        .value_kind:     by_value
      - .offset:         56
        .size:           8
        .value_kind:     by_value
      - .offset:         64
        .size:           8
        .value_kind:     by_value
      - .address_space:  global
        .offset:         72
        .size:           8
        .value_kind:     global_buffer
      - .offset:         80
        .size:           4
        .value_kind:     by_value
      - .offset:         88
        .size:           8
        .value_kind:     by_value
      - .offset:         96
        .size:           4
        .value_kind:     by_value
    .group_segment_fixed_size: 4096
    .kernarg_segment_align: 8
    .kernarg_segment_size: 100
    .language:       OpenCL C
    .language_version:
      - 2
      - 0
    .max_flat_workgroup_size: 256
    .name:           _ZL29rocblas_internal_gemmt_kernelIiLi16ELi32ELi8ELc78ELc78ELc85ELb0ELb0E19rocblas_complex_numIfES1_PKS1_PS1_EviT_T9_T10_S5_lS7_S5_lS6_T11_S5_li
    .private_segment_fixed_size: 0
    .sgpr_count:     38
    .sgpr_spill_count: 0
    .symbol:         _ZL29rocblas_internal_gemmt_kernelIiLi16ELi32ELi8ELc78ELc78ELc85ELb0ELb0E19rocblas_complex_numIfES1_PKS1_PS1_EviT_T9_T10_S5_lS7_S5_lS6_T11_S5_li.kd
    .uniform_work_group_size: 1
    .uses_dynamic_stack: false
    .vgpr_count:     69
    .vgpr_spill_count: 0
    .wavefront_size: 32
    .workgroup_processor_mode: 1
  - .args:
      - .offset:         0
        .size:           4
        .value_kind:     by_value
      - .offset:         4
        .size:           4
        .value_kind:     by_value
      - .offset:         8
        .size:           8
        .value_kind:     by_value
      - .address_space:  global
        .offset:         16
        .size:           8
        .value_kind:     global_buffer
      - .offset:         24
        .size:           4
        .value_kind:     by_value
      - .offset:         32
        .size:           8
        .value_kind:     by_value
      - .address_space:  global
        .offset:         40
        .size:           8
        .value_kind:     global_buffer
      - .offset:         48
        .size:           4
        .value_kind:     by_value
      - .offset:         56
        .size:           8
        .value_kind:     by_value
      - .offset:         64
        .size:           8
        .value_kind:     by_value
      - .address_space:  global
        .offset:         72
        .size:           8
        .value_kind:     global_buffer
      - .offset:         80
        .size:           4
        .value_kind:     by_value
      - .offset:         88
        .size:           8
        .value_kind:     by_value
      - .offset:         96
        .size:           4
        .value_kind:     by_value
    .group_segment_fixed_size: 4096
    .kernarg_segment_align: 8
    .kernarg_segment_size: 100
    .language:       OpenCL C
    .language_version:
      - 2
      - 0
    .max_flat_workgroup_size: 256
    .name:           _ZL29rocblas_internal_gemmt_kernelIiLi16ELi32ELi8ELc78ELc84ELc85ELb0ELb0E19rocblas_complex_numIfES1_PKS1_PS1_EviT_T9_T10_S5_lS7_S5_lS6_T11_S5_li
    .private_segment_fixed_size: 0
    .sgpr_count:     40
    .sgpr_spill_count: 0
    .symbol:         _ZL29rocblas_internal_gemmt_kernelIiLi16ELi32ELi8ELc78ELc84ELc85ELb0ELb0E19rocblas_complex_numIfES1_PKS1_PS1_EviT_T9_T10_S5_lS7_S5_lS6_T11_S5_li.kd
    .uniform_work_group_size: 1
    .uses_dynamic_stack: false
    .vgpr_count:     69
    .vgpr_spill_count: 0
    .wavefront_size: 32
    .workgroup_processor_mode: 1
  - .args:
      - .offset:         0
        .size:           4
        .value_kind:     by_value
      - .offset:         4
        .size:           4
        .value_kind:     by_value
      - .offset:         8
        .size:           8
        .value_kind:     by_value
      - .address_space:  global
        .offset:         16
        .size:           8
        .value_kind:     global_buffer
      - .offset:         24
        .size:           4
        .value_kind:     by_value
      - .offset:         32
        .size:           8
        .value_kind:     by_value
      - .address_space:  global
        .offset:         40
        .size:           8
        .value_kind:     global_buffer
      - .offset:         48
        .size:           4
        .value_kind:     by_value
      - .offset:         56
        .size:           8
        .value_kind:     by_value
      - .offset:         64
        .size:           8
        .value_kind:     by_value
      - .address_space:  global
        .offset:         72
        .size:           8
        .value_kind:     global_buffer
      - .offset:         80
        .size:           4
        .value_kind:     by_value
      - .offset:         88
        .size:           8
        .value_kind:     by_value
      - .offset:         96
        .size:           4
        .value_kind:     by_value
    .group_segment_fixed_size: 4096
    .kernarg_segment_align: 8
    .kernarg_segment_size: 100
    .language:       OpenCL C
    .language_version:
      - 2
      - 0
    .max_flat_workgroup_size: 256
    .name:           _ZL29rocblas_internal_gemmt_kernelIiLi16ELi32ELi8ELc78ELc67ELc85ELb0ELb1E19rocblas_complex_numIfES1_PKS1_PS1_EviT_T9_T10_S5_lS7_S5_lS6_T11_S5_li
    .private_segment_fixed_size: 0
    .sgpr_count:     40
    .sgpr_spill_count: 0
    .symbol:         _ZL29rocblas_internal_gemmt_kernelIiLi16ELi32ELi8ELc78ELc67ELc85ELb0ELb1E19rocblas_complex_numIfES1_PKS1_PS1_EviT_T9_T10_S5_lS7_S5_lS6_T11_S5_li.kd
    .uniform_work_group_size: 1
    .uses_dynamic_stack: false
    .vgpr_count:     69
    .vgpr_spill_count: 0
    .wavefront_size: 32
    .workgroup_processor_mode: 1
  - .args:
      - .offset:         0
        .size:           4
        .value_kind:     by_value
      - .offset:         4
        .size:           4
        .value_kind:     by_value
      - .offset:         8
        .size:           8
        .value_kind:     by_value
      - .address_space:  global
        .offset:         16
        .size:           8
        .value_kind:     global_buffer
      - .offset:         24
        .size:           4
        .value_kind:     by_value
      - .offset:         32
        .size:           8
        .value_kind:     by_value
      - .address_space:  global
        .offset:         40
        .size:           8
        .value_kind:     global_buffer
      - .offset:         48
        .size:           4
        .value_kind:     by_value
      - .offset:         56
        .size:           8
        .value_kind:     by_value
      - .offset:         64
        .size:           8
        .value_kind:     by_value
      - .address_space:  global
        .offset:         72
        .size:           8
        .value_kind:     global_buffer
      - .offset:         80
        .size:           4
        .value_kind:     by_value
      - .offset:         88
        .size:           8
        .value_kind:     by_value
      - .offset:         96
        .size:           4
        .value_kind:     by_value
    .group_segment_fixed_size: 4096
    .kernarg_segment_align: 8
    .kernarg_segment_size: 100
    .language:       OpenCL C
    .language_version:
      - 2
      - 0
    .max_flat_workgroup_size: 256
    .name:           _ZL29rocblas_internal_gemmt_kernelIiLi16ELi32ELi8ELc84ELc78ELc85ELb0ELb0E19rocblas_complex_numIfES1_PKS1_PS1_EviT_T9_T10_S5_lS7_S5_lS6_T11_S5_li
    .private_segment_fixed_size: 0
    .sgpr_count:     36
    .sgpr_spill_count: 0
    .symbol:         _ZL29rocblas_internal_gemmt_kernelIiLi16ELi32ELi8ELc84ELc78ELc85ELb0ELb0E19rocblas_complex_numIfES1_PKS1_PS1_EviT_T9_T10_S5_lS7_S5_lS6_T11_S5_li.kd
    .uniform_work_group_size: 1
    .uses_dynamic_stack: false
    .vgpr_count:     69
    .vgpr_spill_count: 0
    .wavefront_size: 32
    .workgroup_processor_mode: 1
  - .args:
      - .offset:         0
        .size:           4
        .value_kind:     by_value
      - .offset:         4
        .size:           4
        .value_kind:     by_value
      - .offset:         8
        .size:           8
        .value_kind:     by_value
      - .address_space:  global
        .offset:         16
        .size:           8
        .value_kind:     global_buffer
      - .offset:         24
        .size:           4
        .value_kind:     by_value
      - .offset:         32
        .size:           8
        .value_kind:     by_value
      - .address_space:  global
        .offset:         40
        .size:           8
        .value_kind:     global_buffer
      - .offset:         48
        .size:           4
        .value_kind:     by_value
      - .offset:         56
        .size:           8
        .value_kind:     by_value
      - .offset:         64
        .size:           8
        .value_kind:     by_value
      - .address_space:  global
        .offset:         72
        .size:           8
        .value_kind:     global_buffer
      - .offset:         80
        .size:           4
        .value_kind:     by_value
      - .offset:         88
        .size:           8
        .value_kind:     by_value
      - .offset:         96
        .size:           4
        .value_kind:     by_value
    .group_segment_fixed_size: 4096
    .kernarg_segment_align: 8
    .kernarg_segment_size: 100
    .language:       OpenCL C
    .language_version:
      - 2
      - 0
    .max_flat_workgroup_size: 256
    .name:           _ZL29rocblas_internal_gemmt_kernelIiLi16ELi32ELi8ELc84ELc84ELc85ELb0ELb0E19rocblas_complex_numIfES1_PKS1_PS1_EviT_T9_T10_S5_lS7_S5_lS6_T11_S5_li
    .private_segment_fixed_size: 0
    .sgpr_count:     37
    .sgpr_spill_count: 0
    .symbol:         _ZL29rocblas_internal_gemmt_kernelIiLi16ELi32ELi8ELc84ELc84ELc85ELb0ELb0E19rocblas_complex_numIfES1_PKS1_PS1_EviT_T9_T10_S5_lS7_S5_lS6_T11_S5_li.kd
    .uniform_work_group_size: 1
    .uses_dynamic_stack: false
    .vgpr_count:     69
    .vgpr_spill_count: 0
    .wavefront_size: 32
    .workgroup_processor_mode: 1
  - .args:
      - .offset:         0
        .size:           4
        .value_kind:     by_value
      - .offset:         4
        .size:           4
        .value_kind:     by_value
      - .offset:         8
        .size:           8
        .value_kind:     by_value
      - .address_space:  global
        .offset:         16
        .size:           8
        .value_kind:     global_buffer
      - .offset:         24
        .size:           4
        .value_kind:     by_value
      - .offset:         32
        .size:           8
        .value_kind:     by_value
      - .address_space:  global
        .offset:         40
        .size:           8
        .value_kind:     global_buffer
      - .offset:         48
        .size:           4
        .value_kind:     by_value
      - .offset:         56
        .size:           8
        .value_kind:     by_value
      - .offset:         64
        .size:           8
        .value_kind:     by_value
      - .address_space:  global
        .offset:         72
        .size:           8
        .value_kind:     global_buffer
      - .offset:         80
        .size:           4
        .value_kind:     by_value
      - .offset:         88
        .size:           8
        .value_kind:     by_value
      - .offset:         96
        .size:           4
        .value_kind:     by_value
    .group_segment_fixed_size: 4096
    .kernarg_segment_align: 8
    .kernarg_segment_size: 100
    .language:       OpenCL C
    .language_version:
      - 2
      - 0
    .max_flat_workgroup_size: 256
    .name:           _ZL29rocblas_internal_gemmt_kernelIiLi16ELi32ELi8ELc84ELc67ELc85ELb0ELb1E19rocblas_complex_numIfES1_PKS1_PS1_EviT_T9_T10_S5_lS7_S5_lS6_T11_S5_li
    .private_segment_fixed_size: 0
    .sgpr_count:     38
    .sgpr_spill_count: 0
    .symbol:         _ZL29rocblas_internal_gemmt_kernelIiLi16ELi32ELi8ELc84ELc67ELc85ELb0ELb1E19rocblas_complex_numIfES1_PKS1_PS1_EviT_T9_T10_S5_lS7_S5_lS6_T11_S5_li.kd
    .uniform_work_group_size: 1
    .uses_dynamic_stack: false
    .vgpr_count:     69
    .vgpr_spill_count: 0
    .wavefront_size: 32
    .workgroup_processor_mode: 1
  - .args:
      - .offset:         0
        .size:           4
        .value_kind:     by_value
      - .offset:         4
        .size:           4
        .value_kind:     by_value
      - .offset:         8
        .size:           8
        .value_kind:     by_value
      - .address_space:  global
        .offset:         16
        .size:           8
        .value_kind:     global_buffer
      - .offset:         24
        .size:           4
        .value_kind:     by_value
      - .offset:         32
        .size:           8
        .value_kind:     by_value
      - .address_space:  global
        .offset:         40
        .size:           8
        .value_kind:     global_buffer
      - .offset:         48
        .size:           4
        .value_kind:     by_value
      - .offset:         56
        .size:           8
        .value_kind:     by_value
      - .offset:         64
        .size:           8
        .value_kind:     by_value
      - .address_space:  global
        .offset:         72
        .size:           8
        .value_kind:     global_buffer
      - .offset:         80
        .size:           4
        .value_kind:     by_value
      - .offset:         88
        .size:           8
        .value_kind:     by_value
      - .offset:         96
        .size:           4
        .value_kind:     by_value
    .group_segment_fixed_size: 4096
    .kernarg_segment_align: 8
    .kernarg_segment_size: 100
    .language:       OpenCL C
    .language_version:
      - 2
      - 0
    .max_flat_workgroup_size: 256
    .name:           _ZL29rocblas_internal_gemmt_kernelIiLi16ELi32ELi8ELc67ELc78ELc85ELb1ELb0E19rocblas_complex_numIfES1_PKS1_PS1_EviT_T9_T10_S5_lS7_S5_lS6_T11_S5_li
    .private_segment_fixed_size: 0
    .sgpr_count:     37
    .sgpr_spill_count: 0
    .symbol:         _ZL29rocblas_internal_gemmt_kernelIiLi16ELi32ELi8ELc67ELc78ELc85ELb1ELb0E19rocblas_complex_numIfES1_PKS1_PS1_EviT_T9_T10_S5_lS7_S5_lS6_T11_S5_li.kd
    .uniform_work_group_size: 1
    .uses_dynamic_stack: false
    .vgpr_count:     69
    .vgpr_spill_count: 0
    .wavefront_size: 32
    .workgroup_processor_mode: 1
  - .args:
      - .offset:         0
        .size:           4
        .value_kind:     by_value
      - .offset:         4
        .size:           4
        .value_kind:     by_value
      - .offset:         8
        .size:           8
        .value_kind:     by_value
      - .address_space:  global
        .offset:         16
        .size:           8
        .value_kind:     global_buffer
      - .offset:         24
        .size:           4
        .value_kind:     by_value
      - .offset:         32
        .size:           8
        .value_kind:     by_value
      - .address_space:  global
        .offset:         40
        .size:           8
        .value_kind:     global_buffer
      - .offset:         48
        .size:           4
        .value_kind:     by_value
      - .offset:         56
        .size:           8
        .value_kind:     by_value
      - .offset:         64
        .size:           8
        .value_kind:     by_value
      - .address_space:  global
        .offset:         72
        .size:           8
        .value_kind:     global_buffer
      - .offset:         80
        .size:           4
        .value_kind:     by_value
      - .offset:         88
        .size:           8
        .value_kind:     by_value
      - .offset:         96
        .size:           4
        .value_kind:     by_value
    .group_segment_fixed_size: 4096
    .kernarg_segment_align: 8
    .kernarg_segment_size: 100
    .language:       OpenCL C
    .language_version:
      - 2
      - 0
    .max_flat_workgroup_size: 256
    .name:           _ZL29rocblas_internal_gemmt_kernelIiLi16ELi32ELi8ELc67ELc84ELc85ELb1ELb0E19rocblas_complex_numIfES1_PKS1_PS1_EviT_T9_T10_S5_lS7_S5_lS6_T11_S5_li
    .private_segment_fixed_size: 0
    .sgpr_count:     38
    .sgpr_spill_count: 0
    .symbol:         _ZL29rocblas_internal_gemmt_kernelIiLi16ELi32ELi8ELc67ELc84ELc85ELb1ELb0E19rocblas_complex_numIfES1_PKS1_PS1_EviT_T9_T10_S5_lS7_S5_lS6_T11_S5_li.kd
    .uniform_work_group_size: 1
    .uses_dynamic_stack: false
    .vgpr_count:     69
    .vgpr_spill_count: 0
    .wavefront_size: 32
    .workgroup_processor_mode: 1
  - .args:
      - .offset:         0
        .size:           4
        .value_kind:     by_value
      - .offset:         4
        .size:           4
        .value_kind:     by_value
      - .offset:         8
        .size:           8
        .value_kind:     by_value
      - .address_space:  global
        .offset:         16
        .size:           8
        .value_kind:     global_buffer
      - .offset:         24
        .size:           4
        .value_kind:     by_value
      - .offset:         32
        .size:           8
        .value_kind:     by_value
      - .address_space:  global
        .offset:         40
        .size:           8
        .value_kind:     global_buffer
      - .offset:         48
        .size:           4
        .value_kind:     by_value
      - .offset:         56
        .size:           8
        .value_kind:     by_value
      - .offset:         64
        .size:           8
        .value_kind:     by_value
      - .address_space:  global
        .offset:         72
        .size:           8
        .value_kind:     global_buffer
      - .offset:         80
        .size:           4
        .value_kind:     by_value
      - .offset:         88
        .size:           8
        .value_kind:     by_value
      - .offset:         96
        .size:           4
        .value_kind:     by_value
    .group_segment_fixed_size: 4096
    .kernarg_segment_align: 8
    .kernarg_segment_size: 100
    .language:       OpenCL C
    .language_version:
      - 2
      - 0
    .max_flat_workgroup_size: 256
    .name:           _ZL29rocblas_internal_gemmt_kernelIiLi16ELi32ELi8ELc67ELc67ELc85ELb1ELb1E19rocblas_complex_numIfES1_PKS1_PS1_EviT_T9_T10_S5_lS7_S5_lS6_T11_S5_li
    .private_segment_fixed_size: 0
    .sgpr_count:     38
    .sgpr_spill_count: 0
    .symbol:         _ZL29rocblas_internal_gemmt_kernelIiLi16ELi32ELi8ELc67ELc67ELc85ELb1ELb1E19rocblas_complex_numIfES1_PKS1_PS1_EviT_T9_T10_S5_lS7_S5_lS6_T11_S5_li.kd
    .uniform_work_group_size: 1
    .uses_dynamic_stack: false
    .vgpr_count:     69
    .vgpr_spill_count: 0
    .wavefront_size: 32
    .workgroup_processor_mode: 1
  - .args:
      - .offset:         0
        .size:           4
        .value_kind:     by_value
      - .offset:         4
        .size:           4
        .value_kind:     by_value
      - .offset:         8
        .size:           8
        .value_kind:     by_value
      - .address_space:  global
        .offset:         16
        .size:           8
        .value_kind:     global_buffer
      - .offset:         24
        .size:           4
        .value_kind:     by_value
      - .offset:         32
        .size:           8
        .value_kind:     by_value
      - .address_space:  global
        .offset:         40
        .size:           8
        .value_kind:     global_buffer
      - .offset:         48
        .size:           4
        .value_kind:     by_value
      - .offset:         56
        .size:           8
        .value_kind:     by_value
      - .offset:         64
        .size:           8
        .value_kind:     by_value
      - .address_space:  global
        .offset:         72
        .size:           8
        .value_kind:     global_buffer
      - .offset:         80
        .size:           4
        .value_kind:     by_value
      - .offset:         88
        .size:           8
        .value_kind:     by_value
      - .offset:         96
        .size:           4
        .value_kind:     by_value
    .group_segment_fixed_size: 4096
    .kernarg_segment_align: 8
    .kernarg_segment_size: 100
    .language:       OpenCL C
    .language_version:
      - 2
      - 0
    .max_flat_workgroup_size: 256
    .name:           _ZL29rocblas_internal_gemmt_kernelIiLi16ELi32ELi8ELc78ELc78ELc76ELb0ELb0E19rocblas_complex_numIfES1_PKS1_PS1_EviT_T9_T10_S5_lS7_S5_lS6_T11_S5_li
    .private_segment_fixed_size: 0
    .sgpr_count:     38
    .sgpr_spill_count: 0
    .symbol:         _ZL29rocblas_internal_gemmt_kernelIiLi16ELi32ELi8ELc78ELc78ELc76ELb0ELb0E19rocblas_complex_numIfES1_PKS1_PS1_EviT_T9_T10_S5_lS7_S5_lS6_T11_S5_li.kd
    .uniform_work_group_size: 1
    .uses_dynamic_stack: false
    .vgpr_count:     69
    .vgpr_spill_count: 0
    .wavefront_size: 32
    .workgroup_processor_mode: 1
  - .args:
      - .offset:         0
        .size:           4
        .value_kind:     by_value
      - .offset:         4
        .size:           4
        .value_kind:     by_value
      - .offset:         8
        .size:           8
        .value_kind:     by_value
      - .address_space:  global
        .offset:         16
        .size:           8
        .value_kind:     global_buffer
      - .offset:         24
        .size:           4
        .value_kind:     by_value
      - .offset:         32
        .size:           8
        .value_kind:     by_value
      - .address_space:  global
        .offset:         40
        .size:           8
        .value_kind:     global_buffer
      - .offset:         48
        .size:           4
        .value_kind:     by_value
      - .offset:         56
        .size:           8
        .value_kind:     by_value
      - .offset:         64
        .size:           8
        .value_kind:     by_value
      - .address_space:  global
        .offset:         72
        .size:           8
        .value_kind:     global_buffer
      - .offset:         80
        .size:           4
        .value_kind:     by_value
      - .offset:         88
        .size:           8
        .value_kind:     by_value
      - .offset:         96
        .size:           4
        .value_kind:     by_value
    .group_segment_fixed_size: 4096
    .kernarg_segment_align: 8
    .kernarg_segment_size: 100
    .language:       OpenCL C
    .language_version:
      - 2
      - 0
    .max_flat_workgroup_size: 256
    .name:           _ZL29rocblas_internal_gemmt_kernelIiLi16ELi32ELi8ELc78ELc84ELc76ELb0ELb0E19rocblas_complex_numIfES1_PKS1_PS1_EviT_T9_T10_S5_lS7_S5_lS6_T11_S5_li
    .private_segment_fixed_size: 0
    .sgpr_count:     40
    .sgpr_spill_count: 0
    .symbol:         _ZL29rocblas_internal_gemmt_kernelIiLi16ELi32ELi8ELc78ELc84ELc76ELb0ELb0E19rocblas_complex_numIfES1_PKS1_PS1_EviT_T9_T10_S5_lS7_S5_lS6_T11_S5_li.kd
    .uniform_work_group_size: 1
    .uses_dynamic_stack: false
    .vgpr_count:     69
    .vgpr_spill_count: 0
    .wavefront_size: 32
    .workgroup_processor_mode: 1
  - .args:
      - .offset:         0
        .size:           4
        .value_kind:     by_value
      - .offset:         4
        .size:           4
        .value_kind:     by_value
      - .offset:         8
        .size:           8
        .value_kind:     by_value
      - .address_space:  global
        .offset:         16
        .size:           8
        .value_kind:     global_buffer
      - .offset:         24
        .size:           4
        .value_kind:     by_value
      - .offset:         32
        .size:           8
        .value_kind:     by_value
      - .address_space:  global
        .offset:         40
        .size:           8
        .value_kind:     global_buffer
      - .offset:         48
        .size:           4
        .value_kind:     by_value
      - .offset:         56
        .size:           8
        .value_kind:     by_value
      - .offset:         64
        .size:           8
        .value_kind:     by_value
      - .address_space:  global
        .offset:         72
        .size:           8
        .value_kind:     global_buffer
      - .offset:         80
        .size:           4
        .value_kind:     by_value
      - .offset:         88
        .size:           8
        .value_kind:     by_value
      - .offset:         96
        .size:           4
        .value_kind:     by_value
    .group_segment_fixed_size: 4096
    .kernarg_segment_align: 8
    .kernarg_segment_size: 100
    .language:       OpenCL C
    .language_version:
      - 2
      - 0
    .max_flat_workgroup_size: 256
    .name:           _ZL29rocblas_internal_gemmt_kernelIiLi16ELi32ELi8ELc78ELc67ELc76ELb0ELb1E19rocblas_complex_numIfES1_PKS1_PS1_EviT_T9_T10_S5_lS7_S5_lS6_T11_S5_li
    .private_segment_fixed_size: 0
    .sgpr_count:     40
    .sgpr_spill_count: 0
    .symbol:         _ZL29rocblas_internal_gemmt_kernelIiLi16ELi32ELi8ELc78ELc67ELc76ELb0ELb1E19rocblas_complex_numIfES1_PKS1_PS1_EviT_T9_T10_S5_lS7_S5_lS6_T11_S5_li.kd
    .uniform_work_group_size: 1
    .uses_dynamic_stack: false
    .vgpr_count:     69
    .vgpr_spill_count: 0
    .wavefront_size: 32
    .workgroup_processor_mode: 1
  - .args:
      - .offset:         0
        .size:           4
        .value_kind:     by_value
      - .offset:         4
        .size:           4
        .value_kind:     by_value
      - .offset:         8
        .size:           8
        .value_kind:     by_value
      - .address_space:  global
        .offset:         16
        .size:           8
        .value_kind:     global_buffer
      - .offset:         24
        .size:           4
        .value_kind:     by_value
      - .offset:         32
        .size:           8
        .value_kind:     by_value
      - .address_space:  global
        .offset:         40
        .size:           8
        .value_kind:     global_buffer
      - .offset:         48
        .size:           4
        .value_kind:     by_value
      - .offset:         56
        .size:           8
        .value_kind:     by_value
      - .offset:         64
        .size:           8
        .value_kind:     by_value
      - .address_space:  global
        .offset:         72
        .size:           8
        .value_kind:     global_buffer
      - .offset:         80
        .size:           4
        .value_kind:     by_value
      - .offset:         88
        .size:           8
        .value_kind:     by_value
      - .offset:         96
        .size:           4
        .value_kind:     by_value
    .group_segment_fixed_size: 4096
    .kernarg_segment_align: 8
    .kernarg_segment_size: 100
    .language:       OpenCL C
    .language_version:
      - 2
      - 0
    .max_flat_workgroup_size: 256
    .name:           _ZL29rocblas_internal_gemmt_kernelIiLi16ELi32ELi8ELc84ELc78ELc76ELb0ELb0E19rocblas_complex_numIfES1_PKS1_PS1_EviT_T9_T10_S5_lS7_S5_lS6_T11_S5_li
    .private_segment_fixed_size: 0
    .sgpr_count:     36
    .sgpr_spill_count: 0
    .symbol:         _ZL29rocblas_internal_gemmt_kernelIiLi16ELi32ELi8ELc84ELc78ELc76ELb0ELb0E19rocblas_complex_numIfES1_PKS1_PS1_EviT_T9_T10_S5_lS7_S5_lS6_T11_S5_li.kd
    .uniform_work_group_size: 1
    .uses_dynamic_stack: false
    .vgpr_count:     69
    .vgpr_spill_count: 0
    .wavefront_size: 32
    .workgroup_processor_mode: 1
  - .args:
      - .offset:         0
        .size:           4
        .value_kind:     by_value
      - .offset:         4
        .size:           4
        .value_kind:     by_value
      - .offset:         8
        .size:           8
        .value_kind:     by_value
      - .address_space:  global
        .offset:         16
        .size:           8
        .value_kind:     global_buffer
      - .offset:         24
        .size:           4
        .value_kind:     by_value
      - .offset:         32
        .size:           8
        .value_kind:     by_value
      - .address_space:  global
        .offset:         40
        .size:           8
        .value_kind:     global_buffer
      - .offset:         48
        .size:           4
        .value_kind:     by_value
      - .offset:         56
        .size:           8
        .value_kind:     by_value
      - .offset:         64
        .size:           8
        .value_kind:     by_value
      - .address_space:  global
        .offset:         72
        .size:           8
        .value_kind:     global_buffer
      - .offset:         80
        .size:           4
        .value_kind:     by_value
      - .offset:         88
        .size:           8
        .value_kind:     by_value
      - .offset:         96
        .size:           4
        .value_kind:     by_value
    .group_segment_fixed_size: 4096
    .kernarg_segment_align: 8
    .kernarg_segment_size: 100
    .language:       OpenCL C
    .language_version:
      - 2
      - 0
    .max_flat_workgroup_size: 256
    .name:           _ZL29rocblas_internal_gemmt_kernelIiLi16ELi32ELi8ELc84ELc84ELc76ELb0ELb0E19rocblas_complex_numIfES1_PKS1_PS1_EviT_T9_T10_S5_lS7_S5_lS6_T11_S5_li
    .private_segment_fixed_size: 0
    .sgpr_count:     37
    .sgpr_spill_count: 0
    .symbol:         _ZL29rocblas_internal_gemmt_kernelIiLi16ELi32ELi8ELc84ELc84ELc76ELb0ELb0E19rocblas_complex_numIfES1_PKS1_PS1_EviT_T9_T10_S5_lS7_S5_lS6_T11_S5_li.kd
    .uniform_work_group_size: 1
    .uses_dynamic_stack: false
    .vgpr_count:     69
    .vgpr_spill_count: 0
    .wavefront_size: 32
    .workgroup_processor_mode: 1
  - .args:
      - .offset:         0
        .size:           4
        .value_kind:     by_value
      - .offset:         4
        .size:           4
        .value_kind:     by_value
      - .offset:         8
        .size:           8
        .value_kind:     by_value
      - .address_space:  global
        .offset:         16
        .size:           8
        .value_kind:     global_buffer
      - .offset:         24
        .size:           4
        .value_kind:     by_value
      - .offset:         32
        .size:           8
        .value_kind:     by_value
      - .address_space:  global
        .offset:         40
        .size:           8
        .value_kind:     global_buffer
      - .offset:         48
        .size:           4
        .value_kind:     by_value
      - .offset:         56
        .size:           8
        .value_kind:     by_value
      - .offset:         64
        .size:           8
        .value_kind:     by_value
      - .address_space:  global
        .offset:         72
        .size:           8
        .value_kind:     global_buffer
      - .offset:         80
        .size:           4
        .value_kind:     by_value
      - .offset:         88
        .size:           8
        .value_kind:     by_value
      - .offset:         96
        .size:           4
        .value_kind:     by_value
    .group_segment_fixed_size: 4096
    .kernarg_segment_align: 8
    .kernarg_segment_size: 100
    .language:       OpenCL C
    .language_version:
      - 2
      - 0
    .max_flat_workgroup_size: 256
    .name:           _ZL29rocblas_internal_gemmt_kernelIiLi16ELi32ELi8ELc84ELc67ELc76ELb0ELb1E19rocblas_complex_numIfES1_PKS1_PS1_EviT_T9_T10_S5_lS7_S5_lS6_T11_S5_li
    .private_segment_fixed_size: 0
    .sgpr_count:     38
    .sgpr_spill_count: 0
    .symbol:         _ZL29rocblas_internal_gemmt_kernelIiLi16ELi32ELi8ELc84ELc67ELc76ELb0ELb1E19rocblas_complex_numIfES1_PKS1_PS1_EviT_T9_T10_S5_lS7_S5_lS6_T11_S5_li.kd
    .uniform_work_group_size: 1
    .uses_dynamic_stack: false
    .vgpr_count:     69
    .vgpr_spill_count: 0
    .wavefront_size: 32
    .workgroup_processor_mode: 1
  - .args:
      - .offset:         0
        .size:           4
        .value_kind:     by_value
      - .offset:         4
        .size:           4
        .value_kind:     by_value
      - .offset:         8
        .size:           8
        .value_kind:     by_value
      - .address_space:  global
        .offset:         16
        .size:           8
        .value_kind:     global_buffer
      - .offset:         24
        .size:           4
        .value_kind:     by_value
      - .offset:         32
        .size:           8
        .value_kind:     by_value
      - .address_space:  global
        .offset:         40
        .size:           8
        .value_kind:     global_buffer
      - .offset:         48
        .size:           4
        .value_kind:     by_value
      - .offset:         56
        .size:           8
        .value_kind:     by_value
      - .offset:         64
        .size:           8
        .value_kind:     by_value
      - .address_space:  global
        .offset:         72
        .size:           8
        .value_kind:     global_buffer
      - .offset:         80
        .size:           4
        .value_kind:     by_value
      - .offset:         88
        .size:           8
        .value_kind:     by_value
      - .offset:         96
        .size:           4
        .value_kind:     by_value
    .group_segment_fixed_size: 4096
    .kernarg_segment_align: 8
    .kernarg_segment_size: 100
    .language:       OpenCL C
    .language_version:
      - 2
      - 0
    .max_flat_workgroup_size: 256
    .name:           _ZL29rocblas_internal_gemmt_kernelIiLi16ELi32ELi8ELc67ELc78ELc76ELb1ELb0E19rocblas_complex_numIfES1_PKS1_PS1_EviT_T9_T10_S5_lS7_S5_lS6_T11_S5_li
    .private_segment_fixed_size: 0
    .sgpr_count:     36
    .sgpr_spill_count: 0
    .symbol:         _ZL29rocblas_internal_gemmt_kernelIiLi16ELi32ELi8ELc67ELc78ELc76ELb1ELb0E19rocblas_complex_numIfES1_PKS1_PS1_EviT_T9_T10_S5_lS7_S5_lS6_T11_S5_li.kd
    .uniform_work_group_size: 1
    .uses_dynamic_stack: false
    .vgpr_count:     69
    .vgpr_spill_count: 0
    .wavefront_size: 32
    .workgroup_processor_mode: 1
  - .args:
      - .offset:         0
        .size:           4
        .value_kind:     by_value
      - .offset:         4
        .size:           4
        .value_kind:     by_value
      - .offset:         8
        .size:           8
        .value_kind:     by_value
      - .address_space:  global
        .offset:         16
        .size:           8
        .value_kind:     global_buffer
      - .offset:         24
        .size:           4
        .value_kind:     by_value
      - .offset:         32
        .size:           8
        .value_kind:     by_value
      - .address_space:  global
        .offset:         40
        .size:           8
        .value_kind:     global_buffer
      - .offset:         48
        .size:           4
        .value_kind:     by_value
      - .offset:         56
        .size:           8
        .value_kind:     by_value
      - .offset:         64
        .size:           8
        .value_kind:     by_value
      - .address_space:  global
        .offset:         72
        .size:           8
        .value_kind:     global_buffer
      - .offset:         80
        .size:           4
        .value_kind:     by_value
      - .offset:         88
        .size:           8
        .value_kind:     by_value
      - .offset:         96
        .size:           4
        .value_kind:     by_value
    .group_segment_fixed_size: 4096
    .kernarg_segment_align: 8
    .kernarg_segment_size: 100
    .language:       OpenCL C
    .language_version:
      - 2
      - 0
    .max_flat_workgroup_size: 256
    .name:           _ZL29rocblas_internal_gemmt_kernelIiLi16ELi32ELi8ELc67ELc84ELc76ELb1ELb0E19rocblas_complex_numIfES1_PKS1_PS1_EviT_T9_T10_S5_lS7_S5_lS6_T11_S5_li
    .private_segment_fixed_size: 0
    .sgpr_count:     37
    .sgpr_spill_count: 0
    .symbol:         _ZL29rocblas_internal_gemmt_kernelIiLi16ELi32ELi8ELc67ELc84ELc76ELb1ELb0E19rocblas_complex_numIfES1_PKS1_PS1_EviT_T9_T10_S5_lS7_S5_lS6_T11_S5_li.kd
    .uniform_work_group_size: 1
    .uses_dynamic_stack: false
    .vgpr_count:     69
    .vgpr_spill_count: 0
    .wavefront_size: 32
    .workgroup_processor_mode: 1
  - .args:
      - .offset:         0
        .size:           4
        .value_kind:     by_value
      - .offset:         4
        .size:           4
        .value_kind:     by_value
      - .offset:         8
        .size:           8
        .value_kind:     by_value
      - .address_space:  global
        .offset:         16
        .size:           8
        .value_kind:     global_buffer
      - .offset:         24
        .size:           4
        .value_kind:     by_value
      - .offset:         32
        .size:           8
        .value_kind:     by_value
      - .address_space:  global
        .offset:         40
        .size:           8
        .value_kind:     global_buffer
      - .offset:         48
        .size:           4
        .value_kind:     by_value
      - .offset:         56
        .size:           8
        .value_kind:     by_value
      - .offset:         64
        .size:           8
        .value_kind:     by_value
      - .address_space:  global
        .offset:         72
        .size:           8
        .value_kind:     global_buffer
      - .offset:         80
        .size:           4
        .value_kind:     by_value
      - .offset:         88
        .size:           8
        .value_kind:     by_value
      - .offset:         96
        .size:           4
        .value_kind:     by_value
    .group_segment_fixed_size: 4096
    .kernarg_segment_align: 8
    .kernarg_segment_size: 100
    .language:       OpenCL C
    .language_version:
      - 2
      - 0
    .max_flat_workgroup_size: 256
    .name:           _ZL29rocblas_internal_gemmt_kernelIiLi16ELi32ELi8ELc67ELc67ELc76ELb1ELb1E19rocblas_complex_numIfES1_PKS1_PS1_EviT_T9_T10_S5_lS7_S5_lS6_T11_S5_li
    .private_segment_fixed_size: 0
    .sgpr_count:     38
    .sgpr_spill_count: 0
    .symbol:         _ZL29rocblas_internal_gemmt_kernelIiLi16ELi32ELi8ELc67ELc67ELc76ELb1ELb1E19rocblas_complex_numIfES1_PKS1_PS1_EviT_T9_T10_S5_lS7_S5_lS6_T11_S5_li.kd
    .uniform_work_group_size: 1
    .uses_dynamic_stack: false
    .vgpr_count:     69
    .vgpr_spill_count: 0
    .wavefront_size: 32
    .workgroup_processor_mode: 1
  - .args:
      - .offset:         0
        .size:           4
        .value_kind:     by_value
      - .offset:         4
        .size:           4
        .value_kind:     by_value
      - .address_space:  global
        .offset:         8
        .size:           8
        .value_kind:     global_buffer
      - .address_space:  global
        .offset:         16
        .size:           8
        .value_kind:     global_buffer
      - .offset:         24
        .size:           4
        .value_kind:     by_value
      - .offset:         32
        .size:           8
        .value_kind:     by_value
      - .address_space:  global
        .offset:         40
        .size:           8
        .value_kind:     global_buffer
      - .offset:         48
        .size:           4
        .value_kind:     by_value
      - .offset:         56
        .size:           8
        .value_kind:     by_value
      - .address_space:  global
        .offset:         64
        .size:           8
        .value_kind:     global_buffer
      - .address_space:  global
        .offset:         72
        .size:           8
        .value_kind:     global_buffer
      - .offset:         80
        .size:           4
        .value_kind:     by_value
      - .offset:         88
        .size:           8
        .value_kind:     by_value
      - .offset:         96
        .size:           4
        .value_kind:     by_value
    .group_segment_fixed_size: 8192
    .kernarg_segment_align: 8
    .kernarg_segment_size: 100
    .language:       OpenCL C
    .language_version:
      - 2
      - 0
    .max_flat_workgroup_size: 256
    .name:           _ZL29rocblas_internal_gemmt_kernelIiLi16ELi32ELi8ELc78ELc78ELc85ELb0ELb0E19rocblas_complex_numIdEPKS1_S3_PS1_EviT_T9_T10_S5_lS7_S5_lS6_T11_S5_li
    .private_segment_fixed_size: 0
    .sgpr_count:     41
    .sgpr_spill_count: 0
    .symbol:         _ZL29rocblas_internal_gemmt_kernelIiLi16ELi32ELi8ELc78ELc78ELc85ELb0ELb0E19rocblas_complex_numIdEPKS1_S3_PS1_EviT_T9_T10_S5_lS7_S5_lS6_T11_S5_li.kd
    .uniform_work_group_size: 1
    .uses_dynamic_stack: false
    .vgpr_count:     65
    .vgpr_spill_count: 0
    .wavefront_size: 32
    .workgroup_processor_mode: 1
  - .args:
      - .offset:         0
        .size:           4
        .value_kind:     by_value
      - .offset:         4
        .size:           4
        .value_kind:     by_value
      - .address_space:  global
        .offset:         8
        .size:           8
        .value_kind:     global_buffer
      - .address_space:  global
        .offset:         16
        .size:           8
        .value_kind:     global_buffer
      - .offset:         24
        .size:           4
        .value_kind:     by_value
      - .offset:         32
        .size:           8
        .value_kind:     by_value
      - .address_space:  global
        .offset:         40
        .size:           8
        .value_kind:     global_buffer
      - .offset:         48
        .size:           4
        .value_kind:     by_value
      - .offset:         56
        .size:           8
        .value_kind:     by_value
      - .address_space:  global
        .offset:         64
        .size:           8
        .value_kind:     global_buffer
      - .address_space:  global
        .offset:         72
        .size:           8
        .value_kind:     global_buffer
      - .offset:         80
        .size:           4
        .value_kind:     by_value
      - .offset:         88
        .size:           8
        .value_kind:     by_value
      - .offset:         96
        .size:           4
        .value_kind:     by_value
    .group_segment_fixed_size: 8192
    .kernarg_segment_align: 8
    .kernarg_segment_size: 100
    .language:       OpenCL C
    .language_version:
      - 2
      - 0
    .max_flat_workgroup_size: 256
    .name:           _ZL29rocblas_internal_gemmt_kernelIiLi16ELi32ELi8ELc78ELc84ELc85ELb0ELb0E19rocblas_complex_numIdEPKS1_S3_PS1_EviT_T9_T10_S5_lS7_S5_lS6_T11_S5_li
    .private_segment_fixed_size: 0
    .sgpr_count:     42
    .sgpr_spill_count: 0
    .symbol:         _ZL29rocblas_internal_gemmt_kernelIiLi16ELi32ELi8ELc78ELc84ELc85ELb0ELb0E19rocblas_complex_numIdEPKS1_S3_PS1_EviT_T9_T10_S5_lS7_S5_lS6_T11_S5_li.kd
    .uniform_work_group_size: 1
    .uses_dynamic_stack: false
    .vgpr_count:     65
    .vgpr_spill_count: 0
    .wavefront_size: 32
    .workgroup_processor_mode: 1
  - .args:
      - .offset:         0
        .size:           4
        .value_kind:     by_value
      - .offset:         4
        .size:           4
        .value_kind:     by_value
      - .address_space:  global
        .offset:         8
        .size:           8
        .value_kind:     global_buffer
      - .address_space:  global
        .offset:         16
        .size:           8
        .value_kind:     global_buffer
      - .offset:         24
        .size:           4
        .value_kind:     by_value
      - .offset:         32
        .size:           8
        .value_kind:     by_value
      - .address_space:  global
        .offset:         40
        .size:           8
        .value_kind:     global_buffer
      - .offset:         48
        .size:           4
        .value_kind:     by_value
      - .offset:         56
        .size:           8
        .value_kind:     by_value
      - .address_space:  global
        .offset:         64
        .size:           8
        .value_kind:     global_buffer
      - .address_space:  global
        .offset:         72
        .size:           8
        .value_kind:     global_buffer
      - .offset:         80
        .size:           4
        .value_kind:     by_value
      - .offset:         88
        .size:           8
        .value_kind:     by_value
      - .offset:         96
        .size:           4
        .value_kind:     by_value
    .group_segment_fixed_size: 8192
    .kernarg_segment_align: 8
    .kernarg_segment_size: 100
    .language:       OpenCL C
    .language_version:
      - 2
      - 0
    .max_flat_workgroup_size: 256
    .name:           _ZL29rocblas_internal_gemmt_kernelIiLi16ELi32ELi8ELc78ELc67ELc85ELb0ELb1E19rocblas_complex_numIdEPKS1_S3_PS1_EviT_T9_T10_S5_lS7_S5_lS6_T11_S5_li
    .private_segment_fixed_size: 0
    .sgpr_count:     42
    .sgpr_spill_count: 0
    .symbol:         _ZL29rocblas_internal_gemmt_kernelIiLi16ELi32ELi8ELc78ELc67ELc85ELb0ELb1E19rocblas_complex_numIdEPKS1_S3_PS1_EviT_T9_T10_S5_lS7_S5_lS6_T11_S5_li.kd
    .uniform_work_group_size: 1
    .uses_dynamic_stack: false
    .vgpr_count:     131
    .vgpr_spill_count: 0
    .wavefront_size: 32
    .workgroup_processor_mode: 1
  - .args:
      - .offset:         0
        .size:           4
        .value_kind:     by_value
      - .offset:         4
        .size:           4
        .value_kind:     by_value
      - .address_space:  global
        .offset:         8
        .size:           8
        .value_kind:     global_buffer
      - .address_space:  global
        .offset:         16
        .size:           8
        .value_kind:     global_buffer
      - .offset:         24
        .size:           4
        .value_kind:     by_value
      - .offset:         32
        .size:           8
        .value_kind:     by_value
      - .address_space:  global
        .offset:         40
        .size:           8
        .value_kind:     global_buffer
      - .offset:         48
        .size:           4
        .value_kind:     by_value
      - .offset:         56
        .size:           8
        .value_kind:     by_value
      - .address_space:  global
        .offset:         64
        .size:           8
        .value_kind:     global_buffer
      - .address_space:  global
        .offset:         72
        .size:           8
        .value_kind:     global_buffer
      - .offset:         80
        .size:           4
        .value_kind:     by_value
      - .offset:         88
        .size:           8
        .value_kind:     by_value
      - .offset:         96
        .size:           4
        .value_kind:     by_value
    .group_segment_fixed_size: 8192
    .kernarg_segment_align: 8
    .kernarg_segment_size: 100
    .language:       OpenCL C
    .language_version:
      - 2
      - 0
    .max_flat_workgroup_size: 256
    .name:           _ZL29rocblas_internal_gemmt_kernelIiLi16ELi32ELi8ELc84ELc78ELc85ELb0ELb0E19rocblas_complex_numIdEPKS1_S3_PS1_EviT_T9_T10_S5_lS7_S5_lS6_T11_S5_li
    .private_segment_fixed_size: 0
    .sgpr_count:     41
    .sgpr_spill_count: 0
    .symbol:         _ZL29rocblas_internal_gemmt_kernelIiLi16ELi32ELi8ELc84ELc78ELc85ELb0ELb0E19rocblas_complex_numIdEPKS1_S3_PS1_EviT_T9_T10_S5_lS7_S5_lS6_T11_S5_li.kd
    .uniform_work_group_size: 1
    .uses_dynamic_stack: false
    .vgpr_count:     65
    .vgpr_spill_count: 0
    .wavefront_size: 32
    .workgroup_processor_mode: 1
  - .args:
      - .offset:         0
        .size:           4
        .value_kind:     by_value
      - .offset:         4
        .size:           4
        .value_kind:     by_value
      - .address_space:  global
        .offset:         8
        .size:           8
        .value_kind:     global_buffer
      - .address_space:  global
        .offset:         16
        .size:           8
        .value_kind:     global_buffer
      - .offset:         24
        .size:           4
        .value_kind:     by_value
      - .offset:         32
        .size:           8
        .value_kind:     by_value
      - .address_space:  global
        .offset:         40
        .size:           8
        .value_kind:     global_buffer
      - .offset:         48
        .size:           4
        .value_kind:     by_value
      - .offset:         56
        .size:           8
        .value_kind:     by_value
      - .address_space:  global
        .offset:         64
        .size:           8
        .value_kind:     global_buffer
      - .address_space:  global
        .offset:         72
        .size:           8
        .value_kind:     global_buffer
      - .offset:         80
        .size:           4
        .value_kind:     by_value
      - .offset:         88
        .size:           8
        .value_kind:     by_value
      - .offset:         96
        .size:           4
        .value_kind:     by_value
    .group_segment_fixed_size: 8192
    .kernarg_segment_align: 8
    .kernarg_segment_size: 100
    .language:       OpenCL C
    .language_version:
      - 2
      - 0
    .max_flat_workgroup_size: 256
    .name:           _ZL29rocblas_internal_gemmt_kernelIiLi16ELi32ELi8ELc84ELc84ELc85ELb0ELb0E19rocblas_complex_numIdEPKS1_S3_PS1_EviT_T9_T10_S5_lS7_S5_lS6_T11_S5_li
    .private_segment_fixed_size: 0
    .sgpr_count:     42
    .sgpr_spill_count: 0
    .symbol:         _ZL29rocblas_internal_gemmt_kernelIiLi16ELi32ELi8ELc84ELc84ELc85ELb0ELb0E19rocblas_complex_numIdEPKS1_S3_PS1_EviT_T9_T10_S5_lS7_S5_lS6_T11_S5_li.kd
    .uniform_work_group_size: 1
    .uses_dynamic_stack: false
    .vgpr_count:     65
    .vgpr_spill_count: 0
    .wavefront_size: 32
    .workgroup_processor_mode: 1
  - .args:
      - .offset:         0
        .size:           4
        .value_kind:     by_value
      - .offset:         4
        .size:           4
        .value_kind:     by_value
      - .address_space:  global
        .offset:         8
        .size:           8
        .value_kind:     global_buffer
      - .address_space:  global
        .offset:         16
        .size:           8
        .value_kind:     global_buffer
      - .offset:         24
        .size:           4
        .value_kind:     by_value
      - .offset:         32
        .size:           8
        .value_kind:     by_value
      - .address_space:  global
        .offset:         40
        .size:           8
        .value_kind:     global_buffer
      - .offset:         48
        .size:           4
        .value_kind:     by_value
      - .offset:         56
        .size:           8
        .value_kind:     by_value
      - .address_space:  global
        .offset:         64
        .size:           8
        .value_kind:     global_buffer
      - .address_space:  global
        .offset:         72
        .size:           8
        .value_kind:     global_buffer
      - .offset:         80
        .size:           4
        .value_kind:     by_value
      - .offset:         88
        .size:           8
        .value_kind:     by_value
      - .offset:         96
        .size:           4
        .value_kind:     by_value
    .group_segment_fixed_size: 8192
    .kernarg_segment_align: 8
    .kernarg_segment_size: 100
    .language:       OpenCL C
    .language_version:
      - 2
      - 0
    .max_flat_workgroup_size: 256
    .name:           _ZL29rocblas_internal_gemmt_kernelIiLi16ELi32ELi8ELc84ELc67ELc85ELb0ELb1E19rocblas_complex_numIdEPKS1_S3_PS1_EviT_T9_T10_S5_lS7_S5_lS6_T11_S5_li
    .private_segment_fixed_size: 0
    .sgpr_count:     42
    .sgpr_spill_count: 0
    .symbol:         _ZL29rocblas_internal_gemmt_kernelIiLi16ELi32ELi8ELc84ELc67ELc85ELb0ELb1E19rocblas_complex_numIdEPKS1_S3_PS1_EviT_T9_T10_S5_lS7_S5_lS6_T11_S5_li.kd
    .uniform_work_group_size: 1
    .uses_dynamic_stack: false
    .vgpr_count:     131
    .vgpr_spill_count: 0
    .wavefront_size: 32
    .workgroup_processor_mode: 1
  - .args:
      - .offset:         0
        .size:           4
        .value_kind:     by_value
      - .offset:         4
        .size:           4
        .value_kind:     by_value
      - .address_space:  global
        .offset:         8
        .size:           8
        .value_kind:     global_buffer
      - .address_space:  global
        .offset:         16
        .size:           8
        .value_kind:     global_buffer
      - .offset:         24
        .size:           4
        .value_kind:     by_value
      - .offset:         32
        .size:           8
        .value_kind:     by_value
      - .address_space:  global
        .offset:         40
        .size:           8
        .value_kind:     global_buffer
      - .offset:         48
        .size:           4
        .value_kind:     by_value
      - .offset:         56
        .size:           8
        .value_kind:     by_value
      - .address_space:  global
        .offset:         64
        .size:           8
        .value_kind:     global_buffer
      - .address_space:  global
        .offset:         72
        .size:           8
        .value_kind:     global_buffer
      - .offset:         80
        .size:           4
        .value_kind:     by_value
      - .offset:         88
        .size:           8
        .value_kind:     by_value
      - .offset:         96
        .size:           4
        .value_kind:     by_value
    .group_segment_fixed_size: 8192
    .kernarg_segment_align: 8
    .kernarg_segment_size: 100
    .language:       OpenCL C
    .language_version:
      - 2
      - 0
    .max_flat_workgroup_size: 256
    .name:           _ZL29rocblas_internal_gemmt_kernelIiLi16ELi32ELi8ELc67ELc78ELc85ELb1ELb0E19rocblas_complex_numIdEPKS1_S3_PS1_EviT_T9_T10_S5_lS7_S5_lS6_T11_S5_li
    .private_segment_fixed_size: 0
    .sgpr_count:     41
    .sgpr_spill_count: 0
    .symbol:         _ZL29rocblas_internal_gemmt_kernelIiLi16ELi32ELi8ELc67ELc78ELc85ELb1ELb0E19rocblas_complex_numIdEPKS1_S3_PS1_EviT_T9_T10_S5_lS7_S5_lS6_T11_S5_li.kd
    .uniform_work_group_size: 1
    .uses_dynamic_stack: false
    .vgpr_count:     131
    .vgpr_spill_count: 0
    .wavefront_size: 32
    .workgroup_processor_mode: 1
  - .args:
      - .offset:         0
        .size:           4
        .value_kind:     by_value
      - .offset:         4
        .size:           4
        .value_kind:     by_value
      - .address_space:  global
        .offset:         8
        .size:           8
        .value_kind:     global_buffer
      - .address_space:  global
        .offset:         16
        .size:           8
        .value_kind:     global_buffer
      - .offset:         24
        .size:           4
        .value_kind:     by_value
      - .offset:         32
        .size:           8
        .value_kind:     by_value
      - .address_space:  global
        .offset:         40
        .size:           8
        .value_kind:     global_buffer
      - .offset:         48
        .size:           4
        .value_kind:     by_value
      - .offset:         56
        .size:           8
        .value_kind:     by_value
      - .address_space:  global
        .offset:         64
        .size:           8
        .value_kind:     global_buffer
      - .address_space:  global
        .offset:         72
        .size:           8
        .value_kind:     global_buffer
      - .offset:         80
        .size:           4
        .value_kind:     by_value
      - .offset:         88
        .size:           8
        .value_kind:     by_value
      - .offset:         96
        .size:           4
        .value_kind:     by_value
    .group_segment_fixed_size: 8192
    .kernarg_segment_align: 8
    .kernarg_segment_size: 100
    .language:       OpenCL C
    .language_version:
      - 2
      - 0
    .max_flat_workgroup_size: 256
    .name:           _ZL29rocblas_internal_gemmt_kernelIiLi16ELi32ELi8ELc67ELc84ELc85ELb1ELb0E19rocblas_complex_numIdEPKS1_S3_PS1_EviT_T9_T10_S5_lS7_S5_lS6_T11_S5_li
    .private_segment_fixed_size: 0
    .sgpr_count:     42
    .sgpr_spill_count: 0
    .symbol:         _ZL29rocblas_internal_gemmt_kernelIiLi16ELi32ELi8ELc67ELc84ELc85ELb1ELb0E19rocblas_complex_numIdEPKS1_S3_PS1_EviT_T9_T10_S5_lS7_S5_lS6_T11_S5_li.kd
    .uniform_work_group_size: 1
    .uses_dynamic_stack: false
    .vgpr_count:     131
    .vgpr_spill_count: 0
    .wavefront_size: 32
    .workgroup_processor_mode: 1
  - .args:
      - .offset:         0
        .size:           4
        .value_kind:     by_value
      - .offset:         4
        .size:           4
        .value_kind:     by_value
      - .address_space:  global
        .offset:         8
        .size:           8
        .value_kind:     global_buffer
      - .address_space:  global
        .offset:         16
        .size:           8
        .value_kind:     global_buffer
      - .offset:         24
        .size:           4
        .value_kind:     by_value
      - .offset:         32
        .size:           8
        .value_kind:     by_value
      - .address_space:  global
        .offset:         40
        .size:           8
        .value_kind:     global_buffer
      - .offset:         48
        .size:           4
        .value_kind:     by_value
      - .offset:         56
        .size:           8
        .value_kind:     by_value
      - .address_space:  global
        .offset:         64
        .size:           8
        .value_kind:     global_buffer
      - .address_space:  global
        .offset:         72
        .size:           8
        .value_kind:     global_buffer
      - .offset:         80
        .size:           4
        .value_kind:     by_value
      - .offset:         88
        .size:           8
        .value_kind:     by_value
      - .offset:         96
        .size:           4
        .value_kind:     by_value
    .group_segment_fixed_size: 8192
    .kernarg_segment_align: 8
    .kernarg_segment_size: 100
    .language:       OpenCL C
    .language_version:
      - 2
      - 0
    .max_flat_workgroup_size: 256
    .name:           _ZL29rocblas_internal_gemmt_kernelIiLi16ELi32ELi8ELc67ELc67ELc85ELb1ELb1E19rocblas_complex_numIdEPKS1_S3_PS1_EviT_T9_T10_S5_lS7_S5_lS6_T11_S5_li
    .private_segment_fixed_size: 0
    .sgpr_count:     42
    .sgpr_spill_count: 0
    .symbol:         _ZL29rocblas_internal_gemmt_kernelIiLi16ELi32ELi8ELc67ELc67ELc85ELb1ELb1E19rocblas_complex_numIdEPKS1_S3_PS1_EviT_T9_T10_S5_lS7_S5_lS6_T11_S5_li.kd
    .uniform_work_group_size: 1
    .uses_dynamic_stack: false
    .vgpr_count:     130
    .vgpr_spill_count: 0
    .wavefront_size: 32
    .workgroup_processor_mode: 1
  - .args:
      - .offset:         0
        .size:           4
        .value_kind:     by_value
      - .offset:         4
        .size:           4
        .value_kind:     by_value
      - .address_space:  global
        .offset:         8
        .size:           8
        .value_kind:     global_buffer
      - .address_space:  global
        .offset:         16
        .size:           8
        .value_kind:     global_buffer
      - .offset:         24
        .size:           4
        .value_kind:     by_value
      - .offset:         32
        .size:           8
        .value_kind:     by_value
      - .address_space:  global
        .offset:         40
        .size:           8
        .value_kind:     global_buffer
      - .offset:         48
        .size:           4
        .value_kind:     by_value
      - .offset:         56
        .size:           8
        .value_kind:     by_value
      - .address_space:  global
        .offset:         64
        .size:           8
        .value_kind:     global_buffer
      - .address_space:  global
        .offset:         72
        .size:           8
        .value_kind:     global_buffer
      - .offset:         80
        .size:           4
        .value_kind:     by_value
      - .offset:         88
        .size:           8
        .value_kind:     by_value
      - .offset:         96
        .size:           4
        .value_kind:     by_value
    .group_segment_fixed_size: 8192
    .kernarg_segment_align: 8
    .kernarg_segment_size: 100
    .language:       OpenCL C
    .language_version:
      - 2
      - 0
    .max_flat_workgroup_size: 256
    .name:           _ZL29rocblas_internal_gemmt_kernelIiLi16ELi32ELi8ELc78ELc78ELc76ELb0ELb0E19rocblas_complex_numIdEPKS1_S3_PS1_EviT_T9_T10_S5_lS7_S5_lS6_T11_S5_li
    .private_segment_fixed_size: 0
    .sgpr_count:     42
    .sgpr_spill_count: 0
    .symbol:         _ZL29rocblas_internal_gemmt_kernelIiLi16ELi32ELi8ELc78ELc78ELc76ELb0ELb0E19rocblas_complex_numIdEPKS1_S3_PS1_EviT_T9_T10_S5_lS7_S5_lS6_T11_S5_li.kd
    .uniform_work_group_size: 1
    .uses_dynamic_stack: false
    .vgpr_count:     65
    .vgpr_spill_count: 0
    .wavefront_size: 32
    .workgroup_processor_mode: 1
  - .args:
      - .offset:         0
        .size:           4
        .value_kind:     by_value
      - .offset:         4
        .size:           4
        .value_kind:     by_value
      - .address_space:  global
        .offset:         8
        .size:           8
        .value_kind:     global_buffer
      - .address_space:  global
        .offset:         16
        .size:           8
        .value_kind:     global_buffer
      - .offset:         24
        .size:           4
        .value_kind:     by_value
      - .offset:         32
        .size:           8
        .value_kind:     by_value
      - .address_space:  global
        .offset:         40
        .size:           8
        .value_kind:     global_buffer
      - .offset:         48
        .size:           4
        .value_kind:     by_value
      - .offset:         56
        .size:           8
        .value_kind:     by_value
      - .address_space:  global
        .offset:         64
        .size:           8
        .value_kind:     global_buffer
      - .address_space:  global
        .offset:         72
        .size:           8
        .value_kind:     global_buffer
      - .offset:         80
        .size:           4
        .value_kind:     by_value
      - .offset:         88
        .size:           8
        .value_kind:     by_value
      - .offset:         96
        .size:           4
        .value_kind:     by_value
    .group_segment_fixed_size: 8192
    .kernarg_segment_align: 8
    .kernarg_segment_size: 100
    .language:       OpenCL C
    .language_version:
      - 2
      - 0
    .max_flat_workgroup_size: 256
    .name:           _ZL29rocblas_internal_gemmt_kernelIiLi16ELi32ELi8ELc78ELc84ELc76ELb0ELb0E19rocblas_complex_numIdEPKS1_S3_PS1_EviT_T9_T10_S5_lS7_S5_lS6_T11_S5_li
    .private_segment_fixed_size: 0
    .sgpr_count:     43
    .sgpr_spill_count: 0
    .symbol:         _ZL29rocblas_internal_gemmt_kernelIiLi16ELi32ELi8ELc78ELc84ELc76ELb0ELb0E19rocblas_complex_numIdEPKS1_S3_PS1_EviT_T9_T10_S5_lS7_S5_lS6_T11_S5_li.kd
    .uniform_work_group_size: 1
    .uses_dynamic_stack: false
    .vgpr_count:     65
    .vgpr_spill_count: 0
    .wavefront_size: 32
    .workgroup_processor_mode: 1
  - .args:
      - .offset:         0
        .size:           4
        .value_kind:     by_value
      - .offset:         4
        .size:           4
        .value_kind:     by_value
      - .address_space:  global
        .offset:         8
        .size:           8
        .value_kind:     global_buffer
      - .address_space:  global
        .offset:         16
        .size:           8
        .value_kind:     global_buffer
      - .offset:         24
        .size:           4
        .value_kind:     by_value
      - .offset:         32
        .size:           8
        .value_kind:     by_value
      - .address_space:  global
        .offset:         40
        .size:           8
        .value_kind:     global_buffer
      - .offset:         48
        .size:           4
        .value_kind:     by_value
      - .offset:         56
        .size:           8
        .value_kind:     by_value
      - .address_space:  global
        .offset:         64
        .size:           8
        .value_kind:     global_buffer
      - .address_space:  global
        .offset:         72
        .size:           8
        .value_kind:     global_buffer
      - .offset:         80
        .size:           4
        .value_kind:     by_value
      - .offset:         88
        .size:           8
        .value_kind:     by_value
      - .offset:         96
        .size:           4
        .value_kind:     by_value
    .group_segment_fixed_size: 8192
    .kernarg_segment_align: 8
    .kernarg_segment_size: 100
    .language:       OpenCL C
    .language_version:
      - 2
      - 0
    .max_flat_workgroup_size: 256
    .name:           _ZL29rocblas_internal_gemmt_kernelIiLi16ELi32ELi8ELc78ELc67ELc76ELb0ELb1E19rocblas_complex_numIdEPKS1_S3_PS1_EviT_T9_T10_S5_lS7_S5_lS6_T11_S5_li
    .private_segment_fixed_size: 0
    .sgpr_count:     43
    .sgpr_spill_count: 0
    .symbol:         _ZL29rocblas_internal_gemmt_kernelIiLi16ELi32ELi8ELc78ELc67ELc76ELb0ELb1E19rocblas_complex_numIdEPKS1_S3_PS1_EviT_T9_T10_S5_lS7_S5_lS6_T11_S5_li.kd
    .uniform_work_group_size: 1
    .uses_dynamic_stack: false
    .vgpr_count:     131
    .vgpr_spill_count: 0
    .wavefront_size: 32
    .workgroup_processor_mode: 1
  - .args:
      - .offset:         0
        .size:           4
        .value_kind:     by_value
      - .offset:         4
        .size:           4
        .value_kind:     by_value
      - .address_space:  global
        .offset:         8
        .size:           8
        .value_kind:     global_buffer
      - .address_space:  global
        .offset:         16
        .size:           8
        .value_kind:     global_buffer
      - .offset:         24
        .size:           4
        .value_kind:     by_value
      - .offset:         32
        .size:           8
        .value_kind:     by_value
      - .address_space:  global
        .offset:         40
        .size:           8
        .value_kind:     global_buffer
      - .offset:         48
        .size:           4
        .value_kind:     by_value
      - .offset:         56
        .size:           8
        .value_kind:     by_value
      - .address_space:  global
        .offset:         64
        .size:           8
        .value_kind:     global_buffer
      - .address_space:  global
        .offset:         72
        .size:           8
        .value_kind:     global_buffer
      - .offset:         80
        .size:           4
        .value_kind:     by_value
      - .offset:         88
        .size:           8
        .value_kind:     by_value
      - .offset:         96
        .size:           4
        .value_kind:     by_value
    .group_segment_fixed_size: 8192
    .kernarg_segment_align: 8
    .kernarg_segment_size: 100
    .language:       OpenCL C
    .language_version:
      - 2
      - 0
    .max_flat_workgroup_size: 256
    .name:           _ZL29rocblas_internal_gemmt_kernelIiLi16ELi32ELi8ELc84ELc78ELc76ELb0ELb0E19rocblas_complex_numIdEPKS1_S3_PS1_EviT_T9_T10_S5_lS7_S5_lS6_T11_S5_li
    .private_segment_fixed_size: 0
    .sgpr_count:     42
    .sgpr_spill_count: 0
    .symbol:         _ZL29rocblas_internal_gemmt_kernelIiLi16ELi32ELi8ELc84ELc78ELc76ELb0ELb0E19rocblas_complex_numIdEPKS1_S3_PS1_EviT_T9_T10_S5_lS7_S5_lS6_T11_S5_li.kd
    .uniform_work_group_size: 1
    .uses_dynamic_stack: false
    .vgpr_count:     65
    .vgpr_spill_count: 0
    .wavefront_size: 32
    .workgroup_processor_mode: 1
  - .args:
      - .offset:         0
        .size:           4
        .value_kind:     by_value
      - .offset:         4
        .size:           4
        .value_kind:     by_value
      - .address_space:  global
        .offset:         8
        .size:           8
        .value_kind:     global_buffer
      - .address_space:  global
        .offset:         16
        .size:           8
        .value_kind:     global_buffer
      - .offset:         24
        .size:           4
        .value_kind:     by_value
      - .offset:         32
        .size:           8
        .value_kind:     by_value
      - .address_space:  global
        .offset:         40
        .size:           8
        .value_kind:     global_buffer
      - .offset:         48
        .size:           4
        .value_kind:     by_value
      - .offset:         56
        .size:           8
        .value_kind:     by_value
      - .address_space:  global
        .offset:         64
        .size:           8
        .value_kind:     global_buffer
      - .address_space:  global
        .offset:         72
        .size:           8
        .value_kind:     global_buffer
      - .offset:         80
        .size:           4
        .value_kind:     by_value
      - .offset:         88
        .size:           8
        .value_kind:     by_value
      - .offset:         96
        .size:           4
        .value_kind:     by_value
    .group_segment_fixed_size: 8192
    .kernarg_segment_align: 8
    .kernarg_segment_size: 100
    .language:       OpenCL C
    .language_version:
      - 2
      - 0
    .max_flat_workgroup_size: 256
    .name:           _ZL29rocblas_internal_gemmt_kernelIiLi16ELi32ELi8ELc84ELc84ELc76ELb0ELb0E19rocblas_complex_numIdEPKS1_S3_PS1_EviT_T9_T10_S5_lS7_S5_lS6_T11_S5_li
    .private_segment_fixed_size: 0
    .sgpr_count:     42
    .sgpr_spill_count: 0
    .symbol:         _ZL29rocblas_internal_gemmt_kernelIiLi16ELi32ELi8ELc84ELc84ELc76ELb0ELb0E19rocblas_complex_numIdEPKS1_S3_PS1_EviT_T9_T10_S5_lS7_S5_lS6_T11_S5_li.kd
    .uniform_work_group_size: 1
    .uses_dynamic_stack: false
    .vgpr_count:     65
    .vgpr_spill_count: 0
    .wavefront_size: 32
    .workgroup_processor_mode: 1
  - .args:
      - .offset:         0
        .size:           4
        .value_kind:     by_value
      - .offset:         4
        .size:           4
        .value_kind:     by_value
      - .address_space:  global
        .offset:         8
        .size:           8
        .value_kind:     global_buffer
      - .address_space:  global
        .offset:         16
        .size:           8
        .value_kind:     global_buffer
      - .offset:         24
        .size:           4
        .value_kind:     by_value
      - .offset:         32
        .size:           8
        .value_kind:     by_value
      - .address_space:  global
        .offset:         40
        .size:           8
        .value_kind:     global_buffer
      - .offset:         48
        .size:           4
        .value_kind:     by_value
      - .offset:         56
        .size:           8
        .value_kind:     by_value
      - .address_space:  global
        .offset:         64
        .size:           8
        .value_kind:     global_buffer
      - .address_space:  global
        .offset:         72
        .size:           8
        .value_kind:     global_buffer
      - .offset:         80
        .size:           4
        .value_kind:     by_value
      - .offset:         88
        .size:           8
        .value_kind:     by_value
      - .offset:         96
        .size:           4
        .value_kind:     by_value
    .group_segment_fixed_size: 8192
    .kernarg_segment_align: 8
    .kernarg_segment_size: 100
    .language:       OpenCL C
    .language_version:
      - 2
      - 0
    .max_flat_workgroup_size: 256
    .name:           _ZL29rocblas_internal_gemmt_kernelIiLi16ELi32ELi8ELc84ELc67ELc76ELb0ELb1E19rocblas_complex_numIdEPKS1_S3_PS1_EviT_T9_T10_S5_lS7_S5_lS6_T11_S5_li
    .private_segment_fixed_size: 0
    .sgpr_count:     42
    .sgpr_spill_count: 0
    .symbol:         _ZL29rocblas_internal_gemmt_kernelIiLi16ELi32ELi8ELc84ELc67ELc76ELb0ELb1E19rocblas_complex_numIdEPKS1_S3_PS1_EviT_T9_T10_S5_lS7_S5_lS6_T11_S5_li.kd
    .uniform_work_group_size: 1
    .uses_dynamic_stack: false
    .vgpr_count:     131
    .vgpr_spill_count: 0
    .wavefront_size: 32
    .workgroup_processor_mode: 1
  - .args:
      - .offset:         0
        .size:           4
        .value_kind:     by_value
      - .offset:         4
        .size:           4
        .value_kind:     by_value
      - .address_space:  global
        .offset:         8
        .size:           8
        .value_kind:     global_buffer
      - .address_space:  global
        .offset:         16
        .size:           8
        .value_kind:     global_buffer
      - .offset:         24
        .size:           4
        .value_kind:     by_value
      - .offset:         32
        .size:           8
        .value_kind:     by_value
      - .address_space:  global
        .offset:         40
        .size:           8
        .value_kind:     global_buffer
      - .offset:         48
        .size:           4
        .value_kind:     by_value
      - .offset:         56
        .size:           8
        .value_kind:     by_value
      - .address_space:  global
        .offset:         64
        .size:           8
        .value_kind:     global_buffer
      - .address_space:  global
        .offset:         72
        .size:           8
        .value_kind:     global_buffer
      - .offset:         80
        .size:           4
        .value_kind:     by_value
      - .offset:         88
        .size:           8
        .value_kind:     by_value
      - .offset:         96
        .size:           4
        .value_kind:     by_value
    .group_segment_fixed_size: 8192
    .kernarg_segment_align: 8
    .kernarg_segment_size: 100
    .language:       OpenCL C
    .language_version:
      - 2
      - 0
    .max_flat_workgroup_size: 256
    .name:           _ZL29rocblas_internal_gemmt_kernelIiLi16ELi32ELi8ELc67ELc78ELc76ELb1ELb0E19rocblas_complex_numIdEPKS1_S3_PS1_EviT_T9_T10_S5_lS7_S5_lS6_T11_S5_li
    .private_segment_fixed_size: 0
    .sgpr_count:     41
    .sgpr_spill_count: 0
    .symbol:         _ZL29rocblas_internal_gemmt_kernelIiLi16ELi32ELi8ELc67ELc78ELc76ELb1ELb0E19rocblas_complex_numIdEPKS1_S3_PS1_EviT_T9_T10_S5_lS7_S5_lS6_T11_S5_li.kd
    .uniform_work_group_size: 1
    .uses_dynamic_stack: false
    .vgpr_count:     131
    .vgpr_spill_count: 0
    .wavefront_size: 32
    .workgroup_processor_mode: 1
  - .args:
      - .offset:         0
        .size:           4
        .value_kind:     by_value
      - .offset:         4
        .size:           4
        .value_kind:     by_value
      - .address_space:  global
        .offset:         8
        .size:           8
        .value_kind:     global_buffer
      - .address_space:  global
        .offset:         16
        .size:           8
        .value_kind:     global_buffer
      - .offset:         24
        .size:           4
        .value_kind:     by_value
      - .offset:         32
        .size:           8
        .value_kind:     by_value
      - .address_space:  global
        .offset:         40
        .size:           8
        .value_kind:     global_buffer
      - .offset:         48
        .size:           4
        .value_kind:     by_value
      - .offset:         56
        .size:           8
        .value_kind:     by_value
      - .address_space:  global
        .offset:         64
        .size:           8
        .value_kind:     global_buffer
      - .address_space:  global
        .offset:         72
        .size:           8
        .value_kind:     global_buffer
      - .offset:         80
        .size:           4
        .value_kind:     by_value
      - .offset:         88
        .size:           8
        .value_kind:     by_value
      - .offset:         96
        .size:           4
        .value_kind:     by_value
    .group_segment_fixed_size: 8192
    .kernarg_segment_align: 8
    .kernarg_segment_size: 100
    .language:       OpenCL C
    .language_version:
      - 2
      - 0
    .max_flat_workgroup_size: 256
    .name:           _ZL29rocblas_internal_gemmt_kernelIiLi16ELi32ELi8ELc67ELc84ELc76ELb1ELb0E19rocblas_complex_numIdEPKS1_S3_PS1_EviT_T9_T10_S5_lS7_S5_lS6_T11_S5_li
    .private_segment_fixed_size: 0
    .sgpr_count:     42
    .sgpr_spill_count: 0
    .symbol:         _ZL29rocblas_internal_gemmt_kernelIiLi16ELi32ELi8ELc67ELc84ELc76ELb1ELb0E19rocblas_complex_numIdEPKS1_S3_PS1_EviT_T9_T10_S5_lS7_S5_lS6_T11_S5_li.kd
    .uniform_work_group_size: 1
    .uses_dynamic_stack: false
    .vgpr_count:     131
    .vgpr_spill_count: 0
    .wavefront_size: 32
    .workgroup_processor_mode: 1
  - .args:
      - .offset:         0
        .size:           4
        .value_kind:     by_value
      - .offset:         4
        .size:           4
        .value_kind:     by_value
      - .address_space:  global
        .offset:         8
        .size:           8
        .value_kind:     global_buffer
      - .address_space:  global
        .offset:         16
        .size:           8
        .value_kind:     global_buffer
      - .offset:         24
        .size:           4
        .value_kind:     by_value
      - .offset:         32
        .size:           8
        .value_kind:     by_value
      - .address_space:  global
        .offset:         40
        .size:           8
        .value_kind:     global_buffer
      - .offset:         48
        .size:           4
        .value_kind:     by_value
      - .offset:         56
        .size:           8
        .value_kind:     by_value
      - .address_space:  global
        .offset:         64
        .size:           8
        .value_kind:     global_buffer
      - .address_space:  global
        .offset:         72
        .size:           8
        .value_kind:     global_buffer
      - .offset:         80
        .size:           4
        .value_kind:     by_value
      - .offset:         88
        .size:           8
        .value_kind:     by_value
      - .offset:         96
        .size:           4
        .value_kind:     by_value
    .group_segment_fixed_size: 8192
    .kernarg_segment_align: 8
    .kernarg_segment_size: 100
    .language:       OpenCL C
    .language_version:
      - 2
      - 0
    .max_flat_workgroup_size: 256
    .name:           _ZL29rocblas_internal_gemmt_kernelIiLi16ELi32ELi8ELc67ELc67ELc76ELb1ELb1E19rocblas_complex_numIdEPKS1_S3_PS1_EviT_T9_T10_S5_lS7_S5_lS6_T11_S5_li
    .private_segment_fixed_size: 0
    .sgpr_count:     42
    .sgpr_spill_count: 0
    .symbol:         _ZL29rocblas_internal_gemmt_kernelIiLi16ELi32ELi8ELc67ELc67ELc76ELb1ELb1E19rocblas_complex_numIdEPKS1_S3_PS1_EviT_T9_T10_S5_lS7_S5_lS6_T11_S5_li.kd
    .uniform_work_group_size: 1
    .uses_dynamic_stack: false
    .vgpr_count:     130
    .vgpr_spill_count: 0
    .wavefront_size: 32
    .workgroup_processor_mode: 1
  - .args:
      - .offset:         0
        .size:           4
        .value_kind:     by_value
      - .offset:         4
        .size:           4
        .value_kind:     by_value
      - .offset:         8
        .size:           16
        .value_kind:     by_value
      - .address_space:  global
        .offset:         24
        .size:           8
        .value_kind:     global_buffer
      - .offset:         32
        .size:           4
        .value_kind:     by_value
      - .offset:         40
        .size:           8
        .value_kind:     by_value
      - .address_space:  global
        .offset:         48
        .size:           8
        .value_kind:     global_buffer
      - .offset:         56
        .size:           4
        .value_kind:     by_value
      - .offset:         64
        .size:           8
        .value_kind:     by_value
      - .offset:         72
        .size:           16
        .value_kind:     by_value
      - .address_space:  global
        .offset:         88
        .size:           8
        .value_kind:     global_buffer
      - .offset:         96
        .size:           4
        .value_kind:     by_value
      - .offset:         104
        .size:           8
        .value_kind:     by_value
      - .offset:         112
        .size:           4
        .value_kind:     by_value
    .group_segment_fixed_size: 8192
    .kernarg_segment_align: 8
    .kernarg_segment_size: 116
    .language:       OpenCL C
    .language_version:
      - 2
      - 0
    .max_flat_workgroup_size: 256
    .name:           _ZL29rocblas_internal_gemmt_kernelIiLi16ELi32ELi8ELc78ELc78ELc85ELb0ELb0E19rocblas_complex_numIdES1_PKS1_PS1_EviT_T9_T10_S5_lS7_S5_lS6_T11_S5_li
    .private_segment_fixed_size: 0
    .sgpr_count:     42
    .sgpr_spill_count: 0
    .symbol:         _ZL29rocblas_internal_gemmt_kernelIiLi16ELi32ELi8ELc78ELc78ELc85ELb0ELb0E19rocblas_complex_numIdES1_PKS1_PS1_EviT_T9_T10_S5_lS7_S5_lS6_T11_S5_li.kd
    .uniform_work_group_size: 1
    .uses_dynamic_stack: false
    .vgpr_count:     65
    .vgpr_spill_count: 0
    .wavefront_size: 32
    .workgroup_processor_mode: 1
  - .args:
      - .offset:         0
        .size:           4
        .value_kind:     by_value
      - .offset:         4
        .size:           4
        .value_kind:     by_value
      - .offset:         8
        .size:           16
        .value_kind:     by_value
      - .address_space:  global
        .offset:         24
        .size:           8
        .value_kind:     global_buffer
      - .offset:         32
        .size:           4
        .value_kind:     by_value
      - .offset:         40
        .size:           8
        .value_kind:     by_value
      - .address_space:  global
        .offset:         48
        .size:           8
        .value_kind:     global_buffer
      - .offset:         56
        .size:           4
        .value_kind:     by_value
      - .offset:         64
        .size:           8
        .value_kind:     by_value
      - .offset:         72
        .size:           16
        .value_kind:     by_value
      - .address_space:  global
        .offset:         88
        .size:           8
        .value_kind:     global_buffer
      - .offset:         96
        .size:           4
        .value_kind:     by_value
      - .offset:         104
        .size:           8
        .value_kind:     by_value
      - .offset:         112
        .size:           4
        .value_kind:     by_value
    .group_segment_fixed_size: 8192
    .kernarg_segment_align: 8
    .kernarg_segment_size: 116
    .language:       OpenCL C
    .language_version:
      - 2
      - 0
    .max_flat_workgroup_size: 256
    .name:           _ZL29rocblas_internal_gemmt_kernelIiLi16ELi32ELi8ELc78ELc84ELc85ELb0ELb0E19rocblas_complex_numIdES1_PKS1_PS1_EviT_T9_T10_S5_lS7_S5_lS6_T11_S5_li
    .private_segment_fixed_size: 0
    .sgpr_count:     42
    .sgpr_spill_count: 0
    .symbol:         _ZL29rocblas_internal_gemmt_kernelIiLi16ELi32ELi8ELc78ELc84ELc85ELb0ELb0E19rocblas_complex_numIdES1_PKS1_PS1_EviT_T9_T10_S5_lS7_S5_lS6_T11_S5_li.kd
    .uniform_work_group_size: 1
    .uses_dynamic_stack: false
    .vgpr_count:     65
    .vgpr_spill_count: 0
    .wavefront_size: 32
    .workgroup_processor_mode: 1
  - .args:
      - .offset:         0
        .size:           4
        .value_kind:     by_value
      - .offset:         4
        .size:           4
        .value_kind:     by_value
      - .offset:         8
        .size:           16
        .value_kind:     by_value
      - .address_space:  global
        .offset:         24
        .size:           8
        .value_kind:     global_buffer
      - .offset:         32
        .size:           4
        .value_kind:     by_value
      - .offset:         40
        .size:           8
        .value_kind:     by_value
      - .address_space:  global
        .offset:         48
        .size:           8
        .value_kind:     global_buffer
      - .offset:         56
        .size:           4
        .value_kind:     by_value
      - .offset:         64
        .size:           8
        .value_kind:     by_value
      - .offset:         72
        .size:           16
        .value_kind:     by_value
      - .address_space:  global
        .offset:         88
        .size:           8
        .value_kind:     global_buffer
      - .offset:         96
        .size:           4
        .value_kind:     by_value
      - .offset:         104
        .size:           8
        .value_kind:     by_value
      - .offset:         112
        .size:           4
        .value_kind:     by_value
    .group_segment_fixed_size: 8192
    .kernarg_segment_align: 8
    .kernarg_segment_size: 116
    .language:       OpenCL C
    .language_version:
      - 2
      - 0
    .max_flat_workgroup_size: 256
    .name:           _ZL29rocblas_internal_gemmt_kernelIiLi16ELi32ELi8ELc78ELc67ELc85ELb0ELb1E19rocblas_complex_numIdES1_PKS1_PS1_EviT_T9_T10_S5_lS7_S5_lS6_T11_S5_li
    .private_segment_fixed_size: 0
    .sgpr_count:     43
    .sgpr_spill_count: 0
    .symbol:         _ZL29rocblas_internal_gemmt_kernelIiLi16ELi32ELi8ELc78ELc67ELc85ELb0ELb1E19rocblas_complex_numIdES1_PKS1_PS1_EviT_T9_T10_S5_lS7_S5_lS6_T11_S5_li.kd
    .uniform_work_group_size: 1
    .uses_dynamic_stack: false
    .vgpr_count:     131
    .vgpr_spill_count: 0
    .wavefront_size: 32
    .workgroup_processor_mode: 1
  - .args:
      - .offset:         0
        .size:           4
        .value_kind:     by_value
      - .offset:         4
        .size:           4
        .value_kind:     by_value
      - .offset:         8
        .size:           16
        .value_kind:     by_value
      - .address_space:  global
        .offset:         24
        .size:           8
        .value_kind:     global_buffer
      - .offset:         32
        .size:           4
        .value_kind:     by_value
      - .offset:         40
        .size:           8
        .value_kind:     by_value
      - .address_space:  global
        .offset:         48
        .size:           8
        .value_kind:     global_buffer
      - .offset:         56
        .size:           4
        .value_kind:     by_value
      - .offset:         64
        .size:           8
        .value_kind:     by_value
      - .offset:         72
        .size:           16
        .value_kind:     by_value
      - .address_space:  global
        .offset:         88
        .size:           8
        .value_kind:     global_buffer
      - .offset:         96
        .size:           4
        .value_kind:     by_value
      - .offset:         104
        .size:           8
        .value_kind:     by_value
      - .offset:         112
        .size:           4
        .value_kind:     by_value
    .group_segment_fixed_size: 8192
    .kernarg_segment_align: 8
    .kernarg_segment_size: 116
    .language:       OpenCL C
    .language_version:
      - 2
      - 0
    .max_flat_workgroup_size: 256
    .name:           _ZL29rocblas_internal_gemmt_kernelIiLi16ELi32ELi8ELc84ELc78ELc85ELb0ELb0E19rocblas_complex_numIdES1_PKS1_PS1_EviT_T9_T10_S5_lS7_S5_lS6_T11_S5_li
    .private_segment_fixed_size: 0
    .sgpr_count:     41
    .sgpr_spill_count: 0
    .symbol:         _ZL29rocblas_internal_gemmt_kernelIiLi16ELi32ELi8ELc84ELc78ELc85ELb0ELb0E19rocblas_complex_numIdES1_PKS1_PS1_EviT_T9_T10_S5_lS7_S5_lS6_T11_S5_li.kd
    .uniform_work_group_size: 1
    .uses_dynamic_stack: false
    .vgpr_count:     65
    .vgpr_spill_count: 0
    .wavefront_size: 32
    .workgroup_processor_mode: 1
  - .args:
      - .offset:         0
        .size:           4
        .value_kind:     by_value
      - .offset:         4
        .size:           4
        .value_kind:     by_value
      - .offset:         8
        .size:           16
        .value_kind:     by_value
      - .address_space:  global
        .offset:         24
        .size:           8
        .value_kind:     global_buffer
      - .offset:         32
        .size:           4
        .value_kind:     by_value
      - .offset:         40
        .size:           8
        .value_kind:     by_value
      - .address_space:  global
        .offset:         48
        .size:           8
        .value_kind:     global_buffer
      - .offset:         56
        .size:           4
        .value_kind:     by_value
      - .offset:         64
        .size:           8
        .value_kind:     by_value
      - .offset:         72
        .size:           16
        .value_kind:     by_value
      - .address_space:  global
        .offset:         88
        .size:           8
        .value_kind:     global_buffer
      - .offset:         96
        .size:           4
        .value_kind:     by_value
      - .offset:         104
        .size:           8
        .value_kind:     by_value
      - .offset:         112
        .size:           4
        .value_kind:     by_value
    .group_segment_fixed_size: 8192
    .kernarg_segment_align: 8
    .kernarg_segment_size: 116
    .language:       OpenCL C
    .language_version:
      - 2
      - 0
    .max_flat_workgroup_size: 256
    .name:           _ZL29rocblas_internal_gemmt_kernelIiLi16ELi32ELi8ELc84ELc84ELc85ELb0ELb0E19rocblas_complex_numIdES1_PKS1_PS1_EviT_T9_T10_S5_lS7_S5_lS6_T11_S5_li
    .private_segment_fixed_size: 0
    .sgpr_count:     42
    .sgpr_spill_count: 0
    .symbol:         _ZL29rocblas_internal_gemmt_kernelIiLi16ELi32ELi8ELc84ELc84ELc85ELb0ELb0E19rocblas_complex_numIdES1_PKS1_PS1_EviT_T9_T10_S5_lS7_S5_lS6_T11_S5_li.kd
    .uniform_work_group_size: 1
    .uses_dynamic_stack: false
    .vgpr_count:     65
    .vgpr_spill_count: 0
    .wavefront_size: 32
    .workgroup_processor_mode: 1
  - .args:
      - .offset:         0
        .size:           4
        .value_kind:     by_value
      - .offset:         4
        .size:           4
        .value_kind:     by_value
      - .offset:         8
        .size:           16
        .value_kind:     by_value
      - .address_space:  global
        .offset:         24
        .size:           8
        .value_kind:     global_buffer
      - .offset:         32
        .size:           4
        .value_kind:     by_value
      - .offset:         40
        .size:           8
        .value_kind:     by_value
      - .address_space:  global
        .offset:         48
        .size:           8
        .value_kind:     global_buffer
      - .offset:         56
        .size:           4
        .value_kind:     by_value
      - .offset:         64
        .size:           8
        .value_kind:     by_value
      - .offset:         72
        .size:           16
        .value_kind:     by_value
      - .address_space:  global
        .offset:         88
        .size:           8
        .value_kind:     global_buffer
      - .offset:         96
        .size:           4
        .value_kind:     by_value
      - .offset:         104
        .size:           8
        .value_kind:     by_value
      - .offset:         112
        .size:           4
        .value_kind:     by_value
    .group_segment_fixed_size: 8192
    .kernarg_segment_align: 8
    .kernarg_segment_size: 116
    .language:       OpenCL C
    .language_version:
      - 2
      - 0
    .max_flat_workgroup_size: 256
    .name:           _ZL29rocblas_internal_gemmt_kernelIiLi16ELi32ELi8ELc84ELc67ELc85ELb0ELb1E19rocblas_complex_numIdES1_PKS1_PS1_EviT_T9_T10_S5_lS7_S5_lS6_T11_S5_li
    .private_segment_fixed_size: 0
    .sgpr_count:     42
    .sgpr_spill_count: 0
    .symbol:         _ZL29rocblas_internal_gemmt_kernelIiLi16ELi32ELi8ELc84ELc67ELc85ELb0ELb1E19rocblas_complex_numIdES1_PKS1_PS1_EviT_T9_T10_S5_lS7_S5_lS6_T11_S5_li.kd
    .uniform_work_group_size: 1
    .uses_dynamic_stack: false
    .vgpr_count:     131
    .vgpr_spill_count: 0
    .wavefront_size: 32
    .workgroup_processor_mode: 1
  - .args:
      - .offset:         0
        .size:           4
        .value_kind:     by_value
      - .offset:         4
        .size:           4
        .value_kind:     by_value
      - .offset:         8
        .size:           16
        .value_kind:     by_value
      - .address_space:  global
        .offset:         24
        .size:           8
        .value_kind:     global_buffer
      - .offset:         32
        .size:           4
        .value_kind:     by_value
      - .offset:         40
        .size:           8
        .value_kind:     by_value
      - .address_space:  global
        .offset:         48
        .size:           8
        .value_kind:     global_buffer
      - .offset:         56
        .size:           4
        .value_kind:     by_value
      - .offset:         64
        .size:           8
        .value_kind:     by_value
      - .offset:         72
        .size:           16
        .value_kind:     by_value
      - .address_space:  global
        .offset:         88
        .size:           8
        .value_kind:     global_buffer
      - .offset:         96
        .size:           4
        .value_kind:     by_value
      - .offset:         104
        .size:           8
        .value_kind:     by_value
      - .offset:         112
        .size:           4
        .value_kind:     by_value
    .group_segment_fixed_size: 8192
    .kernarg_segment_align: 8
    .kernarg_segment_size: 116
    .language:       OpenCL C
    .language_version:
      - 2
      - 0
    .max_flat_workgroup_size: 256
    .name:           _ZL29rocblas_internal_gemmt_kernelIiLi16ELi32ELi8ELc67ELc78ELc85ELb1ELb0E19rocblas_complex_numIdES1_PKS1_PS1_EviT_T9_T10_S5_lS7_S5_lS6_T11_S5_li
    .private_segment_fixed_size: 0
    .sgpr_count:     40
    .sgpr_spill_count: 0
    .symbol:         _ZL29rocblas_internal_gemmt_kernelIiLi16ELi32ELi8ELc67ELc78ELc85ELb1ELb0E19rocblas_complex_numIdES1_PKS1_PS1_EviT_T9_T10_S5_lS7_S5_lS6_T11_S5_li.kd
    .uniform_work_group_size: 1
    .uses_dynamic_stack: false
    .vgpr_count:     131
    .vgpr_spill_count: 0
    .wavefront_size: 32
    .workgroup_processor_mode: 1
  - .args:
      - .offset:         0
        .size:           4
        .value_kind:     by_value
      - .offset:         4
        .size:           4
        .value_kind:     by_value
      - .offset:         8
        .size:           16
        .value_kind:     by_value
      - .address_space:  global
        .offset:         24
        .size:           8
        .value_kind:     global_buffer
      - .offset:         32
        .size:           4
        .value_kind:     by_value
      - .offset:         40
        .size:           8
        .value_kind:     by_value
      - .address_space:  global
        .offset:         48
        .size:           8
        .value_kind:     global_buffer
      - .offset:         56
        .size:           4
        .value_kind:     by_value
      - .offset:         64
        .size:           8
        .value_kind:     by_value
      - .offset:         72
        .size:           16
        .value_kind:     by_value
      - .address_space:  global
        .offset:         88
        .size:           8
        .value_kind:     global_buffer
      - .offset:         96
        .size:           4
        .value_kind:     by_value
      - .offset:         104
        .size:           8
        .value_kind:     by_value
      - .offset:         112
        .size:           4
        .value_kind:     by_value
    .group_segment_fixed_size: 8192
    .kernarg_segment_align: 8
    .kernarg_segment_size: 116
    .language:       OpenCL C
    .language_version:
      - 2
      - 0
    .max_flat_workgroup_size: 256
    .name:           _ZL29rocblas_internal_gemmt_kernelIiLi16ELi32ELi8ELc67ELc84ELc85ELb1ELb0E19rocblas_complex_numIdES1_PKS1_PS1_EviT_T9_T10_S5_lS7_S5_lS6_T11_S5_li
    .private_segment_fixed_size: 0
    .sgpr_count:     41
    .sgpr_spill_count: 0
    .symbol:         _ZL29rocblas_internal_gemmt_kernelIiLi16ELi32ELi8ELc67ELc84ELc85ELb1ELb0E19rocblas_complex_numIdES1_PKS1_PS1_EviT_T9_T10_S5_lS7_S5_lS6_T11_S5_li.kd
    .uniform_work_group_size: 1
    .uses_dynamic_stack: false
    .vgpr_count:     131
    .vgpr_spill_count: 0
    .wavefront_size: 32
    .workgroup_processor_mode: 1
  - .args:
      - .offset:         0
        .size:           4
        .value_kind:     by_value
      - .offset:         4
        .size:           4
        .value_kind:     by_value
      - .offset:         8
        .size:           16
        .value_kind:     by_value
      - .address_space:  global
        .offset:         24
        .size:           8
        .value_kind:     global_buffer
      - .offset:         32
        .size:           4
        .value_kind:     by_value
      - .offset:         40
        .size:           8
        .value_kind:     by_value
      - .address_space:  global
        .offset:         48
        .size:           8
        .value_kind:     global_buffer
      - .offset:         56
        .size:           4
        .value_kind:     by_value
      - .offset:         64
        .size:           8
        .value_kind:     by_value
      - .offset:         72
        .size:           16
        .value_kind:     by_value
      - .address_space:  global
        .offset:         88
        .size:           8
        .value_kind:     global_buffer
      - .offset:         96
        .size:           4
        .value_kind:     by_value
      - .offset:         104
        .size:           8
        .value_kind:     by_value
      - .offset:         112
        .size:           4
        .value_kind:     by_value
    .group_segment_fixed_size: 8192
    .kernarg_segment_align: 8
    .kernarg_segment_size: 116
    .language:       OpenCL C
    .language_version:
      - 2
      - 0
    .max_flat_workgroup_size: 256
    .name:           _ZL29rocblas_internal_gemmt_kernelIiLi16ELi32ELi8ELc67ELc67ELc85ELb1ELb1E19rocblas_complex_numIdES1_PKS1_PS1_EviT_T9_T10_S5_lS7_S5_lS6_T11_S5_li
    .private_segment_fixed_size: 0
    .sgpr_count:     42
    .sgpr_spill_count: 0
    .symbol:         _ZL29rocblas_internal_gemmt_kernelIiLi16ELi32ELi8ELc67ELc67ELc85ELb1ELb1E19rocblas_complex_numIdES1_PKS1_PS1_EviT_T9_T10_S5_lS7_S5_lS6_T11_S5_li.kd
    .uniform_work_group_size: 1
    .uses_dynamic_stack: false
    .vgpr_count:     130
    .vgpr_spill_count: 0
    .wavefront_size: 32
    .workgroup_processor_mode: 1
  - .args:
      - .offset:         0
        .size:           4
        .value_kind:     by_value
      - .offset:         4
        .size:           4
        .value_kind:     by_value
      - .offset:         8
        .size:           16
        .value_kind:     by_value
      - .address_space:  global
        .offset:         24
        .size:           8
        .value_kind:     global_buffer
      - .offset:         32
        .size:           4
        .value_kind:     by_value
      - .offset:         40
        .size:           8
        .value_kind:     by_value
      - .address_space:  global
        .offset:         48
        .size:           8
        .value_kind:     global_buffer
      - .offset:         56
        .size:           4
        .value_kind:     by_value
      - .offset:         64
        .size:           8
        .value_kind:     by_value
      - .offset:         72
        .size:           16
        .value_kind:     by_value
      - .address_space:  global
        .offset:         88
        .size:           8
        .value_kind:     global_buffer
      - .offset:         96
        .size:           4
        .value_kind:     by_value
      - .offset:         104
        .size:           8
        .value_kind:     by_value
      - .offset:         112
        .size:           4
        .value_kind:     by_value
    .group_segment_fixed_size: 8192
    .kernarg_segment_align: 8
    .kernarg_segment_size: 116
    .language:       OpenCL C
    .language_version:
      - 2
      - 0
    .max_flat_workgroup_size: 256
    .name:           _ZL29rocblas_internal_gemmt_kernelIiLi16ELi32ELi8ELc78ELc78ELc76ELb0ELb0E19rocblas_complex_numIdES1_PKS1_PS1_EviT_T9_T10_S5_lS7_S5_lS6_T11_S5_li
    .private_segment_fixed_size: 0
    .sgpr_count:     42
    .sgpr_spill_count: 0
    .symbol:         _ZL29rocblas_internal_gemmt_kernelIiLi16ELi32ELi8ELc78ELc78ELc76ELb0ELb0E19rocblas_complex_numIdES1_PKS1_PS1_EviT_T9_T10_S5_lS7_S5_lS6_T11_S5_li.kd
    .uniform_work_group_size: 1
    .uses_dynamic_stack: false
    .vgpr_count:     65
    .vgpr_spill_count: 0
    .wavefront_size: 32
    .workgroup_processor_mode: 1
  - .args:
      - .offset:         0
        .size:           4
        .value_kind:     by_value
      - .offset:         4
        .size:           4
        .value_kind:     by_value
      - .offset:         8
        .size:           16
        .value_kind:     by_value
      - .address_space:  global
        .offset:         24
        .size:           8
        .value_kind:     global_buffer
      - .offset:         32
        .size:           4
        .value_kind:     by_value
      - .offset:         40
        .size:           8
        .value_kind:     by_value
      - .address_space:  global
        .offset:         48
        .size:           8
        .value_kind:     global_buffer
      - .offset:         56
        .size:           4
        .value_kind:     by_value
      - .offset:         64
        .size:           8
        .value_kind:     by_value
      - .offset:         72
        .size:           16
        .value_kind:     by_value
      - .address_space:  global
        .offset:         88
        .size:           8
        .value_kind:     global_buffer
      - .offset:         96
        .size:           4
        .value_kind:     by_value
      - .offset:         104
        .size:           8
        .value_kind:     by_value
      - .offset:         112
        .size:           4
        .value_kind:     by_value
    .group_segment_fixed_size: 8192
    .kernarg_segment_align: 8
    .kernarg_segment_size: 116
    .language:       OpenCL C
    .language_version:
      - 2
      - 0
    .max_flat_workgroup_size: 256
    .name:           _ZL29rocblas_internal_gemmt_kernelIiLi16ELi32ELi8ELc78ELc84ELc76ELb0ELb0E19rocblas_complex_numIdES1_PKS1_PS1_EviT_T9_T10_S5_lS7_S5_lS6_T11_S5_li
    .private_segment_fixed_size: 0
    .sgpr_count:     42
    .sgpr_spill_count: 0
    .symbol:         _ZL29rocblas_internal_gemmt_kernelIiLi16ELi32ELi8ELc78ELc84ELc76ELb0ELb0E19rocblas_complex_numIdES1_PKS1_PS1_EviT_T9_T10_S5_lS7_S5_lS6_T11_S5_li.kd
    .uniform_work_group_size: 1
    .uses_dynamic_stack: false
    .vgpr_count:     65
    .vgpr_spill_count: 0
    .wavefront_size: 32
    .workgroup_processor_mode: 1
  - .args:
      - .offset:         0
        .size:           4
        .value_kind:     by_value
      - .offset:         4
        .size:           4
        .value_kind:     by_value
      - .offset:         8
        .size:           16
        .value_kind:     by_value
      - .address_space:  global
        .offset:         24
        .size:           8
        .value_kind:     global_buffer
      - .offset:         32
        .size:           4
        .value_kind:     by_value
      - .offset:         40
        .size:           8
        .value_kind:     by_value
      - .address_space:  global
        .offset:         48
        .size:           8
        .value_kind:     global_buffer
      - .offset:         56
        .size:           4
        .value_kind:     by_value
      - .offset:         64
        .size:           8
        .value_kind:     by_value
      - .offset:         72
        .size:           16
        .value_kind:     by_value
      - .address_space:  global
        .offset:         88
        .size:           8
        .value_kind:     global_buffer
      - .offset:         96
        .size:           4
        .value_kind:     by_value
      - .offset:         104
        .size:           8
        .value_kind:     by_value
      - .offset:         112
        .size:           4
        .value_kind:     by_value
    .group_segment_fixed_size: 8192
    .kernarg_segment_align: 8
    .kernarg_segment_size: 116
    .language:       OpenCL C
    .language_version:
      - 2
      - 0
    .max_flat_workgroup_size: 256
    .name:           _ZL29rocblas_internal_gemmt_kernelIiLi16ELi32ELi8ELc78ELc67ELc76ELb0ELb1E19rocblas_complex_numIdES1_PKS1_PS1_EviT_T9_T10_S5_lS7_S5_lS6_T11_S5_li
    .private_segment_fixed_size: 0
    .sgpr_count:     43
    .sgpr_spill_count: 0
    .symbol:         _ZL29rocblas_internal_gemmt_kernelIiLi16ELi32ELi8ELc78ELc67ELc76ELb0ELb1E19rocblas_complex_numIdES1_PKS1_PS1_EviT_T9_T10_S5_lS7_S5_lS6_T11_S5_li.kd
    .uniform_work_group_size: 1
    .uses_dynamic_stack: false
    .vgpr_count:     131
    .vgpr_spill_count: 0
    .wavefront_size: 32
    .workgroup_processor_mode: 1
  - .args:
      - .offset:         0
        .size:           4
        .value_kind:     by_value
      - .offset:         4
        .size:           4
        .value_kind:     by_value
      - .offset:         8
        .size:           16
        .value_kind:     by_value
      - .address_space:  global
        .offset:         24
        .size:           8
        .value_kind:     global_buffer
      - .offset:         32
        .size:           4
        .value_kind:     by_value
      - .offset:         40
        .size:           8
        .value_kind:     by_value
      - .address_space:  global
        .offset:         48
        .size:           8
        .value_kind:     global_buffer
      - .offset:         56
        .size:           4
        .value_kind:     by_value
      - .offset:         64
        .size:           8
        .value_kind:     by_value
      - .offset:         72
        .size:           16
        .value_kind:     by_value
      - .address_space:  global
        .offset:         88
        .size:           8
        .value_kind:     global_buffer
      - .offset:         96
        .size:           4
        .value_kind:     by_value
      - .offset:         104
        .size:           8
        .value_kind:     by_value
      - .offset:         112
        .size:           4
        .value_kind:     by_value
    .group_segment_fixed_size: 8192
    .kernarg_segment_align: 8
    .kernarg_segment_size: 116
    .language:       OpenCL C
    .language_version:
      - 2
      - 0
    .max_flat_workgroup_size: 256
    .name:           _ZL29rocblas_internal_gemmt_kernelIiLi16ELi32ELi8ELc84ELc78ELc76ELb0ELb0E19rocblas_complex_numIdES1_PKS1_PS1_EviT_T9_T10_S5_lS7_S5_lS6_T11_S5_li
    .private_segment_fixed_size: 0
    .sgpr_count:     41
    .sgpr_spill_count: 0
    .symbol:         _ZL29rocblas_internal_gemmt_kernelIiLi16ELi32ELi8ELc84ELc78ELc76ELb0ELb0E19rocblas_complex_numIdES1_PKS1_PS1_EviT_T9_T10_S5_lS7_S5_lS6_T11_S5_li.kd
    .uniform_work_group_size: 1
    .uses_dynamic_stack: false
    .vgpr_count:     65
    .vgpr_spill_count: 0
    .wavefront_size: 32
    .workgroup_processor_mode: 1
  - .args:
      - .offset:         0
        .size:           4
        .value_kind:     by_value
      - .offset:         4
        .size:           4
        .value_kind:     by_value
      - .offset:         8
        .size:           16
        .value_kind:     by_value
      - .address_space:  global
        .offset:         24
        .size:           8
        .value_kind:     global_buffer
      - .offset:         32
        .size:           4
        .value_kind:     by_value
      - .offset:         40
        .size:           8
        .value_kind:     by_value
      - .address_space:  global
        .offset:         48
        .size:           8
        .value_kind:     global_buffer
      - .offset:         56
        .size:           4
        .value_kind:     by_value
      - .offset:         64
        .size:           8
        .value_kind:     by_value
      - .offset:         72
        .size:           16
        .value_kind:     by_value
      - .address_space:  global
        .offset:         88
        .size:           8
        .value_kind:     global_buffer
      - .offset:         96
        .size:           4
        .value_kind:     by_value
      - .offset:         104
        .size:           8
        .value_kind:     by_value
      - .offset:         112
        .size:           4
        .value_kind:     by_value
    .group_segment_fixed_size: 8192
    .kernarg_segment_align: 8
    .kernarg_segment_size: 116
    .language:       OpenCL C
    .language_version:
      - 2
      - 0
    .max_flat_workgroup_size: 256
    .name:           _ZL29rocblas_internal_gemmt_kernelIiLi16ELi32ELi8ELc84ELc84ELc76ELb0ELb0E19rocblas_complex_numIdES1_PKS1_PS1_EviT_T9_T10_S5_lS7_S5_lS6_T11_S5_li
    .private_segment_fixed_size: 0
    .sgpr_count:     42
    .sgpr_spill_count: 0
    .symbol:         _ZL29rocblas_internal_gemmt_kernelIiLi16ELi32ELi8ELc84ELc84ELc76ELb0ELb0E19rocblas_complex_numIdES1_PKS1_PS1_EviT_T9_T10_S5_lS7_S5_lS6_T11_S5_li.kd
    .uniform_work_group_size: 1
    .uses_dynamic_stack: false
    .vgpr_count:     65
    .vgpr_spill_count: 0
    .wavefront_size: 32
    .workgroup_processor_mode: 1
  - .args:
      - .offset:         0
        .size:           4
        .value_kind:     by_value
      - .offset:         4
        .size:           4
        .value_kind:     by_value
      - .offset:         8
        .size:           16
        .value_kind:     by_value
      - .address_space:  global
        .offset:         24
        .size:           8
        .value_kind:     global_buffer
      - .offset:         32
        .size:           4
        .value_kind:     by_value
      - .offset:         40
        .size:           8
        .value_kind:     by_value
      - .address_space:  global
        .offset:         48
        .size:           8
        .value_kind:     global_buffer
      - .offset:         56
        .size:           4
        .value_kind:     by_value
      - .offset:         64
        .size:           8
        .value_kind:     by_value
      - .offset:         72
        .size:           16
        .value_kind:     by_value
      - .address_space:  global
        .offset:         88
        .size:           8
        .value_kind:     global_buffer
      - .offset:         96
        .size:           4
        .value_kind:     by_value
      - .offset:         104
        .size:           8
        .value_kind:     by_value
      - .offset:         112
        .size:           4
        .value_kind:     by_value
    .group_segment_fixed_size: 8192
    .kernarg_segment_align: 8
    .kernarg_segment_size: 116
    .language:       OpenCL C
    .language_version:
      - 2
      - 0
    .max_flat_workgroup_size: 256
    .name:           _ZL29rocblas_internal_gemmt_kernelIiLi16ELi32ELi8ELc84ELc67ELc76ELb0ELb1E19rocblas_complex_numIdES1_PKS1_PS1_EviT_T9_T10_S5_lS7_S5_lS6_T11_S5_li
    .private_segment_fixed_size: 0
    .sgpr_count:     43
    .sgpr_spill_count: 0
    .symbol:         _ZL29rocblas_internal_gemmt_kernelIiLi16ELi32ELi8ELc84ELc67ELc76ELb0ELb1E19rocblas_complex_numIdES1_PKS1_PS1_EviT_T9_T10_S5_lS7_S5_lS6_T11_S5_li.kd
    .uniform_work_group_size: 1
    .uses_dynamic_stack: false
    .vgpr_count:     131
    .vgpr_spill_count: 0
    .wavefront_size: 32
    .workgroup_processor_mode: 1
  - .args:
      - .offset:         0
        .size:           4
        .value_kind:     by_value
      - .offset:         4
        .size:           4
        .value_kind:     by_value
      - .offset:         8
        .size:           16
        .value_kind:     by_value
      - .address_space:  global
        .offset:         24
        .size:           8
        .value_kind:     global_buffer
      - .offset:         32
        .size:           4
        .value_kind:     by_value
      - .offset:         40
        .size:           8
        .value_kind:     by_value
      - .address_space:  global
        .offset:         48
        .size:           8
        .value_kind:     global_buffer
      - .offset:         56
        .size:           4
        .value_kind:     by_value
      - .offset:         64
        .size:           8
        .value_kind:     by_value
      - .offset:         72
        .size:           16
        .value_kind:     by_value
      - .address_space:  global
        .offset:         88
        .size:           8
        .value_kind:     global_buffer
      - .offset:         96
        .size:           4
        .value_kind:     by_value
      - .offset:         104
        .size:           8
        .value_kind:     by_value
      - .offset:         112
        .size:           4
        .value_kind:     by_value
    .group_segment_fixed_size: 8192
    .kernarg_segment_align: 8
    .kernarg_segment_size: 116
    .language:       OpenCL C
    .language_version:
      - 2
      - 0
    .max_flat_workgroup_size: 256
    .name:           _ZL29rocblas_internal_gemmt_kernelIiLi16ELi32ELi8ELc67ELc78ELc76ELb1ELb0E19rocblas_complex_numIdES1_PKS1_PS1_EviT_T9_T10_S5_lS7_S5_lS6_T11_S5_li
    .private_segment_fixed_size: 0
    .sgpr_count:     41
    .sgpr_spill_count: 0
    .symbol:         _ZL29rocblas_internal_gemmt_kernelIiLi16ELi32ELi8ELc67ELc78ELc76ELb1ELb0E19rocblas_complex_numIdES1_PKS1_PS1_EviT_T9_T10_S5_lS7_S5_lS6_T11_S5_li.kd
    .uniform_work_group_size: 1
    .uses_dynamic_stack: false
    .vgpr_count:     131
    .vgpr_spill_count: 0
    .wavefront_size: 32
    .workgroup_processor_mode: 1
  - .args:
      - .offset:         0
        .size:           4
        .value_kind:     by_value
      - .offset:         4
        .size:           4
        .value_kind:     by_value
      - .offset:         8
        .size:           16
        .value_kind:     by_value
      - .address_space:  global
        .offset:         24
        .size:           8
        .value_kind:     global_buffer
      - .offset:         32
        .size:           4
        .value_kind:     by_value
      - .offset:         40
        .size:           8
        .value_kind:     by_value
      - .address_space:  global
        .offset:         48
        .size:           8
        .value_kind:     global_buffer
      - .offset:         56
        .size:           4
        .value_kind:     by_value
      - .offset:         64
        .size:           8
        .value_kind:     by_value
      - .offset:         72
        .size:           16
        .value_kind:     by_value
      - .address_space:  global
        .offset:         88
        .size:           8
        .value_kind:     global_buffer
      - .offset:         96
        .size:           4
        .value_kind:     by_value
      - .offset:         104
        .size:           8
        .value_kind:     by_value
      - .offset:         112
        .size:           4
        .value_kind:     by_value
    .group_segment_fixed_size: 8192
    .kernarg_segment_align: 8
    .kernarg_segment_size: 116
    .language:       OpenCL C
    .language_version:
      - 2
      - 0
    .max_flat_workgroup_size: 256
    .name:           _ZL29rocblas_internal_gemmt_kernelIiLi16ELi32ELi8ELc67ELc84ELc76ELb1ELb0E19rocblas_complex_numIdES1_PKS1_PS1_EviT_T9_T10_S5_lS7_S5_lS6_T11_S5_li
    .private_segment_fixed_size: 0
    .sgpr_count:     41
    .sgpr_spill_count: 0
    .symbol:         _ZL29rocblas_internal_gemmt_kernelIiLi16ELi32ELi8ELc67ELc84ELc76ELb1ELb0E19rocblas_complex_numIdES1_PKS1_PS1_EviT_T9_T10_S5_lS7_S5_lS6_T11_S5_li.kd
    .uniform_work_group_size: 1
    .uses_dynamic_stack: false
    .vgpr_count:     131
    .vgpr_spill_count: 0
    .wavefront_size: 32
    .workgroup_processor_mode: 1
  - .args:
      - .offset:         0
        .size:           4
        .value_kind:     by_value
      - .offset:         4
        .size:           4
        .value_kind:     by_value
      - .offset:         8
        .size:           16
        .value_kind:     by_value
      - .address_space:  global
        .offset:         24
        .size:           8
        .value_kind:     global_buffer
      - .offset:         32
        .size:           4
        .value_kind:     by_value
      - .offset:         40
        .size:           8
        .value_kind:     by_value
      - .address_space:  global
        .offset:         48
        .size:           8
        .value_kind:     global_buffer
      - .offset:         56
        .size:           4
        .value_kind:     by_value
      - .offset:         64
        .size:           8
        .value_kind:     by_value
      - .offset:         72
        .size:           16
        .value_kind:     by_value
      - .address_space:  global
        .offset:         88
        .size:           8
        .value_kind:     global_buffer
      - .offset:         96
        .size:           4
        .value_kind:     by_value
      - .offset:         104
        .size:           8
        .value_kind:     by_value
      - .offset:         112
        .size:           4
        .value_kind:     by_value
    .group_segment_fixed_size: 8192
    .kernarg_segment_align: 8
    .kernarg_segment_size: 116
    .language:       OpenCL C
    .language_version:
      - 2
      - 0
    .max_flat_workgroup_size: 256
    .name:           _ZL29rocblas_internal_gemmt_kernelIiLi16ELi32ELi8ELc67ELc67ELc76ELb1ELb1E19rocblas_complex_numIdES1_PKS1_PS1_EviT_T9_T10_S5_lS7_S5_lS6_T11_S5_li
    .private_segment_fixed_size: 0
    .sgpr_count:     43
    .sgpr_spill_count: 0
    .symbol:         _ZL29rocblas_internal_gemmt_kernelIiLi16ELi32ELi8ELc67ELc67ELc76ELb1ELb1E19rocblas_complex_numIdES1_PKS1_PS1_EviT_T9_T10_S5_lS7_S5_lS6_T11_S5_li.kd
    .uniform_work_group_size: 1
    .uses_dynamic_stack: false
    .vgpr_count:     130
    .vgpr_spill_count: 0
    .wavefront_size: 32
    .workgroup_processor_mode: 1
  - .args:
      - .offset:         0
        .size:           4
        .value_kind:     by_value
      - .offset:         8
        .size:           8
        .value_kind:     by_value
      - .address_space:  global
        .offset:         16
        .size:           8
        .value_kind:     global_buffer
      - .address_space:  global
        .offset:         24
        .size:           8
        .value_kind:     global_buffer
      - .offset:         32
        .size:           8
        .value_kind:     by_value
      - .offset:         40
        .size:           8
        .value_kind:     by_value
      - .address_space:  global
        .offset:         48
        .size:           8
        .value_kind:     global_buffer
      - .offset:         56
        .size:           8
        .value_kind:     by_value
      - .offset:         64
        .size:           8
        .value_kind:     by_value
      - .address_space:  global
        .offset:         72
        .size:           8
        .value_kind:     global_buffer
      - .address_space:  global
        .offset:         80
        .size:           8
        .value_kind:     global_buffer
      - .offset:         88
        .size:           8
        .value_kind:     by_value
      - .offset:         96
        .size:           8
        .value_kind:     by_value
      - .offset:         104
        .size:           4
        .value_kind:     by_value
    .group_segment_fixed_size: 2048
    .kernarg_segment_align: 8
    .kernarg_segment_size: 108
    .language:       OpenCL C
    .language_version:
      - 2
      - 0
    .max_flat_workgroup_size: 256
    .name:           _ZL29rocblas_internal_gemmt_kernelIlLi16ELi32ELi8ELc78ELc78ELc85ELb0ELb0EfPKfS1_PfEviT_T9_T10_S3_lS5_S3_lS4_T11_S3_li
    .private_segment_fixed_size: 0
    .sgpr_count:     34
    .sgpr_spill_count: 0
    .symbol:         _ZL29rocblas_internal_gemmt_kernelIlLi16ELi32ELi8ELc78ELc78ELc85ELb0ELb0EfPKfS1_PfEviT_T9_T10_S3_lS5_S3_lS4_T11_S3_li.kd
    .uniform_work_group_size: 1
    .uses_dynamic_stack: false
    .vgpr_count:     56
    .vgpr_spill_count: 0
    .wavefront_size: 32
    .workgroup_processor_mode: 1
  - .args:
      - .offset:         0
        .size:           4
        .value_kind:     by_value
      - .offset:         8
        .size:           8
        .value_kind:     by_value
      - .address_space:  global
        .offset:         16
        .size:           8
        .value_kind:     global_buffer
      - .address_space:  global
        .offset:         24
        .size:           8
        .value_kind:     global_buffer
      - .offset:         32
        .size:           8
        .value_kind:     by_value
      - .offset:         40
        .size:           8
        .value_kind:     by_value
      - .address_space:  global
        .offset:         48
        .size:           8
        .value_kind:     global_buffer
      - .offset:         56
        .size:           8
        .value_kind:     by_value
      - .offset:         64
        .size:           8
        .value_kind:     by_value
      - .address_space:  global
        .offset:         72
        .size:           8
        .value_kind:     global_buffer
      - .address_space:  global
        .offset:         80
        .size:           8
        .value_kind:     global_buffer
      - .offset:         88
        .size:           8
        .value_kind:     by_value
      - .offset:         96
        .size:           8
        .value_kind:     by_value
      - .offset:         104
        .size:           4
        .value_kind:     by_value
    .group_segment_fixed_size: 2048
    .kernarg_segment_align: 8
    .kernarg_segment_size: 108
    .language:       OpenCL C
    .language_version:
      - 2
      - 0
    .max_flat_workgroup_size: 256
    .name:           _ZL29rocblas_internal_gemmt_kernelIlLi16ELi32ELi8ELc78ELc84ELc85ELb0ELb0EfPKfS1_PfEviT_T9_T10_S3_lS5_S3_lS4_T11_S3_li
    .private_segment_fixed_size: 0
    .sgpr_count:     36
    .sgpr_spill_count: 0
    .symbol:         _ZL29rocblas_internal_gemmt_kernelIlLi16ELi32ELi8ELc78ELc84ELc85ELb0ELb0EfPKfS1_PfEviT_T9_T10_S3_lS5_S3_lS4_T11_S3_li.kd
    .uniform_work_group_size: 1
    .uses_dynamic_stack: false
    .vgpr_count:     56
    .vgpr_spill_count: 0
    .wavefront_size: 32
    .workgroup_processor_mode: 1
  - .args:
      - .offset:         0
        .size:           4
        .value_kind:     by_value
      - .offset:         8
        .size:           8
        .value_kind:     by_value
      - .address_space:  global
        .offset:         16
        .size:           8
        .value_kind:     global_buffer
      - .address_space:  global
        .offset:         24
        .size:           8
        .value_kind:     global_buffer
      - .offset:         32
        .size:           8
        .value_kind:     by_value
      - .offset:         40
        .size:           8
        .value_kind:     by_value
      - .address_space:  global
        .offset:         48
        .size:           8
        .value_kind:     global_buffer
      - .offset:         56
        .size:           8
        .value_kind:     by_value
      - .offset:         64
        .size:           8
        .value_kind:     by_value
      - .address_space:  global
        .offset:         72
        .size:           8
        .value_kind:     global_buffer
      - .address_space:  global
        .offset:         80
        .size:           8
        .value_kind:     global_buffer
      - .offset:         88
        .size:           8
        .value_kind:     by_value
      - .offset:         96
        .size:           8
        .value_kind:     by_value
      - .offset:         104
        .size:           4
        .value_kind:     by_value
    .group_segment_fixed_size: 2048
    .kernarg_segment_align: 8
    .kernarg_segment_size: 108
    .language:       OpenCL C
    .language_version:
      - 2
      - 0
    .max_flat_workgroup_size: 256
    .name:           _ZL29rocblas_internal_gemmt_kernelIlLi16ELi32ELi8ELc78ELc67ELc85ELb0ELb0EfPKfS1_PfEviT_T9_T10_S3_lS5_S3_lS4_T11_S3_li
    .private_segment_fixed_size: 0
    .sgpr_count:     36
    .sgpr_spill_count: 0
    .symbol:         _ZL29rocblas_internal_gemmt_kernelIlLi16ELi32ELi8ELc78ELc67ELc85ELb0ELb0EfPKfS1_PfEviT_T9_T10_S3_lS5_S3_lS4_T11_S3_li.kd
    .uniform_work_group_size: 1
    .uses_dynamic_stack: false
    .vgpr_count:     56
    .vgpr_spill_count: 0
    .wavefront_size: 32
    .workgroup_processor_mode: 1
  - .args:
      - .offset:         0
        .size:           4
        .value_kind:     by_value
      - .offset:         8
        .size:           8
        .value_kind:     by_value
      - .address_space:  global
        .offset:         16
        .size:           8
        .value_kind:     global_buffer
      - .address_space:  global
        .offset:         24
        .size:           8
        .value_kind:     global_buffer
      - .offset:         32
        .size:           8
        .value_kind:     by_value
      - .offset:         40
        .size:           8
        .value_kind:     by_value
      - .address_space:  global
        .offset:         48
        .size:           8
        .value_kind:     global_buffer
      - .offset:         56
        .size:           8
        .value_kind:     by_value
      - .offset:         64
        .size:           8
        .value_kind:     by_value
      - .address_space:  global
        .offset:         72
        .size:           8
        .value_kind:     global_buffer
      - .address_space:  global
        .offset:         80
        .size:           8
        .value_kind:     global_buffer
      - .offset:         88
        .size:           8
        .value_kind:     by_value
      - .offset:         96
        .size:           8
        .value_kind:     by_value
      - .offset:         104
        .size:           4
        .value_kind:     by_value
    .group_segment_fixed_size: 2048
    .kernarg_segment_align: 8
    .kernarg_segment_size: 108
    .language:       OpenCL C
    .language_version:
      - 2
      - 0
    .max_flat_workgroup_size: 256
    .name:           _ZL29rocblas_internal_gemmt_kernelIlLi16ELi32ELi8ELc84ELc78ELc85ELb0ELb0EfPKfS1_PfEviT_T9_T10_S3_lS5_S3_lS4_T11_S3_li
    .private_segment_fixed_size: 0
    .sgpr_count:     34
    .sgpr_spill_count: 0
    .symbol:         _ZL29rocblas_internal_gemmt_kernelIlLi16ELi32ELi8ELc84ELc78ELc85ELb0ELb0EfPKfS1_PfEviT_T9_T10_S3_lS5_S3_lS4_T11_S3_li.kd
    .uniform_work_group_size: 1
    .uses_dynamic_stack: false
    .vgpr_count:     56
    .vgpr_spill_count: 0
    .wavefront_size: 32
    .workgroup_processor_mode: 1
  - .args:
      - .offset:         0
        .size:           4
        .value_kind:     by_value
      - .offset:         8
        .size:           8
        .value_kind:     by_value
      - .address_space:  global
        .offset:         16
        .size:           8
        .value_kind:     global_buffer
      - .address_space:  global
        .offset:         24
        .size:           8
        .value_kind:     global_buffer
      - .offset:         32
        .size:           8
        .value_kind:     by_value
      - .offset:         40
        .size:           8
        .value_kind:     by_value
      - .address_space:  global
        .offset:         48
        .size:           8
        .value_kind:     global_buffer
      - .offset:         56
        .size:           8
        .value_kind:     by_value
      - .offset:         64
        .size:           8
        .value_kind:     by_value
      - .address_space:  global
        .offset:         72
        .size:           8
        .value_kind:     global_buffer
      - .address_space:  global
        .offset:         80
        .size:           8
        .value_kind:     global_buffer
      - .offset:         88
        .size:           8
        .value_kind:     by_value
      - .offset:         96
        .size:           8
        .value_kind:     by_value
      - .offset:         104
        .size:           4
        .value_kind:     by_value
    .group_segment_fixed_size: 2048
    .kernarg_segment_align: 8
    .kernarg_segment_size: 108
    .language:       OpenCL C
    .language_version:
      - 2
      - 0
    .max_flat_workgroup_size: 256
    .name:           _ZL29rocblas_internal_gemmt_kernelIlLi16ELi32ELi8ELc84ELc84ELc85ELb0ELb0EfPKfS1_PfEviT_T9_T10_S3_lS5_S3_lS4_T11_S3_li
    .private_segment_fixed_size: 0
    .sgpr_count:     36
    .sgpr_spill_count: 0
    .symbol:         _ZL29rocblas_internal_gemmt_kernelIlLi16ELi32ELi8ELc84ELc84ELc85ELb0ELb0EfPKfS1_PfEviT_T9_T10_S3_lS5_S3_lS4_T11_S3_li.kd
    .uniform_work_group_size: 1
    .uses_dynamic_stack: false
    .vgpr_count:     56
    .vgpr_spill_count: 0
    .wavefront_size: 32
    .workgroup_processor_mode: 1
  - .args:
      - .offset:         0
        .size:           4
        .value_kind:     by_value
      - .offset:         8
        .size:           8
        .value_kind:     by_value
      - .address_space:  global
        .offset:         16
        .size:           8
        .value_kind:     global_buffer
      - .address_space:  global
        .offset:         24
        .size:           8
        .value_kind:     global_buffer
      - .offset:         32
        .size:           8
        .value_kind:     by_value
      - .offset:         40
        .size:           8
        .value_kind:     by_value
      - .address_space:  global
        .offset:         48
        .size:           8
        .value_kind:     global_buffer
      - .offset:         56
        .size:           8
        .value_kind:     by_value
      - .offset:         64
        .size:           8
        .value_kind:     by_value
      - .address_space:  global
        .offset:         72
        .size:           8
        .value_kind:     global_buffer
      - .address_space:  global
        .offset:         80
        .size:           8
        .value_kind:     global_buffer
      - .offset:         88
        .size:           8
        .value_kind:     by_value
      - .offset:         96
        .size:           8
        .value_kind:     by_value
      - .offset:         104
        .size:           4
        .value_kind:     by_value
    .group_segment_fixed_size: 2048
    .kernarg_segment_align: 8
    .kernarg_segment_size: 108
    .language:       OpenCL C
    .language_version:
      - 2
      - 0
    .max_flat_workgroup_size: 256
    .name:           _ZL29rocblas_internal_gemmt_kernelIlLi16ELi32ELi8ELc84ELc67ELc85ELb0ELb0EfPKfS1_PfEviT_T9_T10_S3_lS5_S3_lS4_T11_S3_li
    .private_segment_fixed_size: 0
    .sgpr_count:     36
    .sgpr_spill_count: 0
    .symbol:         _ZL29rocblas_internal_gemmt_kernelIlLi16ELi32ELi8ELc84ELc67ELc85ELb0ELb0EfPKfS1_PfEviT_T9_T10_S3_lS5_S3_lS4_T11_S3_li.kd
    .uniform_work_group_size: 1
    .uses_dynamic_stack: false
    .vgpr_count:     56
    .vgpr_spill_count: 0
    .wavefront_size: 32
    .workgroup_processor_mode: 1
  - .args:
      - .offset:         0
        .size:           4
        .value_kind:     by_value
      - .offset:         8
        .size:           8
        .value_kind:     by_value
      - .address_space:  global
        .offset:         16
        .size:           8
        .value_kind:     global_buffer
      - .address_space:  global
        .offset:         24
        .size:           8
        .value_kind:     global_buffer
      - .offset:         32
        .size:           8
        .value_kind:     by_value
      - .offset:         40
        .size:           8
        .value_kind:     by_value
      - .address_space:  global
        .offset:         48
        .size:           8
        .value_kind:     global_buffer
      - .offset:         56
        .size:           8
        .value_kind:     by_value
      - .offset:         64
        .size:           8
        .value_kind:     by_value
      - .address_space:  global
        .offset:         72
        .size:           8
        .value_kind:     global_buffer
      - .address_space:  global
        .offset:         80
        .size:           8
        .value_kind:     global_buffer
      - .offset:         88
        .size:           8
        .value_kind:     by_value
      - .offset:         96
        .size:           8
        .value_kind:     by_value
      - .offset:         104
        .size:           4
        .value_kind:     by_value
    .group_segment_fixed_size: 2048
    .kernarg_segment_align: 8
    .kernarg_segment_size: 108
    .language:       OpenCL C
    .language_version:
      - 2
      - 0
    .max_flat_workgroup_size: 256
    .name:           _ZL29rocblas_internal_gemmt_kernelIlLi16ELi32ELi8ELc67ELc78ELc85ELb0ELb0EfPKfS1_PfEviT_T9_T10_S3_lS5_S3_lS4_T11_S3_li
    .private_segment_fixed_size: 0
    .sgpr_count:     34
    .sgpr_spill_count: 0
    .symbol:         _ZL29rocblas_internal_gemmt_kernelIlLi16ELi32ELi8ELc67ELc78ELc85ELb0ELb0EfPKfS1_PfEviT_T9_T10_S3_lS5_S3_lS4_T11_S3_li.kd
    .uniform_work_group_size: 1
    .uses_dynamic_stack: false
    .vgpr_count:     56
    .vgpr_spill_count: 0
    .wavefront_size: 32
    .workgroup_processor_mode: 1
  - .args:
      - .offset:         0
        .size:           4
        .value_kind:     by_value
      - .offset:         8
        .size:           8
        .value_kind:     by_value
      - .address_space:  global
        .offset:         16
        .size:           8
        .value_kind:     global_buffer
      - .address_space:  global
        .offset:         24
        .size:           8
        .value_kind:     global_buffer
      - .offset:         32
        .size:           8
        .value_kind:     by_value
      - .offset:         40
        .size:           8
        .value_kind:     by_value
      - .address_space:  global
        .offset:         48
        .size:           8
        .value_kind:     global_buffer
      - .offset:         56
        .size:           8
        .value_kind:     by_value
      - .offset:         64
        .size:           8
        .value_kind:     by_value
      - .address_space:  global
        .offset:         72
        .size:           8
        .value_kind:     global_buffer
      - .address_space:  global
        .offset:         80
        .size:           8
        .value_kind:     global_buffer
      - .offset:         88
        .size:           8
        .value_kind:     by_value
      - .offset:         96
        .size:           8
        .value_kind:     by_value
      - .offset:         104
        .size:           4
        .value_kind:     by_value
    .group_segment_fixed_size: 2048
    .kernarg_segment_align: 8
    .kernarg_segment_size: 108
    .language:       OpenCL C
    .language_version:
      - 2
      - 0
    .max_flat_workgroup_size: 256
    .name:           _ZL29rocblas_internal_gemmt_kernelIlLi16ELi32ELi8ELc67ELc84ELc85ELb0ELb0EfPKfS1_PfEviT_T9_T10_S3_lS5_S3_lS4_T11_S3_li
    .private_segment_fixed_size: 0
    .sgpr_count:     36
    .sgpr_spill_count: 0
    .symbol:         _ZL29rocblas_internal_gemmt_kernelIlLi16ELi32ELi8ELc67ELc84ELc85ELb0ELb0EfPKfS1_PfEviT_T9_T10_S3_lS5_S3_lS4_T11_S3_li.kd
    .uniform_work_group_size: 1
    .uses_dynamic_stack: false
    .vgpr_count:     56
    .vgpr_spill_count: 0
    .wavefront_size: 32
    .workgroup_processor_mode: 1
  - .args:
      - .offset:         0
        .size:           4
        .value_kind:     by_value
      - .offset:         8
        .size:           8
        .value_kind:     by_value
      - .address_space:  global
        .offset:         16
        .size:           8
        .value_kind:     global_buffer
      - .address_space:  global
        .offset:         24
        .size:           8
        .value_kind:     global_buffer
      - .offset:         32
        .size:           8
        .value_kind:     by_value
      - .offset:         40
        .size:           8
        .value_kind:     by_value
      - .address_space:  global
        .offset:         48
        .size:           8
        .value_kind:     global_buffer
      - .offset:         56
        .size:           8
        .value_kind:     by_value
      - .offset:         64
        .size:           8
        .value_kind:     by_value
      - .address_space:  global
        .offset:         72
        .size:           8
        .value_kind:     global_buffer
      - .address_space:  global
        .offset:         80
        .size:           8
        .value_kind:     global_buffer
      - .offset:         88
        .size:           8
        .value_kind:     by_value
      - .offset:         96
        .size:           8
        .value_kind:     by_value
      - .offset:         104
        .size:           4
        .value_kind:     by_value
    .group_segment_fixed_size: 2048
    .kernarg_segment_align: 8
    .kernarg_segment_size: 108
    .language:       OpenCL C
    .language_version:
      - 2
      - 0
    .max_flat_workgroup_size: 256
    .name:           _ZL29rocblas_internal_gemmt_kernelIlLi16ELi32ELi8ELc67ELc67ELc85ELb0ELb0EfPKfS1_PfEviT_T9_T10_S3_lS5_S3_lS4_T11_S3_li
    .private_segment_fixed_size: 0
    .sgpr_count:     36
    .sgpr_spill_count: 0
    .symbol:         _ZL29rocblas_internal_gemmt_kernelIlLi16ELi32ELi8ELc67ELc67ELc85ELb0ELb0EfPKfS1_PfEviT_T9_T10_S3_lS5_S3_lS4_T11_S3_li.kd
    .uniform_work_group_size: 1
    .uses_dynamic_stack: false
    .vgpr_count:     56
    .vgpr_spill_count: 0
    .wavefront_size: 32
    .workgroup_processor_mode: 1
  - .args:
      - .offset:         0
        .size:           4
        .value_kind:     by_value
      - .offset:         8
        .size:           8
        .value_kind:     by_value
      - .address_space:  global
        .offset:         16
        .size:           8
        .value_kind:     global_buffer
      - .address_space:  global
        .offset:         24
        .size:           8
        .value_kind:     global_buffer
      - .offset:         32
        .size:           8
        .value_kind:     by_value
      - .offset:         40
        .size:           8
        .value_kind:     by_value
      - .address_space:  global
        .offset:         48
        .size:           8
        .value_kind:     global_buffer
      - .offset:         56
        .size:           8
        .value_kind:     by_value
      - .offset:         64
        .size:           8
        .value_kind:     by_value
      - .address_space:  global
        .offset:         72
        .size:           8
        .value_kind:     global_buffer
      - .address_space:  global
        .offset:         80
        .size:           8
        .value_kind:     global_buffer
      - .offset:         88
        .size:           8
        .value_kind:     by_value
      - .offset:         96
        .size:           8
        .value_kind:     by_value
      - .offset:         104
        .size:           4
        .value_kind:     by_value
    .group_segment_fixed_size: 2048
    .kernarg_segment_align: 8
    .kernarg_segment_size: 108
    .language:       OpenCL C
    .language_version:
      - 2
      - 0
    .max_flat_workgroup_size: 256
    .name:           _ZL29rocblas_internal_gemmt_kernelIlLi16ELi32ELi8ELc78ELc78ELc76ELb0ELb0EfPKfS1_PfEviT_T9_T10_S3_lS5_S3_lS4_T11_S3_li
    .private_segment_fixed_size: 0
    .sgpr_count:     34
    .sgpr_spill_count: 0
    .symbol:         _ZL29rocblas_internal_gemmt_kernelIlLi16ELi32ELi8ELc78ELc78ELc76ELb0ELb0EfPKfS1_PfEviT_T9_T10_S3_lS5_S3_lS4_T11_S3_li.kd
    .uniform_work_group_size: 1
    .uses_dynamic_stack: false
    .vgpr_count:     56
    .vgpr_spill_count: 0
    .wavefront_size: 32
    .workgroup_processor_mode: 1
  - .args:
      - .offset:         0
        .size:           4
        .value_kind:     by_value
      - .offset:         8
        .size:           8
        .value_kind:     by_value
      - .address_space:  global
        .offset:         16
        .size:           8
        .value_kind:     global_buffer
      - .address_space:  global
        .offset:         24
        .size:           8
        .value_kind:     global_buffer
      - .offset:         32
        .size:           8
        .value_kind:     by_value
      - .offset:         40
        .size:           8
        .value_kind:     by_value
      - .address_space:  global
        .offset:         48
        .size:           8
        .value_kind:     global_buffer
      - .offset:         56
        .size:           8
        .value_kind:     by_value
      - .offset:         64
        .size:           8
        .value_kind:     by_value
      - .address_space:  global
        .offset:         72
        .size:           8
        .value_kind:     global_buffer
      - .address_space:  global
        .offset:         80
        .size:           8
        .value_kind:     global_buffer
      - .offset:         88
        .size:           8
        .value_kind:     by_value
      - .offset:         96
        .size:           8
        .value_kind:     by_value
      - .offset:         104
        .size:           4
        .value_kind:     by_value
    .group_segment_fixed_size: 2048
    .kernarg_segment_align: 8
    .kernarg_segment_size: 108
    .language:       OpenCL C
    .language_version:
      - 2
      - 0
    .max_flat_workgroup_size: 256
    .name:           _ZL29rocblas_internal_gemmt_kernelIlLi16ELi32ELi8ELc78ELc84ELc76ELb0ELb0EfPKfS1_PfEviT_T9_T10_S3_lS5_S3_lS4_T11_S3_li
    .private_segment_fixed_size: 0
    .sgpr_count:     36
    .sgpr_spill_count: 0
    .symbol:         _ZL29rocblas_internal_gemmt_kernelIlLi16ELi32ELi8ELc78ELc84ELc76ELb0ELb0EfPKfS1_PfEviT_T9_T10_S3_lS5_S3_lS4_T11_S3_li.kd
    .uniform_work_group_size: 1
    .uses_dynamic_stack: false
    .vgpr_count:     56
    .vgpr_spill_count: 0
    .wavefront_size: 32
    .workgroup_processor_mode: 1
  - .args:
      - .offset:         0
        .size:           4
        .value_kind:     by_value
      - .offset:         8
        .size:           8
        .value_kind:     by_value
      - .address_space:  global
        .offset:         16
        .size:           8
        .value_kind:     global_buffer
      - .address_space:  global
        .offset:         24
        .size:           8
        .value_kind:     global_buffer
      - .offset:         32
        .size:           8
        .value_kind:     by_value
      - .offset:         40
        .size:           8
        .value_kind:     by_value
      - .address_space:  global
        .offset:         48
        .size:           8
        .value_kind:     global_buffer
      - .offset:         56
        .size:           8
        .value_kind:     by_value
      - .offset:         64
        .size:           8
        .value_kind:     by_value
      - .address_space:  global
        .offset:         72
        .size:           8
        .value_kind:     global_buffer
      - .address_space:  global
        .offset:         80
        .size:           8
        .value_kind:     global_buffer
      - .offset:         88
        .size:           8
        .value_kind:     by_value
      - .offset:         96
        .size:           8
        .value_kind:     by_value
      - .offset:         104
        .size:           4
        .value_kind:     by_value
    .group_segment_fixed_size: 2048
    .kernarg_segment_align: 8
    .kernarg_segment_size: 108
    .language:       OpenCL C
    .language_version:
      - 2
      - 0
    .max_flat_workgroup_size: 256
    .name:           _ZL29rocblas_internal_gemmt_kernelIlLi16ELi32ELi8ELc78ELc67ELc76ELb0ELb0EfPKfS1_PfEviT_T9_T10_S3_lS5_S3_lS4_T11_S3_li
    .private_segment_fixed_size: 0
    .sgpr_count:     36
    .sgpr_spill_count: 0
    .symbol:         _ZL29rocblas_internal_gemmt_kernelIlLi16ELi32ELi8ELc78ELc67ELc76ELb0ELb0EfPKfS1_PfEviT_T9_T10_S3_lS5_S3_lS4_T11_S3_li.kd
    .uniform_work_group_size: 1
    .uses_dynamic_stack: false
    .vgpr_count:     56
    .vgpr_spill_count: 0
    .wavefront_size: 32
    .workgroup_processor_mode: 1
  - .args:
      - .offset:         0
        .size:           4
        .value_kind:     by_value
      - .offset:         8
        .size:           8
        .value_kind:     by_value
      - .address_space:  global
        .offset:         16
        .size:           8
        .value_kind:     global_buffer
      - .address_space:  global
        .offset:         24
        .size:           8
        .value_kind:     global_buffer
      - .offset:         32
        .size:           8
        .value_kind:     by_value
      - .offset:         40
        .size:           8
        .value_kind:     by_value
      - .address_space:  global
        .offset:         48
        .size:           8
        .value_kind:     global_buffer
      - .offset:         56
        .size:           8
        .value_kind:     by_value
      - .offset:         64
        .size:           8
        .value_kind:     by_value
      - .address_space:  global
        .offset:         72
        .size:           8
        .value_kind:     global_buffer
      - .address_space:  global
        .offset:         80
        .size:           8
        .value_kind:     global_buffer
      - .offset:         88
        .size:           8
        .value_kind:     by_value
      - .offset:         96
        .size:           8
        .value_kind:     by_value
      - .offset:         104
        .size:           4
        .value_kind:     by_value
    .group_segment_fixed_size: 2048
    .kernarg_segment_align: 8
    .kernarg_segment_size: 108
    .language:       OpenCL C
    .language_version:
      - 2
      - 0
    .max_flat_workgroup_size: 256
    .name:           _ZL29rocblas_internal_gemmt_kernelIlLi16ELi32ELi8ELc84ELc78ELc76ELb0ELb0EfPKfS1_PfEviT_T9_T10_S3_lS5_S3_lS4_T11_S3_li
    .private_segment_fixed_size: 0
    .sgpr_count:     34
    .sgpr_spill_count: 0
    .symbol:         _ZL29rocblas_internal_gemmt_kernelIlLi16ELi32ELi8ELc84ELc78ELc76ELb0ELb0EfPKfS1_PfEviT_T9_T10_S3_lS5_S3_lS4_T11_S3_li.kd
    .uniform_work_group_size: 1
    .uses_dynamic_stack: false
    .vgpr_count:     56
    .vgpr_spill_count: 0
    .wavefront_size: 32
    .workgroup_processor_mode: 1
  - .args:
      - .offset:         0
        .size:           4
        .value_kind:     by_value
      - .offset:         8
        .size:           8
        .value_kind:     by_value
      - .address_space:  global
        .offset:         16
        .size:           8
        .value_kind:     global_buffer
      - .address_space:  global
        .offset:         24
        .size:           8
        .value_kind:     global_buffer
      - .offset:         32
        .size:           8
        .value_kind:     by_value
      - .offset:         40
        .size:           8
        .value_kind:     by_value
      - .address_space:  global
        .offset:         48
        .size:           8
        .value_kind:     global_buffer
      - .offset:         56
        .size:           8
        .value_kind:     by_value
      - .offset:         64
        .size:           8
        .value_kind:     by_value
      - .address_space:  global
        .offset:         72
        .size:           8
        .value_kind:     global_buffer
      - .address_space:  global
        .offset:         80
        .size:           8
        .value_kind:     global_buffer
      - .offset:         88
        .size:           8
        .value_kind:     by_value
      - .offset:         96
        .size:           8
        .value_kind:     by_value
      - .offset:         104
        .size:           4
        .value_kind:     by_value
    .group_segment_fixed_size: 2048
    .kernarg_segment_align: 8
    .kernarg_segment_size: 108
    .language:       OpenCL C
    .language_version:
      - 2
      - 0
    .max_flat_workgroup_size: 256
    .name:           _ZL29rocblas_internal_gemmt_kernelIlLi16ELi32ELi8ELc84ELc84ELc76ELb0ELb0EfPKfS1_PfEviT_T9_T10_S3_lS5_S3_lS4_T11_S3_li
    .private_segment_fixed_size: 0
    .sgpr_count:     36
    .sgpr_spill_count: 0
    .symbol:         _ZL29rocblas_internal_gemmt_kernelIlLi16ELi32ELi8ELc84ELc84ELc76ELb0ELb0EfPKfS1_PfEviT_T9_T10_S3_lS5_S3_lS4_T11_S3_li.kd
    .uniform_work_group_size: 1
    .uses_dynamic_stack: false
    .vgpr_count:     56
    .vgpr_spill_count: 0
    .wavefront_size: 32
    .workgroup_processor_mode: 1
  - .args:
      - .offset:         0
        .size:           4
        .value_kind:     by_value
      - .offset:         8
        .size:           8
        .value_kind:     by_value
      - .address_space:  global
        .offset:         16
        .size:           8
        .value_kind:     global_buffer
      - .address_space:  global
        .offset:         24
        .size:           8
        .value_kind:     global_buffer
      - .offset:         32
        .size:           8
        .value_kind:     by_value
      - .offset:         40
        .size:           8
        .value_kind:     by_value
      - .address_space:  global
        .offset:         48
        .size:           8
        .value_kind:     global_buffer
      - .offset:         56
        .size:           8
        .value_kind:     by_value
      - .offset:         64
        .size:           8
        .value_kind:     by_value
      - .address_space:  global
        .offset:         72
        .size:           8
        .value_kind:     global_buffer
      - .address_space:  global
        .offset:         80
        .size:           8
        .value_kind:     global_buffer
      - .offset:         88
        .size:           8
        .value_kind:     by_value
      - .offset:         96
        .size:           8
        .value_kind:     by_value
      - .offset:         104
        .size:           4
        .value_kind:     by_value
    .group_segment_fixed_size: 2048
    .kernarg_segment_align: 8
    .kernarg_segment_size: 108
    .language:       OpenCL C
    .language_version:
      - 2
      - 0
    .max_flat_workgroup_size: 256
    .name:           _ZL29rocblas_internal_gemmt_kernelIlLi16ELi32ELi8ELc84ELc67ELc76ELb0ELb0EfPKfS1_PfEviT_T9_T10_S3_lS5_S3_lS4_T11_S3_li
    .private_segment_fixed_size: 0
    .sgpr_count:     36
    .sgpr_spill_count: 0
    .symbol:         _ZL29rocblas_internal_gemmt_kernelIlLi16ELi32ELi8ELc84ELc67ELc76ELb0ELb0EfPKfS1_PfEviT_T9_T10_S3_lS5_S3_lS4_T11_S3_li.kd
    .uniform_work_group_size: 1
    .uses_dynamic_stack: false
    .vgpr_count:     56
    .vgpr_spill_count: 0
    .wavefront_size: 32
    .workgroup_processor_mode: 1
  - .args:
      - .offset:         0
        .size:           4
        .value_kind:     by_value
      - .offset:         8
        .size:           8
        .value_kind:     by_value
      - .address_space:  global
        .offset:         16
        .size:           8
        .value_kind:     global_buffer
      - .address_space:  global
        .offset:         24
        .size:           8
        .value_kind:     global_buffer
      - .offset:         32
        .size:           8
        .value_kind:     by_value
      - .offset:         40
        .size:           8
        .value_kind:     by_value
      - .address_space:  global
        .offset:         48
        .size:           8
        .value_kind:     global_buffer
      - .offset:         56
        .size:           8
        .value_kind:     by_value
      - .offset:         64
        .size:           8
        .value_kind:     by_value
      - .address_space:  global
        .offset:         72
        .size:           8
        .value_kind:     global_buffer
      - .address_space:  global
        .offset:         80
        .size:           8
        .value_kind:     global_buffer
      - .offset:         88
        .size:           8
        .value_kind:     by_value
      - .offset:         96
        .size:           8
        .value_kind:     by_value
      - .offset:         104
        .size:           4
        .value_kind:     by_value
    .group_segment_fixed_size: 2048
    .kernarg_segment_align: 8
    .kernarg_segment_size: 108
    .language:       OpenCL C
    .language_version:
      - 2
      - 0
    .max_flat_workgroup_size: 256
    .name:           _ZL29rocblas_internal_gemmt_kernelIlLi16ELi32ELi8ELc67ELc78ELc76ELb0ELb0EfPKfS1_PfEviT_T9_T10_S3_lS5_S3_lS4_T11_S3_li
    .private_segment_fixed_size: 0
    .sgpr_count:     34
    .sgpr_spill_count: 0
    .symbol:         _ZL29rocblas_internal_gemmt_kernelIlLi16ELi32ELi8ELc67ELc78ELc76ELb0ELb0EfPKfS1_PfEviT_T9_T10_S3_lS5_S3_lS4_T11_S3_li.kd
    .uniform_work_group_size: 1
    .uses_dynamic_stack: false
    .vgpr_count:     56
    .vgpr_spill_count: 0
    .wavefront_size: 32
    .workgroup_processor_mode: 1
  - .args:
      - .offset:         0
        .size:           4
        .value_kind:     by_value
      - .offset:         8
        .size:           8
        .value_kind:     by_value
      - .address_space:  global
        .offset:         16
        .size:           8
        .value_kind:     global_buffer
      - .address_space:  global
        .offset:         24
        .size:           8
        .value_kind:     global_buffer
      - .offset:         32
        .size:           8
        .value_kind:     by_value
      - .offset:         40
        .size:           8
        .value_kind:     by_value
      - .address_space:  global
        .offset:         48
        .size:           8
        .value_kind:     global_buffer
      - .offset:         56
        .size:           8
        .value_kind:     by_value
      - .offset:         64
        .size:           8
        .value_kind:     by_value
      - .address_space:  global
        .offset:         72
        .size:           8
        .value_kind:     global_buffer
      - .address_space:  global
        .offset:         80
        .size:           8
        .value_kind:     global_buffer
      - .offset:         88
        .size:           8
        .value_kind:     by_value
      - .offset:         96
        .size:           8
        .value_kind:     by_value
      - .offset:         104
        .size:           4
        .value_kind:     by_value
    .group_segment_fixed_size: 2048
    .kernarg_segment_align: 8
    .kernarg_segment_size: 108
    .language:       OpenCL C
    .language_version:
      - 2
      - 0
    .max_flat_workgroup_size: 256
    .name:           _ZL29rocblas_internal_gemmt_kernelIlLi16ELi32ELi8ELc67ELc84ELc76ELb0ELb0EfPKfS1_PfEviT_T9_T10_S3_lS5_S3_lS4_T11_S3_li
    .private_segment_fixed_size: 0
    .sgpr_count:     36
    .sgpr_spill_count: 0
    .symbol:         _ZL29rocblas_internal_gemmt_kernelIlLi16ELi32ELi8ELc67ELc84ELc76ELb0ELb0EfPKfS1_PfEviT_T9_T10_S3_lS5_S3_lS4_T11_S3_li.kd
    .uniform_work_group_size: 1
    .uses_dynamic_stack: false
    .vgpr_count:     56
    .vgpr_spill_count: 0
    .wavefront_size: 32
    .workgroup_processor_mode: 1
  - .args:
      - .offset:         0
        .size:           4
        .value_kind:     by_value
      - .offset:         8
        .size:           8
        .value_kind:     by_value
      - .address_space:  global
        .offset:         16
        .size:           8
        .value_kind:     global_buffer
      - .address_space:  global
        .offset:         24
        .size:           8
        .value_kind:     global_buffer
      - .offset:         32
        .size:           8
        .value_kind:     by_value
      - .offset:         40
        .size:           8
        .value_kind:     by_value
      - .address_space:  global
        .offset:         48
        .size:           8
        .value_kind:     global_buffer
      - .offset:         56
        .size:           8
        .value_kind:     by_value
      - .offset:         64
        .size:           8
        .value_kind:     by_value
      - .address_space:  global
        .offset:         72
        .size:           8
        .value_kind:     global_buffer
      - .address_space:  global
        .offset:         80
        .size:           8
        .value_kind:     global_buffer
      - .offset:         88
        .size:           8
        .value_kind:     by_value
      - .offset:         96
        .size:           8
        .value_kind:     by_value
      - .offset:         104
        .size:           4
        .value_kind:     by_value
    .group_segment_fixed_size: 2048
    .kernarg_segment_align: 8
    .kernarg_segment_size: 108
    .language:       OpenCL C
    .language_version:
      - 2
      - 0
    .max_flat_workgroup_size: 256
    .name:           _ZL29rocblas_internal_gemmt_kernelIlLi16ELi32ELi8ELc67ELc67ELc76ELb0ELb0EfPKfS1_PfEviT_T9_T10_S3_lS5_S3_lS4_T11_S3_li
    .private_segment_fixed_size: 0
    .sgpr_count:     36
    .sgpr_spill_count: 0
    .symbol:         _ZL29rocblas_internal_gemmt_kernelIlLi16ELi32ELi8ELc67ELc67ELc76ELb0ELb0EfPKfS1_PfEviT_T9_T10_S3_lS5_S3_lS4_T11_S3_li.kd
    .uniform_work_group_size: 1
    .uses_dynamic_stack: false
    .vgpr_count:     56
    .vgpr_spill_count: 0
    .wavefront_size: 32
    .workgroup_processor_mode: 1
  - .args:
      - .offset:         0
        .size:           4
        .value_kind:     by_value
      - .offset:         8
        .size:           8
        .value_kind:     by_value
      - .offset:         16
        .size:           4
        .value_kind:     by_value
      - .address_space:  global
        .offset:         24
        .size:           8
        .value_kind:     global_buffer
      - .offset:         32
        .size:           8
        .value_kind:     by_value
      - .offset:         40
        .size:           8
        .value_kind:     by_value
      - .address_space:  global
        .offset:         48
        .size:           8
        .value_kind:     global_buffer
      - .offset:         56
        .size:           8
        .value_kind:     by_value
      - .offset:         64
        .size:           8
        .value_kind:     by_value
      - .offset:         72
        .size:           4
        .value_kind:     by_value
      - .address_space:  global
        .offset:         80
        .size:           8
        .value_kind:     global_buffer
      - .offset:         88
        .size:           8
        .value_kind:     by_value
      - .offset:         96
        .size:           8
        .value_kind:     by_value
      - .offset:         104
        .size:           4
        .value_kind:     by_value
    .group_segment_fixed_size: 2048
    .kernarg_segment_align: 8
    .kernarg_segment_size: 108
    .language:       OpenCL C
    .language_version:
      - 2
      - 0
    .max_flat_workgroup_size: 256
    .name:           _ZL29rocblas_internal_gemmt_kernelIlLi16ELi32ELi8ELc78ELc78ELc85ELb0ELb0EffPKfPfEviT_T9_T10_S3_lS5_S3_lS4_T11_S3_li
    .private_segment_fixed_size: 0
    .sgpr_count:     32
    .sgpr_spill_count: 0
    .symbol:         _ZL29rocblas_internal_gemmt_kernelIlLi16ELi32ELi8ELc78ELc78ELc85ELb0ELb0EffPKfPfEviT_T9_T10_S3_lS5_S3_lS4_T11_S3_li.kd
    .uniform_work_group_size: 1
    .uses_dynamic_stack: false
    .vgpr_count:     56
    .vgpr_spill_count: 0
    .wavefront_size: 32
    .workgroup_processor_mode: 1
  - .args:
      - .offset:         0
        .size:           4
        .value_kind:     by_value
      - .offset:         8
        .size:           8
        .value_kind:     by_value
      - .offset:         16
        .size:           4
        .value_kind:     by_value
      - .address_space:  global
        .offset:         24
        .size:           8
        .value_kind:     global_buffer
      - .offset:         32
        .size:           8
        .value_kind:     by_value
      - .offset:         40
        .size:           8
        .value_kind:     by_value
      - .address_space:  global
        .offset:         48
        .size:           8
        .value_kind:     global_buffer
      - .offset:         56
        .size:           8
        .value_kind:     by_value
      - .offset:         64
        .size:           8
        .value_kind:     by_value
      - .offset:         72
        .size:           4
        .value_kind:     by_value
      - .address_space:  global
        .offset:         80
        .size:           8
        .value_kind:     global_buffer
      - .offset:         88
        .size:           8
        .value_kind:     by_value
      - .offset:         96
        .size:           8
        .value_kind:     by_value
      - .offset:         104
        .size:           4
        .value_kind:     by_value
    .group_segment_fixed_size: 2048
    .kernarg_segment_align: 8
    .kernarg_segment_size: 108
    .language:       OpenCL C
    .language_version:
      - 2
      - 0
    .max_flat_workgroup_size: 256
    .name:           _ZL29rocblas_internal_gemmt_kernelIlLi16ELi32ELi8ELc78ELc84ELc85ELb0ELb0EffPKfPfEviT_T9_T10_S3_lS5_S3_lS4_T11_S3_li
    .private_segment_fixed_size: 0
    .sgpr_count:     34
    .sgpr_spill_count: 0
    .symbol:         _ZL29rocblas_internal_gemmt_kernelIlLi16ELi32ELi8ELc78ELc84ELc85ELb0ELb0EffPKfPfEviT_T9_T10_S3_lS5_S3_lS4_T11_S3_li.kd
    .uniform_work_group_size: 1
    .uses_dynamic_stack: false
    .vgpr_count:     56
    .vgpr_spill_count: 0
    .wavefront_size: 32
    .workgroup_processor_mode: 1
  - .args:
      - .offset:         0
        .size:           4
        .value_kind:     by_value
      - .offset:         8
        .size:           8
        .value_kind:     by_value
      - .offset:         16
        .size:           4
        .value_kind:     by_value
      - .address_space:  global
        .offset:         24
        .size:           8
        .value_kind:     global_buffer
      - .offset:         32
        .size:           8
        .value_kind:     by_value
      - .offset:         40
        .size:           8
        .value_kind:     by_value
      - .address_space:  global
        .offset:         48
        .size:           8
        .value_kind:     global_buffer
      - .offset:         56
        .size:           8
        .value_kind:     by_value
      - .offset:         64
        .size:           8
        .value_kind:     by_value
      - .offset:         72
        .size:           4
        .value_kind:     by_value
      - .address_space:  global
        .offset:         80
        .size:           8
        .value_kind:     global_buffer
      - .offset:         88
        .size:           8
        .value_kind:     by_value
      - .offset:         96
        .size:           8
        .value_kind:     by_value
      - .offset:         104
        .size:           4
        .value_kind:     by_value
    .group_segment_fixed_size: 2048
    .kernarg_segment_align: 8
    .kernarg_segment_size: 108
    .language:       OpenCL C
    .language_version:
      - 2
      - 0
    .max_flat_workgroup_size: 256
    .name:           _ZL29rocblas_internal_gemmt_kernelIlLi16ELi32ELi8ELc78ELc67ELc85ELb0ELb0EffPKfPfEviT_T9_T10_S3_lS5_S3_lS4_T11_S3_li
    .private_segment_fixed_size: 0
    .sgpr_count:     34
    .sgpr_spill_count: 0
    .symbol:         _ZL29rocblas_internal_gemmt_kernelIlLi16ELi32ELi8ELc78ELc67ELc85ELb0ELb0EffPKfPfEviT_T9_T10_S3_lS5_S3_lS4_T11_S3_li.kd
    .uniform_work_group_size: 1
    .uses_dynamic_stack: false
    .vgpr_count:     56
    .vgpr_spill_count: 0
    .wavefront_size: 32
    .workgroup_processor_mode: 1
  - .args:
      - .offset:         0
        .size:           4
        .value_kind:     by_value
      - .offset:         8
        .size:           8
        .value_kind:     by_value
      - .offset:         16
        .size:           4
        .value_kind:     by_value
      - .address_space:  global
        .offset:         24
        .size:           8
        .value_kind:     global_buffer
      - .offset:         32
        .size:           8
        .value_kind:     by_value
      - .offset:         40
        .size:           8
        .value_kind:     by_value
      - .address_space:  global
        .offset:         48
        .size:           8
        .value_kind:     global_buffer
      - .offset:         56
        .size:           8
        .value_kind:     by_value
      - .offset:         64
        .size:           8
        .value_kind:     by_value
      - .offset:         72
        .size:           4
        .value_kind:     by_value
      - .address_space:  global
        .offset:         80
        .size:           8
        .value_kind:     global_buffer
      - .offset:         88
        .size:           8
        .value_kind:     by_value
      - .offset:         96
        .size:           8
        .value_kind:     by_value
      - .offset:         104
        .size:           4
        .value_kind:     by_value
    .group_segment_fixed_size: 2048
    .kernarg_segment_align: 8
    .kernarg_segment_size: 108
    .language:       OpenCL C
    .language_version:
      - 2
      - 0
    .max_flat_workgroup_size: 256
    .name:           _ZL29rocblas_internal_gemmt_kernelIlLi16ELi32ELi8ELc84ELc78ELc85ELb0ELb0EffPKfPfEviT_T9_T10_S3_lS5_S3_lS4_T11_S3_li
    .private_segment_fixed_size: 0
    .sgpr_count:     32
    .sgpr_spill_count: 0
    .symbol:         _ZL29rocblas_internal_gemmt_kernelIlLi16ELi32ELi8ELc84ELc78ELc85ELb0ELb0EffPKfPfEviT_T9_T10_S3_lS5_S3_lS4_T11_S3_li.kd
    .uniform_work_group_size: 1
    .uses_dynamic_stack: false
    .vgpr_count:     56
    .vgpr_spill_count: 0
    .wavefront_size: 32
    .workgroup_processor_mode: 1
  - .args:
      - .offset:         0
        .size:           4
        .value_kind:     by_value
      - .offset:         8
        .size:           8
        .value_kind:     by_value
      - .offset:         16
        .size:           4
        .value_kind:     by_value
      - .address_space:  global
        .offset:         24
        .size:           8
        .value_kind:     global_buffer
      - .offset:         32
        .size:           8
        .value_kind:     by_value
      - .offset:         40
        .size:           8
        .value_kind:     by_value
      - .address_space:  global
        .offset:         48
        .size:           8
        .value_kind:     global_buffer
      - .offset:         56
        .size:           8
        .value_kind:     by_value
      - .offset:         64
        .size:           8
        .value_kind:     by_value
      - .offset:         72
        .size:           4
        .value_kind:     by_value
      - .address_space:  global
        .offset:         80
        .size:           8
        .value_kind:     global_buffer
      - .offset:         88
        .size:           8
        .value_kind:     by_value
      - .offset:         96
        .size:           8
        .value_kind:     by_value
      - .offset:         104
        .size:           4
        .value_kind:     by_value
    .group_segment_fixed_size: 2048
    .kernarg_segment_align: 8
    .kernarg_segment_size: 108
    .language:       OpenCL C
    .language_version:
      - 2
      - 0
    .max_flat_workgroup_size: 256
    .name:           _ZL29rocblas_internal_gemmt_kernelIlLi16ELi32ELi8ELc84ELc84ELc85ELb0ELb0EffPKfPfEviT_T9_T10_S3_lS5_S3_lS4_T11_S3_li
    .private_segment_fixed_size: 0
    .sgpr_count:     33
    .sgpr_spill_count: 0
    .symbol:         _ZL29rocblas_internal_gemmt_kernelIlLi16ELi32ELi8ELc84ELc84ELc85ELb0ELb0EffPKfPfEviT_T9_T10_S3_lS5_S3_lS4_T11_S3_li.kd
    .uniform_work_group_size: 1
    .uses_dynamic_stack: false
    .vgpr_count:     56
    .vgpr_spill_count: 0
    .wavefront_size: 32
    .workgroup_processor_mode: 1
  - .args:
      - .offset:         0
        .size:           4
        .value_kind:     by_value
      - .offset:         8
        .size:           8
        .value_kind:     by_value
      - .offset:         16
        .size:           4
        .value_kind:     by_value
      - .address_space:  global
        .offset:         24
        .size:           8
        .value_kind:     global_buffer
      - .offset:         32
        .size:           8
        .value_kind:     by_value
      - .offset:         40
        .size:           8
        .value_kind:     by_value
      - .address_space:  global
        .offset:         48
        .size:           8
        .value_kind:     global_buffer
      - .offset:         56
        .size:           8
        .value_kind:     by_value
      - .offset:         64
        .size:           8
        .value_kind:     by_value
      - .offset:         72
        .size:           4
        .value_kind:     by_value
      - .address_space:  global
        .offset:         80
        .size:           8
        .value_kind:     global_buffer
      - .offset:         88
        .size:           8
        .value_kind:     by_value
      - .offset:         96
        .size:           8
        .value_kind:     by_value
      - .offset:         104
        .size:           4
        .value_kind:     by_value
    .group_segment_fixed_size: 2048
    .kernarg_segment_align: 8
    .kernarg_segment_size: 108
    .language:       OpenCL C
    .language_version:
      - 2
      - 0
    .max_flat_workgroup_size: 256
    .name:           _ZL29rocblas_internal_gemmt_kernelIlLi16ELi32ELi8ELc84ELc67ELc85ELb0ELb0EffPKfPfEviT_T9_T10_S3_lS5_S3_lS4_T11_S3_li
    .private_segment_fixed_size: 0
    .sgpr_count:     33
    .sgpr_spill_count: 0
    .symbol:         _ZL29rocblas_internal_gemmt_kernelIlLi16ELi32ELi8ELc84ELc67ELc85ELb0ELb0EffPKfPfEviT_T9_T10_S3_lS5_S3_lS4_T11_S3_li.kd
    .uniform_work_group_size: 1
    .uses_dynamic_stack: false
    .vgpr_count:     56
    .vgpr_spill_count: 0
    .wavefront_size: 32
    .workgroup_processor_mode: 1
  - .args:
      - .offset:         0
        .size:           4
        .value_kind:     by_value
      - .offset:         8
        .size:           8
        .value_kind:     by_value
      - .offset:         16
        .size:           4
        .value_kind:     by_value
      - .address_space:  global
        .offset:         24
        .size:           8
        .value_kind:     global_buffer
      - .offset:         32
        .size:           8
        .value_kind:     by_value
      - .offset:         40
        .size:           8
        .value_kind:     by_value
      - .address_space:  global
        .offset:         48
        .size:           8
        .value_kind:     global_buffer
      - .offset:         56
        .size:           8
        .value_kind:     by_value
      - .offset:         64
        .size:           8
        .value_kind:     by_value
      - .offset:         72
        .size:           4
        .value_kind:     by_value
      - .address_space:  global
        .offset:         80
        .size:           8
        .value_kind:     global_buffer
      - .offset:         88
        .size:           8
        .value_kind:     by_value
      - .offset:         96
        .size:           8
        .value_kind:     by_value
      - .offset:         104
        .size:           4
        .value_kind:     by_value
    .group_segment_fixed_size: 2048
    .kernarg_segment_align: 8
    .kernarg_segment_size: 108
    .language:       OpenCL C
    .language_version:
      - 2
      - 0
    .max_flat_workgroup_size: 256
    .name:           _ZL29rocblas_internal_gemmt_kernelIlLi16ELi32ELi8ELc67ELc78ELc85ELb0ELb0EffPKfPfEviT_T9_T10_S3_lS5_S3_lS4_T11_S3_li
    .private_segment_fixed_size: 0
    .sgpr_count:     32
    .sgpr_spill_count: 0
    .symbol:         _ZL29rocblas_internal_gemmt_kernelIlLi16ELi32ELi8ELc67ELc78ELc85ELb0ELb0EffPKfPfEviT_T9_T10_S3_lS5_S3_lS4_T11_S3_li.kd
    .uniform_work_group_size: 1
    .uses_dynamic_stack: false
    .vgpr_count:     56
    .vgpr_spill_count: 0
    .wavefront_size: 32
    .workgroup_processor_mode: 1
  - .args:
      - .offset:         0
        .size:           4
        .value_kind:     by_value
      - .offset:         8
        .size:           8
        .value_kind:     by_value
      - .offset:         16
        .size:           4
        .value_kind:     by_value
      - .address_space:  global
        .offset:         24
        .size:           8
        .value_kind:     global_buffer
      - .offset:         32
        .size:           8
        .value_kind:     by_value
      - .offset:         40
        .size:           8
        .value_kind:     by_value
      - .address_space:  global
        .offset:         48
        .size:           8
        .value_kind:     global_buffer
      - .offset:         56
        .size:           8
        .value_kind:     by_value
      - .offset:         64
        .size:           8
        .value_kind:     by_value
      - .offset:         72
        .size:           4
        .value_kind:     by_value
      - .address_space:  global
        .offset:         80
        .size:           8
        .value_kind:     global_buffer
      - .offset:         88
        .size:           8
        .value_kind:     by_value
      - .offset:         96
        .size:           8
        .value_kind:     by_value
      - .offset:         104
        .size:           4
        .value_kind:     by_value
    .group_segment_fixed_size: 2048
    .kernarg_segment_align: 8
    .kernarg_segment_size: 108
    .language:       OpenCL C
    .language_version:
      - 2
      - 0
    .max_flat_workgroup_size: 256
    .name:           _ZL29rocblas_internal_gemmt_kernelIlLi16ELi32ELi8ELc67ELc84ELc85ELb0ELb0EffPKfPfEviT_T9_T10_S3_lS5_S3_lS4_T11_S3_li
    .private_segment_fixed_size: 0
    .sgpr_count:     33
    .sgpr_spill_count: 0
    .symbol:         _ZL29rocblas_internal_gemmt_kernelIlLi16ELi32ELi8ELc67ELc84ELc85ELb0ELb0EffPKfPfEviT_T9_T10_S3_lS5_S3_lS4_T11_S3_li.kd
    .uniform_work_group_size: 1
    .uses_dynamic_stack: false
    .vgpr_count:     56
    .vgpr_spill_count: 0
    .wavefront_size: 32
    .workgroup_processor_mode: 1
  - .args:
      - .offset:         0
        .size:           4
        .value_kind:     by_value
      - .offset:         8
        .size:           8
        .value_kind:     by_value
      - .offset:         16
        .size:           4
        .value_kind:     by_value
      - .address_space:  global
        .offset:         24
        .size:           8
        .value_kind:     global_buffer
      - .offset:         32
        .size:           8
        .value_kind:     by_value
      - .offset:         40
        .size:           8
        .value_kind:     by_value
      - .address_space:  global
        .offset:         48
        .size:           8
        .value_kind:     global_buffer
      - .offset:         56
        .size:           8
        .value_kind:     by_value
      - .offset:         64
        .size:           8
        .value_kind:     by_value
      - .offset:         72
        .size:           4
        .value_kind:     by_value
      - .address_space:  global
        .offset:         80
        .size:           8
        .value_kind:     global_buffer
      - .offset:         88
        .size:           8
        .value_kind:     by_value
      - .offset:         96
        .size:           8
        .value_kind:     by_value
      - .offset:         104
        .size:           4
        .value_kind:     by_value
    .group_segment_fixed_size: 2048
    .kernarg_segment_align: 8
    .kernarg_segment_size: 108
    .language:       OpenCL C
    .language_version:
      - 2
      - 0
    .max_flat_workgroup_size: 256
    .name:           _ZL29rocblas_internal_gemmt_kernelIlLi16ELi32ELi8ELc67ELc67ELc85ELb0ELb0EffPKfPfEviT_T9_T10_S3_lS5_S3_lS4_T11_S3_li
    .private_segment_fixed_size: 0
    .sgpr_count:     33
    .sgpr_spill_count: 0
    .symbol:         _ZL29rocblas_internal_gemmt_kernelIlLi16ELi32ELi8ELc67ELc67ELc85ELb0ELb0EffPKfPfEviT_T9_T10_S3_lS5_S3_lS4_T11_S3_li.kd
    .uniform_work_group_size: 1
    .uses_dynamic_stack: false
    .vgpr_count:     56
    .vgpr_spill_count: 0
    .wavefront_size: 32
    .workgroup_processor_mode: 1
  - .args:
      - .offset:         0
        .size:           4
        .value_kind:     by_value
      - .offset:         8
        .size:           8
        .value_kind:     by_value
      - .offset:         16
        .size:           4
        .value_kind:     by_value
      - .address_space:  global
        .offset:         24
        .size:           8
        .value_kind:     global_buffer
      - .offset:         32
        .size:           8
        .value_kind:     by_value
      - .offset:         40
        .size:           8
        .value_kind:     by_value
      - .address_space:  global
        .offset:         48
        .size:           8
        .value_kind:     global_buffer
      - .offset:         56
        .size:           8
        .value_kind:     by_value
      - .offset:         64
        .size:           8
        .value_kind:     by_value
      - .offset:         72
        .size:           4
        .value_kind:     by_value
      - .address_space:  global
        .offset:         80
        .size:           8
        .value_kind:     global_buffer
      - .offset:         88
        .size:           8
        .value_kind:     by_value
      - .offset:         96
        .size:           8
        .value_kind:     by_value
      - .offset:         104
        .size:           4
        .value_kind:     by_value
    .group_segment_fixed_size: 2048
    .kernarg_segment_align: 8
    .kernarg_segment_size: 108
    .language:       OpenCL C
    .language_version:
      - 2
      - 0
    .max_flat_workgroup_size: 256
    .name:           _ZL29rocblas_internal_gemmt_kernelIlLi16ELi32ELi8ELc78ELc78ELc76ELb0ELb0EffPKfPfEviT_T9_T10_S3_lS5_S3_lS4_T11_S3_li
    .private_segment_fixed_size: 0
    .sgpr_count:     32
    .sgpr_spill_count: 0
    .symbol:         _ZL29rocblas_internal_gemmt_kernelIlLi16ELi32ELi8ELc78ELc78ELc76ELb0ELb0EffPKfPfEviT_T9_T10_S3_lS5_S3_lS4_T11_S3_li.kd
    .uniform_work_group_size: 1
    .uses_dynamic_stack: false
    .vgpr_count:     56
    .vgpr_spill_count: 0
    .wavefront_size: 32
    .workgroup_processor_mode: 1
  - .args:
      - .offset:         0
        .size:           4
        .value_kind:     by_value
      - .offset:         8
        .size:           8
        .value_kind:     by_value
      - .offset:         16
        .size:           4
        .value_kind:     by_value
      - .address_space:  global
        .offset:         24
        .size:           8
        .value_kind:     global_buffer
      - .offset:         32
        .size:           8
        .value_kind:     by_value
      - .offset:         40
        .size:           8
        .value_kind:     by_value
      - .address_space:  global
        .offset:         48
        .size:           8
        .value_kind:     global_buffer
      - .offset:         56
        .size:           8
        .value_kind:     by_value
      - .offset:         64
        .size:           8
        .value_kind:     by_value
      - .offset:         72
        .size:           4
        .value_kind:     by_value
      - .address_space:  global
        .offset:         80
        .size:           8
        .value_kind:     global_buffer
      - .offset:         88
        .size:           8
        .value_kind:     by_value
      - .offset:         96
        .size:           8
        .value_kind:     by_value
      - .offset:         104
        .size:           4
        .value_kind:     by_value
    .group_segment_fixed_size: 2048
    .kernarg_segment_align: 8
    .kernarg_segment_size: 108
    .language:       OpenCL C
    .language_version:
      - 2
      - 0
    .max_flat_workgroup_size: 256
    .name:           _ZL29rocblas_internal_gemmt_kernelIlLi16ELi32ELi8ELc78ELc84ELc76ELb0ELb0EffPKfPfEviT_T9_T10_S3_lS5_S3_lS4_T11_S3_li
    .private_segment_fixed_size: 0
    .sgpr_count:     34
    .sgpr_spill_count: 0
    .symbol:         _ZL29rocblas_internal_gemmt_kernelIlLi16ELi32ELi8ELc78ELc84ELc76ELb0ELb0EffPKfPfEviT_T9_T10_S3_lS5_S3_lS4_T11_S3_li.kd
    .uniform_work_group_size: 1
    .uses_dynamic_stack: false
    .vgpr_count:     56
    .vgpr_spill_count: 0
    .wavefront_size: 32
    .workgroup_processor_mode: 1
  - .args:
      - .offset:         0
        .size:           4
        .value_kind:     by_value
      - .offset:         8
        .size:           8
        .value_kind:     by_value
      - .offset:         16
        .size:           4
        .value_kind:     by_value
      - .address_space:  global
        .offset:         24
        .size:           8
        .value_kind:     global_buffer
      - .offset:         32
        .size:           8
        .value_kind:     by_value
      - .offset:         40
        .size:           8
        .value_kind:     by_value
      - .address_space:  global
        .offset:         48
        .size:           8
        .value_kind:     global_buffer
      - .offset:         56
        .size:           8
        .value_kind:     by_value
      - .offset:         64
        .size:           8
        .value_kind:     by_value
      - .offset:         72
        .size:           4
        .value_kind:     by_value
      - .address_space:  global
        .offset:         80
        .size:           8
        .value_kind:     global_buffer
      - .offset:         88
        .size:           8
        .value_kind:     by_value
      - .offset:         96
        .size:           8
        .value_kind:     by_value
      - .offset:         104
        .size:           4
        .value_kind:     by_value
    .group_segment_fixed_size: 2048
    .kernarg_segment_align: 8
    .kernarg_segment_size: 108
    .language:       OpenCL C
    .language_version:
      - 2
      - 0
    .max_flat_workgroup_size: 256
    .name:           _ZL29rocblas_internal_gemmt_kernelIlLi16ELi32ELi8ELc78ELc67ELc76ELb0ELb0EffPKfPfEviT_T9_T10_S3_lS5_S3_lS4_T11_S3_li
    .private_segment_fixed_size: 0
    .sgpr_count:     34
    .sgpr_spill_count: 0
    .symbol:         _ZL29rocblas_internal_gemmt_kernelIlLi16ELi32ELi8ELc78ELc67ELc76ELb0ELb0EffPKfPfEviT_T9_T10_S3_lS5_S3_lS4_T11_S3_li.kd
    .uniform_work_group_size: 1
    .uses_dynamic_stack: false
    .vgpr_count:     56
    .vgpr_spill_count: 0
    .wavefront_size: 32
    .workgroup_processor_mode: 1
  - .args:
      - .offset:         0
        .size:           4
        .value_kind:     by_value
      - .offset:         8
        .size:           8
        .value_kind:     by_value
      - .offset:         16
        .size:           4
        .value_kind:     by_value
      - .address_space:  global
        .offset:         24
        .size:           8
        .value_kind:     global_buffer
      - .offset:         32
        .size:           8
        .value_kind:     by_value
      - .offset:         40
        .size:           8
        .value_kind:     by_value
      - .address_space:  global
        .offset:         48
        .size:           8
        .value_kind:     global_buffer
      - .offset:         56
        .size:           8
        .value_kind:     by_value
      - .offset:         64
        .size:           8
        .value_kind:     by_value
      - .offset:         72
        .size:           4
        .value_kind:     by_value
      - .address_space:  global
        .offset:         80
        .size:           8
        .value_kind:     global_buffer
      - .offset:         88
        .size:           8
        .value_kind:     by_value
      - .offset:         96
        .size:           8
        .value_kind:     by_value
      - .offset:         104
        .size:           4
        .value_kind:     by_value
    .group_segment_fixed_size: 2048
    .kernarg_segment_align: 8
    .kernarg_segment_size: 108
    .language:       OpenCL C
    .language_version:
      - 2
      - 0
    .max_flat_workgroup_size: 256
    .name:           _ZL29rocblas_internal_gemmt_kernelIlLi16ELi32ELi8ELc84ELc78ELc76ELb0ELb0EffPKfPfEviT_T9_T10_S3_lS5_S3_lS4_T11_S3_li
    .private_segment_fixed_size: 0
    .sgpr_count:     32
    .sgpr_spill_count: 0
    .symbol:         _ZL29rocblas_internal_gemmt_kernelIlLi16ELi32ELi8ELc84ELc78ELc76ELb0ELb0EffPKfPfEviT_T9_T10_S3_lS5_S3_lS4_T11_S3_li.kd
    .uniform_work_group_size: 1
    .uses_dynamic_stack: false
    .vgpr_count:     56
    .vgpr_spill_count: 0
    .wavefront_size: 32
    .workgroup_processor_mode: 1
  - .args:
      - .offset:         0
        .size:           4
        .value_kind:     by_value
      - .offset:         8
        .size:           8
        .value_kind:     by_value
      - .offset:         16
        .size:           4
        .value_kind:     by_value
      - .address_space:  global
        .offset:         24
        .size:           8
        .value_kind:     global_buffer
      - .offset:         32
        .size:           8
        .value_kind:     by_value
      - .offset:         40
        .size:           8
        .value_kind:     by_value
      - .address_space:  global
        .offset:         48
        .size:           8
        .value_kind:     global_buffer
      - .offset:         56
        .size:           8
        .value_kind:     by_value
      - .offset:         64
        .size:           8
        .value_kind:     by_value
      - .offset:         72
        .size:           4
        .value_kind:     by_value
      - .address_space:  global
        .offset:         80
        .size:           8
        .value_kind:     global_buffer
      - .offset:         88
        .size:           8
        .value_kind:     by_value
      - .offset:         96
        .size:           8
        .value_kind:     by_value
      - .offset:         104
        .size:           4
        .value_kind:     by_value
    .group_segment_fixed_size: 2048
    .kernarg_segment_align: 8
    .kernarg_segment_size: 108
    .language:       OpenCL C
    .language_version:
      - 2
      - 0
    .max_flat_workgroup_size: 256
    .name:           _ZL29rocblas_internal_gemmt_kernelIlLi16ELi32ELi8ELc84ELc84ELc76ELb0ELb0EffPKfPfEviT_T9_T10_S3_lS5_S3_lS4_T11_S3_li
    .private_segment_fixed_size: 0
    .sgpr_count:     33
    .sgpr_spill_count: 0
    .symbol:         _ZL29rocblas_internal_gemmt_kernelIlLi16ELi32ELi8ELc84ELc84ELc76ELb0ELb0EffPKfPfEviT_T9_T10_S3_lS5_S3_lS4_T11_S3_li.kd
    .uniform_work_group_size: 1
    .uses_dynamic_stack: false
    .vgpr_count:     56
    .vgpr_spill_count: 0
    .wavefront_size: 32
    .workgroup_processor_mode: 1
  - .args:
      - .offset:         0
        .size:           4
        .value_kind:     by_value
      - .offset:         8
        .size:           8
        .value_kind:     by_value
      - .offset:         16
        .size:           4
        .value_kind:     by_value
      - .address_space:  global
        .offset:         24
        .size:           8
        .value_kind:     global_buffer
      - .offset:         32
        .size:           8
        .value_kind:     by_value
      - .offset:         40
        .size:           8
        .value_kind:     by_value
      - .address_space:  global
        .offset:         48
        .size:           8
        .value_kind:     global_buffer
      - .offset:         56
        .size:           8
        .value_kind:     by_value
      - .offset:         64
        .size:           8
        .value_kind:     by_value
      - .offset:         72
        .size:           4
        .value_kind:     by_value
      - .address_space:  global
        .offset:         80
        .size:           8
        .value_kind:     global_buffer
      - .offset:         88
        .size:           8
        .value_kind:     by_value
      - .offset:         96
        .size:           8
        .value_kind:     by_value
      - .offset:         104
        .size:           4
        .value_kind:     by_value
    .group_segment_fixed_size: 2048
    .kernarg_segment_align: 8
    .kernarg_segment_size: 108
    .language:       OpenCL C
    .language_version:
      - 2
      - 0
    .max_flat_workgroup_size: 256
    .name:           _ZL29rocblas_internal_gemmt_kernelIlLi16ELi32ELi8ELc84ELc67ELc76ELb0ELb0EffPKfPfEviT_T9_T10_S3_lS5_S3_lS4_T11_S3_li
    .private_segment_fixed_size: 0
    .sgpr_count:     33
    .sgpr_spill_count: 0
    .symbol:         _ZL29rocblas_internal_gemmt_kernelIlLi16ELi32ELi8ELc84ELc67ELc76ELb0ELb0EffPKfPfEviT_T9_T10_S3_lS5_S3_lS4_T11_S3_li.kd
    .uniform_work_group_size: 1
    .uses_dynamic_stack: false
    .vgpr_count:     56
    .vgpr_spill_count: 0
    .wavefront_size: 32
    .workgroup_processor_mode: 1
  - .args:
      - .offset:         0
        .size:           4
        .value_kind:     by_value
      - .offset:         8
        .size:           8
        .value_kind:     by_value
      - .offset:         16
        .size:           4
        .value_kind:     by_value
      - .address_space:  global
        .offset:         24
        .size:           8
        .value_kind:     global_buffer
      - .offset:         32
        .size:           8
        .value_kind:     by_value
      - .offset:         40
        .size:           8
        .value_kind:     by_value
      - .address_space:  global
        .offset:         48
        .size:           8
        .value_kind:     global_buffer
      - .offset:         56
        .size:           8
        .value_kind:     by_value
      - .offset:         64
        .size:           8
        .value_kind:     by_value
      - .offset:         72
        .size:           4
        .value_kind:     by_value
      - .address_space:  global
        .offset:         80
        .size:           8
        .value_kind:     global_buffer
      - .offset:         88
        .size:           8
        .value_kind:     by_value
      - .offset:         96
        .size:           8
        .value_kind:     by_value
      - .offset:         104
        .size:           4
        .value_kind:     by_value
    .group_segment_fixed_size: 2048
    .kernarg_segment_align: 8
    .kernarg_segment_size: 108
    .language:       OpenCL C
    .language_version:
      - 2
      - 0
    .max_flat_workgroup_size: 256
    .name:           _ZL29rocblas_internal_gemmt_kernelIlLi16ELi32ELi8ELc67ELc78ELc76ELb0ELb0EffPKfPfEviT_T9_T10_S3_lS5_S3_lS4_T11_S3_li
    .private_segment_fixed_size: 0
    .sgpr_count:     32
    .sgpr_spill_count: 0
    .symbol:         _ZL29rocblas_internal_gemmt_kernelIlLi16ELi32ELi8ELc67ELc78ELc76ELb0ELb0EffPKfPfEviT_T9_T10_S3_lS5_S3_lS4_T11_S3_li.kd
    .uniform_work_group_size: 1
    .uses_dynamic_stack: false
    .vgpr_count:     56
    .vgpr_spill_count: 0
    .wavefront_size: 32
    .workgroup_processor_mode: 1
  - .args:
      - .offset:         0
        .size:           4
        .value_kind:     by_value
      - .offset:         8
        .size:           8
        .value_kind:     by_value
      - .offset:         16
        .size:           4
        .value_kind:     by_value
      - .address_space:  global
        .offset:         24
        .size:           8
        .value_kind:     global_buffer
      - .offset:         32
        .size:           8
        .value_kind:     by_value
      - .offset:         40
        .size:           8
        .value_kind:     by_value
      - .address_space:  global
        .offset:         48
        .size:           8
        .value_kind:     global_buffer
      - .offset:         56
        .size:           8
        .value_kind:     by_value
      - .offset:         64
        .size:           8
        .value_kind:     by_value
      - .offset:         72
        .size:           4
        .value_kind:     by_value
      - .address_space:  global
        .offset:         80
        .size:           8
        .value_kind:     global_buffer
      - .offset:         88
        .size:           8
        .value_kind:     by_value
      - .offset:         96
        .size:           8
        .value_kind:     by_value
      - .offset:         104
        .size:           4
        .value_kind:     by_value
    .group_segment_fixed_size: 2048
    .kernarg_segment_align: 8
    .kernarg_segment_size: 108
    .language:       OpenCL C
    .language_version:
      - 2
      - 0
    .max_flat_workgroup_size: 256
    .name:           _ZL29rocblas_internal_gemmt_kernelIlLi16ELi32ELi8ELc67ELc84ELc76ELb0ELb0EffPKfPfEviT_T9_T10_S3_lS5_S3_lS4_T11_S3_li
    .private_segment_fixed_size: 0
    .sgpr_count:     33
    .sgpr_spill_count: 0
    .symbol:         _ZL29rocblas_internal_gemmt_kernelIlLi16ELi32ELi8ELc67ELc84ELc76ELb0ELb0EffPKfPfEviT_T9_T10_S3_lS5_S3_lS4_T11_S3_li.kd
    .uniform_work_group_size: 1
    .uses_dynamic_stack: false
    .vgpr_count:     56
    .vgpr_spill_count: 0
    .wavefront_size: 32
    .workgroup_processor_mode: 1
  - .args:
      - .offset:         0
        .size:           4
        .value_kind:     by_value
      - .offset:         8
        .size:           8
        .value_kind:     by_value
      - .offset:         16
        .size:           4
        .value_kind:     by_value
      - .address_space:  global
        .offset:         24
        .size:           8
        .value_kind:     global_buffer
      - .offset:         32
        .size:           8
        .value_kind:     by_value
      - .offset:         40
        .size:           8
        .value_kind:     by_value
      - .address_space:  global
        .offset:         48
        .size:           8
        .value_kind:     global_buffer
      - .offset:         56
        .size:           8
        .value_kind:     by_value
      - .offset:         64
        .size:           8
        .value_kind:     by_value
      - .offset:         72
        .size:           4
        .value_kind:     by_value
      - .address_space:  global
        .offset:         80
        .size:           8
        .value_kind:     global_buffer
      - .offset:         88
        .size:           8
        .value_kind:     by_value
      - .offset:         96
        .size:           8
        .value_kind:     by_value
      - .offset:         104
        .size:           4
        .value_kind:     by_value
    .group_segment_fixed_size: 2048
    .kernarg_segment_align: 8
    .kernarg_segment_size: 108
    .language:       OpenCL C
    .language_version:
      - 2
      - 0
    .max_flat_workgroup_size: 256
    .name:           _ZL29rocblas_internal_gemmt_kernelIlLi16ELi32ELi8ELc67ELc67ELc76ELb0ELb0EffPKfPfEviT_T9_T10_S3_lS5_S3_lS4_T11_S3_li
    .private_segment_fixed_size: 0
    .sgpr_count:     33
    .sgpr_spill_count: 0
    .symbol:         _ZL29rocblas_internal_gemmt_kernelIlLi16ELi32ELi8ELc67ELc67ELc76ELb0ELb0EffPKfPfEviT_T9_T10_S3_lS5_S3_lS4_T11_S3_li.kd
    .uniform_work_group_size: 1
    .uses_dynamic_stack: false
    .vgpr_count:     56
    .vgpr_spill_count: 0
    .wavefront_size: 32
    .workgroup_processor_mode: 1
  - .args:
      - .offset:         0
        .size:           4
        .value_kind:     by_value
      - .offset:         8
        .size:           8
        .value_kind:     by_value
      - .address_space:  global
        .offset:         16
        .size:           8
        .value_kind:     global_buffer
      - .address_space:  global
        .offset:         24
        .size:           8
        .value_kind:     global_buffer
      - .offset:         32
        .size:           8
        .value_kind:     by_value
      - .offset:         40
        .size:           8
        .value_kind:     by_value
      - .address_space:  global
        .offset:         48
        .size:           8
        .value_kind:     global_buffer
      - .offset:         56
        .size:           8
        .value_kind:     by_value
      - .offset:         64
        .size:           8
        .value_kind:     by_value
      - .address_space:  global
        .offset:         72
        .size:           8
        .value_kind:     global_buffer
      - .address_space:  global
        .offset:         80
        .size:           8
        .value_kind:     global_buffer
      - .offset:         88
        .size:           8
        .value_kind:     by_value
      - .offset:         96
        .size:           8
        .value_kind:     by_value
      - .offset:         104
        .size:           4
        .value_kind:     by_value
    .group_segment_fixed_size: 4096
    .kernarg_segment_align: 8
    .kernarg_segment_size: 108
    .language:       OpenCL C
    .language_version:
      - 2
      - 0
    .max_flat_workgroup_size: 256
    .name:           _ZL29rocblas_internal_gemmt_kernelIlLi16ELi32ELi8ELc78ELc78ELc85ELb0ELb0EdPKdS1_PdEviT_T9_T10_S3_lS5_S3_lS4_T11_S3_li
    .private_segment_fixed_size: 0
    .sgpr_count:     37
    .sgpr_spill_count: 0
    .symbol:         _ZL29rocblas_internal_gemmt_kernelIlLi16ELi32ELi8ELc78ELc78ELc85ELb0ELb0EdPKdS1_PdEviT_T9_T10_S3_lS5_S3_lS4_T11_S3_li.kd
    .uniform_work_group_size: 1
    .uses_dynamic_stack: false
    .vgpr_count:     52
    .vgpr_spill_count: 0
    .wavefront_size: 32
    .workgroup_processor_mode: 1
  - .args:
      - .offset:         0
        .size:           4
        .value_kind:     by_value
      - .offset:         8
        .size:           8
        .value_kind:     by_value
      - .address_space:  global
        .offset:         16
        .size:           8
        .value_kind:     global_buffer
      - .address_space:  global
        .offset:         24
        .size:           8
        .value_kind:     global_buffer
      - .offset:         32
        .size:           8
        .value_kind:     by_value
      - .offset:         40
        .size:           8
        .value_kind:     by_value
      - .address_space:  global
        .offset:         48
        .size:           8
        .value_kind:     global_buffer
      - .offset:         56
        .size:           8
        .value_kind:     by_value
      - .offset:         64
        .size:           8
        .value_kind:     by_value
      - .address_space:  global
        .offset:         72
        .size:           8
        .value_kind:     global_buffer
      - .address_space:  global
        .offset:         80
        .size:           8
        .value_kind:     global_buffer
      - .offset:         88
        .size:           8
        .value_kind:     by_value
      - .offset:         96
        .size:           8
        .value_kind:     by_value
      - .offset:         104
        .size:           4
        .value_kind:     by_value
    .group_segment_fixed_size: 4096
    .kernarg_segment_align: 8
    .kernarg_segment_size: 108
    .language:       OpenCL C
    .language_version:
      - 2
      - 0
    .max_flat_workgroup_size: 256
    .name:           _ZL29rocblas_internal_gemmt_kernelIlLi16ELi32ELi8ELc78ELc84ELc85ELb0ELb0EdPKdS1_PdEviT_T9_T10_S3_lS5_S3_lS4_T11_S3_li
    .private_segment_fixed_size: 0
    .sgpr_count:     38
    .sgpr_spill_count: 0
    .symbol:         _ZL29rocblas_internal_gemmt_kernelIlLi16ELi32ELi8ELc78ELc84ELc85ELb0ELb0EdPKdS1_PdEviT_T9_T10_S3_lS5_S3_lS4_T11_S3_li.kd
    .uniform_work_group_size: 1
    .uses_dynamic_stack: false
    .vgpr_count:     52
    .vgpr_spill_count: 0
    .wavefront_size: 32
    .workgroup_processor_mode: 1
  - .args:
      - .offset:         0
        .size:           4
        .value_kind:     by_value
      - .offset:         8
        .size:           8
        .value_kind:     by_value
      - .address_space:  global
        .offset:         16
        .size:           8
        .value_kind:     global_buffer
      - .address_space:  global
        .offset:         24
        .size:           8
        .value_kind:     global_buffer
      - .offset:         32
        .size:           8
        .value_kind:     by_value
      - .offset:         40
        .size:           8
        .value_kind:     by_value
      - .address_space:  global
        .offset:         48
        .size:           8
        .value_kind:     global_buffer
      - .offset:         56
        .size:           8
        .value_kind:     by_value
      - .offset:         64
        .size:           8
        .value_kind:     by_value
      - .address_space:  global
        .offset:         72
        .size:           8
        .value_kind:     global_buffer
      - .address_space:  global
        .offset:         80
        .size:           8
        .value_kind:     global_buffer
      - .offset:         88
        .size:           8
        .value_kind:     by_value
      - .offset:         96
        .size:           8
        .value_kind:     by_value
      - .offset:         104
        .size:           4
        .value_kind:     by_value
    .group_segment_fixed_size: 4096
    .kernarg_segment_align: 8
    .kernarg_segment_size: 108
    .language:       OpenCL C
    .language_version:
      - 2
      - 0
    .max_flat_workgroup_size: 256
    .name:           _ZL29rocblas_internal_gemmt_kernelIlLi16ELi32ELi8ELc78ELc67ELc85ELb0ELb0EdPKdS1_PdEviT_T9_T10_S3_lS5_S3_lS4_T11_S3_li
    .private_segment_fixed_size: 0
    .sgpr_count:     38
    .sgpr_spill_count: 0
    .symbol:         _ZL29rocblas_internal_gemmt_kernelIlLi16ELi32ELi8ELc78ELc67ELc85ELb0ELb0EdPKdS1_PdEviT_T9_T10_S3_lS5_S3_lS4_T11_S3_li.kd
    .uniform_work_group_size: 1
    .uses_dynamic_stack: false
    .vgpr_count:     52
    .vgpr_spill_count: 0
    .wavefront_size: 32
    .workgroup_processor_mode: 1
  - .args:
      - .offset:         0
        .size:           4
        .value_kind:     by_value
      - .offset:         8
        .size:           8
        .value_kind:     by_value
      - .address_space:  global
        .offset:         16
        .size:           8
        .value_kind:     global_buffer
      - .address_space:  global
        .offset:         24
        .size:           8
        .value_kind:     global_buffer
      - .offset:         32
        .size:           8
        .value_kind:     by_value
      - .offset:         40
        .size:           8
        .value_kind:     by_value
      - .address_space:  global
        .offset:         48
        .size:           8
        .value_kind:     global_buffer
      - .offset:         56
        .size:           8
        .value_kind:     by_value
      - .offset:         64
        .size:           8
        .value_kind:     by_value
      - .address_space:  global
        .offset:         72
        .size:           8
        .value_kind:     global_buffer
      - .address_space:  global
        .offset:         80
        .size:           8
        .value_kind:     global_buffer
      - .offset:         88
        .size:           8
        .value_kind:     by_value
      - .offset:         96
        .size:           8
        .value_kind:     by_value
      - .offset:         104
        .size:           4
        .value_kind:     by_value
    .group_segment_fixed_size: 4096
    .kernarg_segment_align: 8
    .kernarg_segment_size: 108
    .language:       OpenCL C
    .language_version:
      - 2
      - 0
    .max_flat_workgroup_size: 256
    .name:           _ZL29rocblas_internal_gemmt_kernelIlLi16ELi32ELi8ELc84ELc78ELc85ELb0ELb0EdPKdS1_PdEviT_T9_T10_S3_lS5_S3_lS4_T11_S3_li
    .private_segment_fixed_size: 0
    .sgpr_count:     37
    .sgpr_spill_count: 0
    .symbol:         _ZL29rocblas_internal_gemmt_kernelIlLi16ELi32ELi8ELc84ELc78ELc85ELb0ELb0EdPKdS1_PdEviT_T9_T10_S3_lS5_S3_lS4_T11_S3_li.kd
    .uniform_work_group_size: 1
    .uses_dynamic_stack: false
    .vgpr_count:     52
    .vgpr_spill_count: 0
    .wavefront_size: 32
    .workgroup_processor_mode: 1
  - .args:
      - .offset:         0
        .size:           4
        .value_kind:     by_value
      - .offset:         8
        .size:           8
        .value_kind:     by_value
      - .address_space:  global
        .offset:         16
        .size:           8
        .value_kind:     global_buffer
      - .address_space:  global
        .offset:         24
        .size:           8
        .value_kind:     global_buffer
      - .offset:         32
        .size:           8
        .value_kind:     by_value
      - .offset:         40
        .size:           8
        .value_kind:     by_value
      - .address_space:  global
        .offset:         48
        .size:           8
        .value_kind:     global_buffer
      - .offset:         56
        .size:           8
        .value_kind:     by_value
      - .offset:         64
        .size:           8
        .value_kind:     by_value
      - .address_space:  global
        .offset:         72
        .size:           8
        .value_kind:     global_buffer
      - .address_space:  global
        .offset:         80
        .size:           8
        .value_kind:     global_buffer
      - .offset:         88
        .size:           8
        .value_kind:     by_value
      - .offset:         96
        .size:           8
        .value_kind:     by_value
      - .offset:         104
        .size:           4
        .value_kind:     by_value
    .group_segment_fixed_size: 4096
    .kernarg_segment_align: 8
    .kernarg_segment_size: 108
    .language:       OpenCL C
    .language_version:
      - 2
      - 0
    .max_flat_workgroup_size: 256
    .name:           _ZL29rocblas_internal_gemmt_kernelIlLi16ELi32ELi8ELc84ELc84ELc85ELb0ELb0EdPKdS1_PdEviT_T9_T10_S3_lS5_S3_lS4_T11_S3_li
    .private_segment_fixed_size: 0
    .sgpr_count:     37
    .sgpr_spill_count: 0
    .symbol:         _ZL29rocblas_internal_gemmt_kernelIlLi16ELi32ELi8ELc84ELc84ELc85ELb0ELb0EdPKdS1_PdEviT_T9_T10_S3_lS5_S3_lS4_T11_S3_li.kd
    .uniform_work_group_size: 1
    .uses_dynamic_stack: false
    .vgpr_count:     52
    .vgpr_spill_count: 0
    .wavefront_size: 32
    .workgroup_processor_mode: 1
  - .args:
      - .offset:         0
        .size:           4
        .value_kind:     by_value
      - .offset:         8
        .size:           8
        .value_kind:     by_value
      - .address_space:  global
        .offset:         16
        .size:           8
        .value_kind:     global_buffer
      - .address_space:  global
        .offset:         24
        .size:           8
        .value_kind:     global_buffer
      - .offset:         32
        .size:           8
        .value_kind:     by_value
      - .offset:         40
        .size:           8
        .value_kind:     by_value
      - .address_space:  global
        .offset:         48
        .size:           8
        .value_kind:     global_buffer
      - .offset:         56
        .size:           8
        .value_kind:     by_value
      - .offset:         64
        .size:           8
        .value_kind:     by_value
      - .address_space:  global
        .offset:         72
        .size:           8
        .value_kind:     global_buffer
      - .address_space:  global
        .offset:         80
        .size:           8
        .value_kind:     global_buffer
      - .offset:         88
        .size:           8
        .value_kind:     by_value
      - .offset:         96
        .size:           8
        .value_kind:     by_value
      - .offset:         104
        .size:           4
        .value_kind:     by_value
    .group_segment_fixed_size: 4096
    .kernarg_segment_align: 8
    .kernarg_segment_size: 108
    .language:       OpenCL C
    .language_version:
      - 2
      - 0
    .max_flat_workgroup_size: 256
    .name:           _ZL29rocblas_internal_gemmt_kernelIlLi16ELi32ELi8ELc84ELc67ELc85ELb0ELb0EdPKdS1_PdEviT_T9_T10_S3_lS5_S3_lS4_T11_S3_li
    .private_segment_fixed_size: 0
    .sgpr_count:     37
    .sgpr_spill_count: 0
    .symbol:         _ZL29rocblas_internal_gemmt_kernelIlLi16ELi32ELi8ELc84ELc67ELc85ELb0ELb0EdPKdS1_PdEviT_T9_T10_S3_lS5_S3_lS4_T11_S3_li.kd
    .uniform_work_group_size: 1
    .uses_dynamic_stack: false
    .vgpr_count:     52
    .vgpr_spill_count: 0
    .wavefront_size: 32
    .workgroup_processor_mode: 1
  - .args:
      - .offset:         0
        .size:           4
        .value_kind:     by_value
      - .offset:         8
        .size:           8
        .value_kind:     by_value
      - .address_space:  global
        .offset:         16
        .size:           8
        .value_kind:     global_buffer
      - .address_space:  global
        .offset:         24
        .size:           8
        .value_kind:     global_buffer
      - .offset:         32
        .size:           8
        .value_kind:     by_value
      - .offset:         40
        .size:           8
        .value_kind:     by_value
      - .address_space:  global
        .offset:         48
        .size:           8
        .value_kind:     global_buffer
      - .offset:         56
        .size:           8
        .value_kind:     by_value
      - .offset:         64
        .size:           8
        .value_kind:     by_value
      - .address_space:  global
        .offset:         72
        .size:           8
        .value_kind:     global_buffer
      - .address_space:  global
        .offset:         80
        .size:           8
        .value_kind:     global_buffer
      - .offset:         88
        .size:           8
        .value_kind:     by_value
      - .offset:         96
        .size:           8
        .value_kind:     by_value
      - .offset:         104
        .size:           4
        .value_kind:     by_value
    .group_segment_fixed_size: 4096
    .kernarg_segment_align: 8
    .kernarg_segment_size: 108
    .language:       OpenCL C
    .language_version:
      - 2
      - 0
    .max_flat_workgroup_size: 256
    .name:           _ZL29rocblas_internal_gemmt_kernelIlLi16ELi32ELi8ELc67ELc78ELc85ELb0ELb0EdPKdS1_PdEviT_T9_T10_S3_lS5_S3_lS4_T11_S3_li
    .private_segment_fixed_size: 0
    .sgpr_count:     37
    .sgpr_spill_count: 0
    .symbol:         _ZL29rocblas_internal_gemmt_kernelIlLi16ELi32ELi8ELc67ELc78ELc85ELb0ELb0EdPKdS1_PdEviT_T9_T10_S3_lS5_S3_lS4_T11_S3_li.kd
    .uniform_work_group_size: 1
    .uses_dynamic_stack: false
    .vgpr_count:     52
    .vgpr_spill_count: 0
    .wavefront_size: 32
    .workgroup_processor_mode: 1
  - .args:
      - .offset:         0
        .size:           4
        .value_kind:     by_value
      - .offset:         8
        .size:           8
        .value_kind:     by_value
      - .address_space:  global
        .offset:         16
        .size:           8
        .value_kind:     global_buffer
      - .address_space:  global
        .offset:         24
        .size:           8
        .value_kind:     global_buffer
      - .offset:         32
        .size:           8
        .value_kind:     by_value
      - .offset:         40
        .size:           8
        .value_kind:     by_value
      - .address_space:  global
        .offset:         48
        .size:           8
        .value_kind:     global_buffer
      - .offset:         56
        .size:           8
        .value_kind:     by_value
      - .offset:         64
        .size:           8
        .value_kind:     by_value
      - .address_space:  global
        .offset:         72
        .size:           8
        .value_kind:     global_buffer
      - .address_space:  global
        .offset:         80
        .size:           8
        .value_kind:     global_buffer
      - .offset:         88
        .size:           8
        .value_kind:     by_value
      - .offset:         96
        .size:           8
        .value_kind:     by_value
      - .offset:         104
        .size:           4
        .value_kind:     by_value
    .group_segment_fixed_size: 4096
    .kernarg_segment_align: 8
    .kernarg_segment_size: 108
    .language:       OpenCL C
    .language_version:
      - 2
      - 0
    .max_flat_workgroup_size: 256
    .name:           _ZL29rocblas_internal_gemmt_kernelIlLi16ELi32ELi8ELc67ELc84ELc85ELb0ELb0EdPKdS1_PdEviT_T9_T10_S3_lS5_S3_lS4_T11_S3_li
    .private_segment_fixed_size: 0
    .sgpr_count:     37
    .sgpr_spill_count: 0
    .symbol:         _ZL29rocblas_internal_gemmt_kernelIlLi16ELi32ELi8ELc67ELc84ELc85ELb0ELb0EdPKdS1_PdEviT_T9_T10_S3_lS5_S3_lS4_T11_S3_li.kd
    .uniform_work_group_size: 1
    .uses_dynamic_stack: false
    .vgpr_count:     52
    .vgpr_spill_count: 0
    .wavefront_size: 32
    .workgroup_processor_mode: 1
  - .args:
      - .offset:         0
        .size:           4
        .value_kind:     by_value
      - .offset:         8
        .size:           8
        .value_kind:     by_value
      - .address_space:  global
        .offset:         16
        .size:           8
        .value_kind:     global_buffer
      - .address_space:  global
        .offset:         24
        .size:           8
        .value_kind:     global_buffer
      - .offset:         32
        .size:           8
        .value_kind:     by_value
      - .offset:         40
        .size:           8
        .value_kind:     by_value
      - .address_space:  global
        .offset:         48
        .size:           8
        .value_kind:     global_buffer
      - .offset:         56
        .size:           8
        .value_kind:     by_value
      - .offset:         64
        .size:           8
        .value_kind:     by_value
      - .address_space:  global
        .offset:         72
        .size:           8
        .value_kind:     global_buffer
      - .address_space:  global
        .offset:         80
        .size:           8
        .value_kind:     global_buffer
      - .offset:         88
        .size:           8
        .value_kind:     by_value
      - .offset:         96
        .size:           8
        .value_kind:     by_value
      - .offset:         104
        .size:           4
        .value_kind:     by_value
    .group_segment_fixed_size: 4096
    .kernarg_segment_align: 8
    .kernarg_segment_size: 108
    .language:       OpenCL C
    .language_version:
      - 2
      - 0
    .max_flat_workgroup_size: 256
    .name:           _ZL29rocblas_internal_gemmt_kernelIlLi16ELi32ELi8ELc67ELc67ELc85ELb0ELb0EdPKdS1_PdEviT_T9_T10_S3_lS5_S3_lS4_T11_S3_li
    .private_segment_fixed_size: 0
    .sgpr_count:     37
    .sgpr_spill_count: 0
    .symbol:         _ZL29rocblas_internal_gemmt_kernelIlLi16ELi32ELi8ELc67ELc67ELc85ELb0ELb0EdPKdS1_PdEviT_T9_T10_S3_lS5_S3_lS4_T11_S3_li.kd
    .uniform_work_group_size: 1
    .uses_dynamic_stack: false
    .vgpr_count:     52
    .vgpr_spill_count: 0
    .wavefront_size: 32
    .workgroup_processor_mode: 1
  - .args:
      - .offset:         0
        .size:           4
        .value_kind:     by_value
      - .offset:         8
        .size:           8
        .value_kind:     by_value
      - .address_space:  global
        .offset:         16
        .size:           8
        .value_kind:     global_buffer
      - .address_space:  global
        .offset:         24
        .size:           8
        .value_kind:     global_buffer
      - .offset:         32
        .size:           8
        .value_kind:     by_value
      - .offset:         40
        .size:           8
        .value_kind:     by_value
      - .address_space:  global
        .offset:         48
        .size:           8
        .value_kind:     global_buffer
      - .offset:         56
        .size:           8
        .value_kind:     by_value
      - .offset:         64
        .size:           8
        .value_kind:     by_value
      - .address_space:  global
        .offset:         72
        .size:           8
        .value_kind:     global_buffer
      - .address_space:  global
        .offset:         80
        .size:           8
        .value_kind:     global_buffer
      - .offset:         88
        .size:           8
        .value_kind:     by_value
      - .offset:         96
        .size:           8
        .value_kind:     by_value
      - .offset:         104
        .size:           4
        .value_kind:     by_value
    .group_segment_fixed_size: 4096
    .kernarg_segment_align: 8
    .kernarg_segment_size: 108
    .language:       OpenCL C
    .language_version:
      - 2
      - 0
    .max_flat_workgroup_size: 256
    .name:           _ZL29rocblas_internal_gemmt_kernelIlLi16ELi32ELi8ELc78ELc78ELc76ELb0ELb0EdPKdS1_PdEviT_T9_T10_S3_lS5_S3_lS4_T11_S3_li
    .private_segment_fixed_size: 0
    .sgpr_count:     37
    .sgpr_spill_count: 0
    .symbol:         _ZL29rocblas_internal_gemmt_kernelIlLi16ELi32ELi8ELc78ELc78ELc76ELb0ELb0EdPKdS1_PdEviT_T9_T10_S3_lS5_S3_lS4_T11_S3_li.kd
    .uniform_work_group_size: 1
    .uses_dynamic_stack: false
    .vgpr_count:     52
    .vgpr_spill_count: 0
    .wavefront_size: 32
    .workgroup_processor_mode: 1
  - .args:
      - .offset:         0
        .size:           4
        .value_kind:     by_value
      - .offset:         8
        .size:           8
        .value_kind:     by_value
      - .address_space:  global
        .offset:         16
        .size:           8
        .value_kind:     global_buffer
      - .address_space:  global
        .offset:         24
        .size:           8
        .value_kind:     global_buffer
      - .offset:         32
        .size:           8
        .value_kind:     by_value
      - .offset:         40
        .size:           8
        .value_kind:     by_value
      - .address_space:  global
        .offset:         48
        .size:           8
        .value_kind:     global_buffer
      - .offset:         56
        .size:           8
        .value_kind:     by_value
      - .offset:         64
        .size:           8
        .value_kind:     by_value
      - .address_space:  global
        .offset:         72
        .size:           8
        .value_kind:     global_buffer
      - .address_space:  global
        .offset:         80
        .size:           8
        .value_kind:     global_buffer
      - .offset:         88
        .size:           8
        .value_kind:     by_value
      - .offset:         96
        .size:           8
        .value_kind:     by_value
      - .offset:         104
        .size:           4
        .value_kind:     by_value
    .group_segment_fixed_size: 4096
    .kernarg_segment_align: 8
    .kernarg_segment_size: 108
    .language:       OpenCL C
    .language_version:
      - 2
      - 0
    .max_flat_workgroup_size: 256
    .name:           _ZL29rocblas_internal_gemmt_kernelIlLi16ELi32ELi8ELc78ELc84ELc76ELb0ELb0EdPKdS1_PdEviT_T9_T10_S3_lS5_S3_lS4_T11_S3_li
    .private_segment_fixed_size: 0
    .sgpr_count:     38
    .sgpr_spill_count: 0
    .symbol:         _ZL29rocblas_internal_gemmt_kernelIlLi16ELi32ELi8ELc78ELc84ELc76ELb0ELb0EdPKdS1_PdEviT_T9_T10_S3_lS5_S3_lS4_T11_S3_li.kd
    .uniform_work_group_size: 1
    .uses_dynamic_stack: false
    .vgpr_count:     52
    .vgpr_spill_count: 0
    .wavefront_size: 32
    .workgroup_processor_mode: 1
  - .args:
      - .offset:         0
        .size:           4
        .value_kind:     by_value
      - .offset:         8
        .size:           8
        .value_kind:     by_value
      - .address_space:  global
        .offset:         16
        .size:           8
        .value_kind:     global_buffer
      - .address_space:  global
        .offset:         24
        .size:           8
        .value_kind:     global_buffer
      - .offset:         32
        .size:           8
        .value_kind:     by_value
      - .offset:         40
        .size:           8
        .value_kind:     by_value
      - .address_space:  global
        .offset:         48
        .size:           8
        .value_kind:     global_buffer
      - .offset:         56
        .size:           8
        .value_kind:     by_value
      - .offset:         64
        .size:           8
        .value_kind:     by_value
      - .address_space:  global
        .offset:         72
        .size:           8
        .value_kind:     global_buffer
      - .address_space:  global
        .offset:         80
        .size:           8
        .value_kind:     global_buffer
      - .offset:         88
        .size:           8
        .value_kind:     by_value
      - .offset:         96
        .size:           8
        .value_kind:     by_value
      - .offset:         104
        .size:           4
        .value_kind:     by_value
    .group_segment_fixed_size: 4096
    .kernarg_segment_align: 8
    .kernarg_segment_size: 108
    .language:       OpenCL C
    .language_version:
      - 2
      - 0
    .max_flat_workgroup_size: 256
    .name:           _ZL29rocblas_internal_gemmt_kernelIlLi16ELi32ELi8ELc78ELc67ELc76ELb0ELb0EdPKdS1_PdEviT_T9_T10_S3_lS5_S3_lS4_T11_S3_li
    .private_segment_fixed_size: 0
    .sgpr_count:     38
    .sgpr_spill_count: 0
    .symbol:         _ZL29rocblas_internal_gemmt_kernelIlLi16ELi32ELi8ELc78ELc67ELc76ELb0ELb0EdPKdS1_PdEviT_T9_T10_S3_lS5_S3_lS4_T11_S3_li.kd
    .uniform_work_group_size: 1
    .uses_dynamic_stack: false
    .vgpr_count:     52
    .vgpr_spill_count: 0
    .wavefront_size: 32
    .workgroup_processor_mode: 1
  - .args:
      - .offset:         0
        .size:           4
        .value_kind:     by_value
      - .offset:         8
        .size:           8
        .value_kind:     by_value
      - .address_space:  global
        .offset:         16
        .size:           8
        .value_kind:     global_buffer
      - .address_space:  global
        .offset:         24
        .size:           8
        .value_kind:     global_buffer
      - .offset:         32
        .size:           8
        .value_kind:     by_value
      - .offset:         40
        .size:           8
        .value_kind:     by_value
      - .address_space:  global
        .offset:         48
        .size:           8
        .value_kind:     global_buffer
      - .offset:         56
        .size:           8
        .value_kind:     by_value
      - .offset:         64
        .size:           8
        .value_kind:     by_value
      - .address_space:  global
        .offset:         72
        .size:           8
        .value_kind:     global_buffer
      - .address_space:  global
        .offset:         80
        .size:           8
        .value_kind:     global_buffer
      - .offset:         88
        .size:           8
        .value_kind:     by_value
      - .offset:         96
        .size:           8
        .value_kind:     by_value
      - .offset:         104
        .size:           4
        .value_kind:     by_value
    .group_segment_fixed_size: 4096
    .kernarg_segment_align: 8
    .kernarg_segment_size: 108
    .language:       OpenCL C
    .language_version:
      - 2
      - 0
    .max_flat_workgroup_size: 256
    .name:           _ZL29rocblas_internal_gemmt_kernelIlLi16ELi32ELi8ELc84ELc78ELc76ELb0ELb0EdPKdS1_PdEviT_T9_T10_S3_lS5_S3_lS4_T11_S3_li
    .private_segment_fixed_size: 0
    .sgpr_count:     37
    .sgpr_spill_count: 0
    .symbol:         _ZL29rocblas_internal_gemmt_kernelIlLi16ELi32ELi8ELc84ELc78ELc76ELb0ELb0EdPKdS1_PdEviT_T9_T10_S3_lS5_S3_lS4_T11_S3_li.kd
    .uniform_work_group_size: 1
    .uses_dynamic_stack: false
    .vgpr_count:     52
    .vgpr_spill_count: 0
    .wavefront_size: 32
    .workgroup_processor_mode: 1
  - .args:
      - .offset:         0
        .size:           4
        .value_kind:     by_value
      - .offset:         8
        .size:           8
        .value_kind:     by_value
      - .address_space:  global
        .offset:         16
        .size:           8
        .value_kind:     global_buffer
      - .address_space:  global
        .offset:         24
        .size:           8
        .value_kind:     global_buffer
      - .offset:         32
        .size:           8
        .value_kind:     by_value
      - .offset:         40
        .size:           8
        .value_kind:     by_value
      - .address_space:  global
        .offset:         48
        .size:           8
        .value_kind:     global_buffer
      - .offset:         56
        .size:           8
        .value_kind:     by_value
      - .offset:         64
        .size:           8
        .value_kind:     by_value
      - .address_space:  global
        .offset:         72
        .size:           8
        .value_kind:     global_buffer
      - .address_space:  global
        .offset:         80
        .size:           8
        .value_kind:     global_buffer
      - .offset:         88
        .size:           8
        .value_kind:     by_value
      - .offset:         96
        .size:           8
        .value_kind:     by_value
      - .offset:         104
        .size:           4
        .value_kind:     by_value
    .group_segment_fixed_size: 4096
    .kernarg_segment_align: 8
    .kernarg_segment_size: 108
    .language:       OpenCL C
    .language_version:
      - 2
      - 0
    .max_flat_workgroup_size: 256
    .name:           _ZL29rocblas_internal_gemmt_kernelIlLi16ELi32ELi8ELc84ELc84ELc76ELb0ELb0EdPKdS1_PdEviT_T9_T10_S3_lS5_S3_lS4_T11_S3_li
    .private_segment_fixed_size: 0
    .sgpr_count:     37
    .sgpr_spill_count: 0
    .symbol:         _ZL29rocblas_internal_gemmt_kernelIlLi16ELi32ELi8ELc84ELc84ELc76ELb0ELb0EdPKdS1_PdEviT_T9_T10_S3_lS5_S3_lS4_T11_S3_li.kd
    .uniform_work_group_size: 1
    .uses_dynamic_stack: false
    .vgpr_count:     52
    .vgpr_spill_count: 0
    .wavefront_size: 32
    .workgroup_processor_mode: 1
  - .args:
      - .offset:         0
        .size:           4
        .value_kind:     by_value
      - .offset:         8
        .size:           8
        .value_kind:     by_value
      - .address_space:  global
        .offset:         16
        .size:           8
        .value_kind:     global_buffer
      - .address_space:  global
        .offset:         24
        .size:           8
        .value_kind:     global_buffer
      - .offset:         32
        .size:           8
        .value_kind:     by_value
      - .offset:         40
        .size:           8
        .value_kind:     by_value
      - .address_space:  global
        .offset:         48
        .size:           8
        .value_kind:     global_buffer
      - .offset:         56
        .size:           8
        .value_kind:     by_value
      - .offset:         64
        .size:           8
        .value_kind:     by_value
      - .address_space:  global
        .offset:         72
        .size:           8
        .value_kind:     global_buffer
      - .address_space:  global
        .offset:         80
        .size:           8
        .value_kind:     global_buffer
      - .offset:         88
        .size:           8
        .value_kind:     by_value
      - .offset:         96
        .size:           8
        .value_kind:     by_value
      - .offset:         104
        .size:           4
        .value_kind:     by_value
    .group_segment_fixed_size: 4096
    .kernarg_segment_align: 8
    .kernarg_segment_size: 108
    .language:       OpenCL C
    .language_version:
      - 2
      - 0
    .max_flat_workgroup_size: 256
    .name:           _ZL29rocblas_internal_gemmt_kernelIlLi16ELi32ELi8ELc84ELc67ELc76ELb0ELb0EdPKdS1_PdEviT_T9_T10_S3_lS5_S3_lS4_T11_S3_li
    .private_segment_fixed_size: 0
    .sgpr_count:     37
    .sgpr_spill_count: 0
    .symbol:         _ZL29rocblas_internal_gemmt_kernelIlLi16ELi32ELi8ELc84ELc67ELc76ELb0ELb0EdPKdS1_PdEviT_T9_T10_S3_lS5_S3_lS4_T11_S3_li.kd
    .uniform_work_group_size: 1
    .uses_dynamic_stack: false
    .vgpr_count:     52
    .vgpr_spill_count: 0
    .wavefront_size: 32
    .workgroup_processor_mode: 1
  - .args:
      - .offset:         0
        .size:           4
        .value_kind:     by_value
      - .offset:         8
        .size:           8
        .value_kind:     by_value
      - .address_space:  global
        .offset:         16
        .size:           8
        .value_kind:     global_buffer
      - .address_space:  global
        .offset:         24
        .size:           8
        .value_kind:     global_buffer
      - .offset:         32
        .size:           8
        .value_kind:     by_value
      - .offset:         40
        .size:           8
        .value_kind:     by_value
      - .address_space:  global
        .offset:         48
        .size:           8
        .value_kind:     global_buffer
      - .offset:         56
        .size:           8
        .value_kind:     by_value
      - .offset:         64
        .size:           8
        .value_kind:     by_value
      - .address_space:  global
        .offset:         72
        .size:           8
        .value_kind:     global_buffer
      - .address_space:  global
        .offset:         80
        .size:           8
        .value_kind:     global_buffer
      - .offset:         88
        .size:           8
        .value_kind:     by_value
      - .offset:         96
        .size:           8
        .value_kind:     by_value
      - .offset:         104
        .size:           4
        .value_kind:     by_value
    .group_segment_fixed_size: 4096
    .kernarg_segment_align: 8
    .kernarg_segment_size: 108
    .language:       OpenCL C
    .language_version:
      - 2
      - 0
    .max_flat_workgroup_size: 256
    .name:           _ZL29rocblas_internal_gemmt_kernelIlLi16ELi32ELi8ELc67ELc78ELc76ELb0ELb0EdPKdS1_PdEviT_T9_T10_S3_lS5_S3_lS4_T11_S3_li
    .private_segment_fixed_size: 0
    .sgpr_count:     37
    .sgpr_spill_count: 0
    .symbol:         _ZL29rocblas_internal_gemmt_kernelIlLi16ELi32ELi8ELc67ELc78ELc76ELb0ELb0EdPKdS1_PdEviT_T9_T10_S3_lS5_S3_lS4_T11_S3_li.kd
    .uniform_work_group_size: 1
    .uses_dynamic_stack: false
    .vgpr_count:     52
    .vgpr_spill_count: 0
    .wavefront_size: 32
    .workgroup_processor_mode: 1
  - .args:
      - .offset:         0
        .size:           4
        .value_kind:     by_value
      - .offset:         8
        .size:           8
        .value_kind:     by_value
      - .address_space:  global
        .offset:         16
        .size:           8
        .value_kind:     global_buffer
      - .address_space:  global
        .offset:         24
        .size:           8
        .value_kind:     global_buffer
      - .offset:         32
        .size:           8
        .value_kind:     by_value
      - .offset:         40
        .size:           8
        .value_kind:     by_value
      - .address_space:  global
        .offset:         48
        .size:           8
        .value_kind:     global_buffer
      - .offset:         56
        .size:           8
        .value_kind:     by_value
      - .offset:         64
        .size:           8
        .value_kind:     by_value
      - .address_space:  global
        .offset:         72
        .size:           8
        .value_kind:     global_buffer
      - .address_space:  global
        .offset:         80
        .size:           8
        .value_kind:     global_buffer
      - .offset:         88
        .size:           8
        .value_kind:     by_value
      - .offset:         96
        .size:           8
        .value_kind:     by_value
      - .offset:         104
        .size:           4
        .value_kind:     by_value
    .group_segment_fixed_size: 4096
    .kernarg_segment_align: 8
    .kernarg_segment_size: 108
    .language:       OpenCL C
    .language_version:
      - 2
      - 0
    .max_flat_workgroup_size: 256
    .name:           _ZL29rocblas_internal_gemmt_kernelIlLi16ELi32ELi8ELc67ELc84ELc76ELb0ELb0EdPKdS1_PdEviT_T9_T10_S3_lS5_S3_lS4_T11_S3_li
    .private_segment_fixed_size: 0
    .sgpr_count:     37
    .sgpr_spill_count: 0
    .symbol:         _ZL29rocblas_internal_gemmt_kernelIlLi16ELi32ELi8ELc67ELc84ELc76ELb0ELb0EdPKdS1_PdEviT_T9_T10_S3_lS5_S3_lS4_T11_S3_li.kd
    .uniform_work_group_size: 1
    .uses_dynamic_stack: false
    .vgpr_count:     52
    .vgpr_spill_count: 0
    .wavefront_size: 32
    .workgroup_processor_mode: 1
  - .args:
      - .offset:         0
        .size:           4
        .value_kind:     by_value
      - .offset:         8
        .size:           8
        .value_kind:     by_value
      - .address_space:  global
        .offset:         16
        .size:           8
        .value_kind:     global_buffer
      - .address_space:  global
        .offset:         24
        .size:           8
        .value_kind:     global_buffer
      - .offset:         32
        .size:           8
        .value_kind:     by_value
      - .offset:         40
        .size:           8
        .value_kind:     by_value
      - .address_space:  global
        .offset:         48
        .size:           8
        .value_kind:     global_buffer
      - .offset:         56
        .size:           8
        .value_kind:     by_value
      - .offset:         64
        .size:           8
        .value_kind:     by_value
      - .address_space:  global
        .offset:         72
        .size:           8
        .value_kind:     global_buffer
      - .address_space:  global
        .offset:         80
        .size:           8
        .value_kind:     global_buffer
      - .offset:         88
        .size:           8
        .value_kind:     by_value
      - .offset:         96
        .size:           8
        .value_kind:     by_value
      - .offset:         104
        .size:           4
        .value_kind:     by_value
    .group_segment_fixed_size: 4096
    .kernarg_segment_align: 8
    .kernarg_segment_size: 108
    .language:       OpenCL C
    .language_version:
      - 2
      - 0
    .max_flat_workgroup_size: 256
    .name:           _ZL29rocblas_internal_gemmt_kernelIlLi16ELi32ELi8ELc67ELc67ELc76ELb0ELb0EdPKdS1_PdEviT_T9_T10_S3_lS5_S3_lS4_T11_S3_li
    .private_segment_fixed_size: 0
    .sgpr_count:     37
    .sgpr_spill_count: 0
    .symbol:         _ZL29rocblas_internal_gemmt_kernelIlLi16ELi32ELi8ELc67ELc67ELc76ELb0ELb0EdPKdS1_PdEviT_T9_T10_S3_lS5_S3_lS4_T11_S3_li.kd
    .uniform_work_group_size: 1
    .uses_dynamic_stack: false
    .vgpr_count:     52
    .vgpr_spill_count: 0
    .wavefront_size: 32
    .workgroup_processor_mode: 1
  - .args:
      - .offset:         0
        .size:           4
        .value_kind:     by_value
      - .offset:         8
        .size:           8
        .value_kind:     by_value
      - .offset:         16
        .size:           8
        .value_kind:     by_value
      - .address_space:  global
        .offset:         24
        .size:           8
        .value_kind:     global_buffer
      - .offset:         32
        .size:           8
        .value_kind:     by_value
      - .offset:         40
        .size:           8
        .value_kind:     by_value
      - .address_space:  global
        .offset:         48
        .size:           8
        .value_kind:     global_buffer
      - .offset:         56
        .size:           8
        .value_kind:     by_value
      - .offset:         64
        .size:           8
        .value_kind:     by_value
      - .offset:         72
        .size:           8
        .value_kind:     by_value
      - .address_space:  global
        .offset:         80
        .size:           8
        .value_kind:     global_buffer
      - .offset:         88
        .size:           8
        .value_kind:     by_value
      - .offset:         96
        .size:           8
        .value_kind:     by_value
      - .offset:         104
        .size:           4
        .value_kind:     by_value
    .group_segment_fixed_size: 4096
    .kernarg_segment_align: 8
    .kernarg_segment_size: 108
    .language:       OpenCL C
    .language_version:
      - 2
      - 0
    .max_flat_workgroup_size: 256
    .name:           _ZL29rocblas_internal_gemmt_kernelIlLi16ELi32ELi8ELc78ELc78ELc85ELb0ELb0EddPKdPdEviT_T9_T10_S3_lS5_S3_lS4_T11_S3_li
    .private_segment_fixed_size: 0
    .sgpr_count:     37
    .sgpr_spill_count: 0
    .symbol:         _ZL29rocblas_internal_gemmt_kernelIlLi16ELi32ELi8ELc78ELc78ELc85ELb0ELb0EddPKdPdEviT_T9_T10_S3_lS5_S3_lS4_T11_S3_li.kd
    .uniform_work_group_size: 1
    .uses_dynamic_stack: false
    .vgpr_count:     52
    .vgpr_spill_count: 0
    .wavefront_size: 32
    .workgroup_processor_mode: 1
  - .args:
      - .offset:         0
        .size:           4
        .value_kind:     by_value
      - .offset:         8
        .size:           8
        .value_kind:     by_value
      - .offset:         16
        .size:           8
        .value_kind:     by_value
      - .address_space:  global
        .offset:         24
        .size:           8
        .value_kind:     global_buffer
      - .offset:         32
        .size:           8
        .value_kind:     by_value
      - .offset:         40
        .size:           8
        .value_kind:     by_value
      - .address_space:  global
        .offset:         48
        .size:           8
        .value_kind:     global_buffer
      - .offset:         56
        .size:           8
        .value_kind:     by_value
      - .offset:         64
        .size:           8
        .value_kind:     by_value
      - .offset:         72
        .size:           8
        .value_kind:     by_value
      - .address_space:  global
        .offset:         80
        .size:           8
        .value_kind:     global_buffer
      - .offset:         88
        .size:           8
        .value_kind:     by_value
      - .offset:         96
        .size:           8
        .value_kind:     by_value
      - .offset:         104
        .size:           4
        .value_kind:     by_value
    .group_segment_fixed_size: 4096
    .kernarg_segment_align: 8
    .kernarg_segment_size: 108
    .language:       OpenCL C
    .language_version:
      - 2
      - 0
    .max_flat_workgroup_size: 256
    .name:           _ZL29rocblas_internal_gemmt_kernelIlLi16ELi32ELi8ELc78ELc84ELc85ELb0ELb0EddPKdPdEviT_T9_T10_S3_lS5_S3_lS4_T11_S3_li
    .private_segment_fixed_size: 0
    .sgpr_count:     38
    .sgpr_spill_count: 0
    .symbol:         _ZL29rocblas_internal_gemmt_kernelIlLi16ELi32ELi8ELc78ELc84ELc85ELb0ELb0EddPKdPdEviT_T9_T10_S3_lS5_S3_lS4_T11_S3_li.kd
    .uniform_work_group_size: 1
    .uses_dynamic_stack: false
    .vgpr_count:     52
    .vgpr_spill_count: 0
    .wavefront_size: 32
    .workgroup_processor_mode: 1
  - .args:
      - .offset:         0
        .size:           4
        .value_kind:     by_value
      - .offset:         8
        .size:           8
        .value_kind:     by_value
      - .offset:         16
        .size:           8
        .value_kind:     by_value
      - .address_space:  global
        .offset:         24
        .size:           8
        .value_kind:     global_buffer
      - .offset:         32
        .size:           8
        .value_kind:     by_value
      - .offset:         40
        .size:           8
        .value_kind:     by_value
      - .address_space:  global
        .offset:         48
        .size:           8
        .value_kind:     global_buffer
      - .offset:         56
        .size:           8
        .value_kind:     by_value
      - .offset:         64
        .size:           8
        .value_kind:     by_value
      - .offset:         72
        .size:           8
        .value_kind:     by_value
      - .address_space:  global
        .offset:         80
        .size:           8
        .value_kind:     global_buffer
      - .offset:         88
        .size:           8
        .value_kind:     by_value
      - .offset:         96
        .size:           8
        .value_kind:     by_value
      - .offset:         104
        .size:           4
        .value_kind:     by_value
    .group_segment_fixed_size: 4096
    .kernarg_segment_align: 8
    .kernarg_segment_size: 108
    .language:       OpenCL C
    .language_version:
      - 2
      - 0
    .max_flat_workgroup_size: 256
    .name:           _ZL29rocblas_internal_gemmt_kernelIlLi16ELi32ELi8ELc78ELc67ELc85ELb0ELb0EddPKdPdEviT_T9_T10_S3_lS5_S3_lS4_T11_S3_li
    .private_segment_fixed_size: 0
    .sgpr_count:     38
    .sgpr_spill_count: 0
    .symbol:         _ZL29rocblas_internal_gemmt_kernelIlLi16ELi32ELi8ELc78ELc67ELc85ELb0ELb0EddPKdPdEviT_T9_T10_S3_lS5_S3_lS4_T11_S3_li.kd
    .uniform_work_group_size: 1
    .uses_dynamic_stack: false
    .vgpr_count:     52
    .vgpr_spill_count: 0
    .wavefront_size: 32
    .workgroup_processor_mode: 1
  - .args:
      - .offset:         0
        .size:           4
        .value_kind:     by_value
      - .offset:         8
        .size:           8
        .value_kind:     by_value
      - .offset:         16
        .size:           8
        .value_kind:     by_value
      - .address_space:  global
        .offset:         24
        .size:           8
        .value_kind:     global_buffer
      - .offset:         32
        .size:           8
        .value_kind:     by_value
      - .offset:         40
        .size:           8
        .value_kind:     by_value
      - .address_space:  global
        .offset:         48
        .size:           8
        .value_kind:     global_buffer
      - .offset:         56
        .size:           8
        .value_kind:     by_value
      - .offset:         64
        .size:           8
        .value_kind:     by_value
      - .offset:         72
        .size:           8
        .value_kind:     by_value
      - .address_space:  global
        .offset:         80
        .size:           8
        .value_kind:     global_buffer
      - .offset:         88
        .size:           8
        .value_kind:     by_value
      - .offset:         96
        .size:           8
        .value_kind:     by_value
      - .offset:         104
        .size:           4
        .value_kind:     by_value
    .group_segment_fixed_size: 4096
    .kernarg_segment_align: 8
    .kernarg_segment_size: 108
    .language:       OpenCL C
    .language_version:
      - 2
      - 0
    .max_flat_workgroup_size: 256
    .name:           _ZL29rocblas_internal_gemmt_kernelIlLi16ELi32ELi8ELc84ELc78ELc85ELb0ELb0EddPKdPdEviT_T9_T10_S3_lS5_S3_lS4_T11_S3_li
    .private_segment_fixed_size: 0
    .sgpr_count:     37
    .sgpr_spill_count: 0
    .symbol:         _ZL29rocblas_internal_gemmt_kernelIlLi16ELi32ELi8ELc84ELc78ELc85ELb0ELb0EddPKdPdEviT_T9_T10_S3_lS5_S3_lS4_T11_S3_li.kd
    .uniform_work_group_size: 1
    .uses_dynamic_stack: false
    .vgpr_count:     52
    .vgpr_spill_count: 0
    .wavefront_size: 32
    .workgroup_processor_mode: 1
  - .args:
      - .offset:         0
        .size:           4
        .value_kind:     by_value
      - .offset:         8
        .size:           8
        .value_kind:     by_value
      - .offset:         16
        .size:           8
        .value_kind:     by_value
      - .address_space:  global
        .offset:         24
        .size:           8
        .value_kind:     global_buffer
      - .offset:         32
        .size:           8
        .value_kind:     by_value
      - .offset:         40
        .size:           8
        .value_kind:     by_value
      - .address_space:  global
        .offset:         48
        .size:           8
        .value_kind:     global_buffer
      - .offset:         56
        .size:           8
        .value_kind:     by_value
      - .offset:         64
        .size:           8
        .value_kind:     by_value
      - .offset:         72
        .size:           8
        .value_kind:     by_value
      - .address_space:  global
        .offset:         80
        .size:           8
        .value_kind:     global_buffer
      - .offset:         88
        .size:           8
        .value_kind:     by_value
      - .offset:         96
        .size:           8
        .value_kind:     by_value
      - .offset:         104
        .size:           4
        .value_kind:     by_value
    .group_segment_fixed_size: 4096
    .kernarg_segment_align: 8
    .kernarg_segment_size: 108
    .language:       OpenCL C
    .language_version:
      - 2
      - 0
    .max_flat_workgroup_size: 256
    .name:           _ZL29rocblas_internal_gemmt_kernelIlLi16ELi32ELi8ELc84ELc84ELc85ELb0ELb0EddPKdPdEviT_T9_T10_S3_lS5_S3_lS4_T11_S3_li
    .private_segment_fixed_size: 0
    .sgpr_count:     37
    .sgpr_spill_count: 0
    .symbol:         _ZL29rocblas_internal_gemmt_kernelIlLi16ELi32ELi8ELc84ELc84ELc85ELb0ELb0EddPKdPdEviT_T9_T10_S3_lS5_S3_lS4_T11_S3_li.kd
    .uniform_work_group_size: 1
    .uses_dynamic_stack: false
    .vgpr_count:     52
    .vgpr_spill_count: 0
    .wavefront_size: 32
    .workgroup_processor_mode: 1
  - .args:
      - .offset:         0
        .size:           4
        .value_kind:     by_value
      - .offset:         8
        .size:           8
        .value_kind:     by_value
      - .offset:         16
        .size:           8
        .value_kind:     by_value
      - .address_space:  global
        .offset:         24
        .size:           8
        .value_kind:     global_buffer
      - .offset:         32
        .size:           8
        .value_kind:     by_value
      - .offset:         40
        .size:           8
        .value_kind:     by_value
      - .address_space:  global
        .offset:         48
        .size:           8
        .value_kind:     global_buffer
      - .offset:         56
        .size:           8
        .value_kind:     by_value
      - .offset:         64
        .size:           8
        .value_kind:     by_value
      - .offset:         72
        .size:           8
        .value_kind:     by_value
      - .address_space:  global
        .offset:         80
        .size:           8
        .value_kind:     global_buffer
      - .offset:         88
        .size:           8
        .value_kind:     by_value
      - .offset:         96
        .size:           8
        .value_kind:     by_value
      - .offset:         104
        .size:           4
        .value_kind:     by_value
    .group_segment_fixed_size: 4096
    .kernarg_segment_align: 8
    .kernarg_segment_size: 108
    .language:       OpenCL C
    .language_version:
      - 2
      - 0
    .max_flat_workgroup_size: 256
    .name:           _ZL29rocblas_internal_gemmt_kernelIlLi16ELi32ELi8ELc84ELc67ELc85ELb0ELb0EddPKdPdEviT_T9_T10_S3_lS5_S3_lS4_T11_S3_li
    .private_segment_fixed_size: 0
    .sgpr_count:     37
    .sgpr_spill_count: 0
    .symbol:         _ZL29rocblas_internal_gemmt_kernelIlLi16ELi32ELi8ELc84ELc67ELc85ELb0ELb0EddPKdPdEviT_T9_T10_S3_lS5_S3_lS4_T11_S3_li.kd
    .uniform_work_group_size: 1
    .uses_dynamic_stack: false
    .vgpr_count:     52
    .vgpr_spill_count: 0
    .wavefront_size: 32
    .workgroup_processor_mode: 1
  - .args:
      - .offset:         0
        .size:           4
        .value_kind:     by_value
      - .offset:         8
        .size:           8
        .value_kind:     by_value
      - .offset:         16
        .size:           8
        .value_kind:     by_value
      - .address_space:  global
        .offset:         24
        .size:           8
        .value_kind:     global_buffer
      - .offset:         32
        .size:           8
        .value_kind:     by_value
      - .offset:         40
        .size:           8
        .value_kind:     by_value
      - .address_space:  global
        .offset:         48
        .size:           8
        .value_kind:     global_buffer
      - .offset:         56
        .size:           8
        .value_kind:     by_value
      - .offset:         64
        .size:           8
        .value_kind:     by_value
      - .offset:         72
        .size:           8
        .value_kind:     by_value
      - .address_space:  global
        .offset:         80
        .size:           8
        .value_kind:     global_buffer
      - .offset:         88
        .size:           8
        .value_kind:     by_value
      - .offset:         96
        .size:           8
        .value_kind:     by_value
      - .offset:         104
        .size:           4
        .value_kind:     by_value
    .group_segment_fixed_size: 4096
    .kernarg_segment_align: 8
    .kernarg_segment_size: 108
    .language:       OpenCL C
    .language_version:
      - 2
      - 0
    .max_flat_workgroup_size: 256
    .name:           _ZL29rocblas_internal_gemmt_kernelIlLi16ELi32ELi8ELc67ELc78ELc85ELb0ELb0EddPKdPdEviT_T9_T10_S3_lS5_S3_lS4_T11_S3_li
    .private_segment_fixed_size: 0
    .sgpr_count:     37
    .sgpr_spill_count: 0
    .symbol:         _ZL29rocblas_internal_gemmt_kernelIlLi16ELi32ELi8ELc67ELc78ELc85ELb0ELb0EddPKdPdEviT_T9_T10_S3_lS5_S3_lS4_T11_S3_li.kd
    .uniform_work_group_size: 1
    .uses_dynamic_stack: false
    .vgpr_count:     52
    .vgpr_spill_count: 0
    .wavefront_size: 32
    .workgroup_processor_mode: 1
  - .args:
      - .offset:         0
        .size:           4
        .value_kind:     by_value
      - .offset:         8
        .size:           8
        .value_kind:     by_value
      - .offset:         16
        .size:           8
        .value_kind:     by_value
      - .address_space:  global
        .offset:         24
        .size:           8
        .value_kind:     global_buffer
      - .offset:         32
        .size:           8
        .value_kind:     by_value
      - .offset:         40
        .size:           8
        .value_kind:     by_value
      - .address_space:  global
        .offset:         48
        .size:           8
        .value_kind:     global_buffer
      - .offset:         56
        .size:           8
        .value_kind:     by_value
      - .offset:         64
        .size:           8
        .value_kind:     by_value
      - .offset:         72
        .size:           8
        .value_kind:     by_value
      - .address_space:  global
        .offset:         80
        .size:           8
        .value_kind:     global_buffer
      - .offset:         88
        .size:           8
        .value_kind:     by_value
      - .offset:         96
        .size:           8
        .value_kind:     by_value
      - .offset:         104
        .size:           4
        .value_kind:     by_value
    .group_segment_fixed_size: 4096
    .kernarg_segment_align: 8
    .kernarg_segment_size: 108
    .language:       OpenCL C
    .language_version:
      - 2
      - 0
    .max_flat_workgroup_size: 256
    .name:           _ZL29rocblas_internal_gemmt_kernelIlLi16ELi32ELi8ELc67ELc84ELc85ELb0ELb0EddPKdPdEviT_T9_T10_S3_lS5_S3_lS4_T11_S3_li
    .private_segment_fixed_size: 0
    .sgpr_count:     37
    .sgpr_spill_count: 0
    .symbol:         _ZL29rocblas_internal_gemmt_kernelIlLi16ELi32ELi8ELc67ELc84ELc85ELb0ELb0EddPKdPdEviT_T9_T10_S3_lS5_S3_lS4_T11_S3_li.kd
    .uniform_work_group_size: 1
    .uses_dynamic_stack: false
    .vgpr_count:     52
    .vgpr_spill_count: 0
    .wavefront_size: 32
    .workgroup_processor_mode: 1
  - .args:
      - .offset:         0
        .size:           4
        .value_kind:     by_value
      - .offset:         8
        .size:           8
        .value_kind:     by_value
      - .offset:         16
        .size:           8
        .value_kind:     by_value
      - .address_space:  global
        .offset:         24
        .size:           8
        .value_kind:     global_buffer
      - .offset:         32
        .size:           8
        .value_kind:     by_value
      - .offset:         40
        .size:           8
        .value_kind:     by_value
      - .address_space:  global
        .offset:         48
        .size:           8
        .value_kind:     global_buffer
      - .offset:         56
        .size:           8
        .value_kind:     by_value
      - .offset:         64
        .size:           8
        .value_kind:     by_value
      - .offset:         72
        .size:           8
        .value_kind:     by_value
      - .address_space:  global
        .offset:         80
        .size:           8
        .value_kind:     global_buffer
      - .offset:         88
        .size:           8
        .value_kind:     by_value
      - .offset:         96
        .size:           8
        .value_kind:     by_value
      - .offset:         104
        .size:           4
        .value_kind:     by_value
    .group_segment_fixed_size: 4096
    .kernarg_segment_align: 8
    .kernarg_segment_size: 108
    .language:       OpenCL C
    .language_version:
      - 2
      - 0
    .max_flat_workgroup_size: 256
    .name:           _ZL29rocblas_internal_gemmt_kernelIlLi16ELi32ELi8ELc67ELc67ELc85ELb0ELb0EddPKdPdEviT_T9_T10_S3_lS5_S3_lS4_T11_S3_li
    .private_segment_fixed_size: 0
    .sgpr_count:     37
    .sgpr_spill_count: 0
    .symbol:         _ZL29rocblas_internal_gemmt_kernelIlLi16ELi32ELi8ELc67ELc67ELc85ELb0ELb0EddPKdPdEviT_T9_T10_S3_lS5_S3_lS4_T11_S3_li.kd
    .uniform_work_group_size: 1
    .uses_dynamic_stack: false
    .vgpr_count:     52
    .vgpr_spill_count: 0
    .wavefront_size: 32
    .workgroup_processor_mode: 1
  - .args:
      - .offset:         0
        .size:           4
        .value_kind:     by_value
      - .offset:         8
        .size:           8
        .value_kind:     by_value
      - .offset:         16
        .size:           8
        .value_kind:     by_value
      - .address_space:  global
        .offset:         24
        .size:           8
        .value_kind:     global_buffer
      - .offset:         32
        .size:           8
        .value_kind:     by_value
      - .offset:         40
        .size:           8
        .value_kind:     by_value
      - .address_space:  global
        .offset:         48
        .size:           8
        .value_kind:     global_buffer
      - .offset:         56
        .size:           8
        .value_kind:     by_value
      - .offset:         64
        .size:           8
        .value_kind:     by_value
      - .offset:         72
        .size:           8
        .value_kind:     by_value
      - .address_space:  global
        .offset:         80
        .size:           8
        .value_kind:     global_buffer
      - .offset:         88
        .size:           8
        .value_kind:     by_value
      - .offset:         96
        .size:           8
        .value_kind:     by_value
      - .offset:         104
        .size:           4
        .value_kind:     by_value
    .group_segment_fixed_size: 4096
    .kernarg_segment_align: 8
    .kernarg_segment_size: 108
    .language:       OpenCL C
    .language_version:
      - 2
      - 0
    .max_flat_workgroup_size: 256
    .name:           _ZL29rocblas_internal_gemmt_kernelIlLi16ELi32ELi8ELc78ELc78ELc76ELb0ELb0EddPKdPdEviT_T9_T10_S3_lS5_S3_lS4_T11_S3_li
    .private_segment_fixed_size: 0
    .sgpr_count:     37
    .sgpr_spill_count: 0
    .symbol:         _ZL29rocblas_internal_gemmt_kernelIlLi16ELi32ELi8ELc78ELc78ELc76ELb0ELb0EddPKdPdEviT_T9_T10_S3_lS5_S3_lS4_T11_S3_li.kd
    .uniform_work_group_size: 1
    .uses_dynamic_stack: false
    .vgpr_count:     52
    .vgpr_spill_count: 0
    .wavefront_size: 32
    .workgroup_processor_mode: 1
  - .args:
      - .offset:         0
        .size:           4
        .value_kind:     by_value
      - .offset:         8
        .size:           8
        .value_kind:     by_value
      - .offset:         16
        .size:           8
        .value_kind:     by_value
      - .address_space:  global
        .offset:         24
        .size:           8
        .value_kind:     global_buffer
      - .offset:         32
        .size:           8
        .value_kind:     by_value
      - .offset:         40
        .size:           8
        .value_kind:     by_value
      - .address_space:  global
        .offset:         48
        .size:           8
        .value_kind:     global_buffer
      - .offset:         56
        .size:           8
        .value_kind:     by_value
      - .offset:         64
        .size:           8
        .value_kind:     by_value
      - .offset:         72
        .size:           8
        .value_kind:     by_value
      - .address_space:  global
        .offset:         80
        .size:           8
        .value_kind:     global_buffer
      - .offset:         88
        .size:           8
        .value_kind:     by_value
      - .offset:         96
        .size:           8
        .value_kind:     by_value
      - .offset:         104
        .size:           4
        .value_kind:     by_value
    .group_segment_fixed_size: 4096
    .kernarg_segment_align: 8
    .kernarg_segment_size: 108
    .language:       OpenCL C
    .language_version:
      - 2
      - 0
    .max_flat_workgroup_size: 256
    .name:           _ZL29rocblas_internal_gemmt_kernelIlLi16ELi32ELi8ELc78ELc84ELc76ELb0ELb0EddPKdPdEviT_T9_T10_S3_lS5_S3_lS4_T11_S3_li
    .private_segment_fixed_size: 0
    .sgpr_count:     38
    .sgpr_spill_count: 0
    .symbol:         _ZL29rocblas_internal_gemmt_kernelIlLi16ELi32ELi8ELc78ELc84ELc76ELb0ELb0EddPKdPdEviT_T9_T10_S3_lS5_S3_lS4_T11_S3_li.kd
    .uniform_work_group_size: 1
    .uses_dynamic_stack: false
    .vgpr_count:     52
    .vgpr_spill_count: 0
    .wavefront_size: 32
    .workgroup_processor_mode: 1
  - .args:
      - .offset:         0
        .size:           4
        .value_kind:     by_value
      - .offset:         8
        .size:           8
        .value_kind:     by_value
      - .offset:         16
        .size:           8
        .value_kind:     by_value
      - .address_space:  global
        .offset:         24
        .size:           8
        .value_kind:     global_buffer
      - .offset:         32
        .size:           8
        .value_kind:     by_value
      - .offset:         40
        .size:           8
        .value_kind:     by_value
      - .address_space:  global
        .offset:         48
        .size:           8
        .value_kind:     global_buffer
      - .offset:         56
        .size:           8
        .value_kind:     by_value
      - .offset:         64
        .size:           8
        .value_kind:     by_value
      - .offset:         72
        .size:           8
        .value_kind:     by_value
      - .address_space:  global
        .offset:         80
        .size:           8
        .value_kind:     global_buffer
      - .offset:         88
        .size:           8
        .value_kind:     by_value
      - .offset:         96
        .size:           8
        .value_kind:     by_value
      - .offset:         104
        .size:           4
        .value_kind:     by_value
    .group_segment_fixed_size: 4096
    .kernarg_segment_align: 8
    .kernarg_segment_size: 108
    .language:       OpenCL C
    .language_version:
      - 2
      - 0
    .max_flat_workgroup_size: 256
    .name:           _ZL29rocblas_internal_gemmt_kernelIlLi16ELi32ELi8ELc78ELc67ELc76ELb0ELb0EddPKdPdEviT_T9_T10_S3_lS5_S3_lS4_T11_S3_li
    .private_segment_fixed_size: 0
    .sgpr_count:     38
    .sgpr_spill_count: 0
    .symbol:         _ZL29rocblas_internal_gemmt_kernelIlLi16ELi32ELi8ELc78ELc67ELc76ELb0ELb0EddPKdPdEviT_T9_T10_S3_lS5_S3_lS4_T11_S3_li.kd
    .uniform_work_group_size: 1
    .uses_dynamic_stack: false
    .vgpr_count:     52
    .vgpr_spill_count: 0
    .wavefront_size: 32
    .workgroup_processor_mode: 1
  - .args:
      - .offset:         0
        .size:           4
        .value_kind:     by_value
      - .offset:         8
        .size:           8
        .value_kind:     by_value
      - .offset:         16
        .size:           8
        .value_kind:     by_value
      - .address_space:  global
        .offset:         24
        .size:           8
        .value_kind:     global_buffer
      - .offset:         32
        .size:           8
        .value_kind:     by_value
      - .offset:         40
        .size:           8
        .value_kind:     by_value
      - .address_space:  global
        .offset:         48
        .size:           8
        .value_kind:     global_buffer
      - .offset:         56
        .size:           8
        .value_kind:     by_value
      - .offset:         64
        .size:           8
        .value_kind:     by_value
      - .offset:         72
        .size:           8
        .value_kind:     by_value
      - .address_space:  global
        .offset:         80
        .size:           8
        .value_kind:     global_buffer
      - .offset:         88
        .size:           8
        .value_kind:     by_value
      - .offset:         96
        .size:           8
        .value_kind:     by_value
      - .offset:         104
        .size:           4
        .value_kind:     by_value
    .group_segment_fixed_size: 4096
    .kernarg_segment_align: 8
    .kernarg_segment_size: 108
    .language:       OpenCL C
    .language_version:
      - 2
      - 0
    .max_flat_workgroup_size: 256
    .name:           _ZL29rocblas_internal_gemmt_kernelIlLi16ELi32ELi8ELc84ELc78ELc76ELb0ELb0EddPKdPdEviT_T9_T10_S3_lS5_S3_lS4_T11_S3_li
    .private_segment_fixed_size: 0
    .sgpr_count:     37
    .sgpr_spill_count: 0
    .symbol:         _ZL29rocblas_internal_gemmt_kernelIlLi16ELi32ELi8ELc84ELc78ELc76ELb0ELb0EddPKdPdEviT_T9_T10_S3_lS5_S3_lS4_T11_S3_li.kd
    .uniform_work_group_size: 1
    .uses_dynamic_stack: false
    .vgpr_count:     52
    .vgpr_spill_count: 0
    .wavefront_size: 32
    .workgroup_processor_mode: 1
  - .args:
      - .offset:         0
        .size:           4
        .value_kind:     by_value
      - .offset:         8
        .size:           8
        .value_kind:     by_value
      - .offset:         16
        .size:           8
        .value_kind:     by_value
      - .address_space:  global
        .offset:         24
        .size:           8
        .value_kind:     global_buffer
      - .offset:         32
        .size:           8
        .value_kind:     by_value
      - .offset:         40
        .size:           8
        .value_kind:     by_value
      - .address_space:  global
        .offset:         48
        .size:           8
        .value_kind:     global_buffer
      - .offset:         56
        .size:           8
        .value_kind:     by_value
      - .offset:         64
        .size:           8
        .value_kind:     by_value
      - .offset:         72
        .size:           8
        .value_kind:     by_value
      - .address_space:  global
        .offset:         80
        .size:           8
        .value_kind:     global_buffer
      - .offset:         88
        .size:           8
        .value_kind:     by_value
      - .offset:         96
        .size:           8
        .value_kind:     by_value
      - .offset:         104
        .size:           4
        .value_kind:     by_value
    .group_segment_fixed_size: 4096
    .kernarg_segment_align: 8
    .kernarg_segment_size: 108
    .language:       OpenCL C
    .language_version:
      - 2
      - 0
    .max_flat_workgroup_size: 256
    .name:           _ZL29rocblas_internal_gemmt_kernelIlLi16ELi32ELi8ELc84ELc84ELc76ELb0ELb0EddPKdPdEviT_T9_T10_S3_lS5_S3_lS4_T11_S3_li
    .private_segment_fixed_size: 0
    .sgpr_count:     37
    .sgpr_spill_count: 0
    .symbol:         _ZL29rocblas_internal_gemmt_kernelIlLi16ELi32ELi8ELc84ELc84ELc76ELb0ELb0EddPKdPdEviT_T9_T10_S3_lS5_S3_lS4_T11_S3_li.kd
    .uniform_work_group_size: 1
    .uses_dynamic_stack: false
    .vgpr_count:     52
    .vgpr_spill_count: 0
    .wavefront_size: 32
    .workgroup_processor_mode: 1
  - .args:
      - .offset:         0
        .size:           4
        .value_kind:     by_value
      - .offset:         8
        .size:           8
        .value_kind:     by_value
      - .offset:         16
        .size:           8
        .value_kind:     by_value
      - .address_space:  global
        .offset:         24
        .size:           8
        .value_kind:     global_buffer
      - .offset:         32
        .size:           8
        .value_kind:     by_value
      - .offset:         40
        .size:           8
        .value_kind:     by_value
      - .address_space:  global
        .offset:         48
        .size:           8
        .value_kind:     global_buffer
      - .offset:         56
        .size:           8
        .value_kind:     by_value
      - .offset:         64
        .size:           8
        .value_kind:     by_value
      - .offset:         72
        .size:           8
        .value_kind:     by_value
      - .address_space:  global
        .offset:         80
        .size:           8
        .value_kind:     global_buffer
      - .offset:         88
        .size:           8
        .value_kind:     by_value
      - .offset:         96
        .size:           8
        .value_kind:     by_value
      - .offset:         104
        .size:           4
        .value_kind:     by_value
    .group_segment_fixed_size: 4096
    .kernarg_segment_align: 8
    .kernarg_segment_size: 108
    .language:       OpenCL C
    .language_version:
      - 2
      - 0
    .max_flat_workgroup_size: 256
    .name:           _ZL29rocblas_internal_gemmt_kernelIlLi16ELi32ELi8ELc84ELc67ELc76ELb0ELb0EddPKdPdEviT_T9_T10_S3_lS5_S3_lS4_T11_S3_li
    .private_segment_fixed_size: 0
    .sgpr_count:     37
    .sgpr_spill_count: 0
    .symbol:         _ZL29rocblas_internal_gemmt_kernelIlLi16ELi32ELi8ELc84ELc67ELc76ELb0ELb0EddPKdPdEviT_T9_T10_S3_lS5_S3_lS4_T11_S3_li.kd
    .uniform_work_group_size: 1
    .uses_dynamic_stack: false
    .vgpr_count:     52
    .vgpr_spill_count: 0
    .wavefront_size: 32
    .workgroup_processor_mode: 1
  - .args:
      - .offset:         0
        .size:           4
        .value_kind:     by_value
      - .offset:         8
        .size:           8
        .value_kind:     by_value
      - .offset:         16
        .size:           8
        .value_kind:     by_value
      - .address_space:  global
        .offset:         24
        .size:           8
        .value_kind:     global_buffer
      - .offset:         32
        .size:           8
        .value_kind:     by_value
      - .offset:         40
        .size:           8
        .value_kind:     by_value
      - .address_space:  global
        .offset:         48
        .size:           8
        .value_kind:     global_buffer
      - .offset:         56
        .size:           8
        .value_kind:     by_value
      - .offset:         64
        .size:           8
        .value_kind:     by_value
      - .offset:         72
        .size:           8
        .value_kind:     by_value
      - .address_space:  global
        .offset:         80
        .size:           8
        .value_kind:     global_buffer
      - .offset:         88
        .size:           8
        .value_kind:     by_value
      - .offset:         96
        .size:           8
        .value_kind:     by_value
      - .offset:         104
        .size:           4
        .value_kind:     by_value
    .group_segment_fixed_size: 4096
    .kernarg_segment_align: 8
    .kernarg_segment_size: 108
    .language:       OpenCL C
    .language_version:
      - 2
      - 0
    .max_flat_workgroup_size: 256
    .name:           _ZL29rocblas_internal_gemmt_kernelIlLi16ELi32ELi8ELc67ELc78ELc76ELb0ELb0EddPKdPdEviT_T9_T10_S3_lS5_S3_lS4_T11_S3_li
    .private_segment_fixed_size: 0
    .sgpr_count:     37
    .sgpr_spill_count: 0
    .symbol:         _ZL29rocblas_internal_gemmt_kernelIlLi16ELi32ELi8ELc67ELc78ELc76ELb0ELb0EddPKdPdEviT_T9_T10_S3_lS5_S3_lS4_T11_S3_li.kd
    .uniform_work_group_size: 1
    .uses_dynamic_stack: false
    .vgpr_count:     52
    .vgpr_spill_count: 0
    .wavefront_size: 32
    .workgroup_processor_mode: 1
  - .args:
      - .offset:         0
        .size:           4
        .value_kind:     by_value
      - .offset:         8
        .size:           8
        .value_kind:     by_value
      - .offset:         16
        .size:           8
        .value_kind:     by_value
      - .address_space:  global
        .offset:         24
        .size:           8
        .value_kind:     global_buffer
      - .offset:         32
        .size:           8
        .value_kind:     by_value
      - .offset:         40
        .size:           8
        .value_kind:     by_value
      - .address_space:  global
        .offset:         48
        .size:           8
        .value_kind:     global_buffer
      - .offset:         56
        .size:           8
        .value_kind:     by_value
      - .offset:         64
        .size:           8
        .value_kind:     by_value
      - .offset:         72
        .size:           8
        .value_kind:     by_value
      - .address_space:  global
        .offset:         80
        .size:           8
        .value_kind:     global_buffer
      - .offset:         88
        .size:           8
        .value_kind:     by_value
      - .offset:         96
        .size:           8
        .value_kind:     by_value
      - .offset:         104
        .size:           4
        .value_kind:     by_value
    .group_segment_fixed_size: 4096
    .kernarg_segment_align: 8
    .kernarg_segment_size: 108
    .language:       OpenCL C
    .language_version:
      - 2
      - 0
    .max_flat_workgroup_size: 256
    .name:           _ZL29rocblas_internal_gemmt_kernelIlLi16ELi32ELi8ELc67ELc84ELc76ELb0ELb0EddPKdPdEviT_T9_T10_S3_lS5_S3_lS4_T11_S3_li
    .private_segment_fixed_size: 0
    .sgpr_count:     37
    .sgpr_spill_count: 0
    .symbol:         _ZL29rocblas_internal_gemmt_kernelIlLi16ELi32ELi8ELc67ELc84ELc76ELb0ELb0EddPKdPdEviT_T9_T10_S3_lS5_S3_lS4_T11_S3_li.kd
    .uniform_work_group_size: 1
    .uses_dynamic_stack: false
    .vgpr_count:     52
    .vgpr_spill_count: 0
    .wavefront_size: 32
    .workgroup_processor_mode: 1
  - .args:
      - .offset:         0
        .size:           4
        .value_kind:     by_value
      - .offset:         8
        .size:           8
        .value_kind:     by_value
      - .offset:         16
        .size:           8
        .value_kind:     by_value
      - .address_space:  global
        .offset:         24
        .size:           8
        .value_kind:     global_buffer
      - .offset:         32
        .size:           8
        .value_kind:     by_value
      - .offset:         40
        .size:           8
        .value_kind:     by_value
      - .address_space:  global
        .offset:         48
        .size:           8
        .value_kind:     global_buffer
      - .offset:         56
        .size:           8
        .value_kind:     by_value
      - .offset:         64
        .size:           8
        .value_kind:     by_value
      - .offset:         72
        .size:           8
        .value_kind:     by_value
      - .address_space:  global
        .offset:         80
        .size:           8
        .value_kind:     global_buffer
      - .offset:         88
        .size:           8
        .value_kind:     by_value
      - .offset:         96
        .size:           8
        .value_kind:     by_value
      - .offset:         104
        .size:           4
        .value_kind:     by_value
    .group_segment_fixed_size: 4096
    .kernarg_segment_align: 8
    .kernarg_segment_size: 108
    .language:       OpenCL C
    .language_version:
      - 2
      - 0
    .max_flat_workgroup_size: 256
    .name:           _ZL29rocblas_internal_gemmt_kernelIlLi16ELi32ELi8ELc67ELc67ELc76ELb0ELb0EddPKdPdEviT_T9_T10_S3_lS5_S3_lS4_T11_S3_li
    .private_segment_fixed_size: 0
    .sgpr_count:     37
    .sgpr_spill_count: 0
    .symbol:         _ZL29rocblas_internal_gemmt_kernelIlLi16ELi32ELi8ELc67ELc67ELc76ELb0ELb0EddPKdPdEviT_T9_T10_S3_lS5_S3_lS4_T11_S3_li.kd
    .uniform_work_group_size: 1
    .uses_dynamic_stack: false
    .vgpr_count:     52
    .vgpr_spill_count: 0
    .wavefront_size: 32
    .workgroup_processor_mode: 1
  - .args:
      - .offset:         0
        .size:           4
        .value_kind:     by_value
      - .offset:         8
        .size:           8
        .value_kind:     by_value
      - .address_space:  global
        .offset:         16
        .size:           8
        .value_kind:     global_buffer
      - .address_space:  global
        .offset:         24
        .size:           8
        .value_kind:     global_buffer
      - .offset:         32
        .size:           8
        .value_kind:     by_value
      - .offset:         40
        .size:           8
        .value_kind:     by_value
      - .address_space:  global
        .offset:         48
        .size:           8
        .value_kind:     global_buffer
      - .offset:         56
        .size:           8
        .value_kind:     by_value
      - .offset:         64
        .size:           8
        .value_kind:     by_value
      - .address_space:  global
        .offset:         72
        .size:           8
        .value_kind:     global_buffer
      - .address_space:  global
        .offset:         80
        .size:           8
        .value_kind:     global_buffer
      - .offset:         88
        .size:           8
        .value_kind:     by_value
      - .offset:         96
        .size:           8
        .value_kind:     by_value
      - .offset:         104
        .size:           4
        .value_kind:     by_value
    .group_segment_fixed_size: 4096
    .kernarg_segment_align: 8
    .kernarg_segment_size: 108
    .language:       OpenCL C
    .language_version:
      - 2
      - 0
    .max_flat_workgroup_size: 256
    .name:           _ZL29rocblas_internal_gemmt_kernelIlLi16ELi32ELi8ELc78ELc78ELc85ELb0ELb0E19rocblas_complex_numIfEPKS1_S3_PS1_EviT_T9_T10_S5_lS7_S5_lS6_T11_S5_li
    .private_segment_fixed_size: 0
    .sgpr_count:     38
    .sgpr_spill_count: 0
    .symbol:         _ZL29rocblas_internal_gemmt_kernelIlLi16ELi32ELi8ELc78ELc78ELc85ELb0ELb0E19rocblas_complex_numIfEPKS1_S3_PS1_EviT_T9_T10_S5_lS7_S5_lS6_T11_S5_li.kd
    .uniform_work_group_size: 1
    .uses_dynamic_stack: false
    .vgpr_count:     71
    .vgpr_spill_count: 0
    .wavefront_size: 32
    .workgroup_processor_mode: 1
  - .args:
      - .offset:         0
        .size:           4
        .value_kind:     by_value
      - .offset:         8
        .size:           8
        .value_kind:     by_value
      - .address_space:  global
        .offset:         16
        .size:           8
        .value_kind:     global_buffer
      - .address_space:  global
        .offset:         24
        .size:           8
        .value_kind:     global_buffer
      - .offset:         32
        .size:           8
        .value_kind:     by_value
      - .offset:         40
        .size:           8
        .value_kind:     by_value
      - .address_space:  global
        .offset:         48
        .size:           8
        .value_kind:     global_buffer
      - .offset:         56
        .size:           8
        .value_kind:     by_value
      - .offset:         64
        .size:           8
        .value_kind:     by_value
      - .address_space:  global
        .offset:         72
        .size:           8
        .value_kind:     global_buffer
      - .address_space:  global
        .offset:         80
        .size:           8
        .value_kind:     global_buffer
      - .offset:         88
        .size:           8
        .value_kind:     by_value
      - .offset:         96
        .size:           8
        .value_kind:     by_value
      - .offset:         104
        .size:           4
        .value_kind:     by_value
    .group_segment_fixed_size: 4096
    .kernarg_segment_align: 8
    .kernarg_segment_size: 108
    .language:       OpenCL C
    .language_version:
      - 2
      - 0
    .max_flat_workgroup_size: 256
    .name:           _ZL29rocblas_internal_gemmt_kernelIlLi16ELi32ELi8ELc78ELc84ELc85ELb0ELb0E19rocblas_complex_numIfEPKS1_S3_PS1_EviT_T9_T10_S5_lS7_S5_lS6_T11_S5_li
    .private_segment_fixed_size: 0
    .sgpr_count:     39
    .sgpr_spill_count: 0
    .symbol:         _ZL29rocblas_internal_gemmt_kernelIlLi16ELi32ELi8ELc78ELc84ELc85ELb0ELb0E19rocblas_complex_numIfEPKS1_S3_PS1_EviT_T9_T10_S5_lS7_S5_lS6_T11_S5_li.kd
    .uniform_work_group_size: 1
    .uses_dynamic_stack: false
    .vgpr_count:     71
    .vgpr_spill_count: 0
    .wavefront_size: 32
    .workgroup_processor_mode: 1
  - .args:
      - .offset:         0
        .size:           4
        .value_kind:     by_value
      - .offset:         8
        .size:           8
        .value_kind:     by_value
      - .address_space:  global
        .offset:         16
        .size:           8
        .value_kind:     global_buffer
      - .address_space:  global
        .offset:         24
        .size:           8
        .value_kind:     global_buffer
      - .offset:         32
        .size:           8
        .value_kind:     by_value
      - .offset:         40
        .size:           8
        .value_kind:     by_value
      - .address_space:  global
        .offset:         48
        .size:           8
        .value_kind:     global_buffer
      - .offset:         56
        .size:           8
        .value_kind:     by_value
      - .offset:         64
        .size:           8
        .value_kind:     by_value
      - .address_space:  global
        .offset:         72
        .size:           8
        .value_kind:     global_buffer
      - .address_space:  global
        .offset:         80
        .size:           8
        .value_kind:     global_buffer
      - .offset:         88
        .size:           8
        .value_kind:     by_value
      - .offset:         96
        .size:           8
        .value_kind:     by_value
      - .offset:         104
        .size:           4
        .value_kind:     by_value
    .group_segment_fixed_size: 4096
    .kernarg_segment_align: 8
    .kernarg_segment_size: 108
    .language:       OpenCL C
    .language_version:
      - 2
      - 0
    .max_flat_workgroup_size: 256
    .name:           _ZL29rocblas_internal_gemmt_kernelIlLi16ELi32ELi8ELc78ELc67ELc85ELb0ELb1E19rocblas_complex_numIfEPKS1_S3_PS1_EviT_T9_T10_S5_lS7_S5_lS6_T11_S5_li
    .private_segment_fixed_size: 0
    .sgpr_count:     39
    .sgpr_spill_count: 0
    .symbol:         _ZL29rocblas_internal_gemmt_kernelIlLi16ELi32ELi8ELc78ELc67ELc85ELb0ELb1E19rocblas_complex_numIfEPKS1_S3_PS1_EviT_T9_T10_S5_lS7_S5_lS6_T11_S5_li.kd
    .uniform_work_group_size: 1
    .uses_dynamic_stack: false
    .vgpr_count:     71
    .vgpr_spill_count: 0
    .wavefront_size: 32
    .workgroup_processor_mode: 1
  - .args:
      - .offset:         0
        .size:           4
        .value_kind:     by_value
      - .offset:         8
        .size:           8
        .value_kind:     by_value
      - .address_space:  global
        .offset:         16
        .size:           8
        .value_kind:     global_buffer
      - .address_space:  global
        .offset:         24
        .size:           8
        .value_kind:     global_buffer
      - .offset:         32
        .size:           8
        .value_kind:     by_value
      - .offset:         40
        .size:           8
        .value_kind:     by_value
      - .address_space:  global
        .offset:         48
        .size:           8
        .value_kind:     global_buffer
      - .offset:         56
        .size:           8
        .value_kind:     by_value
      - .offset:         64
        .size:           8
        .value_kind:     by_value
      - .address_space:  global
        .offset:         72
        .size:           8
        .value_kind:     global_buffer
      - .address_space:  global
        .offset:         80
        .size:           8
        .value_kind:     global_buffer
      - .offset:         88
        .size:           8
        .value_kind:     by_value
      - .offset:         96
        .size:           8
        .value_kind:     by_value
      - .offset:         104
        .size:           4
        .value_kind:     by_value
    .group_segment_fixed_size: 4096
    .kernarg_segment_align: 8
    .kernarg_segment_size: 108
    .language:       OpenCL C
    .language_version:
      - 2
      - 0
    .max_flat_workgroup_size: 256
    .name:           _ZL29rocblas_internal_gemmt_kernelIlLi16ELi32ELi8ELc84ELc78ELc85ELb0ELb0E19rocblas_complex_numIfEPKS1_S3_PS1_EviT_T9_T10_S5_lS7_S5_lS6_T11_S5_li
    .private_segment_fixed_size: 0
    .sgpr_count:     37
    .sgpr_spill_count: 0
    .symbol:         _ZL29rocblas_internal_gemmt_kernelIlLi16ELi32ELi8ELc84ELc78ELc85ELb0ELb0E19rocblas_complex_numIfEPKS1_S3_PS1_EviT_T9_T10_S5_lS7_S5_lS6_T11_S5_li.kd
    .uniform_work_group_size: 1
    .uses_dynamic_stack: false
    .vgpr_count:     71
    .vgpr_spill_count: 0
    .wavefront_size: 32
    .workgroup_processor_mode: 1
  - .args:
      - .offset:         0
        .size:           4
        .value_kind:     by_value
      - .offset:         8
        .size:           8
        .value_kind:     by_value
      - .address_space:  global
        .offset:         16
        .size:           8
        .value_kind:     global_buffer
      - .address_space:  global
        .offset:         24
        .size:           8
        .value_kind:     global_buffer
      - .offset:         32
        .size:           8
        .value_kind:     by_value
      - .offset:         40
        .size:           8
        .value_kind:     by_value
      - .address_space:  global
        .offset:         48
        .size:           8
        .value_kind:     global_buffer
      - .offset:         56
        .size:           8
        .value_kind:     by_value
      - .offset:         64
        .size:           8
        .value_kind:     by_value
      - .address_space:  global
        .offset:         72
        .size:           8
        .value_kind:     global_buffer
      - .address_space:  global
        .offset:         80
        .size:           8
        .value_kind:     global_buffer
      - .offset:         88
        .size:           8
        .value_kind:     by_value
      - .offset:         96
        .size:           8
        .value_kind:     by_value
      - .offset:         104
        .size:           4
        .value_kind:     by_value
    .group_segment_fixed_size: 4096
    .kernarg_segment_align: 8
    .kernarg_segment_size: 108
    .language:       OpenCL C
    .language_version:
      - 2
      - 0
    .max_flat_workgroup_size: 256
    .name:           _ZL29rocblas_internal_gemmt_kernelIlLi16ELi32ELi8ELc84ELc84ELc85ELb0ELb0E19rocblas_complex_numIfEPKS1_S3_PS1_EviT_T9_T10_S5_lS7_S5_lS6_T11_S5_li
    .private_segment_fixed_size: 0
    .sgpr_count:     38
    .sgpr_spill_count: 0
    .symbol:         _ZL29rocblas_internal_gemmt_kernelIlLi16ELi32ELi8ELc84ELc84ELc85ELb0ELb0E19rocblas_complex_numIfEPKS1_S3_PS1_EviT_T9_T10_S5_lS7_S5_lS6_T11_S5_li.kd
    .uniform_work_group_size: 1
    .uses_dynamic_stack: false
    .vgpr_count:     71
    .vgpr_spill_count: 0
    .wavefront_size: 32
    .workgroup_processor_mode: 1
  - .args:
      - .offset:         0
        .size:           4
        .value_kind:     by_value
      - .offset:         8
        .size:           8
        .value_kind:     by_value
      - .address_space:  global
        .offset:         16
        .size:           8
        .value_kind:     global_buffer
      - .address_space:  global
        .offset:         24
        .size:           8
        .value_kind:     global_buffer
      - .offset:         32
        .size:           8
        .value_kind:     by_value
      - .offset:         40
        .size:           8
        .value_kind:     by_value
      - .address_space:  global
        .offset:         48
        .size:           8
        .value_kind:     global_buffer
      - .offset:         56
        .size:           8
        .value_kind:     by_value
      - .offset:         64
        .size:           8
        .value_kind:     by_value
      - .address_space:  global
        .offset:         72
        .size:           8
        .value_kind:     global_buffer
      - .address_space:  global
        .offset:         80
        .size:           8
        .value_kind:     global_buffer
      - .offset:         88
        .size:           8
        .value_kind:     by_value
      - .offset:         96
        .size:           8
        .value_kind:     by_value
      - .offset:         104
        .size:           4
        .value_kind:     by_value
    .group_segment_fixed_size: 4096
    .kernarg_segment_align: 8
    .kernarg_segment_size: 108
    .language:       OpenCL C
    .language_version:
      - 2
      - 0
    .max_flat_workgroup_size: 256
    .name:           _ZL29rocblas_internal_gemmt_kernelIlLi16ELi32ELi8ELc84ELc67ELc85ELb0ELb1E19rocblas_complex_numIfEPKS1_S3_PS1_EviT_T9_T10_S5_lS7_S5_lS6_T11_S5_li
    .private_segment_fixed_size: 0
    .sgpr_count:     38
    .sgpr_spill_count: 0
    .symbol:         _ZL29rocblas_internal_gemmt_kernelIlLi16ELi32ELi8ELc84ELc67ELc85ELb0ELb1E19rocblas_complex_numIfEPKS1_S3_PS1_EviT_T9_T10_S5_lS7_S5_lS6_T11_S5_li.kd
    .uniform_work_group_size: 1
    .uses_dynamic_stack: false
    .vgpr_count:     71
    .vgpr_spill_count: 0
    .wavefront_size: 32
    .workgroup_processor_mode: 1
  - .args:
      - .offset:         0
        .size:           4
        .value_kind:     by_value
      - .offset:         8
        .size:           8
        .value_kind:     by_value
      - .address_space:  global
        .offset:         16
        .size:           8
        .value_kind:     global_buffer
      - .address_space:  global
        .offset:         24
        .size:           8
        .value_kind:     global_buffer
      - .offset:         32
        .size:           8
        .value_kind:     by_value
      - .offset:         40
        .size:           8
        .value_kind:     by_value
      - .address_space:  global
        .offset:         48
        .size:           8
        .value_kind:     global_buffer
      - .offset:         56
        .size:           8
        .value_kind:     by_value
      - .offset:         64
        .size:           8
        .value_kind:     by_value
      - .address_space:  global
        .offset:         72
        .size:           8
        .value_kind:     global_buffer
      - .address_space:  global
        .offset:         80
        .size:           8
        .value_kind:     global_buffer
      - .offset:         88
        .size:           8
        .value_kind:     by_value
      - .offset:         96
        .size:           8
        .value_kind:     by_value
      - .offset:         104
        .size:           4
        .value_kind:     by_value
    .group_segment_fixed_size: 4096
    .kernarg_segment_align: 8
    .kernarg_segment_size: 108
    .language:       OpenCL C
    .language_version:
      - 2
      - 0
    .max_flat_workgroup_size: 256
    .name:           _ZL29rocblas_internal_gemmt_kernelIlLi16ELi32ELi8ELc67ELc78ELc85ELb1ELb0E19rocblas_complex_numIfEPKS1_S3_PS1_EviT_T9_T10_S5_lS7_S5_lS6_T11_S5_li
    .private_segment_fixed_size: 0
    .sgpr_count:     37
    .sgpr_spill_count: 0
    .symbol:         _ZL29rocblas_internal_gemmt_kernelIlLi16ELi32ELi8ELc67ELc78ELc85ELb1ELb0E19rocblas_complex_numIfEPKS1_S3_PS1_EviT_T9_T10_S5_lS7_S5_lS6_T11_S5_li.kd
    .uniform_work_group_size: 1
    .uses_dynamic_stack: false
    .vgpr_count:     71
    .vgpr_spill_count: 0
    .wavefront_size: 32
    .workgroup_processor_mode: 1
  - .args:
      - .offset:         0
        .size:           4
        .value_kind:     by_value
      - .offset:         8
        .size:           8
        .value_kind:     by_value
      - .address_space:  global
        .offset:         16
        .size:           8
        .value_kind:     global_buffer
      - .address_space:  global
        .offset:         24
        .size:           8
        .value_kind:     global_buffer
      - .offset:         32
        .size:           8
        .value_kind:     by_value
      - .offset:         40
        .size:           8
        .value_kind:     by_value
      - .address_space:  global
        .offset:         48
        .size:           8
        .value_kind:     global_buffer
      - .offset:         56
        .size:           8
        .value_kind:     by_value
      - .offset:         64
        .size:           8
        .value_kind:     by_value
      - .address_space:  global
        .offset:         72
        .size:           8
        .value_kind:     global_buffer
      - .address_space:  global
        .offset:         80
        .size:           8
        .value_kind:     global_buffer
      - .offset:         88
        .size:           8
        .value_kind:     by_value
      - .offset:         96
        .size:           8
        .value_kind:     by_value
      - .offset:         104
        .size:           4
        .value_kind:     by_value
    .group_segment_fixed_size: 4096
    .kernarg_segment_align: 8
    .kernarg_segment_size: 108
    .language:       OpenCL C
    .language_version:
      - 2
      - 0
    .max_flat_workgroup_size: 256
    .name:           _ZL29rocblas_internal_gemmt_kernelIlLi16ELi32ELi8ELc67ELc84ELc85ELb1ELb0E19rocblas_complex_numIfEPKS1_S3_PS1_EviT_T9_T10_S5_lS7_S5_lS6_T11_S5_li
    .private_segment_fixed_size: 0
    .sgpr_count:     38
    .sgpr_spill_count: 0
    .symbol:         _ZL29rocblas_internal_gemmt_kernelIlLi16ELi32ELi8ELc67ELc84ELc85ELb1ELb0E19rocblas_complex_numIfEPKS1_S3_PS1_EviT_T9_T10_S5_lS7_S5_lS6_T11_S5_li.kd
    .uniform_work_group_size: 1
    .uses_dynamic_stack: false
    .vgpr_count:     71
    .vgpr_spill_count: 0
    .wavefront_size: 32
    .workgroup_processor_mode: 1
  - .args:
      - .offset:         0
        .size:           4
        .value_kind:     by_value
      - .offset:         8
        .size:           8
        .value_kind:     by_value
      - .address_space:  global
        .offset:         16
        .size:           8
        .value_kind:     global_buffer
      - .address_space:  global
        .offset:         24
        .size:           8
        .value_kind:     global_buffer
      - .offset:         32
        .size:           8
        .value_kind:     by_value
      - .offset:         40
        .size:           8
        .value_kind:     by_value
      - .address_space:  global
        .offset:         48
        .size:           8
        .value_kind:     global_buffer
      - .offset:         56
        .size:           8
        .value_kind:     by_value
      - .offset:         64
        .size:           8
        .value_kind:     by_value
      - .address_space:  global
        .offset:         72
        .size:           8
        .value_kind:     global_buffer
      - .address_space:  global
        .offset:         80
        .size:           8
        .value_kind:     global_buffer
      - .offset:         88
        .size:           8
        .value_kind:     by_value
      - .offset:         96
        .size:           8
        .value_kind:     by_value
      - .offset:         104
        .size:           4
        .value_kind:     by_value
    .group_segment_fixed_size: 4096
    .kernarg_segment_align: 8
    .kernarg_segment_size: 108
    .language:       OpenCL C
    .language_version:
      - 2
      - 0
    .max_flat_workgroup_size: 256
    .name:           _ZL29rocblas_internal_gemmt_kernelIlLi16ELi32ELi8ELc67ELc67ELc85ELb1ELb1E19rocblas_complex_numIfEPKS1_S3_PS1_EviT_T9_T10_S5_lS7_S5_lS6_T11_S5_li
    .private_segment_fixed_size: 0
    .sgpr_count:     38
    .sgpr_spill_count: 0
    .symbol:         _ZL29rocblas_internal_gemmt_kernelIlLi16ELi32ELi8ELc67ELc67ELc85ELb1ELb1E19rocblas_complex_numIfEPKS1_S3_PS1_EviT_T9_T10_S5_lS7_S5_lS6_T11_S5_li.kd
    .uniform_work_group_size: 1
    .uses_dynamic_stack: false
    .vgpr_count:     71
    .vgpr_spill_count: 0
    .wavefront_size: 32
    .workgroup_processor_mode: 1
  - .args:
      - .offset:         0
        .size:           4
        .value_kind:     by_value
      - .offset:         8
        .size:           8
        .value_kind:     by_value
      - .address_space:  global
        .offset:         16
        .size:           8
        .value_kind:     global_buffer
      - .address_space:  global
        .offset:         24
        .size:           8
        .value_kind:     global_buffer
      - .offset:         32
        .size:           8
        .value_kind:     by_value
      - .offset:         40
        .size:           8
        .value_kind:     by_value
      - .address_space:  global
        .offset:         48
        .size:           8
        .value_kind:     global_buffer
      - .offset:         56
        .size:           8
        .value_kind:     by_value
      - .offset:         64
        .size:           8
        .value_kind:     by_value
      - .address_space:  global
        .offset:         72
        .size:           8
        .value_kind:     global_buffer
      - .address_space:  global
        .offset:         80
        .size:           8
        .value_kind:     global_buffer
      - .offset:         88
        .size:           8
        .value_kind:     by_value
      - .offset:         96
        .size:           8
        .value_kind:     by_value
      - .offset:         104
        .size:           4
        .value_kind:     by_value
    .group_segment_fixed_size: 4096
    .kernarg_segment_align: 8
    .kernarg_segment_size: 108
    .language:       OpenCL C
    .language_version:
      - 2
      - 0
    .max_flat_workgroup_size: 256
    .name:           _ZL29rocblas_internal_gemmt_kernelIlLi16ELi32ELi8ELc78ELc78ELc76ELb0ELb0E19rocblas_complex_numIfEPKS1_S3_PS1_EviT_T9_T10_S5_lS7_S5_lS6_T11_S5_li
    .private_segment_fixed_size: 0
    .sgpr_count:     38
    .sgpr_spill_count: 0
    .symbol:         _ZL29rocblas_internal_gemmt_kernelIlLi16ELi32ELi8ELc78ELc78ELc76ELb0ELb0E19rocblas_complex_numIfEPKS1_S3_PS1_EviT_T9_T10_S5_lS7_S5_lS6_T11_S5_li.kd
    .uniform_work_group_size: 1
    .uses_dynamic_stack: false
    .vgpr_count:     71
    .vgpr_spill_count: 0
    .wavefront_size: 32
    .workgroup_processor_mode: 1
  - .args:
      - .offset:         0
        .size:           4
        .value_kind:     by_value
      - .offset:         8
        .size:           8
        .value_kind:     by_value
      - .address_space:  global
        .offset:         16
        .size:           8
        .value_kind:     global_buffer
      - .address_space:  global
        .offset:         24
        .size:           8
        .value_kind:     global_buffer
      - .offset:         32
        .size:           8
        .value_kind:     by_value
      - .offset:         40
        .size:           8
        .value_kind:     by_value
      - .address_space:  global
        .offset:         48
        .size:           8
        .value_kind:     global_buffer
      - .offset:         56
        .size:           8
        .value_kind:     by_value
      - .offset:         64
        .size:           8
        .value_kind:     by_value
      - .address_space:  global
        .offset:         72
        .size:           8
        .value_kind:     global_buffer
      - .address_space:  global
        .offset:         80
        .size:           8
        .value_kind:     global_buffer
      - .offset:         88
        .size:           8
        .value_kind:     by_value
      - .offset:         96
        .size:           8
        .value_kind:     by_value
      - .offset:         104
        .size:           4
        .value_kind:     by_value
    .group_segment_fixed_size: 4096
    .kernarg_segment_align: 8
    .kernarg_segment_size: 108
    .language:       OpenCL C
    .language_version:
      - 2
      - 0
    .max_flat_workgroup_size: 256
    .name:           _ZL29rocblas_internal_gemmt_kernelIlLi16ELi32ELi8ELc78ELc84ELc76ELb0ELb0E19rocblas_complex_numIfEPKS1_S3_PS1_EviT_T9_T10_S5_lS7_S5_lS6_T11_S5_li
    .private_segment_fixed_size: 0
    .sgpr_count:     39
    .sgpr_spill_count: 0
    .symbol:         _ZL29rocblas_internal_gemmt_kernelIlLi16ELi32ELi8ELc78ELc84ELc76ELb0ELb0E19rocblas_complex_numIfEPKS1_S3_PS1_EviT_T9_T10_S5_lS7_S5_lS6_T11_S5_li.kd
    .uniform_work_group_size: 1
    .uses_dynamic_stack: false
    .vgpr_count:     71
    .vgpr_spill_count: 0
    .wavefront_size: 32
    .workgroup_processor_mode: 1
  - .args:
      - .offset:         0
        .size:           4
        .value_kind:     by_value
      - .offset:         8
        .size:           8
        .value_kind:     by_value
      - .address_space:  global
        .offset:         16
        .size:           8
        .value_kind:     global_buffer
      - .address_space:  global
        .offset:         24
        .size:           8
        .value_kind:     global_buffer
      - .offset:         32
        .size:           8
        .value_kind:     by_value
      - .offset:         40
        .size:           8
        .value_kind:     by_value
      - .address_space:  global
        .offset:         48
        .size:           8
        .value_kind:     global_buffer
      - .offset:         56
        .size:           8
        .value_kind:     by_value
      - .offset:         64
        .size:           8
        .value_kind:     by_value
      - .address_space:  global
        .offset:         72
        .size:           8
        .value_kind:     global_buffer
      - .address_space:  global
        .offset:         80
        .size:           8
        .value_kind:     global_buffer
      - .offset:         88
        .size:           8
        .value_kind:     by_value
      - .offset:         96
        .size:           8
        .value_kind:     by_value
      - .offset:         104
        .size:           4
        .value_kind:     by_value
    .group_segment_fixed_size: 4096
    .kernarg_segment_align: 8
    .kernarg_segment_size: 108
    .language:       OpenCL C
    .language_version:
      - 2
      - 0
    .max_flat_workgroup_size: 256
    .name:           _ZL29rocblas_internal_gemmt_kernelIlLi16ELi32ELi8ELc78ELc67ELc76ELb0ELb1E19rocblas_complex_numIfEPKS1_S3_PS1_EviT_T9_T10_S5_lS7_S5_lS6_T11_S5_li
    .private_segment_fixed_size: 0
    .sgpr_count:     39
    .sgpr_spill_count: 0
    .symbol:         _ZL29rocblas_internal_gemmt_kernelIlLi16ELi32ELi8ELc78ELc67ELc76ELb0ELb1E19rocblas_complex_numIfEPKS1_S3_PS1_EviT_T9_T10_S5_lS7_S5_lS6_T11_S5_li.kd
    .uniform_work_group_size: 1
    .uses_dynamic_stack: false
    .vgpr_count:     71
    .vgpr_spill_count: 0
    .wavefront_size: 32
    .workgroup_processor_mode: 1
  - .args:
      - .offset:         0
        .size:           4
        .value_kind:     by_value
      - .offset:         8
        .size:           8
        .value_kind:     by_value
      - .address_space:  global
        .offset:         16
        .size:           8
        .value_kind:     global_buffer
      - .address_space:  global
        .offset:         24
        .size:           8
        .value_kind:     global_buffer
      - .offset:         32
        .size:           8
        .value_kind:     by_value
      - .offset:         40
        .size:           8
        .value_kind:     by_value
      - .address_space:  global
        .offset:         48
        .size:           8
        .value_kind:     global_buffer
      - .offset:         56
        .size:           8
        .value_kind:     by_value
      - .offset:         64
        .size:           8
        .value_kind:     by_value
      - .address_space:  global
        .offset:         72
        .size:           8
        .value_kind:     global_buffer
      - .address_space:  global
        .offset:         80
        .size:           8
        .value_kind:     global_buffer
      - .offset:         88
        .size:           8
        .value_kind:     by_value
      - .offset:         96
        .size:           8
        .value_kind:     by_value
      - .offset:         104
        .size:           4
        .value_kind:     by_value
    .group_segment_fixed_size: 4096
    .kernarg_segment_align: 8
    .kernarg_segment_size: 108
    .language:       OpenCL C
    .language_version:
      - 2
      - 0
    .max_flat_workgroup_size: 256
    .name:           _ZL29rocblas_internal_gemmt_kernelIlLi16ELi32ELi8ELc84ELc78ELc76ELb0ELb0E19rocblas_complex_numIfEPKS1_S3_PS1_EviT_T9_T10_S5_lS7_S5_lS6_T11_S5_li
    .private_segment_fixed_size: 0
    .sgpr_count:     37
    .sgpr_spill_count: 0
    .symbol:         _ZL29rocblas_internal_gemmt_kernelIlLi16ELi32ELi8ELc84ELc78ELc76ELb0ELb0E19rocblas_complex_numIfEPKS1_S3_PS1_EviT_T9_T10_S5_lS7_S5_lS6_T11_S5_li.kd
    .uniform_work_group_size: 1
    .uses_dynamic_stack: false
    .vgpr_count:     71
    .vgpr_spill_count: 0
    .wavefront_size: 32
    .workgroup_processor_mode: 1
  - .args:
      - .offset:         0
        .size:           4
        .value_kind:     by_value
      - .offset:         8
        .size:           8
        .value_kind:     by_value
      - .address_space:  global
        .offset:         16
        .size:           8
        .value_kind:     global_buffer
      - .address_space:  global
        .offset:         24
        .size:           8
        .value_kind:     global_buffer
      - .offset:         32
        .size:           8
        .value_kind:     by_value
      - .offset:         40
        .size:           8
        .value_kind:     by_value
      - .address_space:  global
        .offset:         48
        .size:           8
        .value_kind:     global_buffer
      - .offset:         56
        .size:           8
        .value_kind:     by_value
      - .offset:         64
        .size:           8
        .value_kind:     by_value
      - .address_space:  global
        .offset:         72
        .size:           8
        .value_kind:     global_buffer
      - .address_space:  global
        .offset:         80
        .size:           8
        .value_kind:     global_buffer
      - .offset:         88
        .size:           8
        .value_kind:     by_value
      - .offset:         96
        .size:           8
        .value_kind:     by_value
      - .offset:         104
        .size:           4
        .value_kind:     by_value
    .group_segment_fixed_size: 4096
    .kernarg_segment_align: 8
    .kernarg_segment_size: 108
    .language:       OpenCL C
    .language_version:
      - 2
      - 0
    .max_flat_workgroup_size: 256
    .name:           _ZL29rocblas_internal_gemmt_kernelIlLi16ELi32ELi8ELc84ELc84ELc76ELb0ELb0E19rocblas_complex_numIfEPKS1_S3_PS1_EviT_T9_T10_S5_lS7_S5_lS6_T11_S5_li
    .private_segment_fixed_size: 0
    .sgpr_count:     37
    .sgpr_spill_count: 0
    .symbol:         _ZL29rocblas_internal_gemmt_kernelIlLi16ELi32ELi8ELc84ELc84ELc76ELb0ELb0E19rocblas_complex_numIfEPKS1_S3_PS1_EviT_T9_T10_S5_lS7_S5_lS6_T11_S5_li.kd
    .uniform_work_group_size: 1
    .uses_dynamic_stack: false
    .vgpr_count:     71
    .vgpr_spill_count: 0
    .wavefront_size: 32
    .workgroup_processor_mode: 1
  - .args:
      - .offset:         0
        .size:           4
        .value_kind:     by_value
      - .offset:         8
        .size:           8
        .value_kind:     by_value
      - .address_space:  global
        .offset:         16
        .size:           8
        .value_kind:     global_buffer
      - .address_space:  global
        .offset:         24
        .size:           8
        .value_kind:     global_buffer
      - .offset:         32
        .size:           8
        .value_kind:     by_value
      - .offset:         40
        .size:           8
        .value_kind:     by_value
      - .address_space:  global
        .offset:         48
        .size:           8
        .value_kind:     global_buffer
      - .offset:         56
        .size:           8
        .value_kind:     by_value
      - .offset:         64
        .size:           8
        .value_kind:     by_value
      - .address_space:  global
        .offset:         72
        .size:           8
        .value_kind:     global_buffer
      - .address_space:  global
        .offset:         80
        .size:           8
        .value_kind:     global_buffer
      - .offset:         88
        .size:           8
        .value_kind:     by_value
      - .offset:         96
        .size:           8
        .value_kind:     by_value
      - .offset:         104
        .size:           4
        .value_kind:     by_value
    .group_segment_fixed_size: 4096
    .kernarg_segment_align: 8
    .kernarg_segment_size: 108
    .language:       OpenCL C
    .language_version:
      - 2
      - 0
    .max_flat_workgroup_size: 256
    .name:           _ZL29rocblas_internal_gemmt_kernelIlLi16ELi32ELi8ELc84ELc67ELc76ELb0ELb1E19rocblas_complex_numIfEPKS1_S3_PS1_EviT_T9_T10_S5_lS7_S5_lS6_T11_S5_li
    .private_segment_fixed_size: 0
    .sgpr_count:     37
    .sgpr_spill_count: 0
    .symbol:         _ZL29rocblas_internal_gemmt_kernelIlLi16ELi32ELi8ELc84ELc67ELc76ELb0ELb1E19rocblas_complex_numIfEPKS1_S3_PS1_EviT_T9_T10_S5_lS7_S5_lS6_T11_S5_li.kd
    .uniform_work_group_size: 1
    .uses_dynamic_stack: false
    .vgpr_count:     71
    .vgpr_spill_count: 0
    .wavefront_size: 32
    .workgroup_processor_mode: 1
  - .args:
      - .offset:         0
        .size:           4
        .value_kind:     by_value
      - .offset:         8
        .size:           8
        .value_kind:     by_value
      - .address_space:  global
        .offset:         16
        .size:           8
        .value_kind:     global_buffer
      - .address_space:  global
        .offset:         24
        .size:           8
        .value_kind:     global_buffer
      - .offset:         32
        .size:           8
        .value_kind:     by_value
      - .offset:         40
        .size:           8
        .value_kind:     by_value
      - .address_space:  global
        .offset:         48
        .size:           8
        .value_kind:     global_buffer
      - .offset:         56
        .size:           8
        .value_kind:     by_value
      - .offset:         64
        .size:           8
        .value_kind:     by_value
      - .address_space:  global
        .offset:         72
        .size:           8
        .value_kind:     global_buffer
      - .address_space:  global
        .offset:         80
        .size:           8
        .value_kind:     global_buffer
      - .offset:         88
        .size:           8
        .value_kind:     by_value
      - .offset:         96
        .size:           8
        .value_kind:     by_value
      - .offset:         104
        .size:           4
        .value_kind:     by_value
    .group_segment_fixed_size: 4096
    .kernarg_segment_align: 8
    .kernarg_segment_size: 108
    .language:       OpenCL C
    .language_version:
      - 2
      - 0
    .max_flat_workgroup_size: 256
    .name:           _ZL29rocblas_internal_gemmt_kernelIlLi16ELi32ELi8ELc67ELc78ELc76ELb1ELb0E19rocblas_complex_numIfEPKS1_S3_PS1_EviT_T9_T10_S5_lS7_S5_lS6_T11_S5_li
    .private_segment_fixed_size: 0
    .sgpr_count:     37
    .sgpr_spill_count: 0
    .symbol:         _ZL29rocblas_internal_gemmt_kernelIlLi16ELi32ELi8ELc67ELc78ELc76ELb1ELb0E19rocblas_complex_numIfEPKS1_S3_PS1_EviT_T9_T10_S5_lS7_S5_lS6_T11_S5_li.kd
    .uniform_work_group_size: 1
    .uses_dynamic_stack: false
    .vgpr_count:     71
    .vgpr_spill_count: 0
    .wavefront_size: 32
    .workgroup_processor_mode: 1
  - .args:
      - .offset:         0
        .size:           4
        .value_kind:     by_value
      - .offset:         8
        .size:           8
        .value_kind:     by_value
      - .address_space:  global
        .offset:         16
        .size:           8
        .value_kind:     global_buffer
      - .address_space:  global
        .offset:         24
        .size:           8
        .value_kind:     global_buffer
      - .offset:         32
        .size:           8
        .value_kind:     by_value
      - .offset:         40
        .size:           8
        .value_kind:     by_value
      - .address_space:  global
        .offset:         48
        .size:           8
        .value_kind:     global_buffer
      - .offset:         56
        .size:           8
        .value_kind:     by_value
      - .offset:         64
        .size:           8
        .value_kind:     by_value
      - .address_space:  global
        .offset:         72
        .size:           8
        .value_kind:     global_buffer
      - .address_space:  global
        .offset:         80
        .size:           8
        .value_kind:     global_buffer
      - .offset:         88
        .size:           8
        .value_kind:     by_value
      - .offset:         96
        .size:           8
        .value_kind:     by_value
      - .offset:         104
        .size:           4
        .value_kind:     by_value
    .group_segment_fixed_size: 4096
    .kernarg_segment_align: 8
    .kernarg_segment_size: 108
    .language:       OpenCL C
    .language_version:
      - 2
      - 0
    .max_flat_workgroup_size: 256
    .name:           _ZL29rocblas_internal_gemmt_kernelIlLi16ELi32ELi8ELc67ELc84ELc76ELb1ELb0E19rocblas_complex_numIfEPKS1_S3_PS1_EviT_T9_T10_S5_lS7_S5_lS6_T11_S5_li
    .private_segment_fixed_size: 0
    .sgpr_count:     37
    .sgpr_spill_count: 0
    .symbol:         _ZL29rocblas_internal_gemmt_kernelIlLi16ELi32ELi8ELc67ELc84ELc76ELb1ELb0E19rocblas_complex_numIfEPKS1_S3_PS1_EviT_T9_T10_S5_lS7_S5_lS6_T11_S5_li.kd
    .uniform_work_group_size: 1
    .uses_dynamic_stack: false
    .vgpr_count:     71
    .vgpr_spill_count: 0
    .wavefront_size: 32
    .workgroup_processor_mode: 1
  - .args:
      - .offset:         0
        .size:           4
        .value_kind:     by_value
      - .offset:         8
        .size:           8
        .value_kind:     by_value
      - .address_space:  global
        .offset:         16
        .size:           8
        .value_kind:     global_buffer
      - .address_space:  global
        .offset:         24
        .size:           8
        .value_kind:     global_buffer
      - .offset:         32
        .size:           8
        .value_kind:     by_value
      - .offset:         40
        .size:           8
        .value_kind:     by_value
      - .address_space:  global
        .offset:         48
        .size:           8
        .value_kind:     global_buffer
      - .offset:         56
        .size:           8
        .value_kind:     by_value
      - .offset:         64
        .size:           8
        .value_kind:     by_value
      - .address_space:  global
        .offset:         72
        .size:           8
        .value_kind:     global_buffer
      - .address_space:  global
        .offset:         80
        .size:           8
        .value_kind:     global_buffer
      - .offset:         88
        .size:           8
        .value_kind:     by_value
      - .offset:         96
        .size:           8
        .value_kind:     by_value
      - .offset:         104
        .size:           4
        .value_kind:     by_value
    .group_segment_fixed_size: 4096
    .kernarg_segment_align: 8
    .kernarg_segment_size: 108
    .language:       OpenCL C
    .language_version:
      - 2
      - 0
    .max_flat_workgroup_size: 256
    .name:           _ZL29rocblas_internal_gemmt_kernelIlLi16ELi32ELi8ELc67ELc67ELc76ELb1ELb1E19rocblas_complex_numIfEPKS1_S3_PS1_EviT_T9_T10_S5_lS7_S5_lS6_T11_S5_li
    .private_segment_fixed_size: 0
    .sgpr_count:     37
    .sgpr_spill_count: 0
    .symbol:         _ZL29rocblas_internal_gemmt_kernelIlLi16ELi32ELi8ELc67ELc67ELc76ELb1ELb1E19rocblas_complex_numIfEPKS1_S3_PS1_EviT_T9_T10_S5_lS7_S5_lS6_T11_S5_li.kd
    .uniform_work_group_size: 1
    .uses_dynamic_stack: false
    .vgpr_count:     71
    .vgpr_spill_count: 0
    .wavefront_size: 32
    .workgroup_processor_mode: 1
  - .args:
      - .offset:         0
        .size:           4
        .value_kind:     by_value
      - .offset:         8
        .size:           8
        .value_kind:     by_value
      - .offset:         16
        .size:           8
        .value_kind:     by_value
      - .address_space:  global
        .offset:         24
        .size:           8
        .value_kind:     global_buffer
      - .offset:         32
        .size:           8
        .value_kind:     by_value
      - .offset:         40
        .size:           8
        .value_kind:     by_value
      - .address_space:  global
        .offset:         48
        .size:           8
        .value_kind:     global_buffer
      - .offset:         56
        .size:           8
        .value_kind:     by_value
      - .offset:         64
        .size:           8
        .value_kind:     by_value
      - .offset:         72
        .size:           8
        .value_kind:     by_value
      - .address_space:  global
        .offset:         80
        .size:           8
        .value_kind:     global_buffer
      - .offset:         88
        .size:           8
        .value_kind:     by_value
      - .offset:         96
        .size:           8
        .value_kind:     by_value
      - .offset:         104
        .size:           4
        .value_kind:     by_value
    .group_segment_fixed_size: 4096
    .kernarg_segment_align: 8
    .kernarg_segment_size: 108
    .language:       OpenCL C
    .language_version:
      - 2
      - 0
    .max_flat_workgroup_size: 256
    .name:           _ZL29rocblas_internal_gemmt_kernelIlLi16ELi32ELi8ELc78ELc78ELc85ELb0ELb0E19rocblas_complex_numIfES1_PKS1_PS1_EviT_T9_T10_S5_lS7_S5_lS6_T11_S5_li
    .private_segment_fixed_size: 0
    .sgpr_count:     38
    .sgpr_spill_count: 0
    .symbol:         _ZL29rocblas_internal_gemmt_kernelIlLi16ELi32ELi8ELc78ELc78ELc85ELb0ELb0E19rocblas_complex_numIfES1_PKS1_PS1_EviT_T9_T10_S5_lS7_S5_lS6_T11_S5_li.kd
    .uniform_work_group_size: 1
    .uses_dynamic_stack: false
    .vgpr_count:     71
    .vgpr_spill_count: 0
    .wavefront_size: 32
    .workgroup_processor_mode: 1
  - .args:
      - .offset:         0
        .size:           4
        .value_kind:     by_value
      - .offset:         8
        .size:           8
        .value_kind:     by_value
      - .offset:         16
        .size:           8
        .value_kind:     by_value
      - .address_space:  global
        .offset:         24
        .size:           8
        .value_kind:     global_buffer
      - .offset:         32
        .size:           8
        .value_kind:     by_value
      - .offset:         40
        .size:           8
        .value_kind:     by_value
      - .address_space:  global
        .offset:         48
        .size:           8
        .value_kind:     global_buffer
      - .offset:         56
        .size:           8
        .value_kind:     by_value
      - .offset:         64
        .size:           8
        .value_kind:     by_value
      - .offset:         72
        .size:           8
        .value_kind:     by_value
      - .address_space:  global
        .offset:         80
        .size:           8
        .value_kind:     global_buffer
      - .offset:         88
        .size:           8
        .value_kind:     by_value
      - .offset:         96
        .size:           8
        .value_kind:     by_value
      - .offset:         104
        .size:           4
        .value_kind:     by_value
    .group_segment_fixed_size: 4096
    .kernarg_segment_align: 8
    .kernarg_segment_size: 108
    .language:       OpenCL C
    .language_version:
      - 2
      - 0
    .max_flat_workgroup_size: 256
    .name:           _ZL29rocblas_internal_gemmt_kernelIlLi16ELi32ELi8ELc78ELc84ELc85ELb0ELb0E19rocblas_complex_numIfES1_PKS1_PS1_EviT_T9_T10_S5_lS7_S5_lS6_T11_S5_li
    .private_segment_fixed_size: 0
    .sgpr_count:     39
    .sgpr_spill_count: 0
    .symbol:         _ZL29rocblas_internal_gemmt_kernelIlLi16ELi32ELi8ELc78ELc84ELc85ELb0ELb0E19rocblas_complex_numIfES1_PKS1_PS1_EviT_T9_T10_S5_lS7_S5_lS6_T11_S5_li.kd
    .uniform_work_group_size: 1
    .uses_dynamic_stack: false
    .vgpr_count:     71
    .vgpr_spill_count: 0
    .wavefront_size: 32
    .workgroup_processor_mode: 1
  - .args:
      - .offset:         0
        .size:           4
        .value_kind:     by_value
      - .offset:         8
        .size:           8
        .value_kind:     by_value
      - .offset:         16
        .size:           8
        .value_kind:     by_value
      - .address_space:  global
        .offset:         24
        .size:           8
        .value_kind:     global_buffer
      - .offset:         32
        .size:           8
        .value_kind:     by_value
      - .offset:         40
        .size:           8
        .value_kind:     by_value
      - .address_space:  global
        .offset:         48
        .size:           8
        .value_kind:     global_buffer
      - .offset:         56
        .size:           8
        .value_kind:     by_value
      - .offset:         64
        .size:           8
        .value_kind:     by_value
      - .offset:         72
        .size:           8
        .value_kind:     by_value
      - .address_space:  global
        .offset:         80
        .size:           8
        .value_kind:     global_buffer
      - .offset:         88
        .size:           8
        .value_kind:     by_value
      - .offset:         96
        .size:           8
        .value_kind:     by_value
      - .offset:         104
        .size:           4
        .value_kind:     by_value
    .group_segment_fixed_size: 4096
    .kernarg_segment_align: 8
    .kernarg_segment_size: 108
    .language:       OpenCL C
    .language_version:
      - 2
      - 0
    .max_flat_workgroup_size: 256
    .name:           _ZL29rocblas_internal_gemmt_kernelIlLi16ELi32ELi8ELc78ELc67ELc85ELb0ELb1E19rocblas_complex_numIfES1_PKS1_PS1_EviT_T9_T10_S5_lS7_S5_lS6_T11_S5_li
    .private_segment_fixed_size: 0
    .sgpr_count:     39
    .sgpr_spill_count: 0
    .symbol:         _ZL29rocblas_internal_gemmt_kernelIlLi16ELi32ELi8ELc78ELc67ELc85ELb0ELb1E19rocblas_complex_numIfES1_PKS1_PS1_EviT_T9_T10_S5_lS7_S5_lS6_T11_S5_li.kd
    .uniform_work_group_size: 1
    .uses_dynamic_stack: false
    .vgpr_count:     71
    .vgpr_spill_count: 0
    .wavefront_size: 32
    .workgroup_processor_mode: 1
  - .args:
      - .offset:         0
        .size:           4
        .value_kind:     by_value
      - .offset:         8
        .size:           8
        .value_kind:     by_value
      - .offset:         16
        .size:           8
        .value_kind:     by_value
      - .address_space:  global
        .offset:         24
        .size:           8
        .value_kind:     global_buffer
      - .offset:         32
        .size:           8
        .value_kind:     by_value
      - .offset:         40
        .size:           8
        .value_kind:     by_value
      - .address_space:  global
        .offset:         48
        .size:           8
        .value_kind:     global_buffer
      - .offset:         56
        .size:           8
        .value_kind:     by_value
      - .offset:         64
        .size:           8
        .value_kind:     by_value
      - .offset:         72
        .size:           8
        .value_kind:     by_value
      - .address_space:  global
        .offset:         80
        .size:           8
        .value_kind:     global_buffer
      - .offset:         88
        .size:           8
        .value_kind:     by_value
      - .offset:         96
        .size:           8
        .value_kind:     by_value
      - .offset:         104
        .size:           4
        .value_kind:     by_value
    .group_segment_fixed_size: 4096
    .kernarg_segment_align: 8
    .kernarg_segment_size: 108
    .language:       OpenCL C
    .language_version:
      - 2
      - 0
    .max_flat_workgroup_size: 256
    .name:           _ZL29rocblas_internal_gemmt_kernelIlLi16ELi32ELi8ELc84ELc78ELc85ELb0ELb0E19rocblas_complex_numIfES1_PKS1_PS1_EviT_T9_T10_S5_lS7_S5_lS6_T11_S5_li
    .private_segment_fixed_size: 0
    .sgpr_count:     36
    .sgpr_spill_count: 0
    .symbol:         _ZL29rocblas_internal_gemmt_kernelIlLi16ELi32ELi8ELc84ELc78ELc85ELb0ELb0E19rocblas_complex_numIfES1_PKS1_PS1_EviT_T9_T10_S5_lS7_S5_lS6_T11_S5_li.kd
    .uniform_work_group_size: 1
    .uses_dynamic_stack: false
    .vgpr_count:     71
    .vgpr_spill_count: 0
    .wavefront_size: 32
    .workgroup_processor_mode: 1
  - .args:
      - .offset:         0
        .size:           4
        .value_kind:     by_value
      - .offset:         8
        .size:           8
        .value_kind:     by_value
      - .offset:         16
        .size:           8
        .value_kind:     by_value
      - .address_space:  global
        .offset:         24
        .size:           8
        .value_kind:     global_buffer
      - .offset:         32
        .size:           8
        .value_kind:     by_value
      - .offset:         40
        .size:           8
        .value_kind:     by_value
      - .address_space:  global
        .offset:         48
        .size:           8
        .value_kind:     global_buffer
      - .offset:         56
        .size:           8
        .value_kind:     by_value
      - .offset:         64
        .size:           8
        .value_kind:     by_value
      - .offset:         72
        .size:           8
        .value_kind:     by_value
      - .address_space:  global
        .offset:         80
        .size:           8
        .value_kind:     global_buffer
      - .offset:         88
        .size:           8
        .value_kind:     by_value
      - .offset:         96
        .size:           8
        .value_kind:     by_value
      - .offset:         104
        .size:           4
        .value_kind:     by_value
    .group_segment_fixed_size: 4096
    .kernarg_segment_align: 8
    .kernarg_segment_size: 108
    .language:       OpenCL C
    .language_version:
      - 2
      - 0
    .max_flat_workgroup_size: 256
    .name:           _ZL29rocblas_internal_gemmt_kernelIlLi16ELi32ELi8ELc84ELc84ELc85ELb0ELb0E19rocblas_complex_numIfES1_PKS1_PS1_EviT_T9_T10_S5_lS7_S5_lS6_T11_S5_li
    .private_segment_fixed_size: 0
    .sgpr_count:     38
    .sgpr_spill_count: 0
    .symbol:         _ZL29rocblas_internal_gemmt_kernelIlLi16ELi32ELi8ELc84ELc84ELc85ELb0ELb0E19rocblas_complex_numIfES1_PKS1_PS1_EviT_T9_T10_S5_lS7_S5_lS6_T11_S5_li.kd
    .uniform_work_group_size: 1
    .uses_dynamic_stack: false
    .vgpr_count:     71
    .vgpr_spill_count: 0
    .wavefront_size: 32
    .workgroup_processor_mode: 1
  - .args:
      - .offset:         0
        .size:           4
        .value_kind:     by_value
      - .offset:         8
        .size:           8
        .value_kind:     by_value
      - .offset:         16
        .size:           8
        .value_kind:     by_value
      - .address_space:  global
        .offset:         24
        .size:           8
        .value_kind:     global_buffer
      - .offset:         32
        .size:           8
        .value_kind:     by_value
      - .offset:         40
        .size:           8
        .value_kind:     by_value
      - .address_space:  global
        .offset:         48
        .size:           8
        .value_kind:     global_buffer
      - .offset:         56
        .size:           8
        .value_kind:     by_value
      - .offset:         64
        .size:           8
        .value_kind:     by_value
      - .offset:         72
        .size:           8
        .value_kind:     by_value
      - .address_space:  global
        .offset:         80
        .size:           8
        .value_kind:     global_buffer
      - .offset:         88
        .size:           8
        .value_kind:     by_value
      - .offset:         96
        .size:           8
        .value_kind:     by_value
      - .offset:         104
        .size:           4
        .value_kind:     by_value
    .group_segment_fixed_size: 4096
    .kernarg_segment_align: 8
    .kernarg_segment_size: 108
    .language:       OpenCL C
    .language_version:
      - 2
      - 0
    .max_flat_workgroup_size: 256
    .name:           _ZL29rocblas_internal_gemmt_kernelIlLi16ELi32ELi8ELc84ELc67ELc85ELb0ELb1E19rocblas_complex_numIfES1_PKS1_PS1_EviT_T9_T10_S5_lS7_S5_lS6_T11_S5_li
    .private_segment_fixed_size: 0
    .sgpr_count:     38
    .sgpr_spill_count: 0
    .symbol:         _ZL29rocblas_internal_gemmt_kernelIlLi16ELi32ELi8ELc84ELc67ELc85ELb0ELb1E19rocblas_complex_numIfES1_PKS1_PS1_EviT_T9_T10_S5_lS7_S5_lS6_T11_S5_li.kd
    .uniform_work_group_size: 1
    .uses_dynamic_stack: false
    .vgpr_count:     71
    .vgpr_spill_count: 0
    .wavefront_size: 32
    .workgroup_processor_mode: 1
  - .args:
      - .offset:         0
        .size:           4
        .value_kind:     by_value
      - .offset:         8
        .size:           8
        .value_kind:     by_value
      - .offset:         16
        .size:           8
        .value_kind:     by_value
      - .address_space:  global
        .offset:         24
        .size:           8
        .value_kind:     global_buffer
      - .offset:         32
        .size:           8
        .value_kind:     by_value
      - .offset:         40
        .size:           8
        .value_kind:     by_value
      - .address_space:  global
        .offset:         48
        .size:           8
        .value_kind:     global_buffer
      - .offset:         56
        .size:           8
        .value_kind:     by_value
      - .offset:         64
        .size:           8
        .value_kind:     by_value
      - .offset:         72
        .size:           8
        .value_kind:     by_value
      - .address_space:  global
        .offset:         80
        .size:           8
        .value_kind:     global_buffer
      - .offset:         88
        .size:           8
        .value_kind:     by_value
      - .offset:         96
        .size:           8
        .value_kind:     by_value
      - .offset:         104
        .size:           4
        .value_kind:     by_value
    .group_segment_fixed_size: 4096
    .kernarg_segment_align: 8
    .kernarg_segment_size: 108
    .language:       OpenCL C
    .language_version:
      - 2
      - 0
    .max_flat_workgroup_size: 256
    .name:           _ZL29rocblas_internal_gemmt_kernelIlLi16ELi32ELi8ELc67ELc78ELc85ELb1ELb0E19rocblas_complex_numIfES1_PKS1_PS1_EviT_T9_T10_S5_lS7_S5_lS6_T11_S5_li
    .private_segment_fixed_size: 0
    .sgpr_count:     36
    .sgpr_spill_count: 0
    .symbol:         _ZL29rocblas_internal_gemmt_kernelIlLi16ELi32ELi8ELc67ELc78ELc85ELb1ELb0E19rocblas_complex_numIfES1_PKS1_PS1_EviT_T9_T10_S5_lS7_S5_lS6_T11_S5_li.kd
    .uniform_work_group_size: 1
    .uses_dynamic_stack: false
    .vgpr_count:     71
    .vgpr_spill_count: 0
    .wavefront_size: 32
    .workgroup_processor_mode: 1
  - .args:
      - .offset:         0
        .size:           4
        .value_kind:     by_value
      - .offset:         8
        .size:           8
        .value_kind:     by_value
      - .offset:         16
        .size:           8
        .value_kind:     by_value
      - .address_space:  global
        .offset:         24
        .size:           8
        .value_kind:     global_buffer
      - .offset:         32
        .size:           8
        .value_kind:     by_value
      - .offset:         40
        .size:           8
        .value_kind:     by_value
      - .address_space:  global
        .offset:         48
        .size:           8
        .value_kind:     global_buffer
      - .offset:         56
        .size:           8
        .value_kind:     by_value
      - .offset:         64
        .size:           8
        .value_kind:     by_value
      - .offset:         72
        .size:           8
        .value_kind:     by_value
      - .address_space:  global
        .offset:         80
        .size:           8
        .value_kind:     global_buffer
      - .offset:         88
        .size:           8
        .value_kind:     by_value
      - .offset:         96
        .size:           8
        .value_kind:     by_value
      - .offset:         104
        .size:           4
        .value_kind:     by_value
    .group_segment_fixed_size: 4096
    .kernarg_segment_align: 8
    .kernarg_segment_size: 108
    .language:       OpenCL C
    .language_version:
      - 2
      - 0
    .max_flat_workgroup_size: 256
    .name:           _ZL29rocblas_internal_gemmt_kernelIlLi16ELi32ELi8ELc67ELc84ELc85ELb1ELb0E19rocblas_complex_numIfES1_PKS1_PS1_EviT_T9_T10_S5_lS7_S5_lS6_T11_S5_li
    .private_segment_fixed_size: 0
    .sgpr_count:     38
    .sgpr_spill_count: 0
    .symbol:         _ZL29rocblas_internal_gemmt_kernelIlLi16ELi32ELi8ELc67ELc84ELc85ELb1ELb0E19rocblas_complex_numIfES1_PKS1_PS1_EviT_T9_T10_S5_lS7_S5_lS6_T11_S5_li.kd
    .uniform_work_group_size: 1
    .uses_dynamic_stack: false
    .vgpr_count:     71
    .vgpr_spill_count: 0
    .wavefront_size: 32
    .workgroup_processor_mode: 1
  - .args:
      - .offset:         0
        .size:           4
        .value_kind:     by_value
      - .offset:         8
        .size:           8
        .value_kind:     by_value
      - .offset:         16
        .size:           8
        .value_kind:     by_value
      - .address_space:  global
        .offset:         24
        .size:           8
        .value_kind:     global_buffer
      - .offset:         32
        .size:           8
        .value_kind:     by_value
      - .offset:         40
        .size:           8
        .value_kind:     by_value
      - .address_space:  global
        .offset:         48
        .size:           8
        .value_kind:     global_buffer
      - .offset:         56
        .size:           8
        .value_kind:     by_value
      - .offset:         64
        .size:           8
        .value_kind:     by_value
      - .offset:         72
        .size:           8
        .value_kind:     by_value
      - .address_space:  global
        .offset:         80
        .size:           8
        .value_kind:     global_buffer
      - .offset:         88
        .size:           8
        .value_kind:     by_value
      - .offset:         96
        .size:           8
        .value_kind:     by_value
      - .offset:         104
        .size:           4
        .value_kind:     by_value
    .group_segment_fixed_size: 4096
    .kernarg_segment_align: 8
    .kernarg_segment_size: 108
    .language:       OpenCL C
    .language_version:
      - 2
      - 0
    .max_flat_workgroup_size: 256
    .name:           _ZL29rocblas_internal_gemmt_kernelIlLi16ELi32ELi8ELc67ELc67ELc85ELb1ELb1E19rocblas_complex_numIfES1_PKS1_PS1_EviT_T9_T10_S5_lS7_S5_lS6_T11_S5_li
    .private_segment_fixed_size: 0
    .sgpr_count:     38
    .sgpr_spill_count: 0
    .symbol:         _ZL29rocblas_internal_gemmt_kernelIlLi16ELi32ELi8ELc67ELc67ELc85ELb1ELb1E19rocblas_complex_numIfES1_PKS1_PS1_EviT_T9_T10_S5_lS7_S5_lS6_T11_S5_li.kd
    .uniform_work_group_size: 1
    .uses_dynamic_stack: false
    .vgpr_count:     71
    .vgpr_spill_count: 0
    .wavefront_size: 32
    .workgroup_processor_mode: 1
  - .args:
      - .offset:         0
        .size:           4
        .value_kind:     by_value
      - .offset:         8
        .size:           8
        .value_kind:     by_value
      - .offset:         16
        .size:           8
        .value_kind:     by_value
      - .address_space:  global
        .offset:         24
        .size:           8
        .value_kind:     global_buffer
      - .offset:         32
        .size:           8
        .value_kind:     by_value
      - .offset:         40
        .size:           8
        .value_kind:     by_value
      - .address_space:  global
        .offset:         48
        .size:           8
        .value_kind:     global_buffer
      - .offset:         56
        .size:           8
        .value_kind:     by_value
      - .offset:         64
        .size:           8
        .value_kind:     by_value
      - .offset:         72
        .size:           8
        .value_kind:     by_value
      - .address_space:  global
        .offset:         80
        .size:           8
        .value_kind:     global_buffer
      - .offset:         88
        .size:           8
        .value_kind:     by_value
      - .offset:         96
        .size:           8
        .value_kind:     by_value
      - .offset:         104
        .size:           4
        .value_kind:     by_value
    .group_segment_fixed_size: 4096
    .kernarg_segment_align: 8
    .kernarg_segment_size: 108
    .language:       OpenCL C
    .language_version:
      - 2
      - 0
    .max_flat_workgroup_size: 256
    .name:           _ZL29rocblas_internal_gemmt_kernelIlLi16ELi32ELi8ELc78ELc78ELc76ELb0ELb0E19rocblas_complex_numIfES1_PKS1_PS1_EviT_T9_T10_S5_lS7_S5_lS6_T11_S5_li
    .private_segment_fixed_size: 0
    .sgpr_count:     38
    .sgpr_spill_count: 0
    .symbol:         _ZL29rocblas_internal_gemmt_kernelIlLi16ELi32ELi8ELc78ELc78ELc76ELb0ELb0E19rocblas_complex_numIfES1_PKS1_PS1_EviT_T9_T10_S5_lS7_S5_lS6_T11_S5_li.kd
    .uniform_work_group_size: 1
    .uses_dynamic_stack: false
    .vgpr_count:     71
    .vgpr_spill_count: 0
    .wavefront_size: 32
    .workgroup_processor_mode: 1
  - .args:
      - .offset:         0
        .size:           4
        .value_kind:     by_value
      - .offset:         8
        .size:           8
        .value_kind:     by_value
      - .offset:         16
        .size:           8
        .value_kind:     by_value
      - .address_space:  global
        .offset:         24
        .size:           8
        .value_kind:     global_buffer
      - .offset:         32
        .size:           8
        .value_kind:     by_value
      - .offset:         40
        .size:           8
        .value_kind:     by_value
      - .address_space:  global
        .offset:         48
        .size:           8
        .value_kind:     global_buffer
      - .offset:         56
        .size:           8
        .value_kind:     by_value
      - .offset:         64
        .size:           8
        .value_kind:     by_value
      - .offset:         72
        .size:           8
        .value_kind:     by_value
      - .address_space:  global
        .offset:         80
        .size:           8
        .value_kind:     global_buffer
      - .offset:         88
        .size:           8
        .value_kind:     by_value
      - .offset:         96
        .size:           8
        .value_kind:     by_value
      - .offset:         104
        .size:           4
        .value_kind:     by_value
    .group_segment_fixed_size: 4096
    .kernarg_segment_align: 8
    .kernarg_segment_size: 108
    .language:       OpenCL C
    .language_version:
      - 2
      - 0
    .max_flat_workgroup_size: 256
    .name:           _ZL29rocblas_internal_gemmt_kernelIlLi16ELi32ELi8ELc78ELc84ELc76ELb0ELb0E19rocblas_complex_numIfES1_PKS1_PS1_EviT_T9_T10_S5_lS7_S5_lS6_T11_S5_li
    .private_segment_fixed_size: 0
    .sgpr_count:     39
    .sgpr_spill_count: 0
    .symbol:         _ZL29rocblas_internal_gemmt_kernelIlLi16ELi32ELi8ELc78ELc84ELc76ELb0ELb0E19rocblas_complex_numIfES1_PKS1_PS1_EviT_T9_T10_S5_lS7_S5_lS6_T11_S5_li.kd
    .uniform_work_group_size: 1
    .uses_dynamic_stack: false
    .vgpr_count:     71
    .vgpr_spill_count: 0
    .wavefront_size: 32
    .workgroup_processor_mode: 1
  - .args:
      - .offset:         0
        .size:           4
        .value_kind:     by_value
      - .offset:         8
        .size:           8
        .value_kind:     by_value
      - .offset:         16
        .size:           8
        .value_kind:     by_value
      - .address_space:  global
        .offset:         24
        .size:           8
        .value_kind:     global_buffer
      - .offset:         32
        .size:           8
        .value_kind:     by_value
      - .offset:         40
        .size:           8
        .value_kind:     by_value
      - .address_space:  global
        .offset:         48
        .size:           8
        .value_kind:     global_buffer
      - .offset:         56
        .size:           8
        .value_kind:     by_value
      - .offset:         64
        .size:           8
        .value_kind:     by_value
      - .offset:         72
        .size:           8
        .value_kind:     by_value
      - .address_space:  global
        .offset:         80
        .size:           8
        .value_kind:     global_buffer
      - .offset:         88
        .size:           8
        .value_kind:     by_value
      - .offset:         96
        .size:           8
        .value_kind:     by_value
      - .offset:         104
        .size:           4
        .value_kind:     by_value
    .group_segment_fixed_size: 4096
    .kernarg_segment_align: 8
    .kernarg_segment_size: 108
    .language:       OpenCL C
    .language_version:
      - 2
      - 0
    .max_flat_workgroup_size: 256
    .name:           _ZL29rocblas_internal_gemmt_kernelIlLi16ELi32ELi8ELc78ELc67ELc76ELb0ELb1E19rocblas_complex_numIfES1_PKS1_PS1_EviT_T9_T10_S5_lS7_S5_lS6_T11_S5_li
    .private_segment_fixed_size: 0
    .sgpr_count:     39
    .sgpr_spill_count: 0
    .symbol:         _ZL29rocblas_internal_gemmt_kernelIlLi16ELi32ELi8ELc78ELc67ELc76ELb0ELb1E19rocblas_complex_numIfES1_PKS1_PS1_EviT_T9_T10_S5_lS7_S5_lS6_T11_S5_li.kd
    .uniform_work_group_size: 1
    .uses_dynamic_stack: false
    .vgpr_count:     71
    .vgpr_spill_count: 0
    .wavefront_size: 32
    .workgroup_processor_mode: 1
  - .args:
      - .offset:         0
        .size:           4
        .value_kind:     by_value
      - .offset:         8
        .size:           8
        .value_kind:     by_value
      - .offset:         16
        .size:           8
        .value_kind:     by_value
      - .address_space:  global
        .offset:         24
        .size:           8
        .value_kind:     global_buffer
      - .offset:         32
        .size:           8
        .value_kind:     by_value
      - .offset:         40
        .size:           8
        .value_kind:     by_value
      - .address_space:  global
        .offset:         48
        .size:           8
        .value_kind:     global_buffer
      - .offset:         56
        .size:           8
        .value_kind:     by_value
      - .offset:         64
        .size:           8
        .value_kind:     by_value
      - .offset:         72
        .size:           8
        .value_kind:     by_value
      - .address_space:  global
        .offset:         80
        .size:           8
        .value_kind:     global_buffer
      - .offset:         88
        .size:           8
        .value_kind:     by_value
      - .offset:         96
        .size:           8
        .value_kind:     by_value
      - .offset:         104
        .size:           4
        .value_kind:     by_value
    .group_segment_fixed_size: 4096
    .kernarg_segment_align: 8
    .kernarg_segment_size: 108
    .language:       OpenCL C
    .language_version:
      - 2
      - 0
    .max_flat_workgroup_size: 256
    .name:           _ZL29rocblas_internal_gemmt_kernelIlLi16ELi32ELi8ELc84ELc78ELc76ELb0ELb0E19rocblas_complex_numIfES1_PKS1_PS1_EviT_T9_T10_S5_lS7_S5_lS6_T11_S5_li
    .private_segment_fixed_size: 0
    .sgpr_count:     37
    .sgpr_spill_count: 0
    .symbol:         _ZL29rocblas_internal_gemmt_kernelIlLi16ELi32ELi8ELc84ELc78ELc76ELb0ELb0E19rocblas_complex_numIfES1_PKS1_PS1_EviT_T9_T10_S5_lS7_S5_lS6_T11_S5_li.kd
    .uniform_work_group_size: 1
    .uses_dynamic_stack: false
    .vgpr_count:     71
    .vgpr_spill_count: 0
    .wavefront_size: 32
    .workgroup_processor_mode: 1
  - .args:
      - .offset:         0
        .size:           4
        .value_kind:     by_value
      - .offset:         8
        .size:           8
        .value_kind:     by_value
      - .offset:         16
        .size:           8
        .value_kind:     by_value
      - .address_space:  global
        .offset:         24
        .size:           8
        .value_kind:     global_buffer
      - .offset:         32
        .size:           8
        .value_kind:     by_value
      - .offset:         40
        .size:           8
        .value_kind:     by_value
      - .address_space:  global
        .offset:         48
        .size:           8
        .value_kind:     global_buffer
      - .offset:         56
        .size:           8
        .value_kind:     by_value
      - .offset:         64
        .size:           8
        .value_kind:     by_value
      - .offset:         72
        .size:           8
        .value_kind:     by_value
      - .address_space:  global
        .offset:         80
        .size:           8
        .value_kind:     global_buffer
      - .offset:         88
        .size:           8
        .value_kind:     by_value
      - .offset:         96
        .size:           8
        .value_kind:     by_value
      - .offset:         104
        .size:           4
        .value_kind:     by_value
    .group_segment_fixed_size: 4096
    .kernarg_segment_align: 8
    .kernarg_segment_size: 108
    .language:       OpenCL C
    .language_version:
      - 2
      - 0
    .max_flat_workgroup_size: 256
    .name:           _ZL29rocblas_internal_gemmt_kernelIlLi16ELi32ELi8ELc84ELc84ELc76ELb0ELb0E19rocblas_complex_numIfES1_PKS1_PS1_EviT_T9_T10_S5_lS7_S5_lS6_T11_S5_li
    .private_segment_fixed_size: 0
    .sgpr_count:     38
    .sgpr_spill_count: 0
    .symbol:         _ZL29rocblas_internal_gemmt_kernelIlLi16ELi32ELi8ELc84ELc84ELc76ELb0ELb0E19rocblas_complex_numIfES1_PKS1_PS1_EviT_T9_T10_S5_lS7_S5_lS6_T11_S5_li.kd
    .uniform_work_group_size: 1
    .uses_dynamic_stack: false
    .vgpr_count:     71
    .vgpr_spill_count: 0
    .wavefront_size: 32
    .workgroup_processor_mode: 1
  - .args:
      - .offset:         0
        .size:           4
        .value_kind:     by_value
      - .offset:         8
        .size:           8
        .value_kind:     by_value
      - .offset:         16
        .size:           8
        .value_kind:     by_value
      - .address_space:  global
        .offset:         24
        .size:           8
        .value_kind:     global_buffer
      - .offset:         32
        .size:           8
        .value_kind:     by_value
      - .offset:         40
        .size:           8
        .value_kind:     by_value
      - .address_space:  global
        .offset:         48
        .size:           8
        .value_kind:     global_buffer
      - .offset:         56
        .size:           8
        .value_kind:     by_value
      - .offset:         64
        .size:           8
        .value_kind:     by_value
      - .offset:         72
        .size:           8
        .value_kind:     by_value
      - .address_space:  global
        .offset:         80
        .size:           8
        .value_kind:     global_buffer
      - .offset:         88
        .size:           8
        .value_kind:     by_value
      - .offset:         96
        .size:           8
        .value_kind:     by_value
      - .offset:         104
        .size:           4
        .value_kind:     by_value
    .group_segment_fixed_size: 4096
    .kernarg_segment_align: 8
    .kernarg_segment_size: 108
    .language:       OpenCL C
    .language_version:
      - 2
      - 0
    .max_flat_workgroup_size: 256
    .name:           _ZL29rocblas_internal_gemmt_kernelIlLi16ELi32ELi8ELc84ELc67ELc76ELb0ELb1E19rocblas_complex_numIfES1_PKS1_PS1_EviT_T9_T10_S5_lS7_S5_lS6_T11_S5_li
    .private_segment_fixed_size: 0
    .sgpr_count:     38
    .sgpr_spill_count: 0
    .symbol:         _ZL29rocblas_internal_gemmt_kernelIlLi16ELi32ELi8ELc84ELc67ELc76ELb0ELb1E19rocblas_complex_numIfES1_PKS1_PS1_EviT_T9_T10_S5_lS7_S5_lS6_T11_S5_li.kd
    .uniform_work_group_size: 1
    .uses_dynamic_stack: false
    .vgpr_count:     71
    .vgpr_spill_count: 0
    .wavefront_size: 32
    .workgroup_processor_mode: 1
  - .args:
      - .offset:         0
        .size:           4
        .value_kind:     by_value
      - .offset:         8
        .size:           8
        .value_kind:     by_value
      - .offset:         16
        .size:           8
        .value_kind:     by_value
      - .address_space:  global
        .offset:         24
        .size:           8
        .value_kind:     global_buffer
      - .offset:         32
        .size:           8
        .value_kind:     by_value
      - .offset:         40
        .size:           8
        .value_kind:     by_value
      - .address_space:  global
        .offset:         48
        .size:           8
        .value_kind:     global_buffer
      - .offset:         56
        .size:           8
        .value_kind:     by_value
      - .offset:         64
        .size:           8
        .value_kind:     by_value
      - .offset:         72
        .size:           8
        .value_kind:     by_value
      - .address_space:  global
        .offset:         80
        .size:           8
        .value_kind:     global_buffer
      - .offset:         88
        .size:           8
        .value_kind:     by_value
      - .offset:         96
        .size:           8
        .value_kind:     by_value
      - .offset:         104
        .size:           4
        .value_kind:     by_value
    .group_segment_fixed_size: 4096
    .kernarg_segment_align: 8
    .kernarg_segment_size: 108
    .language:       OpenCL C
    .language_version:
      - 2
      - 0
    .max_flat_workgroup_size: 256
    .name:           _ZL29rocblas_internal_gemmt_kernelIlLi16ELi32ELi8ELc67ELc78ELc76ELb1ELb0E19rocblas_complex_numIfES1_PKS1_PS1_EviT_T9_T10_S5_lS7_S5_lS6_T11_S5_li
    .private_segment_fixed_size: 0
    .sgpr_count:     37
    .sgpr_spill_count: 0
    .symbol:         _ZL29rocblas_internal_gemmt_kernelIlLi16ELi32ELi8ELc67ELc78ELc76ELb1ELb0E19rocblas_complex_numIfES1_PKS1_PS1_EviT_T9_T10_S5_lS7_S5_lS6_T11_S5_li.kd
    .uniform_work_group_size: 1
    .uses_dynamic_stack: false
    .vgpr_count:     71
    .vgpr_spill_count: 0
    .wavefront_size: 32
    .workgroup_processor_mode: 1
  - .args:
      - .offset:         0
        .size:           4
        .value_kind:     by_value
      - .offset:         8
        .size:           8
        .value_kind:     by_value
      - .offset:         16
        .size:           8
        .value_kind:     by_value
      - .address_space:  global
        .offset:         24
        .size:           8
        .value_kind:     global_buffer
      - .offset:         32
        .size:           8
        .value_kind:     by_value
      - .offset:         40
        .size:           8
        .value_kind:     by_value
      - .address_space:  global
        .offset:         48
        .size:           8
        .value_kind:     global_buffer
      - .offset:         56
        .size:           8
        .value_kind:     by_value
      - .offset:         64
        .size:           8
        .value_kind:     by_value
      - .offset:         72
        .size:           8
        .value_kind:     by_value
      - .address_space:  global
        .offset:         80
        .size:           8
        .value_kind:     global_buffer
      - .offset:         88
        .size:           8
        .value_kind:     by_value
      - .offset:         96
        .size:           8
        .value_kind:     by_value
      - .offset:         104
        .size:           4
        .value_kind:     by_value
    .group_segment_fixed_size: 4096
    .kernarg_segment_align: 8
    .kernarg_segment_size: 108
    .language:       OpenCL C
    .language_version:
      - 2
      - 0
    .max_flat_workgroup_size: 256
    .name:           _ZL29rocblas_internal_gemmt_kernelIlLi16ELi32ELi8ELc67ELc84ELc76ELb1ELb0E19rocblas_complex_numIfES1_PKS1_PS1_EviT_T9_T10_S5_lS7_S5_lS6_T11_S5_li
    .private_segment_fixed_size: 0
    .sgpr_count:     38
    .sgpr_spill_count: 0
    .symbol:         _ZL29rocblas_internal_gemmt_kernelIlLi16ELi32ELi8ELc67ELc84ELc76ELb1ELb0E19rocblas_complex_numIfES1_PKS1_PS1_EviT_T9_T10_S5_lS7_S5_lS6_T11_S5_li.kd
    .uniform_work_group_size: 1
    .uses_dynamic_stack: false
    .vgpr_count:     71
    .vgpr_spill_count: 0
    .wavefront_size: 32
    .workgroup_processor_mode: 1
  - .args:
      - .offset:         0
        .size:           4
        .value_kind:     by_value
      - .offset:         8
        .size:           8
        .value_kind:     by_value
      - .offset:         16
        .size:           8
        .value_kind:     by_value
      - .address_space:  global
        .offset:         24
        .size:           8
        .value_kind:     global_buffer
      - .offset:         32
        .size:           8
        .value_kind:     by_value
      - .offset:         40
        .size:           8
        .value_kind:     by_value
      - .address_space:  global
        .offset:         48
        .size:           8
        .value_kind:     global_buffer
      - .offset:         56
        .size:           8
        .value_kind:     by_value
      - .offset:         64
        .size:           8
        .value_kind:     by_value
      - .offset:         72
        .size:           8
        .value_kind:     by_value
      - .address_space:  global
        .offset:         80
        .size:           8
        .value_kind:     global_buffer
      - .offset:         88
        .size:           8
        .value_kind:     by_value
      - .offset:         96
        .size:           8
        .value_kind:     by_value
      - .offset:         104
        .size:           4
        .value_kind:     by_value
    .group_segment_fixed_size: 4096
    .kernarg_segment_align: 8
    .kernarg_segment_size: 108
    .language:       OpenCL C
    .language_version:
      - 2
      - 0
    .max_flat_workgroup_size: 256
    .name:           _ZL29rocblas_internal_gemmt_kernelIlLi16ELi32ELi8ELc67ELc67ELc76ELb1ELb1E19rocblas_complex_numIfES1_PKS1_PS1_EviT_T9_T10_S5_lS7_S5_lS6_T11_S5_li
    .private_segment_fixed_size: 0
    .sgpr_count:     38
    .sgpr_spill_count: 0
    .symbol:         _ZL29rocblas_internal_gemmt_kernelIlLi16ELi32ELi8ELc67ELc67ELc76ELb1ELb1E19rocblas_complex_numIfES1_PKS1_PS1_EviT_T9_T10_S5_lS7_S5_lS6_T11_S5_li.kd
    .uniform_work_group_size: 1
    .uses_dynamic_stack: false
    .vgpr_count:     71
    .vgpr_spill_count: 0
    .wavefront_size: 32
    .workgroup_processor_mode: 1
  - .args:
      - .offset:         0
        .size:           4
        .value_kind:     by_value
      - .offset:         8
        .size:           8
        .value_kind:     by_value
      - .address_space:  global
        .offset:         16
        .size:           8
        .value_kind:     global_buffer
      - .address_space:  global
        .offset:         24
        .size:           8
        .value_kind:     global_buffer
      - .offset:         32
        .size:           8
        .value_kind:     by_value
      - .offset:         40
        .size:           8
        .value_kind:     by_value
      - .address_space:  global
        .offset:         48
        .size:           8
        .value_kind:     global_buffer
      - .offset:         56
        .size:           8
        .value_kind:     by_value
      - .offset:         64
        .size:           8
        .value_kind:     by_value
      - .address_space:  global
        .offset:         72
        .size:           8
        .value_kind:     global_buffer
      - .address_space:  global
        .offset:         80
        .size:           8
        .value_kind:     global_buffer
      - .offset:         88
        .size:           8
        .value_kind:     by_value
      - .offset:         96
        .size:           8
        .value_kind:     by_value
      - .offset:         104
        .size:           4
        .value_kind:     by_value
    .group_segment_fixed_size: 8192
    .kernarg_segment_align: 8
    .kernarg_segment_size: 108
    .language:       OpenCL C
    .language_version:
      - 2
      - 0
    .max_flat_workgroup_size: 256
    .name:           _ZL29rocblas_internal_gemmt_kernelIlLi16ELi32ELi8ELc78ELc78ELc85ELb0ELb0E19rocblas_complex_numIdEPKS1_S3_PS1_EviT_T9_T10_S5_lS7_S5_lS6_T11_S5_li
    .private_segment_fixed_size: 0
    .sgpr_count:     46
    .sgpr_spill_count: 0
    .symbol:         _ZL29rocblas_internal_gemmt_kernelIlLi16ELi32ELi8ELc78ELc78ELc85ELb0ELb0E19rocblas_complex_numIdEPKS1_S3_PS1_EviT_T9_T10_S5_lS7_S5_lS6_T11_S5_li.kd
    .uniform_work_group_size: 1
    .uses_dynamic_stack: false
    .vgpr_count:     68
    .vgpr_spill_count: 0
    .wavefront_size: 32
    .workgroup_processor_mode: 1
  - .args:
      - .offset:         0
        .size:           4
        .value_kind:     by_value
      - .offset:         8
        .size:           8
        .value_kind:     by_value
      - .address_space:  global
        .offset:         16
        .size:           8
        .value_kind:     global_buffer
      - .address_space:  global
        .offset:         24
        .size:           8
        .value_kind:     global_buffer
      - .offset:         32
        .size:           8
        .value_kind:     by_value
      - .offset:         40
        .size:           8
        .value_kind:     by_value
      - .address_space:  global
        .offset:         48
        .size:           8
        .value_kind:     global_buffer
      - .offset:         56
        .size:           8
        .value_kind:     by_value
      - .offset:         64
        .size:           8
        .value_kind:     by_value
      - .address_space:  global
        .offset:         72
        .size:           8
        .value_kind:     global_buffer
      - .address_space:  global
        .offset:         80
        .size:           8
        .value_kind:     global_buffer
      - .offset:         88
        .size:           8
        .value_kind:     by_value
      - .offset:         96
        .size:           8
        .value_kind:     by_value
      - .offset:         104
        .size:           4
        .value_kind:     by_value
    .group_segment_fixed_size: 8192
    .kernarg_segment_align: 8
    .kernarg_segment_size: 108
    .language:       OpenCL C
    .language_version:
      - 2
      - 0
    .max_flat_workgroup_size: 256
    .name:           _ZL29rocblas_internal_gemmt_kernelIlLi16ELi32ELi8ELc78ELc84ELc85ELb0ELb0E19rocblas_complex_numIdEPKS1_S3_PS1_EviT_T9_T10_S5_lS7_S5_lS6_T11_S5_li
    .private_segment_fixed_size: 0
    .sgpr_count:     46
    .sgpr_spill_count: 0
    .symbol:         _ZL29rocblas_internal_gemmt_kernelIlLi16ELi32ELi8ELc78ELc84ELc85ELb0ELb0E19rocblas_complex_numIdEPKS1_S3_PS1_EviT_T9_T10_S5_lS7_S5_lS6_T11_S5_li.kd
    .uniform_work_group_size: 1
    .uses_dynamic_stack: false
    .vgpr_count:     68
    .vgpr_spill_count: 0
    .wavefront_size: 32
    .workgroup_processor_mode: 1
  - .args:
      - .offset:         0
        .size:           4
        .value_kind:     by_value
      - .offset:         8
        .size:           8
        .value_kind:     by_value
      - .address_space:  global
        .offset:         16
        .size:           8
        .value_kind:     global_buffer
      - .address_space:  global
        .offset:         24
        .size:           8
        .value_kind:     global_buffer
      - .offset:         32
        .size:           8
        .value_kind:     by_value
      - .offset:         40
        .size:           8
        .value_kind:     by_value
      - .address_space:  global
        .offset:         48
        .size:           8
        .value_kind:     global_buffer
      - .offset:         56
        .size:           8
        .value_kind:     by_value
      - .offset:         64
        .size:           8
        .value_kind:     by_value
      - .address_space:  global
        .offset:         72
        .size:           8
        .value_kind:     global_buffer
      - .address_space:  global
        .offset:         80
        .size:           8
        .value_kind:     global_buffer
      - .offset:         88
        .size:           8
        .value_kind:     by_value
      - .offset:         96
        .size:           8
        .value_kind:     by_value
      - .offset:         104
        .size:           4
        .value_kind:     by_value
    .group_segment_fixed_size: 8192
    .kernarg_segment_align: 8
    .kernarg_segment_size: 108
    .language:       OpenCL C
    .language_version:
      - 2
      - 0
    .max_flat_workgroup_size: 256
    .name:           _ZL29rocblas_internal_gemmt_kernelIlLi16ELi32ELi8ELc78ELc67ELc85ELb0ELb1E19rocblas_complex_numIdEPKS1_S3_PS1_EviT_T9_T10_S5_lS7_S5_lS6_T11_S5_li
    .private_segment_fixed_size: 0
    .sgpr_count:     43
    .sgpr_spill_count: 0
    .symbol:         _ZL29rocblas_internal_gemmt_kernelIlLi16ELi32ELi8ELc78ELc67ELc85ELb0ELb1E19rocblas_complex_numIdEPKS1_S3_PS1_EviT_T9_T10_S5_lS7_S5_lS6_T11_S5_li.kd
    .uniform_work_group_size: 1
    .uses_dynamic_stack: false
    .vgpr_count:     134
    .vgpr_spill_count: 0
    .wavefront_size: 32
    .workgroup_processor_mode: 1
  - .args:
      - .offset:         0
        .size:           4
        .value_kind:     by_value
      - .offset:         8
        .size:           8
        .value_kind:     by_value
      - .address_space:  global
        .offset:         16
        .size:           8
        .value_kind:     global_buffer
      - .address_space:  global
        .offset:         24
        .size:           8
        .value_kind:     global_buffer
      - .offset:         32
        .size:           8
        .value_kind:     by_value
      - .offset:         40
        .size:           8
        .value_kind:     by_value
      - .address_space:  global
        .offset:         48
        .size:           8
        .value_kind:     global_buffer
      - .offset:         56
        .size:           8
        .value_kind:     by_value
      - .offset:         64
        .size:           8
        .value_kind:     by_value
      - .address_space:  global
        .offset:         72
        .size:           8
        .value_kind:     global_buffer
      - .address_space:  global
        .offset:         80
        .size:           8
        .value_kind:     global_buffer
      - .offset:         88
        .size:           8
        .value_kind:     by_value
      - .offset:         96
        .size:           8
        .value_kind:     by_value
      - .offset:         104
        .size:           4
        .value_kind:     by_value
    .group_segment_fixed_size: 8192
    .kernarg_segment_align: 8
    .kernarg_segment_size: 108
    .language:       OpenCL C
    .language_version:
      - 2
      - 0
    .max_flat_workgroup_size: 256
    .name:           _ZL29rocblas_internal_gemmt_kernelIlLi16ELi32ELi8ELc84ELc78ELc85ELb0ELb0E19rocblas_complex_numIdEPKS1_S3_PS1_EviT_T9_T10_S5_lS7_S5_lS6_T11_S5_li
    .private_segment_fixed_size: 0
    .sgpr_count:     46
    .sgpr_spill_count: 0
    .symbol:         _ZL29rocblas_internal_gemmt_kernelIlLi16ELi32ELi8ELc84ELc78ELc85ELb0ELb0E19rocblas_complex_numIdEPKS1_S3_PS1_EviT_T9_T10_S5_lS7_S5_lS6_T11_S5_li.kd
    .uniform_work_group_size: 1
    .uses_dynamic_stack: false
    .vgpr_count:     68
    .vgpr_spill_count: 0
    .wavefront_size: 32
    .workgroup_processor_mode: 1
  - .args:
      - .offset:         0
        .size:           4
        .value_kind:     by_value
      - .offset:         8
        .size:           8
        .value_kind:     by_value
      - .address_space:  global
        .offset:         16
        .size:           8
        .value_kind:     global_buffer
      - .address_space:  global
        .offset:         24
        .size:           8
        .value_kind:     global_buffer
      - .offset:         32
        .size:           8
        .value_kind:     by_value
      - .offset:         40
        .size:           8
        .value_kind:     by_value
      - .address_space:  global
        .offset:         48
        .size:           8
        .value_kind:     global_buffer
      - .offset:         56
        .size:           8
        .value_kind:     by_value
      - .offset:         64
        .size:           8
        .value_kind:     by_value
      - .address_space:  global
        .offset:         72
        .size:           8
        .value_kind:     global_buffer
      - .address_space:  global
        .offset:         80
        .size:           8
        .value_kind:     global_buffer
      - .offset:         88
        .size:           8
        .value_kind:     by_value
      - .offset:         96
        .size:           8
        .value_kind:     by_value
      - .offset:         104
        .size:           4
        .value_kind:     by_value
    .group_segment_fixed_size: 8192
    .kernarg_segment_align: 8
    .kernarg_segment_size: 108
    .language:       OpenCL C
    .language_version:
      - 2
      - 0
    .max_flat_workgroup_size: 256
    .name:           _ZL29rocblas_internal_gemmt_kernelIlLi16ELi32ELi8ELc84ELc84ELc85ELb0ELb0E19rocblas_complex_numIdEPKS1_S3_PS1_EviT_T9_T10_S5_lS7_S5_lS6_T11_S5_li
    .private_segment_fixed_size: 0
    .sgpr_count:     46
    .sgpr_spill_count: 0
    .symbol:         _ZL29rocblas_internal_gemmt_kernelIlLi16ELi32ELi8ELc84ELc84ELc85ELb0ELb0E19rocblas_complex_numIdEPKS1_S3_PS1_EviT_T9_T10_S5_lS7_S5_lS6_T11_S5_li.kd
    .uniform_work_group_size: 1
    .uses_dynamic_stack: false
    .vgpr_count:     68
    .vgpr_spill_count: 0
    .wavefront_size: 32
    .workgroup_processor_mode: 1
  - .args:
      - .offset:         0
        .size:           4
        .value_kind:     by_value
      - .offset:         8
        .size:           8
        .value_kind:     by_value
      - .address_space:  global
        .offset:         16
        .size:           8
        .value_kind:     global_buffer
      - .address_space:  global
        .offset:         24
        .size:           8
        .value_kind:     global_buffer
      - .offset:         32
        .size:           8
        .value_kind:     by_value
      - .offset:         40
        .size:           8
        .value_kind:     by_value
      - .address_space:  global
        .offset:         48
        .size:           8
        .value_kind:     global_buffer
      - .offset:         56
        .size:           8
        .value_kind:     by_value
      - .offset:         64
        .size:           8
        .value_kind:     by_value
      - .address_space:  global
        .offset:         72
        .size:           8
        .value_kind:     global_buffer
      - .address_space:  global
        .offset:         80
        .size:           8
        .value_kind:     global_buffer
      - .offset:         88
        .size:           8
        .value_kind:     by_value
      - .offset:         96
        .size:           8
        .value_kind:     by_value
      - .offset:         104
        .size:           4
        .value_kind:     by_value
    .group_segment_fixed_size: 8192
    .kernarg_segment_align: 8
    .kernarg_segment_size: 108
    .language:       OpenCL C
    .language_version:
      - 2
      - 0
    .max_flat_workgroup_size: 256
    .name:           _ZL29rocblas_internal_gemmt_kernelIlLi16ELi32ELi8ELc84ELc67ELc85ELb0ELb1E19rocblas_complex_numIdEPKS1_S3_PS1_EviT_T9_T10_S5_lS7_S5_lS6_T11_S5_li
    .private_segment_fixed_size: 0
    .sgpr_count:     42
    .sgpr_spill_count: 0
    .symbol:         _ZL29rocblas_internal_gemmt_kernelIlLi16ELi32ELi8ELc84ELc67ELc85ELb0ELb1E19rocblas_complex_numIdEPKS1_S3_PS1_EviT_T9_T10_S5_lS7_S5_lS6_T11_S5_li.kd
    .uniform_work_group_size: 1
    .uses_dynamic_stack: false
    .vgpr_count:     134
    .vgpr_spill_count: 0
    .wavefront_size: 32
    .workgroup_processor_mode: 1
  - .args:
      - .offset:         0
        .size:           4
        .value_kind:     by_value
      - .offset:         8
        .size:           8
        .value_kind:     by_value
      - .address_space:  global
        .offset:         16
        .size:           8
        .value_kind:     global_buffer
      - .address_space:  global
        .offset:         24
        .size:           8
        .value_kind:     global_buffer
      - .offset:         32
        .size:           8
        .value_kind:     by_value
      - .offset:         40
        .size:           8
        .value_kind:     by_value
      - .address_space:  global
        .offset:         48
        .size:           8
        .value_kind:     global_buffer
      - .offset:         56
        .size:           8
        .value_kind:     by_value
      - .offset:         64
        .size:           8
        .value_kind:     by_value
      - .address_space:  global
        .offset:         72
        .size:           8
        .value_kind:     global_buffer
      - .address_space:  global
        .offset:         80
        .size:           8
        .value_kind:     global_buffer
      - .offset:         88
        .size:           8
        .value_kind:     by_value
      - .offset:         96
        .size:           8
        .value_kind:     by_value
      - .offset:         104
        .size:           4
        .value_kind:     by_value
    .group_segment_fixed_size: 8192
    .kernarg_segment_align: 8
    .kernarg_segment_size: 108
    .language:       OpenCL C
    .language_version:
      - 2
      - 0
    .max_flat_workgroup_size: 256
    .name:           _ZL29rocblas_internal_gemmt_kernelIlLi16ELi32ELi8ELc67ELc78ELc85ELb1ELb0E19rocblas_complex_numIdEPKS1_S3_PS1_EviT_T9_T10_S5_lS7_S5_lS6_T11_S5_li
    .private_segment_fixed_size: 0
    .sgpr_count:     46
    .sgpr_spill_count: 0
    .symbol:         _ZL29rocblas_internal_gemmt_kernelIlLi16ELi32ELi8ELc67ELc78ELc85ELb1ELb0E19rocblas_complex_numIdEPKS1_S3_PS1_EviT_T9_T10_S5_lS7_S5_lS6_T11_S5_li.kd
    .uniform_work_group_size: 1
    .uses_dynamic_stack: false
    .vgpr_count:     132
    .vgpr_spill_count: 0
    .wavefront_size: 32
    .workgroup_processor_mode: 1
  - .args:
      - .offset:         0
        .size:           4
        .value_kind:     by_value
      - .offset:         8
        .size:           8
        .value_kind:     by_value
      - .address_space:  global
        .offset:         16
        .size:           8
        .value_kind:     global_buffer
      - .address_space:  global
        .offset:         24
        .size:           8
        .value_kind:     global_buffer
      - .offset:         32
        .size:           8
        .value_kind:     by_value
      - .offset:         40
        .size:           8
        .value_kind:     by_value
      - .address_space:  global
        .offset:         48
        .size:           8
        .value_kind:     global_buffer
      - .offset:         56
        .size:           8
        .value_kind:     by_value
      - .offset:         64
        .size:           8
        .value_kind:     by_value
      - .address_space:  global
        .offset:         72
        .size:           8
        .value_kind:     global_buffer
      - .address_space:  global
        .offset:         80
        .size:           8
        .value_kind:     global_buffer
      - .offset:         88
        .size:           8
        .value_kind:     by_value
      - .offset:         96
        .size:           8
        .value_kind:     by_value
      - .offset:         104
        .size:           4
        .value_kind:     by_value
    .group_segment_fixed_size: 8192
    .kernarg_segment_align: 8
    .kernarg_segment_size: 108
    .language:       OpenCL C
    .language_version:
      - 2
      - 0
    .max_flat_workgroup_size: 256
    .name:           _ZL29rocblas_internal_gemmt_kernelIlLi16ELi32ELi8ELc67ELc84ELc85ELb1ELb0E19rocblas_complex_numIdEPKS1_S3_PS1_EviT_T9_T10_S5_lS7_S5_lS6_T11_S5_li
    .private_segment_fixed_size: 0
    .sgpr_count:     46
    .sgpr_spill_count: 0
    .symbol:         _ZL29rocblas_internal_gemmt_kernelIlLi16ELi32ELi8ELc67ELc84ELc85ELb1ELb0E19rocblas_complex_numIdEPKS1_S3_PS1_EviT_T9_T10_S5_lS7_S5_lS6_T11_S5_li.kd
    .uniform_work_group_size: 1
    .uses_dynamic_stack: false
    .vgpr_count:     132
    .vgpr_spill_count: 0
    .wavefront_size: 32
    .workgroup_processor_mode: 1
  - .args:
      - .offset:         0
        .size:           4
        .value_kind:     by_value
      - .offset:         8
        .size:           8
        .value_kind:     by_value
      - .address_space:  global
        .offset:         16
        .size:           8
        .value_kind:     global_buffer
      - .address_space:  global
        .offset:         24
        .size:           8
        .value_kind:     global_buffer
      - .offset:         32
        .size:           8
        .value_kind:     by_value
      - .offset:         40
        .size:           8
        .value_kind:     by_value
      - .address_space:  global
        .offset:         48
        .size:           8
        .value_kind:     global_buffer
      - .offset:         56
        .size:           8
        .value_kind:     by_value
      - .offset:         64
        .size:           8
        .value_kind:     by_value
      - .address_space:  global
        .offset:         72
        .size:           8
        .value_kind:     global_buffer
      - .address_space:  global
        .offset:         80
        .size:           8
        .value_kind:     global_buffer
      - .offset:         88
        .size:           8
        .value_kind:     by_value
      - .offset:         96
        .size:           8
        .value_kind:     by_value
      - .offset:         104
        .size:           4
        .value_kind:     by_value
    .group_segment_fixed_size: 8192
    .kernarg_segment_align: 8
    .kernarg_segment_size: 108
    .language:       OpenCL C
    .language_version:
      - 2
      - 0
    .max_flat_workgroup_size: 256
    .name:           _ZL29rocblas_internal_gemmt_kernelIlLi16ELi32ELi8ELc67ELc67ELc85ELb1ELb1E19rocblas_complex_numIdEPKS1_S3_PS1_EviT_T9_T10_S5_lS7_S5_lS6_T11_S5_li
    .private_segment_fixed_size: 0
    .sgpr_count:     42
    .sgpr_spill_count: 0
    .symbol:         _ZL29rocblas_internal_gemmt_kernelIlLi16ELi32ELi8ELc67ELc67ELc85ELb1ELb1E19rocblas_complex_numIdEPKS1_S3_PS1_EviT_T9_T10_S5_lS7_S5_lS6_T11_S5_li.kd
    .uniform_work_group_size: 1
    .uses_dynamic_stack: false
    .vgpr_count:     132
    .vgpr_spill_count: 0
    .wavefront_size: 32
    .workgroup_processor_mode: 1
  - .args:
      - .offset:         0
        .size:           4
        .value_kind:     by_value
      - .offset:         8
        .size:           8
        .value_kind:     by_value
      - .address_space:  global
        .offset:         16
        .size:           8
        .value_kind:     global_buffer
      - .address_space:  global
        .offset:         24
        .size:           8
        .value_kind:     global_buffer
      - .offset:         32
        .size:           8
        .value_kind:     by_value
      - .offset:         40
        .size:           8
        .value_kind:     by_value
      - .address_space:  global
        .offset:         48
        .size:           8
        .value_kind:     global_buffer
      - .offset:         56
        .size:           8
        .value_kind:     by_value
      - .offset:         64
        .size:           8
        .value_kind:     by_value
      - .address_space:  global
        .offset:         72
        .size:           8
        .value_kind:     global_buffer
      - .address_space:  global
        .offset:         80
        .size:           8
        .value_kind:     global_buffer
      - .offset:         88
        .size:           8
        .value_kind:     by_value
      - .offset:         96
        .size:           8
        .value_kind:     by_value
      - .offset:         104
        .size:           4
        .value_kind:     by_value
    .group_segment_fixed_size: 8192
    .kernarg_segment_align: 8
    .kernarg_segment_size: 108
    .language:       OpenCL C
    .language_version:
      - 2
      - 0
    .max_flat_workgroup_size: 256
    .name:           _ZL29rocblas_internal_gemmt_kernelIlLi16ELi32ELi8ELc78ELc78ELc76ELb0ELb0E19rocblas_complex_numIdEPKS1_S3_PS1_EviT_T9_T10_S5_lS7_S5_lS6_T11_S5_li
    .private_segment_fixed_size: 0
    .sgpr_count:     46
    .sgpr_spill_count: 0
    .symbol:         _ZL29rocblas_internal_gemmt_kernelIlLi16ELi32ELi8ELc78ELc78ELc76ELb0ELb0E19rocblas_complex_numIdEPKS1_S3_PS1_EviT_T9_T10_S5_lS7_S5_lS6_T11_S5_li.kd
    .uniform_work_group_size: 1
    .uses_dynamic_stack: false
    .vgpr_count:     68
    .vgpr_spill_count: 0
    .wavefront_size: 32
    .workgroup_processor_mode: 1
  - .args:
      - .offset:         0
        .size:           4
        .value_kind:     by_value
      - .offset:         8
        .size:           8
        .value_kind:     by_value
      - .address_space:  global
        .offset:         16
        .size:           8
        .value_kind:     global_buffer
      - .address_space:  global
        .offset:         24
        .size:           8
        .value_kind:     global_buffer
      - .offset:         32
        .size:           8
        .value_kind:     by_value
      - .offset:         40
        .size:           8
        .value_kind:     by_value
      - .address_space:  global
        .offset:         48
        .size:           8
        .value_kind:     global_buffer
      - .offset:         56
        .size:           8
        .value_kind:     by_value
      - .offset:         64
        .size:           8
        .value_kind:     by_value
      - .address_space:  global
        .offset:         72
        .size:           8
        .value_kind:     global_buffer
      - .address_space:  global
        .offset:         80
        .size:           8
        .value_kind:     global_buffer
      - .offset:         88
        .size:           8
        .value_kind:     by_value
      - .offset:         96
        .size:           8
        .value_kind:     by_value
      - .offset:         104
        .size:           4
        .value_kind:     by_value
    .group_segment_fixed_size: 8192
    .kernarg_segment_align: 8
    .kernarg_segment_size: 108
    .language:       OpenCL C
    .language_version:
      - 2
      - 0
    .max_flat_workgroup_size: 256
    .name:           _ZL29rocblas_internal_gemmt_kernelIlLi16ELi32ELi8ELc78ELc84ELc76ELb0ELb0E19rocblas_complex_numIdEPKS1_S3_PS1_EviT_T9_T10_S5_lS7_S5_lS6_T11_S5_li
    .private_segment_fixed_size: 0
    .sgpr_count:     46
    .sgpr_spill_count: 0
    .symbol:         _ZL29rocblas_internal_gemmt_kernelIlLi16ELi32ELi8ELc78ELc84ELc76ELb0ELb0E19rocblas_complex_numIdEPKS1_S3_PS1_EviT_T9_T10_S5_lS7_S5_lS6_T11_S5_li.kd
    .uniform_work_group_size: 1
    .uses_dynamic_stack: false
    .vgpr_count:     68
    .vgpr_spill_count: 0
    .wavefront_size: 32
    .workgroup_processor_mode: 1
  - .args:
      - .offset:         0
        .size:           4
        .value_kind:     by_value
      - .offset:         8
        .size:           8
        .value_kind:     by_value
      - .address_space:  global
        .offset:         16
        .size:           8
        .value_kind:     global_buffer
      - .address_space:  global
        .offset:         24
        .size:           8
        .value_kind:     global_buffer
      - .offset:         32
        .size:           8
        .value_kind:     by_value
      - .offset:         40
        .size:           8
        .value_kind:     by_value
      - .address_space:  global
        .offset:         48
        .size:           8
        .value_kind:     global_buffer
      - .offset:         56
        .size:           8
        .value_kind:     by_value
      - .offset:         64
        .size:           8
        .value_kind:     by_value
      - .address_space:  global
        .offset:         72
        .size:           8
        .value_kind:     global_buffer
      - .address_space:  global
        .offset:         80
        .size:           8
        .value_kind:     global_buffer
      - .offset:         88
        .size:           8
        .value_kind:     by_value
      - .offset:         96
        .size:           8
        .value_kind:     by_value
      - .offset:         104
        .size:           4
        .value_kind:     by_value
    .group_segment_fixed_size: 8192
    .kernarg_segment_align: 8
    .kernarg_segment_size: 108
    .language:       OpenCL C
    .language_version:
      - 2
      - 0
    .max_flat_workgroup_size: 256
    .name:           _ZL29rocblas_internal_gemmt_kernelIlLi16ELi32ELi8ELc78ELc67ELc76ELb0ELb1E19rocblas_complex_numIdEPKS1_S3_PS1_EviT_T9_T10_S5_lS7_S5_lS6_T11_S5_li
    .private_segment_fixed_size: 0
    .sgpr_count:     46
    .sgpr_spill_count: 0
    .symbol:         _ZL29rocblas_internal_gemmt_kernelIlLi16ELi32ELi8ELc78ELc67ELc76ELb0ELb1E19rocblas_complex_numIdEPKS1_S3_PS1_EviT_T9_T10_S5_lS7_S5_lS6_T11_S5_li.kd
    .uniform_work_group_size: 1
    .uses_dynamic_stack: false
    .vgpr_count:     134
    .vgpr_spill_count: 0
    .wavefront_size: 32
    .workgroup_processor_mode: 1
  - .args:
      - .offset:         0
        .size:           4
        .value_kind:     by_value
      - .offset:         8
        .size:           8
        .value_kind:     by_value
      - .address_space:  global
        .offset:         16
        .size:           8
        .value_kind:     global_buffer
      - .address_space:  global
        .offset:         24
        .size:           8
        .value_kind:     global_buffer
      - .offset:         32
        .size:           8
        .value_kind:     by_value
      - .offset:         40
        .size:           8
        .value_kind:     by_value
      - .address_space:  global
        .offset:         48
        .size:           8
        .value_kind:     global_buffer
      - .offset:         56
        .size:           8
        .value_kind:     by_value
      - .offset:         64
        .size:           8
        .value_kind:     by_value
      - .address_space:  global
        .offset:         72
        .size:           8
        .value_kind:     global_buffer
      - .address_space:  global
        .offset:         80
        .size:           8
        .value_kind:     global_buffer
      - .offset:         88
        .size:           8
        .value_kind:     by_value
      - .offset:         96
        .size:           8
        .value_kind:     by_value
      - .offset:         104
        .size:           4
        .value_kind:     by_value
    .group_segment_fixed_size: 8192
    .kernarg_segment_align: 8
    .kernarg_segment_size: 108
    .language:       OpenCL C
    .language_version:
      - 2
      - 0
    .max_flat_workgroup_size: 256
    .name:           _ZL29rocblas_internal_gemmt_kernelIlLi16ELi32ELi8ELc84ELc78ELc76ELb0ELb0E19rocblas_complex_numIdEPKS1_S3_PS1_EviT_T9_T10_S5_lS7_S5_lS6_T11_S5_li
    .private_segment_fixed_size: 0
    .sgpr_count:     46
    .sgpr_spill_count: 0
    .symbol:         _ZL29rocblas_internal_gemmt_kernelIlLi16ELi32ELi8ELc84ELc78ELc76ELb0ELb0E19rocblas_complex_numIdEPKS1_S3_PS1_EviT_T9_T10_S5_lS7_S5_lS6_T11_S5_li.kd
    .uniform_work_group_size: 1
    .uses_dynamic_stack: false
    .vgpr_count:     68
    .vgpr_spill_count: 0
    .wavefront_size: 32
    .workgroup_processor_mode: 1
  - .args:
      - .offset:         0
        .size:           4
        .value_kind:     by_value
      - .offset:         8
        .size:           8
        .value_kind:     by_value
      - .address_space:  global
        .offset:         16
        .size:           8
        .value_kind:     global_buffer
      - .address_space:  global
        .offset:         24
        .size:           8
        .value_kind:     global_buffer
      - .offset:         32
        .size:           8
        .value_kind:     by_value
      - .offset:         40
        .size:           8
        .value_kind:     by_value
      - .address_space:  global
        .offset:         48
        .size:           8
        .value_kind:     global_buffer
      - .offset:         56
        .size:           8
        .value_kind:     by_value
      - .offset:         64
        .size:           8
        .value_kind:     by_value
      - .address_space:  global
        .offset:         72
        .size:           8
        .value_kind:     global_buffer
      - .address_space:  global
        .offset:         80
        .size:           8
        .value_kind:     global_buffer
      - .offset:         88
        .size:           8
        .value_kind:     by_value
      - .offset:         96
        .size:           8
        .value_kind:     by_value
      - .offset:         104
        .size:           4
        .value_kind:     by_value
    .group_segment_fixed_size: 8192
    .kernarg_segment_align: 8
    .kernarg_segment_size: 108
    .language:       OpenCL C
    .language_version:
      - 2
      - 0
    .max_flat_workgroup_size: 256
    .name:           _ZL29rocblas_internal_gemmt_kernelIlLi16ELi32ELi8ELc84ELc84ELc76ELb0ELb0E19rocblas_complex_numIdEPKS1_S3_PS1_EviT_T9_T10_S5_lS7_S5_lS6_T11_S5_li
    .private_segment_fixed_size: 0
    .sgpr_count:     46
    .sgpr_spill_count: 0
    .symbol:         _ZL29rocblas_internal_gemmt_kernelIlLi16ELi32ELi8ELc84ELc84ELc76ELb0ELb0E19rocblas_complex_numIdEPKS1_S3_PS1_EviT_T9_T10_S5_lS7_S5_lS6_T11_S5_li.kd
    .uniform_work_group_size: 1
    .uses_dynamic_stack: false
    .vgpr_count:     68
    .vgpr_spill_count: 0
    .wavefront_size: 32
    .workgroup_processor_mode: 1
  - .args:
      - .offset:         0
        .size:           4
        .value_kind:     by_value
      - .offset:         8
        .size:           8
        .value_kind:     by_value
      - .address_space:  global
        .offset:         16
        .size:           8
        .value_kind:     global_buffer
      - .address_space:  global
        .offset:         24
        .size:           8
        .value_kind:     global_buffer
      - .offset:         32
        .size:           8
        .value_kind:     by_value
      - .offset:         40
        .size:           8
        .value_kind:     by_value
      - .address_space:  global
        .offset:         48
        .size:           8
        .value_kind:     global_buffer
      - .offset:         56
        .size:           8
        .value_kind:     by_value
      - .offset:         64
        .size:           8
        .value_kind:     by_value
      - .address_space:  global
        .offset:         72
        .size:           8
        .value_kind:     global_buffer
      - .address_space:  global
        .offset:         80
        .size:           8
        .value_kind:     global_buffer
      - .offset:         88
        .size:           8
        .value_kind:     by_value
      - .offset:         96
        .size:           8
        .value_kind:     by_value
      - .offset:         104
        .size:           4
        .value_kind:     by_value
    .group_segment_fixed_size: 8192
    .kernarg_segment_align: 8
    .kernarg_segment_size: 108
    .language:       OpenCL C
    .language_version:
      - 2
      - 0
    .max_flat_workgroup_size: 256
    .name:           _ZL29rocblas_internal_gemmt_kernelIlLi16ELi32ELi8ELc84ELc67ELc76ELb0ELb1E19rocblas_complex_numIdEPKS1_S3_PS1_EviT_T9_T10_S5_lS7_S5_lS6_T11_S5_li
    .private_segment_fixed_size: 0
    .sgpr_count:     46
    .sgpr_spill_count: 0
    .symbol:         _ZL29rocblas_internal_gemmt_kernelIlLi16ELi32ELi8ELc84ELc67ELc76ELb0ELb1E19rocblas_complex_numIdEPKS1_S3_PS1_EviT_T9_T10_S5_lS7_S5_lS6_T11_S5_li.kd
    .uniform_work_group_size: 1
    .uses_dynamic_stack: false
    .vgpr_count:     134
    .vgpr_spill_count: 0
    .wavefront_size: 32
    .workgroup_processor_mode: 1
  - .args:
      - .offset:         0
        .size:           4
        .value_kind:     by_value
      - .offset:         8
        .size:           8
        .value_kind:     by_value
      - .address_space:  global
        .offset:         16
        .size:           8
        .value_kind:     global_buffer
      - .address_space:  global
        .offset:         24
        .size:           8
        .value_kind:     global_buffer
      - .offset:         32
        .size:           8
        .value_kind:     by_value
      - .offset:         40
        .size:           8
        .value_kind:     by_value
      - .address_space:  global
        .offset:         48
        .size:           8
        .value_kind:     global_buffer
      - .offset:         56
        .size:           8
        .value_kind:     by_value
      - .offset:         64
        .size:           8
        .value_kind:     by_value
      - .address_space:  global
        .offset:         72
        .size:           8
        .value_kind:     global_buffer
      - .address_space:  global
        .offset:         80
        .size:           8
        .value_kind:     global_buffer
      - .offset:         88
        .size:           8
        .value_kind:     by_value
      - .offset:         96
        .size:           8
        .value_kind:     by_value
      - .offset:         104
        .size:           4
        .value_kind:     by_value
    .group_segment_fixed_size: 8192
    .kernarg_segment_align: 8
    .kernarg_segment_size: 108
    .language:       OpenCL C
    .language_version:
      - 2
      - 0
    .max_flat_workgroup_size: 256
    .name:           _ZL29rocblas_internal_gemmt_kernelIlLi16ELi32ELi8ELc67ELc78ELc76ELb1ELb0E19rocblas_complex_numIdEPKS1_S3_PS1_EviT_T9_T10_S5_lS7_S5_lS6_T11_S5_li
    .private_segment_fixed_size: 0
    .sgpr_count:     46
    .sgpr_spill_count: 0
    .symbol:         _ZL29rocblas_internal_gemmt_kernelIlLi16ELi32ELi8ELc67ELc78ELc76ELb1ELb0E19rocblas_complex_numIdEPKS1_S3_PS1_EviT_T9_T10_S5_lS7_S5_lS6_T11_S5_li.kd
    .uniform_work_group_size: 1
    .uses_dynamic_stack: false
    .vgpr_count:     132
    .vgpr_spill_count: 0
    .wavefront_size: 32
    .workgroup_processor_mode: 1
  - .args:
      - .offset:         0
        .size:           4
        .value_kind:     by_value
      - .offset:         8
        .size:           8
        .value_kind:     by_value
      - .address_space:  global
        .offset:         16
        .size:           8
        .value_kind:     global_buffer
      - .address_space:  global
        .offset:         24
        .size:           8
        .value_kind:     global_buffer
      - .offset:         32
        .size:           8
        .value_kind:     by_value
      - .offset:         40
        .size:           8
        .value_kind:     by_value
      - .address_space:  global
        .offset:         48
        .size:           8
        .value_kind:     global_buffer
      - .offset:         56
        .size:           8
        .value_kind:     by_value
      - .offset:         64
        .size:           8
        .value_kind:     by_value
      - .address_space:  global
        .offset:         72
        .size:           8
        .value_kind:     global_buffer
      - .address_space:  global
        .offset:         80
        .size:           8
        .value_kind:     global_buffer
      - .offset:         88
        .size:           8
        .value_kind:     by_value
      - .offset:         96
        .size:           8
        .value_kind:     by_value
      - .offset:         104
        .size:           4
        .value_kind:     by_value
    .group_segment_fixed_size: 8192
    .kernarg_segment_align: 8
    .kernarg_segment_size: 108
    .language:       OpenCL C
    .language_version:
      - 2
      - 0
    .max_flat_workgroup_size: 256
    .name:           _ZL29rocblas_internal_gemmt_kernelIlLi16ELi32ELi8ELc67ELc84ELc76ELb1ELb0E19rocblas_complex_numIdEPKS1_S3_PS1_EviT_T9_T10_S5_lS7_S5_lS6_T11_S5_li
    .private_segment_fixed_size: 0
    .sgpr_count:     46
    .sgpr_spill_count: 0
    .symbol:         _ZL29rocblas_internal_gemmt_kernelIlLi16ELi32ELi8ELc67ELc84ELc76ELb1ELb0E19rocblas_complex_numIdEPKS1_S3_PS1_EviT_T9_T10_S5_lS7_S5_lS6_T11_S5_li.kd
    .uniform_work_group_size: 1
    .uses_dynamic_stack: false
    .vgpr_count:     132
    .vgpr_spill_count: 0
    .wavefront_size: 32
    .workgroup_processor_mode: 1
  - .args:
      - .offset:         0
        .size:           4
        .value_kind:     by_value
      - .offset:         8
        .size:           8
        .value_kind:     by_value
      - .address_space:  global
        .offset:         16
        .size:           8
        .value_kind:     global_buffer
      - .address_space:  global
        .offset:         24
        .size:           8
        .value_kind:     global_buffer
      - .offset:         32
        .size:           8
        .value_kind:     by_value
      - .offset:         40
        .size:           8
        .value_kind:     by_value
      - .address_space:  global
        .offset:         48
        .size:           8
        .value_kind:     global_buffer
      - .offset:         56
        .size:           8
        .value_kind:     by_value
      - .offset:         64
        .size:           8
        .value_kind:     by_value
      - .address_space:  global
        .offset:         72
        .size:           8
        .value_kind:     global_buffer
      - .address_space:  global
        .offset:         80
        .size:           8
        .value_kind:     global_buffer
      - .offset:         88
        .size:           8
        .value_kind:     by_value
      - .offset:         96
        .size:           8
        .value_kind:     by_value
      - .offset:         104
        .size:           4
        .value_kind:     by_value
    .group_segment_fixed_size: 8192
    .kernarg_segment_align: 8
    .kernarg_segment_size: 108
    .language:       OpenCL C
    .language_version:
      - 2
      - 0
    .max_flat_workgroup_size: 256
    .name:           _ZL29rocblas_internal_gemmt_kernelIlLi16ELi32ELi8ELc67ELc67ELc76ELb1ELb1E19rocblas_complex_numIdEPKS1_S3_PS1_EviT_T9_T10_S5_lS7_S5_lS6_T11_S5_li
    .private_segment_fixed_size: 0
    .sgpr_count:     46
    .sgpr_spill_count: 0
    .symbol:         _ZL29rocblas_internal_gemmt_kernelIlLi16ELi32ELi8ELc67ELc67ELc76ELb1ELb1E19rocblas_complex_numIdEPKS1_S3_PS1_EviT_T9_T10_S5_lS7_S5_lS6_T11_S5_li.kd
    .uniform_work_group_size: 1
    .uses_dynamic_stack: false
    .vgpr_count:     132
    .vgpr_spill_count: 0
    .wavefront_size: 32
    .workgroup_processor_mode: 1
  - .args:
      - .offset:         0
        .size:           4
        .value_kind:     by_value
      - .offset:         8
        .size:           8
        .value_kind:     by_value
      - .offset:         16
        .size:           16
        .value_kind:     by_value
      - .address_space:  global
        .offset:         32
        .size:           8
        .value_kind:     global_buffer
      - .offset:         40
        .size:           8
        .value_kind:     by_value
      - .offset:         48
        .size:           8
        .value_kind:     by_value
      - .address_space:  global
        .offset:         56
        .size:           8
        .value_kind:     global_buffer
      - .offset:         64
        .size:           8
        .value_kind:     by_value
      - .offset:         72
        .size:           8
        .value_kind:     by_value
      - .offset:         80
        .size:           16
        .value_kind:     by_value
      - .address_space:  global
        .offset:         96
        .size:           8
        .value_kind:     global_buffer
      - .offset:         104
        .size:           8
        .value_kind:     by_value
      - .offset:         112
        .size:           8
        .value_kind:     by_value
      - .offset:         120
        .size:           4
        .value_kind:     by_value
    .group_segment_fixed_size: 8192
    .kernarg_segment_align: 8
    .kernarg_segment_size: 124
    .language:       OpenCL C
    .language_version:
      - 2
      - 0
    .max_flat_workgroup_size: 256
    .name:           _ZL29rocblas_internal_gemmt_kernelIlLi16ELi32ELi8ELc78ELc78ELc85ELb0ELb0E19rocblas_complex_numIdES1_PKS1_PS1_EviT_T9_T10_S5_lS7_S5_lS6_T11_S5_li
    .private_segment_fixed_size: 0
    .sgpr_count:     41
    .sgpr_spill_count: 0
    .symbol:         _ZL29rocblas_internal_gemmt_kernelIlLi16ELi32ELi8ELc78ELc78ELc85ELb0ELb0E19rocblas_complex_numIdES1_PKS1_PS1_EviT_T9_T10_S5_lS7_S5_lS6_T11_S5_li.kd
    .uniform_work_group_size: 1
    .uses_dynamic_stack: false
    .vgpr_count:     68
    .vgpr_spill_count: 0
    .wavefront_size: 32
    .workgroup_processor_mode: 1
  - .args:
      - .offset:         0
        .size:           4
        .value_kind:     by_value
      - .offset:         8
        .size:           8
        .value_kind:     by_value
      - .offset:         16
        .size:           16
        .value_kind:     by_value
      - .address_space:  global
        .offset:         32
        .size:           8
        .value_kind:     global_buffer
      - .offset:         40
        .size:           8
        .value_kind:     by_value
      - .offset:         48
        .size:           8
        .value_kind:     by_value
      - .address_space:  global
        .offset:         56
        .size:           8
        .value_kind:     global_buffer
      - .offset:         64
        .size:           8
        .value_kind:     by_value
      - .offset:         72
        .size:           8
        .value_kind:     by_value
      - .offset:         80
        .size:           16
        .value_kind:     by_value
      - .address_space:  global
        .offset:         96
        .size:           8
        .value_kind:     global_buffer
      - .offset:         104
        .size:           8
        .value_kind:     by_value
      - .offset:         112
        .size:           8
        .value_kind:     by_value
      - .offset:         120
        .size:           4
        .value_kind:     by_value
    .group_segment_fixed_size: 8192
    .kernarg_segment_align: 8
    .kernarg_segment_size: 124
    .language:       OpenCL C
    .language_version:
      - 2
      - 0
    .max_flat_workgroup_size: 256
    .name:           _ZL29rocblas_internal_gemmt_kernelIlLi16ELi32ELi8ELc78ELc84ELc85ELb0ELb0E19rocblas_complex_numIdES1_PKS1_PS1_EviT_T9_T10_S5_lS7_S5_lS6_T11_S5_li
    .private_segment_fixed_size: 0
    .sgpr_count:     43
    .sgpr_spill_count: 0
    .symbol:         _ZL29rocblas_internal_gemmt_kernelIlLi16ELi32ELi8ELc78ELc84ELc85ELb0ELb0E19rocblas_complex_numIdES1_PKS1_PS1_EviT_T9_T10_S5_lS7_S5_lS6_T11_S5_li.kd
    .uniform_work_group_size: 1
    .uses_dynamic_stack: false
    .vgpr_count:     68
    .vgpr_spill_count: 0
    .wavefront_size: 32
    .workgroup_processor_mode: 1
  - .args:
      - .offset:         0
        .size:           4
        .value_kind:     by_value
      - .offset:         8
        .size:           8
        .value_kind:     by_value
      - .offset:         16
        .size:           16
        .value_kind:     by_value
      - .address_space:  global
        .offset:         32
        .size:           8
        .value_kind:     global_buffer
      - .offset:         40
        .size:           8
        .value_kind:     by_value
      - .offset:         48
        .size:           8
        .value_kind:     by_value
      - .address_space:  global
        .offset:         56
        .size:           8
        .value_kind:     global_buffer
      - .offset:         64
        .size:           8
        .value_kind:     by_value
      - .offset:         72
        .size:           8
        .value_kind:     by_value
      - .offset:         80
        .size:           16
        .value_kind:     by_value
      - .address_space:  global
        .offset:         96
        .size:           8
        .value_kind:     global_buffer
      - .offset:         104
        .size:           8
        .value_kind:     by_value
      - .offset:         112
        .size:           8
        .value_kind:     by_value
      - .offset:         120
        .size:           4
        .value_kind:     by_value
    .group_segment_fixed_size: 8192
    .kernarg_segment_align: 8
    .kernarg_segment_size: 124
    .language:       OpenCL C
    .language_version:
      - 2
      - 0
    .max_flat_workgroup_size: 256
    .name:           _ZL29rocblas_internal_gemmt_kernelIlLi16ELi32ELi8ELc78ELc67ELc85ELb0ELb1E19rocblas_complex_numIdES1_PKS1_PS1_EviT_T9_T10_S5_lS7_S5_lS6_T11_S5_li
    .private_segment_fixed_size: 0
    .sgpr_count:     43
    .sgpr_spill_count: 0
    .symbol:         _ZL29rocblas_internal_gemmt_kernelIlLi16ELi32ELi8ELc78ELc67ELc85ELb0ELb1E19rocblas_complex_numIdES1_PKS1_PS1_EviT_T9_T10_S5_lS7_S5_lS6_T11_S5_li.kd
    .uniform_work_group_size: 1
    .uses_dynamic_stack: false
    .vgpr_count:     134
    .vgpr_spill_count: 0
    .wavefront_size: 32
    .workgroup_processor_mode: 1
  - .args:
      - .offset:         0
        .size:           4
        .value_kind:     by_value
      - .offset:         8
        .size:           8
        .value_kind:     by_value
      - .offset:         16
        .size:           16
        .value_kind:     by_value
      - .address_space:  global
        .offset:         32
        .size:           8
        .value_kind:     global_buffer
      - .offset:         40
        .size:           8
        .value_kind:     by_value
      - .offset:         48
        .size:           8
        .value_kind:     by_value
      - .address_space:  global
        .offset:         56
        .size:           8
        .value_kind:     global_buffer
      - .offset:         64
        .size:           8
        .value_kind:     by_value
      - .offset:         72
        .size:           8
        .value_kind:     by_value
      - .offset:         80
        .size:           16
        .value_kind:     by_value
      - .address_space:  global
        .offset:         96
        .size:           8
        .value_kind:     global_buffer
      - .offset:         104
        .size:           8
        .value_kind:     by_value
      - .offset:         112
        .size:           8
        .value_kind:     by_value
      - .offset:         120
        .size:           4
        .value_kind:     by_value
    .group_segment_fixed_size: 8192
    .kernarg_segment_align: 8
    .kernarg_segment_size: 124
    .language:       OpenCL C
    .language_version:
      - 2
      - 0
    .max_flat_workgroup_size: 256
    .name:           _ZL29rocblas_internal_gemmt_kernelIlLi16ELi32ELi8ELc84ELc78ELc85ELb0ELb0E19rocblas_complex_numIdES1_PKS1_PS1_EviT_T9_T10_S5_lS7_S5_lS6_T11_S5_li
    .private_segment_fixed_size: 0
    .sgpr_count:     42
    .sgpr_spill_count: 0
    .symbol:         _ZL29rocblas_internal_gemmt_kernelIlLi16ELi32ELi8ELc84ELc78ELc85ELb0ELb0E19rocblas_complex_numIdES1_PKS1_PS1_EviT_T9_T10_S5_lS7_S5_lS6_T11_S5_li.kd
    .uniform_work_group_size: 1
    .uses_dynamic_stack: false
    .vgpr_count:     68
    .vgpr_spill_count: 0
    .wavefront_size: 32
    .workgroup_processor_mode: 1
  - .args:
      - .offset:         0
        .size:           4
        .value_kind:     by_value
      - .offset:         8
        .size:           8
        .value_kind:     by_value
      - .offset:         16
        .size:           16
        .value_kind:     by_value
      - .address_space:  global
        .offset:         32
        .size:           8
        .value_kind:     global_buffer
      - .offset:         40
        .size:           8
        .value_kind:     by_value
      - .offset:         48
        .size:           8
        .value_kind:     by_value
      - .address_space:  global
        .offset:         56
        .size:           8
        .value_kind:     global_buffer
      - .offset:         64
        .size:           8
        .value_kind:     by_value
      - .offset:         72
        .size:           8
        .value_kind:     by_value
      - .offset:         80
        .size:           16
        .value_kind:     by_value
      - .address_space:  global
        .offset:         96
        .size:           8
        .value_kind:     global_buffer
      - .offset:         104
        .size:           8
        .value_kind:     by_value
      - .offset:         112
        .size:           8
        .value_kind:     by_value
      - .offset:         120
        .size:           4
        .value_kind:     by_value
    .group_segment_fixed_size: 8192
    .kernarg_segment_align: 8
    .kernarg_segment_size: 124
    .language:       OpenCL C
    .language_version:
      - 2
      - 0
    .max_flat_workgroup_size: 256
    .name:           _ZL29rocblas_internal_gemmt_kernelIlLi16ELi32ELi8ELc84ELc84ELc85ELb0ELb0E19rocblas_complex_numIdES1_PKS1_PS1_EviT_T9_T10_S5_lS7_S5_lS6_T11_S5_li
    .private_segment_fixed_size: 0
    .sgpr_count:     42
    .sgpr_spill_count: 0
    .symbol:         _ZL29rocblas_internal_gemmt_kernelIlLi16ELi32ELi8ELc84ELc84ELc85ELb0ELb0E19rocblas_complex_numIdES1_PKS1_PS1_EviT_T9_T10_S5_lS7_S5_lS6_T11_S5_li.kd
    .uniform_work_group_size: 1
    .uses_dynamic_stack: false
    .vgpr_count:     68
    .vgpr_spill_count: 0
    .wavefront_size: 32
    .workgroup_processor_mode: 1
  - .args:
      - .offset:         0
        .size:           4
        .value_kind:     by_value
      - .offset:         8
        .size:           8
        .value_kind:     by_value
      - .offset:         16
        .size:           16
        .value_kind:     by_value
      - .address_space:  global
        .offset:         32
        .size:           8
        .value_kind:     global_buffer
      - .offset:         40
        .size:           8
        .value_kind:     by_value
      - .offset:         48
        .size:           8
        .value_kind:     by_value
      - .address_space:  global
        .offset:         56
        .size:           8
        .value_kind:     global_buffer
      - .offset:         64
        .size:           8
        .value_kind:     by_value
      - .offset:         72
        .size:           8
        .value_kind:     by_value
      - .offset:         80
        .size:           16
        .value_kind:     by_value
      - .address_space:  global
        .offset:         96
        .size:           8
        .value_kind:     global_buffer
      - .offset:         104
        .size:           8
        .value_kind:     by_value
      - .offset:         112
        .size:           8
        .value_kind:     by_value
      - .offset:         120
        .size:           4
        .value_kind:     by_value
    .group_segment_fixed_size: 8192
    .kernarg_segment_align: 8
    .kernarg_segment_size: 124
    .language:       OpenCL C
    .language_version:
      - 2
      - 0
    .max_flat_workgroup_size: 256
    .name:           _ZL29rocblas_internal_gemmt_kernelIlLi16ELi32ELi8ELc84ELc67ELc85ELb0ELb1E19rocblas_complex_numIdES1_PKS1_PS1_EviT_T9_T10_S5_lS7_S5_lS6_T11_S5_li
    .private_segment_fixed_size: 0
    .sgpr_count:     42
    .sgpr_spill_count: 0
    .symbol:         _ZL29rocblas_internal_gemmt_kernelIlLi16ELi32ELi8ELc84ELc67ELc85ELb0ELb1E19rocblas_complex_numIdES1_PKS1_PS1_EviT_T9_T10_S5_lS7_S5_lS6_T11_S5_li.kd
    .uniform_work_group_size: 1
    .uses_dynamic_stack: false
    .vgpr_count:     134
    .vgpr_spill_count: 0
    .wavefront_size: 32
    .workgroup_processor_mode: 1
  - .args:
      - .offset:         0
        .size:           4
        .value_kind:     by_value
      - .offset:         8
        .size:           8
        .value_kind:     by_value
      - .offset:         16
        .size:           16
        .value_kind:     by_value
      - .address_space:  global
        .offset:         32
        .size:           8
        .value_kind:     global_buffer
      - .offset:         40
        .size:           8
        .value_kind:     by_value
      - .offset:         48
        .size:           8
        .value_kind:     by_value
      - .address_space:  global
        .offset:         56
        .size:           8
        .value_kind:     global_buffer
      - .offset:         64
        .size:           8
        .value_kind:     by_value
      - .offset:         72
        .size:           8
        .value_kind:     by_value
      - .offset:         80
        .size:           16
        .value_kind:     by_value
      - .address_space:  global
        .offset:         96
        .size:           8
        .value_kind:     global_buffer
      - .offset:         104
        .size:           8
        .value_kind:     by_value
      - .offset:         112
        .size:           8
        .value_kind:     by_value
      - .offset:         120
        .size:           4
        .value_kind:     by_value
    .group_segment_fixed_size: 8192
    .kernarg_segment_align: 8
    .kernarg_segment_size: 124
    .language:       OpenCL C
    .language_version:
      - 2
      - 0
    .max_flat_workgroup_size: 256
    .name:           _ZL29rocblas_internal_gemmt_kernelIlLi16ELi32ELi8ELc67ELc78ELc85ELb1ELb0E19rocblas_complex_numIdES1_PKS1_PS1_EviT_T9_T10_S5_lS7_S5_lS6_T11_S5_li
    .private_segment_fixed_size: 0
    .sgpr_count:     42
    .sgpr_spill_count: 0
    .symbol:         _ZL29rocblas_internal_gemmt_kernelIlLi16ELi32ELi8ELc67ELc78ELc85ELb1ELb0E19rocblas_complex_numIdES1_PKS1_PS1_EviT_T9_T10_S5_lS7_S5_lS6_T11_S5_li.kd
    .uniform_work_group_size: 1
    .uses_dynamic_stack: false
    .vgpr_count:     132
    .vgpr_spill_count: 0
    .wavefront_size: 32
    .workgroup_processor_mode: 1
  - .args:
      - .offset:         0
        .size:           4
        .value_kind:     by_value
      - .offset:         8
        .size:           8
        .value_kind:     by_value
      - .offset:         16
        .size:           16
        .value_kind:     by_value
      - .address_space:  global
        .offset:         32
        .size:           8
        .value_kind:     global_buffer
      - .offset:         40
        .size:           8
        .value_kind:     by_value
      - .offset:         48
        .size:           8
        .value_kind:     by_value
      - .address_space:  global
        .offset:         56
        .size:           8
        .value_kind:     global_buffer
      - .offset:         64
        .size:           8
        .value_kind:     by_value
      - .offset:         72
        .size:           8
        .value_kind:     by_value
      - .offset:         80
        .size:           16
        .value_kind:     by_value
      - .address_space:  global
        .offset:         96
        .size:           8
        .value_kind:     global_buffer
      - .offset:         104
        .size:           8
        .value_kind:     by_value
      - .offset:         112
        .size:           8
        .value_kind:     by_value
      - .offset:         120
        .size:           4
        .value_kind:     by_value
    .group_segment_fixed_size: 8192
    .kernarg_segment_align: 8
    .kernarg_segment_size: 124
    .language:       OpenCL C
    .language_version:
      - 2
      - 0
    .max_flat_workgroup_size: 256
    .name:           _ZL29rocblas_internal_gemmt_kernelIlLi16ELi32ELi8ELc67ELc84ELc85ELb1ELb0E19rocblas_complex_numIdES1_PKS1_PS1_EviT_T9_T10_S5_lS7_S5_lS6_T11_S5_li
    .private_segment_fixed_size: 0
    .sgpr_count:     42
    .sgpr_spill_count: 0
    .symbol:         _ZL29rocblas_internal_gemmt_kernelIlLi16ELi32ELi8ELc67ELc84ELc85ELb1ELb0E19rocblas_complex_numIdES1_PKS1_PS1_EviT_T9_T10_S5_lS7_S5_lS6_T11_S5_li.kd
    .uniform_work_group_size: 1
    .uses_dynamic_stack: false
    .vgpr_count:     132
    .vgpr_spill_count: 0
    .wavefront_size: 32
    .workgroup_processor_mode: 1
  - .args:
      - .offset:         0
        .size:           4
        .value_kind:     by_value
      - .offset:         8
        .size:           8
        .value_kind:     by_value
      - .offset:         16
        .size:           16
        .value_kind:     by_value
      - .address_space:  global
        .offset:         32
        .size:           8
        .value_kind:     global_buffer
      - .offset:         40
        .size:           8
        .value_kind:     by_value
      - .offset:         48
        .size:           8
        .value_kind:     by_value
      - .address_space:  global
        .offset:         56
        .size:           8
        .value_kind:     global_buffer
      - .offset:         64
        .size:           8
        .value_kind:     by_value
      - .offset:         72
        .size:           8
        .value_kind:     by_value
      - .offset:         80
        .size:           16
        .value_kind:     by_value
      - .address_space:  global
        .offset:         96
        .size:           8
        .value_kind:     global_buffer
      - .offset:         104
        .size:           8
        .value_kind:     by_value
      - .offset:         112
        .size:           8
        .value_kind:     by_value
      - .offset:         120
        .size:           4
        .value_kind:     by_value
    .group_segment_fixed_size: 8192
    .kernarg_segment_align: 8
    .kernarg_segment_size: 124
    .language:       OpenCL C
    .language_version:
      - 2
      - 0
    .max_flat_workgroup_size: 256
    .name:           _ZL29rocblas_internal_gemmt_kernelIlLi16ELi32ELi8ELc67ELc67ELc85ELb1ELb1E19rocblas_complex_numIdES1_PKS1_PS1_EviT_T9_T10_S5_lS7_S5_lS6_T11_S5_li
    .private_segment_fixed_size: 0
    .sgpr_count:     42
    .sgpr_spill_count: 0
    .symbol:         _ZL29rocblas_internal_gemmt_kernelIlLi16ELi32ELi8ELc67ELc67ELc85ELb1ELb1E19rocblas_complex_numIdES1_PKS1_PS1_EviT_T9_T10_S5_lS7_S5_lS6_T11_S5_li.kd
    .uniform_work_group_size: 1
    .uses_dynamic_stack: false
    .vgpr_count:     132
    .vgpr_spill_count: 0
    .wavefront_size: 32
    .workgroup_processor_mode: 1
  - .args:
      - .offset:         0
        .size:           4
        .value_kind:     by_value
      - .offset:         8
        .size:           8
        .value_kind:     by_value
      - .offset:         16
        .size:           16
        .value_kind:     by_value
      - .address_space:  global
        .offset:         32
        .size:           8
        .value_kind:     global_buffer
      - .offset:         40
        .size:           8
        .value_kind:     by_value
      - .offset:         48
        .size:           8
        .value_kind:     by_value
      - .address_space:  global
        .offset:         56
        .size:           8
        .value_kind:     global_buffer
      - .offset:         64
        .size:           8
        .value_kind:     by_value
      - .offset:         72
        .size:           8
        .value_kind:     by_value
      - .offset:         80
        .size:           16
        .value_kind:     by_value
      - .address_space:  global
        .offset:         96
        .size:           8
        .value_kind:     global_buffer
      - .offset:         104
        .size:           8
        .value_kind:     by_value
      - .offset:         112
        .size:           8
        .value_kind:     by_value
      - .offset:         120
        .size:           4
        .value_kind:     by_value
    .group_segment_fixed_size: 8192
    .kernarg_segment_align: 8
    .kernarg_segment_size: 124
    .language:       OpenCL C
    .language_version:
      - 2
      - 0
    .max_flat_workgroup_size: 256
    .name:           _ZL29rocblas_internal_gemmt_kernelIlLi16ELi32ELi8ELc78ELc78ELc76ELb0ELb0E19rocblas_complex_numIdES1_PKS1_PS1_EviT_T9_T10_S5_lS7_S5_lS6_T11_S5_li
    .private_segment_fixed_size: 0
    .sgpr_count:     41
    .sgpr_spill_count: 0
    .symbol:         _ZL29rocblas_internal_gemmt_kernelIlLi16ELi32ELi8ELc78ELc78ELc76ELb0ELb0E19rocblas_complex_numIdES1_PKS1_PS1_EviT_T9_T10_S5_lS7_S5_lS6_T11_S5_li.kd
    .uniform_work_group_size: 1
    .uses_dynamic_stack: false
    .vgpr_count:     68
    .vgpr_spill_count: 0
    .wavefront_size: 32
    .workgroup_processor_mode: 1
  - .args:
      - .offset:         0
        .size:           4
        .value_kind:     by_value
      - .offset:         8
        .size:           8
        .value_kind:     by_value
      - .offset:         16
        .size:           16
        .value_kind:     by_value
      - .address_space:  global
        .offset:         32
        .size:           8
        .value_kind:     global_buffer
      - .offset:         40
        .size:           8
        .value_kind:     by_value
      - .offset:         48
        .size:           8
        .value_kind:     by_value
      - .address_space:  global
        .offset:         56
        .size:           8
        .value_kind:     global_buffer
      - .offset:         64
        .size:           8
        .value_kind:     by_value
      - .offset:         72
        .size:           8
        .value_kind:     by_value
      - .offset:         80
        .size:           16
        .value_kind:     by_value
      - .address_space:  global
        .offset:         96
        .size:           8
        .value_kind:     global_buffer
      - .offset:         104
        .size:           8
        .value_kind:     by_value
      - .offset:         112
        .size:           8
        .value_kind:     by_value
      - .offset:         120
        .size:           4
        .value_kind:     by_value
    .group_segment_fixed_size: 8192
    .kernarg_segment_align: 8
    .kernarg_segment_size: 124
    .language:       OpenCL C
    .language_version:
      - 2
      - 0
    .max_flat_workgroup_size: 256
    .name:           _ZL29rocblas_internal_gemmt_kernelIlLi16ELi32ELi8ELc78ELc84ELc76ELb0ELb0E19rocblas_complex_numIdES1_PKS1_PS1_EviT_T9_T10_S5_lS7_S5_lS6_T11_S5_li
    .private_segment_fixed_size: 0
    .sgpr_count:     43
    .sgpr_spill_count: 0
    .symbol:         _ZL29rocblas_internal_gemmt_kernelIlLi16ELi32ELi8ELc78ELc84ELc76ELb0ELb0E19rocblas_complex_numIdES1_PKS1_PS1_EviT_T9_T10_S5_lS7_S5_lS6_T11_S5_li.kd
    .uniform_work_group_size: 1
    .uses_dynamic_stack: false
    .vgpr_count:     68
    .vgpr_spill_count: 0
    .wavefront_size: 32
    .workgroup_processor_mode: 1
  - .args:
      - .offset:         0
        .size:           4
        .value_kind:     by_value
      - .offset:         8
        .size:           8
        .value_kind:     by_value
      - .offset:         16
        .size:           16
        .value_kind:     by_value
      - .address_space:  global
        .offset:         32
        .size:           8
        .value_kind:     global_buffer
      - .offset:         40
        .size:           8
        .value_kind:     by_value
      - .offset:         48
        .size:           8
        .value_kind:     by_value
      - .address_space:  global
        .offset:         56
        .size:           8
        .value_kind:     global_buffer
      - .offset:         64
        .size:           8
        .value_kind:     by_value
      - .offset:         72
        .size:           8
        .value_kind:     by_value
      - .offset:         80
        .size:           16
        .value_kind:     by_value
      - .address_space:  global
        .offset:         96
        .size:           8
        .value_kind:     global_buffer
      - .offset:         104
        .size:           8
        .value_kind:     by_value
      - .offset:         112
        .size:           8
        .value_kind:     by_value
      - .offset:         120
        .size:           4
        .value_kind:     by_value
    .group_segment_fixed_size: 8192
    .kernarg_segment_align: 8
    .kernarg_segment_size: 124
    .language:       OpenCL C
    .language_version:
      - 2
      - 0
    .max_flat_workgroup_size: 256
    .name:           _ZL29rocblas_internal_gemmt_kernelIlLi16ELi32ELi8ELc78ELc67ELc76ELb0ELb1E19rocblas_complex_numIdES1_PKS1_PS1_EviT_T9_T10_S5_lS7_S5_lS6_T11_S5_li
    .private_segment_fixed_size: 0
    .sgpr_count:     43
    .sgpr_spill_count: 0
    .symbol:         _ZL29rocblas_internal_gemmt_kernelIlLi16ELi32ELi8ELc78ELc67ELc76ELb0ELb1E19rocblas_complex_numIdES1_PKS1_PS1_EviT_T9_T10_S5_lS7_S5_lS6_T11_S5_li.kd
    .uniform_work_group_size: 1
    .uses_dynamic_stack: false
    .vgpr_count:     134
    .vgpr_spill_count: 0
    .wavefront_size: 32
    .workgroup_processor_mode: 1
  - .args:
      - .offset:         0
        .size:           4
        .value_kind:     by_value
      - .offset:         8
        .size:           8
        .value_kind:     by_value
      - .offset:         16
        .size:           16
        .value_kind:     by_value
      - .address_space:  global
        .offset:         32
        .size:           8
        .value_kind:     global_buffer
      - .offset:         40
        .size:           8
        .value_kind:     by_value
      - .offset:         48
        .size:           8
        .value_kind:     by_value
      - .address_space:  global
        .offset:         56
        .size:           8
        .value_kind:     global_buffer
      - .offset:         64
        .size:           8
        .value_kind:     by_value
      - .offset:         72
        .size:           8
        .value_kind:     by_value
      - .offset:         80
        .size:           16
        .value_kind:     by_value
      - .address_space:  global
        .offset:         96
        .size:           8
        .value_kind:     global_buffer
      - .offset:         104
        .size:           8
        .value_kind:     by_value
      - .offset:         112
        .size:           8
        .value_kind:     by_value
      - .offset:         120
        .size:           4
        .value_kind:     by_value
    .group_segment_fixed_size: 8192
    .kernarg_segment_align: 8
    .kernarg_segment_size: 124
    .language:       OpenCL C
    .language_version:
      - 2
      - 0
    .max_flat_workgroup_size: 256
    .name:           _ZL29rocblas_internal_gemmt_kernelIlLi16ELi32ELi8ELc84ELc78ELc76ELb0ELb0E19rocblas_complex_numIdES1_PKS1_PS1_EviT_T9_T10_S5_lS7_S5_lS6_T11_S5_li
    .private_segment_fixed_size: 0
    .sgpr_count:     42
    .sgpr_spill_count: 0
    .symbol:         _ZL29rocblas_internal_gemmt_kernelIlLi16ELi32ELi8ELc84ELc78ELc76ELb0ELb0E19rocblas_complex_numIdES1_PKS1_PS1_EviT_T9_T10_S5_lS7_S5_lS6_T11_S5_li.kd
    .uniform_work_group_size: 1
    .uses_dynamic_stack: false
    .vgpr_count:     68
    .vgpr_spill_count: 0
    .wavefront_size: 32
    .workgroup_processor_mode: 1
  - .args:
      - .offset:         0
        .size:           4
        .value_kind:     by_value
      - .offset:         8
        .size:           8
        .value_kind:     by_value
      - .offset:         16
        .size:           16
        .value_kind:     by_value
      - .address_space:  global
        .offset:         32
        .size:           8
        .value_kind:     global_buffer
      - .offset:         40
        .size:           8
        .value_kind:     by_value
      - .offset:         48
        .size:           8
        .value_kind:     by_value
      - .address_space:  global
        .offset:         56
        .size:           8
        .value_kind:     global_buffer
      - .offset:         64
        .size:           8
        .value_kind:     by_value
      - .offset:         72
        .size:           8
        .value_kind:     by_value
      - .offset:         80
        .size:           16
        .value_kind:     by_value
      - .address_space:  global
        .offset:         96
        .size:           8
        .value_kind:     global_buffer
      - .offset:         104
        .size:           8
        .value_kind:     by_value
      - .offset:         112
        .size:           8
        .value_kind:     by_value
      - .offset:         120
        .size:           4
        .value_kind:     by_value
    .group_segment_fixed_size: 8192
    .kernarg_segment_align: 8
    .kernarg_segment_size: 124
    .language:       OpenCL C
    .language_version:
      - 2
      - 0
    .max_flat_workgroup_size: 256
    .name:           _ZL29rocblas_internal_gemmt_kernelIlLi16ELi32ELi8ELc84ELc84ELc76ELb0ELb0E19rocblas_complex_numIdES1_PKS1_PS1_EviT_T9_T10_S5_lS7_S5_lS6_T11_S5_li
    .private_segment_fixed_size: 0
    .sgpr_count:     42
    .sgpr_spill_count: 0
    .symbol:         _ZL29rocblas_internal_gemmt_kernelIlLi16ELi32ELi8ELc84ELc84ELc76ELb0ELb0E19rocblas_complex_numIdES1_PKS1_PS1_EviT_T9_T10_S5_lS7_S5_lS6_T11_S5_li.kd
    .uniform_work_group_size: 1
    .uses_dynamic_stack: false
    .vgpr_count:     68
    .vgpr_spill_count: 0
    .wavefront_size: 32
    .workgroup_processor_mode: 1
  - .args:
      - .offset:         0
        .size:           4
        .value_kind:     by_value
      - .offset:         8
        .size:           8
        .value_kind:     by_value
      - .offset:         16
        .size:           16
        .value_kind:     by_value
      - .address_space:  global
        .offset:         32
        .size:           8
        .value_kind:     global_buffer
      - .offset:         40
        .size:           8
        .value_kind:     by_value
      - .offset:         48
        .size:           8
        .value_kind:     by_value
      - .address_space:  global
        .offset:         56
        .size:           8
        .value_kind:     global_buffer
      - .offset:         64
        .size:           8
        .value_kind:     by_value
      - .offset:         72
        .size:           8
        .value_kind:     by_value
      - .offset:         80
        .size:           16
        .value_kind:     by_value
      - .address_space:  global
        .offset:         96
        .size:           8
        .value_kind:     global_buffer
      - .offset:         104
        .size:           8
        .value_kind:     by_value
      - .offset:         112
        .size:           8
        .value_kind:     by_value
      - .offset:         120
        .size:           4
        .value_kind:     by_value
    .group_segment_fixed_size: 8192
    .kernarg_segment_align: 8
    .kernarg_segment_size: 124
    .language:       OpenCL C
    .language_version:
      - 2
      - 0
    .max_flat_workgroup_size: 256
    .name:           _ZL29rocblas_internal_gemmt_kernelIlLi16ELi32ELi8ELc84ELc67ELc76ELb0ELb1E19rocblas_complex_numIdES1_PKS1_PS1_EviT_T9_T10_S5_lS7_S5_lS6_T11_S5_li
    .private_segment_fixed_size: 0
    .sgpr_count:     42
    .sgpr_spill_count: 0
    .symbol:         _ZL29rocblas_internal_gemmt_kernelIlLi16ELi32ELi8ELc84ELc67ELc76ELb0ELb1E19rocblas_complex_numIdES1_PKS1_PS1_EviT_T9_T10_S5_lS7_S5_lS6_T11_S5_li.kd
    .uniform_work_group_size: 1
    .uses_dynamic_stack: false
    .vgpr_count:     134
    .vgpr_spill_count: 0
    .wavefront_size: 32
    .workgroup_processor_mode: 1
  - .args:
      - .offset:         0
        .size:           4
        .value_kind:     by_value
      - .offset:         8
        .size:           8
        .value_kind:     by_value
      - .offset:         16
        .size:           16
        .value_kind:     by_value
      - .address_space:  global
        .offset:         32
        .size:           8
        .value_kind:     global_buffer
      - .offset:         40
        .size:           8
        .value_kind:     by_value
      - .offset:         48
        .size:           8
        .value_kind:     by_value
      - .address_space:  global
        .offset:         56
        .size:           8
        .value_kind:     global_buffer
      - .offset:         64
        .size:           8
        .value_kind:     by_value
      - .offset:         72
        .size:           8
        .value_kind:     by_value
      - .offset:         80
        .size:           16
        .value_kind:     by_value
      - .address_space:  global
        .offset:         96
        .size:           8
        .value_kind:     global_buffer
      - .offset:         104
        .size:           8
        .value_kind:     by_value
      - .offset:         112
        .size:           8
        .value_kind:     by_value
      - .offset:         120
        .size:           4
        .value_kind:     by_value
    .group_segment_fixed_size: 8192
    .kernarg_segment_align: 8
    .kernarg_segment_size: 124
    .language:       OpenCL C
    .language_version:
      - 2
      - 0
    .max_flat_workgroup_size: 256
    .name:           _ZL29rocblas_internal_gemmt_kernelIlLi16ELi32ELi8ELc67ELc78ELc76ELb1ELb0E19rocblas_complex_numIdES1_PKS1_PS1_EviT_T9_T10_S5_lS7_S5_lS6_T11_S5_li
    .private_segment_fixed_size: 0
    .sgpr_count:     42
    .sgpr_spill_count: 0
    .symbol:         _ZL29rocblas_internal_gemmt_kernelIlLi16ELi32ELi8ELc67ELc78ELc76ELb1ELb0E19rocblas_complex_numIdES1_PKS1_PS1_EviT_T9_T10_S5_lS7_S5_lS6_T11_S5_li.kd
    .uniform_work_group_size: 1
    .uses_dynamic_stack: false
    .vgpr_count:     132
    .vgpr_spill_count: 0
    .wavefront_size: 32
    .workgroup_processor_mode: 1
  - .args:
      - .offset:         0
        .size:           4
        .value_kind:     by_value
      - .offset:         8
        .size:           8
        .value_kind:     by_value
      - .offset:         16
        .size:           16
        .value_kind:     by_value
      - .address_space:  global
        .offset:         32
        .size:           8
        .value_kind:     global_buffer
      - .offset:         40
        .size:           8
        .value_kind:     by_value
      - .offset:         48
        .size:           8
        .value_kind:     by_value
      - .address_space:  global
        .offset:         56
        .size:           8
        .value_kind:     global_buffer
      - .offset:         64
        .size:           8
        .value_kind:     by_value
      - .offset:         72
        .size:           8
        .value_kind:     by_value
      - .offset:         80
        .size:           16
        .value_kind:     by_value
      - .address_space:  global
        .offset:         96
        .size:           8
        .value_kind:     global_buffer
      - .offset:         104
        .size:           8
        .value_kind:     by_value
      - .offset:         112
        .size:           8
        .value_kind:     by_value
      - .offset:         120
        .size:           4
        .value_kind:     by_value
    .group_segment_fixed_size: 8192
    .kernarg_segment_align: 8
    .kernarg_segment_size: 124
    .language:       OpenCL C
    .language_version:
      - 2
      - 0
    .max_flat_workgroup_size: 256
    .name:           _ZL29rocblas_internal_gemmt_kernelIlLi16ELi32ELi8ELc67ELc84ELc76ELb1ELb0E19rocblas_complex_numIdES1_PKS1_PS1_EviT_T9_T10_S5_lS7_S5_lS6_T11_S5_li
    .private_segment_fixed_size: 0
    .sgpr_count:     42
    .sgpr_spill_count: 0
    .symbol:         _ZL29rocblas_internal_gemmt_kernelIlLi16ELi32ELi8ELc67ELc84ELc76ELb1ELb0E19rocblas_complex_numIdES1_PKS1_PS1_EviT_T9_T10_S5_lS7_S5_lS6_T11_S5_li.kd
    .uniform_work_group_size: 1
    .uses_dynamic_stack: false
    .vgpr_count:     132
    .vgpr_spill_count: 0
    .wavefront_size: 32
    .workgroup_processor_mode: 1
  - .args:
      - .offset:         0
        .size:           4
        .value_kind:     by_value
      - .offset:         8
        .size:           8
        .value_kind:     by_value
      - .offset:         16
        .size:           16
        .value_kind:     by_value
      - .address_space:  global
        .offset:         32
        .size:           8
        .value_kind:     global_buffer
      - .offset:         40
        .size:           8
        .value_kind:     by_value
      - .offset:         48
        .size:           8
        .value_kind:     by_value
      - .address_space:  global
        .offset:         56
        .size:           8
        .value_kind:     global_buffer
      - .offset:         64
        .size:           8
        .value_kind:     by_value
      - .offset:         72
        .size:           8
        .value_kind:     by_value
      - .offset:         80
        .size:           16
        .value_kind:     by_value
      - .address_space:  global
        .offset:         96
        .size:           8
        .value_kind:     global_buffer
      - .offset:         104
        .size:           8
        .value_kind:     by_value
      - .offset:         112
        .size:           8
        .value_kind:     by_value
      - .offset:         120
        .size:           4
        .value_kind:     by_value
    .group_segment_fixed_size: 8192
    .kernarg_segment_align: 8
    .kernarg_segment_size: 124
    .language:       OpenCL C
    .language_version:
      - 2
      - 0
    .max_flat_workgroup_size: 256
    .name:           _ZL29rocblas_internal_gemmt_kernelIlLi16ELi32ELi8ELc67ELc67ELc76ELb1ELb1E19rocblas_complex_numIdES1_PKS1_PS1_EviT_T9_T10_S5_lS7_S5_lS6_T11_S5_li
    .private_segment_fixed_size: 0
    .sgpr_count:     42
    .sgpr_spill_count: 0
    .symbol:         _ZL29rocblas_internal_gemmt_kernelIlLi16ELi32ELi8ELc67ELc67ELc76ELb1ELb1E19rocblas_complex_numIdES1_PKS1_PS1_EviT_T9_T10_S5_lS7_S5_lS6_T11_S5_li.kd
    .uniform_work_group_size: 1
    .uses_dynamic_stack: false
    .vgpr_count:     132
    .vgpr_spill_count: 0
    .wavefront_size: 32
    .workgroup_processor_mode: 1
  - .args:
      - .offset:         0
        .size:           4
        .value_kind:     by_value
      - .offset:         4
        .size:           4
        .value_kind:     by_value
      - .address_space:  global
        .offset:         8
        .size:           8
        .value_kind:     global_buffer
      - .address_space:  global
        .offset:         16
        .size:           8
        .value_kind:     global_buffer
      - .offset:         24
        .size:           4
        .value_kind:     by_value
      - .offset:         32
        .size:           8
        .value_kind:     by_value
      - .address_space:  global
        .offset:         40
        .size:           8
        .value_kind:     global_buffer
      - .offset:         48
        .size:           4
        .value_kind:     by_value
      - .offset:         56
        .size:           8
        .value_kind:     by_value
      - .address_space:  global
        .offset:         64
        .size:           8
        .value_kind:     global_buffer
      - .address_space:  global
        .offset:         72
        .size:           8
        .value_kind:     global_buffer
      - .offset:         80
        .size:           4
        .value_kind:     by_value
      - .offset:         88
        .size:           8
        .value_kind:     by_value
      - .offset:         96
        .size:           4
        .value_kind:     by_value
    .group_segment_fixed_size: 2048
    .kernarg_segment_align: 8
    .kernarg_segment_size: 100
    .language:       OpenCL C
    .language_version:
      - 2
      - 0
    .max_flat_workgroup_size: 256
    .name:           _ZL29rocblas_internal_gemmt_kernelIiLi16ELi32ELi8ELc78ELc78ELc85ELb0ELb0EfPKfPKS1_PKPfEviT_T9_T10_S7_lS9_S7_lS8_T11_S7_li
    .private_segment_fixed_size: 0
    .sgpr_count:     34
    .sgpr_spill_count: 0
    .symbol:         _ZL29rocblas_internal_gemmt_kernelIiLi16ELi32ELi8ELc78ELc78ELc85ELb0ELb0EfPKfPKS1_PKPfEviT_T9_T10_S7_lS9_S7_lS8_T11_S7_li.kd
    .uniform_work_group_size: 1
    .uses_dynamic_stack: false
    .vgpr_count:     55
    .vgpr_spill_count: 0
    .wavefront_size: 32
    .workgroup_processor_mode: 1
  - .args:
      - .offset:         0
        .size:           4
        .value_kind:     by_value
      - .offset:         4
        .size:           4
        .value_kind:     by_value
      - .address_space:  global
        .offset:         8
        .size:           8
        .value_kind:     global_buffer
      - .address_space:  global
        .offset:         16
        .size:           8
        .value_kind:     global_buffer
      - .offset:         24
        .size:           4
        .value_kind:     by_value
      - .offset:         32
        .size:           8
        .value_kind:     by_value
      - .address_space:  global
        .offset:         40
        .size:           8
        .value_kind:     global_buffer
      - .offset:         48
        .size:           4
        .value_kind:     by_value
      - .offset:         56
        .size:           8
        .value_kind:     by_value
      - .address_space:  global
        .offset:         64
        .size:           8
        .value_kind:     global_buffer
      - .address_space:  global
        .offset:         72
        .size:           8
        .value_kind:     global_buffer
      - .offset:         80
        .size:           4
        .value_kind:     by_value
      - .offset:         88
        .size:           8
        .value_kind:     by_value
      - .offset:         96
        .size:           4
        .value_kind:     by_value
    .group_segment_fixed_size: 2048
    .kernarg_segment_align: 8
    .kernarg_segment_size: 100
    .language:       OpenCL C
    .language_version:
      - 2
      - 0
    .max_flat_workgroup_size: 256
    .name:           _ZL29rocblas_internal_gemmt_kernelIiLi16ELi32ELi8ELc78ELc84ELc85ELb0ELb0EfPKfPKS1_PKPfEviT_T9_T10_S7_lS9_S7_lS8_T11_S7_li
    .private_segment_fixed_size: 0
    .sgpr_count:     37
    .sgpr_spill_count: 0
    .symbol:         _ZL29rocblas_internal_gemmt_kernelIiLi16ELi32ELi8ELc78ELc84ELc85ELb0ELb0EfPKfPKS1_PKPfEviT_T9_T10_S7_lS9_S7_lS8_T11_S7_li.kd
    .uniform_work_group_size: 1
    .uses_dynamic_stack: false
    .vgpr_count:     55
    .vgpr_spill_count: 0
    .wavefront_size: 32
    .workgroup_processor_mode: 1
  - .args:
      - .offset:         0
        .size:           4
        .value_kind:     by_value
      - .offset:         4
        .size:           4
        .value_kind:     by_value
      - .address_space:  global
        .offset:         8
        .size:           8
        .value_kind:     global_buffer
      - .address_space:  global
        .offset:         16
        .size:           8
        .value_kind:     global_buffer
      - .offset:         24
        .size:           4
        .value_kind:     by_value
      - .offset:         32
        .size:           8
        .value_kind:     by_value
      - .address_space:  global
        .offset:         40
        .size:           8
        .value_kind:     global_buffer
      - .offset:         48
        .size:           4
        .value_kind:     by_value
      - .offset:         56
        .size:           8
        .value_kind:     by_value
      - .address_space:  global
        .offset:         64
        .size:           8
        .value_kind:     global_buffer
      - .address_space:  global
        .offset:         72
        .size:           8
        .value_kind:     global_buffer
      - .offset:         80
        .size:           4
        .value_kind:     by_value
      - .offset:         88
        .size:           8
        .value_kind:     by_value
      - .offset:         96
        .size:           4
        .value_kind:     by_value
    .group_segment_fixed_size: 2048
    .kernarg_segment_align: 8
    .kernarg_segment_size: 100
    .language:       OpenCL C
    .language_version:
      - 2
      - 0
    .max_flat_workgroup_size: 256
    .name:           _ZL29rocblas_internal_gemmt_kernelIiLi16ELi32ELi8ELc78ELc67ELc85ELb0ELb0EfPKfPKS1_PKPfEviT_T9_T10_S7_lS9_S7_lS8_T11_S7_li
    .private_segment_fixed_size: 0
    .sgpr_count:     37
    .sgpr_spill_count: 0
    .symbol:         _ZL29rocblas_internal_gemmt_kernelIiLi16ELi32ELi8ELc78ELc67ELc85ELb0ELb0EfPKfPKS1_PKPfEviT_T9_T10_S7_lS9_S7_lS8_T11_S7_li.kd
    .uniform_work_group_size: 1
    .uses_dynamic_stack: false
    .vgpr_count:     55
    .vgpr_spill_count: 0
    .wavefront_size: 32
    .workgroup_processor_mode: 1
  - .args:
      - .offset:         0
        .size:           4
        .value_kind:     by_value
      - .offset:         4
        .size:           4
        .value_kind:     by_value
      - .address_space:  global
        .offset:         8
        .size:           8
        .value_kind:     global_buffer
      - .address_space:  global
        .offset:         16
        .size:           8
        .value_kind:     global_buffer
      - .offset:         24
        .size:           4
        .value_kind:     by_value
      - .offset:         32
        .size:           8
        .value_kind:     by_value
      - .address_space:  global
        .offset:         40
        .size:           8
        .value_kind:     global_buffer
      - .offset:         48
        .size:           4
        .value_kind:     by_value
      - .offset:         56
        .size:           8
        .value_kind:     by_value
      - .address_space:  global
        .offset:         64
        .size:           8
        .value_kind:     global_buffer
      - .address_space:  global
        .offset:         72
        .size:           8
        .value_kind:     global_buffer
      - .offset:         80
        .size:           4
        .value_kind:     by_value
      - .offset:         88
        .size:           8
        .value_kind:     by_value
      - .offset:         96
        .size:           4
        .value_kind:     by_value
    .group_segment_fixed_size: 2048
    .kernarg_segment_align: 8
    .kernarg_segment_size: 100
    .language:       OpenCL C
    .language_version:
      - 2
      - 0
    .max_flat_workgroup_size: 256
    .name:           _ZL29rocblas_internal_gemmt_kernelIiLi16ELi32ELi8ELc84ELc78ELc85ELb0ELb0EfPKfPKS1_PKPfEviT_T9_T10_S7_lS9_S7_lS8_T11_S7_li
    .private_segment_fixed_size: 0
    .sgpr_count:     33
    .sgpr_spill_count: 0
    .symbol:         _ZL29rocblas_internal_gemmt_kernelIiLi16ELi32ELi8ELc84ELc78ELc85ELb0ELb0EfPKfPKS1_PKPfEviT_T9_T10_S7_lS9_S7_lS8_T11_S7_li.kd
    .uniform_work_group_size: 1
    .uses_dynamic_stack: false
    .vgpr_count:     55
    .vgpr_spill_count: 0
    .wavefront_size: 32
    .workgroup_processor_mode: 1
  - .args:
      - .offset:         0
        .size:           4
        .value_kind:     by_value
      - .offset:         4
        .size:           4
        .value_kind:     by_value
      - .address_space:  global
        .offset:         8
        .size:           8
        .value_kind:     global_buffer
      - .address_space:  global
        .offset:         16
        .size:           8
        .value_kind:     global_buffer
      - .offset:         24
        .size:           4
        .value_kind:     by_value
      - .offset:         32
        .size:           8
        .value_kind:     by_value
      - .address_space:  global
        .offset:         40
        .size:           8
        .value_kind:     global_buffer
      - .offset:         48
        .size:           4
        .value_kind:     by_value
      - .offset:         56
        .size:           8
        .value_kind:     by_value
      - .address_space:  global
        .offset:         64
        .size:           8
        .value_kind:     global_buffer
      - .address_space:  global
        .offset:         72
        .size:           8
        .value_kind:     global_buffer
      - .offset:         80
        .size:           4
        .value_kind:     by_value
      - .offset:         88
        .size:           8
        .value_kind:     by_value
      - .offset:         96
        .size:           4
        .value_kind:     by_value
    .group_segment_fixed_size: 2048
    .kernarg_segment_align: 8
    .kernarg_segment_size: 100
    .language:       OpenCL C
    .language_version:
      - 2
      - 0
    .max_flat_workgroup_size: 256
    .name:           _ZL29rocblas_internal_gemmt_kernelIiLi16ELi32ELi8ELc84ELc84ELc85ELb0ELb0EfPKfPKS1_PKPfEviT_T9_T10_S7_lS9_S7_lS8_T11_S7_li
    .private_segment_fixed_size: 0
    .sgpr_count:     34
    .sgpr_spill_count: 0
    .symbol:         _ZL29rocblas_internal_gemmt_kernelIiLi16ELi32ELi8ELc84ELc84ELc85ELb0ELb0EfPKfPKS1_PKPfEviT_T9_T10_S7_lS9_S7_lS8_T11_S7_li.kd
    .uniform_work_group_size: 1
    .uses_dynamic_stack: false
    .vgpr_count:     55
    .vgpr_spill_count: 0
    .wavefront_size: 32
    .workgroup_processor_mode: 1
  - .args:
      - .offset:         0
        .size:           4
        .value_kind:     by_value
      - .offset:         4
        .size:           4
        .value_kind:     by_value
      - .address_space:  global
        .offset:         8
        .size:           8
        .value_kind:     global_buffer
      - .address_space:  global
        .offset:         16
        .size:           8
        .value_kind:     global_buffer
      - .offset:         24
        .size:           4
        .value_kind:     by_value
      - .offset:         32
        .size:           8
        .value_kind:     by_value
      - .address_space:  global
        .offset:         40
        .size:           8
        .value_kind:     global_buffer
      - .offset:         48
        .size:           4
        .value_kind:     by_value
      - .offset:         56
        .size:           8
        .value_kind:     by_value
      - .address_space:  global
        .offset:         64
        .size:           8
        .value_kind:     global_buffer
      - .address_space:  global
        .offset:         72
        .size:           8
        .value_kind:     global_buffer
      - .offset:         80
        .size:           4
        .value_kind:     by_value
      - .offset:         88
        .size:           8
        .value_kind:     by_value
      - .offset:         96
        .size:           4
        .value_kind:     by_value
    .group_segment_fixed_size: 2048
    .kernarg_segment_align: 8
    .kernarg_segment_size: 100
    .language:       OpenCL C
    .language_version:
      - 2
      - 0
    .max_flat_workgroup_size: 256
    .name:           _ZL29rocblas_internal_gemmt_kernelIiLi16ELi32ELi8ELc84ELc67ELc85ELb0ELb0EfPKfPKS1_PKPfEviT_T9_T10_S7_lS9_S7_lS8_T11_S7_li
    .private_segment_fixed_size: 0
    .sgpr_count:     34
    .sgpr_spill_count: 0
    .symbol:         _ZL29rocblas_internal_gemmt_kernelIiLi16ELi32ELi8ELc84ELc67ELc85ELb0ELb0EfPKfPKS1_PKPfEviT_T9_T10_S7_lS9_S7_lS8_T11_S7_li.kd
    .uniform_work_group_size: 1
    .uses_dynamic_stack: false
    .vgpr_count:     55
    .vgpr_spill_count: 0
    .wavefront_size: 32
    .workgroup_processor_mode: 1
  - .args:
      - .offset:         0
        .size:           4
        .value_kind:     by_value
      - .offset:         4
        .size:           4
        .value_kind:     by_value
      - .address_space:  global
        .offset:         8
        .size:           8
        .value_kind:     global_buffer
      - .address_space:  global
        .offset:         16
        .size:           8
        .value_kind:     global_buffer
      - .offset:         24
        .size:           4
        .value_kind:     by_value
      - .offset:         32
        .size:           8
        .value_kind:     by_value
      - .address_space:  global
        .offset:         40
        .size:           8
        .value_kind:     global_buffer
      - .offset:         48
        .size:           4
        .value_kind:     by_value
      - .offset:         56
        .size:           8
        .value_kind:     by_value
      - .address_space:  global
        .offset:         64
        .size:           8
        .value_kind:     global_buffer
      - .address_space:  global
        .offset:         72
        .size:           8
        .value_kind:     global_buffer
      - .offset:         80
        .size:           4
        .value_kind:     by_value
      - .offset:         88
        .size:           8
        .value_kind:     by_value
      - .offset:         96
        .size:           4
        .value_kind:     by_value
    .group_segment_fixed_size: 2048
    .kernarg_segment_align: 8
    .kernarg_segment_size: 100
    .language:       OpenCL C
    .language_version:
      - 2
      - 0
    .max_flat_workgroup_size: 256
    .name:           _ZL29rocblas_internal_gemmt_kernelIiLi16ELi32ELi8ELc67ELc78ELc85ELb0ELb0EfPKfPKS1_PKPfEviT_T9_T10_S7_lS9_S7_lS8_T11_S7_li
    .private_segment_fixed_size: 0
    .sgpr_count:     33
    .sgpr_spill_count: 0
    .symbol:         _ZL29rocblas_internal_gemmt_kernelIiLi16ELi32ELi8ELc67ELc78ELc85ELb0ELb0EfPKfPKS1_PKPfEviT_T9_T10_S7_lS9_S7_lS8_T11_S7_li.kd
    .uniform_work_group_size: 1
    .uses_dynamic_stack: false
    .vgpr_count:     55
    .vgpr_spill_count: 0
    .wavefront_size: 32
    .workgroup_processor_mode: 1
  - .args:
      - .offset:         0
        .size:           4
        .value_kind:     by_value
      - .offset:         4
        .size:           4
        .value_kind:     by_value
      - .address_space:  global
        .offset:         8
        .size:           8
        .value_kind:     global_buffer
      - .address_space:  global
        .offset:         16
        .size:           8
        .value_kind:     global_buffer
      - .offset:         24
        .size:           4
        .value_kind:     by_value
      - .offset:         32
        .size:           8
        .value_kind:     by_value
      - .address_space:  global
        .offset:         40
        .size:           8
        .value_kind:     global_buffer
      - .offset:         48
        .size:           4
        .value_kind:     by_value
      - .offset:         56
        .size:           8
        .value_kind:     by_value
      - .address_space:  global
        .offset:         64
        .size:           8
        .value_kind:     global_buffer
      - .address_space:  global
        .offset:         72
        .size:           8
        .value_kind:     global_buffer
      - .offset:         80
        .size:           4
        .value_kind:     by_value
      - .offset:         88
        .size:           8
        .value_kind:     by_value
      - .offset:         96
        .size:           4
        .value_kind:     by_value
    .group_segment_fixed_size: 2048
    .kernarg_segment_align: 8
    .kernarg_segment_size: 100
    .language:       OpenCL C
    .language_version:
      - 2
      - 0
    .max_flat_workgroup_size: 256
    .name:           _ZL29rocblas_internal_gemmt_kernelIiLi16ELi32ELi8ELc67ELc84ELc85ELb0ELb0EfPKfPKS1_PKPfEviT_T9_T10_S7_lS9_S7_lS8_T11_S7_li
    .private_segment_fixed_size: 0
    .sgpr_count:     34
    .sgpr_spill_count: 0
    .symbol:         _ZL29rocblas_internal_gemmt_kernelIiLi16ELi32ELi8ELc67ELc84ELc85ELb0ELb0EfPKfPKS1_PKPfEviT_T9_T10_S7_lS9_S7_lS8_T11_S7_li.kd
    .uniform_work_group_size: 1
    .uses_dynamic_stack: false
    .vgpr_count:     55
    .vgpr_spill_count: 0
    .wavefront_size: 32
    .workgroup_processor_mode: 1
  - .args:
      - .offset:         0
        .size:           4
        .value_kind:     by_value
      - .offset:         4
        .size:           4
        .value_kind:     by_value
      - .address_space:  global
        .offset:         8
        .size:           8
        .value_kind:     global_buffer
      - .address_space:  global
        .offset:         16
        .size:           8
        .value_kind:     global_buffer
      - .offset:         24
        .size:           4
        .value_kind:     by_value
      - .offset:         32
        .size:           8
        .value_kind:     by_value
      - .address_space:  global
        .offset:         40
        .size:           8
        .value_kind:     global_buffer
      - .offset:         48
        .size:           4
        .value_kind:     by_value
      - .offset:         56
        .size:           8
        .value_kind:     by_value
      - .address_space:  global
        .offset:         64
        .size:           8
        .value_kind:     global_buffer
      - .address_space:  global
        .offset:         72
        .size:           8
        .value_kind:     global_buffer
      - .offset:         80
        .size:           4
        .value_kind:     by_value
      - .offset:         88
        .size:           8
        .value_kind:     by_value
      - .offset:         96
        .size:           4
        .value_kind:     by_value
    .group_segment_fixed_size: 2048
    .kernarg_segment_align: 8
    .kernarg_segment_size: 100
    .language:       OpenCL C
    .language_version:
      - 2
      - 0
    .max_flat_workgroup_size: 256
    .name:           _ZL29rocblas_internal_gemmt_kernelIiLi16ELi32ELi8ELc67ELc67ELc85ELb0ELb0EfPKfPKS1_PKPfEviT_T9_T10_S7_lS9_S7_lS8_T11_S7_li
    .private_segment_fixed_size: 0
    .sgpr_count:     34
    .sgpr_spill_count: 0
    .symbol:         _ZL29rocblas_internal_gemmt_kernelIiLi16ELi32ELi8ELc67ELc67ELc85ELb0ELb0EfPKfPKS1_PKPfEviT_T9_T10_S7_lS9_S7_lS8_T11_S7_li.kd
    .uniform_work_group_size: 1
    .uses_dynamic_stack: false
    .vgpr_count:     55
    .vgpr_spill_count: 0
    .wavefront_size: 32
    .workgroup_processor_mode: 1
  - .args:
      - .offset:         0
        .size:           4
        .value_kind:     by_value
      - .offset:         4
        .size:           4
        .value_kind:     by_value
      - .address_space:  global
        .offset:         8
        .size:           8
        .value_kind:     global_buffer
      - .address_space:  global
        .offset:         16
        .size:           8
        .value_kind:     global_buffer
      - .offset:         24
        .size:           4
        .value_kind:     by_value
      - .offset:         32
        .size:           8
        .value_kind:     by_value
      - .address_space:  global
        .offset:         40
        .size:           8
        .value_kind:     global_buffer
      - .offset:         48
        .size:           4
        .value_kind:     by_value
      - .offset:         56
        .size:           8
        .value_kind:     by_value
      - .address_space:  global
        .offset:         64
        .size:           8
        .value_kind:     global_buffer
      - .address_space:  global
        .offset:         72
        .size:           8
        .value_kind:     global_buffer
      - .offset:         80
        .size:           4
        .value_kind:     by_value
      - .offset:         88
        .size:           8
        .value_kind:     by_value
      - .offset:         96
        .size:           4
        .value_kind:     by_value
    .group_segment_fixed_size: 2048
    .kernarg_segment_align: 8
    .kernarg_segment_size: 100
    .language:       OpenCL C
    .language_version:
      - 2
      - 0
    .max_flat_workgroup_size: 256
    .name:           _ZL29rocblas_internal_gemmt_kernelIiLi16ELi32ELi8ELc78ELc78ELc76ELb0ELb0EfPKfPKS1_PKPfEviT_T9_T10_S7_lS9_S7_lS8_T11_S7_li
    .private_segment_fixed_size: 0
    .sgpr_count:     34
    .sgpr_spill_count: 0
    .symbol:         _ZL29rocblas_internal_gemmt_kernelIiLi16ELi32ELi8ELc78ELc78ELc76ELb0ELb0EfPKfPKS1_PKPfEviT_T9_T10_S7_lS9_S7_lS8_T11_S7_li.kd
    .uniform_work_group_size: 1
    .uses_dynamic_stack: false
    .vgpr_count:     55
    .vgpr_spill_count: 0
    .wavefront_size: 32
    .workgroup_processor_mode: 1
  - .args:
      - .offset:         0
        .size:           4
        .value_kind:     by_value
      - .offset:         4
        .size:           4
        .value_kind:     by_value
      - .address_space:  global
        .offset:         8
        .size:           8
        .value_kind:     global_buffer
      - .address_space:  global
        .offset:         16
        .size:           8
        .value_kind:     global_buffer
      - .offset:         24
        .size:           4
        .value_kind:     by_value
      - .offset:         32
        .size:           8
        .value_kind:     by_value
      - .address_space:  global
        .offset:         40
        .size:           8
        .value_kind:     global_buffer
      - .offset:         48
        .size:           4
        .value_kind:     by_value
      - .offset:         56
        .size:           8
        .value_kind:     by_value
      - .address_space:  global
        .offset:         64
        .size:           8
        .value_kind:     global_buffer
      - .address_space:  global
        .offset:         72
        .size:           8
        .value_kind:     global_buffer
      - .offset:         80
        .size:           4
        .value_kind:     by_value
      - .offset:         88
        .size:           8
        .value_kind:     by_value
      - .offset:         96
        .size:           4
        .value_kind:     by_value
    .group_segment_fixed_size: 2048
    .kernarg_segment_align: 8
    .kernarg_segment_size: 100
    .language:       OpenCL C
    .language_version:
      - 2
      - 0
    .max_flat_workgroup_size: 256
    .name:           _ZL29rocblas_internal_gemmt_kernelIiLi16ELi32ELi8ELc78ELc84ELc76ELb0ELb0EfPKfPKS1_PKPfEviT_T9_T10_S7_lS9_S7_lS8_T11_S7_li
    .private_segment_fixed_size: 0
    .sgpr_count:     37
    .sgpr_spill_count: 0
    .symbol:         _ZL29rocblas_internal_gemmt_kernelIiLi16ELi32ELi8ELc78ELc84ELc76ELb0ELb0EfPKfPKS1_PKPfEviT_T9_T10_S7_lS9_S7_lS8_T11_S7_li.kd
    .uniform_work_group_size: 1
    .uses_dynamic_stack: false
    .vgpr_count:     55
    .vgpr_spill_count: 0
    .wavefront_size: 32
    .workgroup_processor_mode: 1
  - .args:
      - .offset:         0
        .size:           4
        .value_kind:     by_value
      - .offset:         4
        .size:           4
        .value_kind:     by_value
      - .address_space:  global
        .offset:         8
        .size:           8
        .value_kind:     global_buffer
      - .address_space:  global
        .offset:         16
        .size:           8
        .value_kind:     global_buffer
      - .offset:         24
        .size:           4
        .value_kind:     by_value
      - .offset:         32
        .size:           8
        .value_kind:     by_value
      - .address_space:  global
        .offset:         40
        .size:           8
        .value_kind:     global_buffer
      - .offset:         48
        .size:           4
        .value_kind:     by_value
      - .offset:         56
        .size:           8
        .value_kind:     by_value
      - .address_space:  global
        .offset:         64
        .size:           8
        .value_kind:     global_buffer
      - .address_space:  global
        .offset:         72
        .size:           8
        .value_kind:     global_buffer
      - .offset:         80
        .size:           4
        .value_kind:     by_value
      - .offset:         88
        .size:           8
        .value_kind:     by_value
      - .offset:         96
        .size:           4
        .value_kind:     by_value
    .group_segment_fixed_size: 2048
    .kernarg_segment_align: 8
    .kernarg_segment_size: 100
    .language:       OpenCL C
    .language_version:
      - 2
      - 0
    .max_flat_workgroup_size: 256
    .name:           _ZL29rocblas_internal_gemmt_kernelIiLi16ELi32ELi8ELc78ELc67ELc76ELb0ELb0EfPKfPKS1_PKPfEviT_T9_T10_S7_lS9_S7_lS8_T11_S7_li
    .private_segment_fixed_size: 0
    .sgpr_count:     37
    .sgpr_spill_count: 0
    .symbol:         _ZL29rocblas_internal_gemmt_kernelIiLi16ELi32ELi8ELc78ELc67ELc76ELb0ELb0EfPKfPKS1_PKPfEviT_T9_T10_S7_lS9_S7_lS8_T11_S7_li.kd
    .uniform_work_group_size: 1
    .uses_dynamic_stack: false
    .vgpr_count:     55
    .vgpr_spill_count: 0
    .wavefront_size: 32
    .workgroup_processor_mode: 1
  - .args:
      - .offset:         0
        .size:           4
        .value_kind:     by_value
      - .offset:         4
        .size:           4
        .value_kind:     by_value
      - .address_space:  global
        .offset:         8
        .size:           8
        .value_kind:     global_buffer
      - .address_space:  global
        .offset:         16
        .size:           8
        .value_kind:     global_buffer
      - .offset:         24
        .size:           4
        .value_kind:     by_value
      - .offset:         32
        .size:           8
        .value_kind:     by_value
      - .address_space:  global
        .offset:         40
        .size:           8
        .value_kind:     global_buffer
      - .offset:         48
        .size:           4
        .value_kind:     by_value
      - .offset:         56
        .size:           8
        .value_kind:     by_value
      - .address_space:  global
        .offset:         64
        .size:           8
        .value_kind:     global_buffer
      - .address_space:  global
        .offset:         72
        .size:           8
        .value_kind:     global_buffer
      - .offset:         80
        .size:           4
        .value_kind:     by_value
      - .offset:         88
        .size:           8
        .value_kind:     by_value
      - .offset:         96
        .size:           4
        .value_kind:     by_value
    .group_segment_fixed_size: 2048
    .kernarg_segment_align: 8
    .kernarg_segment_size: 100
    .language:       OpenCL C
    .language_version:
      - 2
      - 0
    .max_flat_workgroup_size: 256
    .name:           _ZL29rocblas_internal_gemmt_kernelIiLi16ELi32ELi8ELc84ELc78ELc76ELb0ELb0EfPKfPKS1_PKPfEviT_T9_T10_S7_lS9_S7_lS8_T11_S7_li
    .private_segment_fixed_size: 0
    .sgpr_count:     33
    .sgpr_spill_count: 0
    .symbol:         _ZL29rocblas_internal_gemmt_kernelIiLi16ELi32ELi8ELc84ELc78ELc76ELb0ELb0EfPKfPKS1_PKPfEviT_T9_T10_S7_lS9_S7_lS8_T11_S7_li.kd
    .uniform_work_group_size: 1
    .uses_dynamic_stack: false
    .vgpr_count:     55
    .vgpr_spill_count: 0
    .wavefront_size: 32
    .workgroup_processor_mode: 1
  - .args:
      - .offset:         0
        .size:           4
        .value_kind:     by_value
      - .offset:         4
        .size:           4
        .value_kind:     by_value
      - .address_space:  global
        .offset:         8
        .size:           8
        .value_kind:     global_buffer
      - .address_space:  global
        .offset:         16
        .size:           8
        .value_kind:     global_buffer
      - .offset:         24
        .size:           4
        .value_kind:     by_value
      - .offset:         32
        .size:           8
        .value_kind:     by_value
      - .address_space:  global
        .offset:         40
        .size:           8
        .value_kind:     global_buffer
      - .offset:         48
        .size:           4
        .value_kind:     by_value
      - .offset:         56
        .size:           8
        .value_kind:     by_value
      - .address_space:  global
        .offset:         64
        .size:           8
        .value_kind:     global_buffer
      - .address_space:  global
        .offset:         72
        .size:           8
        .value_kind:     global_buffer
      - .offset:         80
        .size:           4
        .value_kind:     by_value
      - .offset:         88
        .size:           8
        .value_kind:     by_value
      - .offset:         96
        .size:           4
        .value_kind:     by_value
    .group_segment_fixed_size: 2048
    .kernarg_segment_align: 8
    .kernarg_segment_size: 100
    .language:       OpenCL C
    .language_version:
      - 2
      - 0
    .max_flat_workgroup_size: 256
    .name:           _ZL29rocblas_internal_gemmt_kernelIiLi16ELi32ELi8ELc84ELc84ELc76ELb0ELb0EfPKfPKS1_PKPfEviT_T9_T10_S7_lS9_S7_lS8_T11_S7_li
    .private_segment_fixed_size: 0
    .sgpr_count:     33
    .sgpr_spill_count: 0
    .symbol:         _ZL29rocblas_internal_gemmt_kernelIiLi16ELi32ELi8ELc84ELc84ELc76ELb0ELb0EfPKfPKS1_PKPfEviT_T9_T10_S7_lS9_S7_lS8_T11_S7_li.kd
    .uniform_work_group_size: 1
    .uses_dynamic_stack: false
    .vgpr_count:     55
    .vgpr_spill_count: 0
    .wavefront_size: 32
    .workgroup_processor_mode: 1
  - .args:
      - .offset:         0
        .size:           4
        .value_kind:     by_value
      - .offset:         4
        .size:           4
        .value_kind:     by_value
      - .address_space:  global
        .offset:         8
        .size:           8
        .value_kind:     global_buffer
      - .address_space:  global
        .offset:         16
        .size:           8
        .value_kind:     global_buffer
      - .offset:         24
        .size:           4
        .value_kind:     by_value
      - .offset:         32
        .size:           8
        .value_kind:     by_value
      - .address_space:  global
        .offset:         40
        .size:           8
        .value_kind:     global_buffer
      - .offset:         48
        .size:           4
        .value_kind:     by_value
      - .offset:         56
        .size:           8
        .value_kind:     by_value
      - .address_space:  global
        .offset:         64
        .size:           8
        .value_kind:     global_buffer
      - .address_space:  global
        .offset:         72
        .size:           8
        .value_kind:     global_buffer
      - .offset:         80
        .size:           4
        .value_kind:     by_value
      - .offset:         88
        .size:           8
        .value_kind:     by_value
      - .offset:         96
        .size:           4
        .value_kind:     by_value
    .group_segment_fixed_size: 2048
    .kernarg_segment_align: 8
    .kernarg_segment_size: 100
    .language:       OpenCL C
    .language_version:
      - 2
      - 0
    .max_flat_workgroup_size: 256
    .name:           _ZL29rocblas_internal_gemmt_kernelIiLi16ELi32ELi8ELc84ELc67ELc76ELb0ELb0EfPKfPKS1_PKPfEviT_T9_T10_S7_lS9_S7_lS8_T11_S7_li
    .private_segment_fixed_size: 0
    .sgpr_count:     33
    .sgpr_spill_count: 0
    .symbol:         _ZL29rocblas_internal_gemmt_kernelIiLi16ELi32ELi8ELc84ELc67ELc76ELb0ELb0EfPKfPKS1_PKPfEviT_T9_T10_S7_lS9_S7_lS8_T11_S7_li.kd
    .uniform_work_group_size: 1
    .uses_dynamic_stack: false
    .vgpr_count:     55
    .vgpr_spill_count: 0
    .wavefront_size: 32
    .workgroup_processor_mode: 1
  - .args:
      - .offset:         0
        .size:           4
        .value_kind:     by_value
      - .offset:         4
        .size:           4
        .value_kind:     by_value
      - .address_space:  global
        .offset:         8
        .size:           8
        .value_kind:     global_buffer
      - .address_space:  global
        .offset:         16
        .size:           8
        .value_kind:     global_buffer
      - .offset:         24
        .size:           4
        .value_kind:     by_value
      - .offset:         32
        .size:           8
        .value_kind:     by_value
      - .address_space:  global
        .offset:         40
        .size:           8
        .value_kind:     global_buffer
      - .offset:         48
        .size:           4
        .value_kind:     by_value
      - .offset:         56
        .size:           8
        .value_kind:     by_value
      - .address_space:  global
        .offset:         64
        .size:           8
        .value_kind:     global_buffer
      - .address_space:  global
        .offset:         72
        .size:           8
        .value_kind:     global_buffer
      - .offset:         80
        .size:           4
        .value_kind:     by_value
      - .offset:         88
        .size:           8
        .value_kind:     by_value
      - .offset:         96
        .size:           4
        .value_kind:     by_value
    .group_segment_fixed_size: 2048
    .kernarg_segment_align: 8
    .kernarg_segment_size: 100
    .language:       OpenCL C
    .language_version:
      - 2
      - 0
    .max_flat_workgroup_size: 256
    .name:           _ZL29rocblas_internal_gemmt_kernelIiLi16ELi32ELi8ELc67ELc78ELc76ELb0ELb0EfPKfPKS1_PKPfEviT_T9_T10_S7_lS9_S7_lS8_T11_S7_li
    .private_segment_fixed_size: 0
    .sgpr_count:     33
    .sgpr_spill_count: 0
    .symbol:         _ZL29rocblas_internal_gemmt_kernelIiLi16ELi32ELi8ELc67ELc78ELc76ELb0ELb0EfPKfPKS1_PKPfEviT_T9_T10_S7_lS9_S7_lS8_T11_S7_li.kd
    .uniform_work_group_size: 1
    .uses_dynamic_stack: false
    .vgpr_count:     55
    .vgpr_spill_count: 0
    .wavefront_size: 32
    .workgroup_processor_mode: 1
  - .args:
      - .offset:         0
        .size:           4
        .value_kind:     by_value
      - .offset:         4
        .size:           4
        .value_kind:     by_value
      - .address_space:  global
        .offset:         8
        .size:           8
        .value_kind:     global_buffer
      - .address_space:  global
        .offset:         16
        .size:           8
        .value_kind:     global_buffer
      - .offset:         24
        .size:           4
        .value_kind:     by_value
      - .offset:         32
        .size:           8
        .value_kind:     by_value
      - .address_space:  global
        .offset:         40
        .size:           8
        .value_kind:     global_buffer
      - .offset:         48
        .size:           4
        .value_kind:     by_value
      - .offset:         56
        .size:           8
        .value_kind:     by_value
      - .address_space:  global
        .offset:         64
        .size:           8
        .value_kind:     global_buffer
      - .address_space:  global
        .offset:         72
        .size:           8
        .value_kind:     global_buffer
      - .offset:         80
        .size:           4
        .value_kind:     by_value
      - .offset:         88
        .size:           8
        .value_kind:     by_value
      - .offset:         96
        .size:           4
        .value_kind:     by_value
    .group_segment_fixed_size: 2048
    .kernarg_segment_align: 8
    .kernarg_segment_size: 100
    .language:       OpenCL C
    .language_version:
      - 2
      - 0
    .max_flat_workgroup_size: 256
    .name:           _ZL29rocblas_internal_gemmt_kernelIiLi16ELi32ELi8ELc67ELc84ELc76ELb0ELb0EfPKfPKS1_PKPfEviT_T9_T10_S7_lS9_S7_lS8_T11_S7_li
    .private_segment_fixed_size: 0
    .sgpr_count:     33
    .sgpr_spill_count: 0
    .symbol:         _ZL29rocblas_internal_gemmt_kernelIiLi16ELi32ELi8ELc67ELc84ELc76ELb0ELb0EfPKfPKS1_PKPfEviT_T9_T10_S7_lS9_S7_lS8_T11_S7_li.kd
    .uniform_work_group_size: 1
    .uses_dynamic_stack: false
    .vgpr_count:     55
    .vgpr_spill_count: 0
    .wavefront_size: 32
    .workgroup_processor_mode: 1
  - .args:
      - .offset:         0
        .size:           4
        .value_kind:     by_value
      - .offset:         4
        .size:           4
        .value_kind:     by_value
      - .address_space:  global
        .offset:         8
        .size:           8
        .value_kind:     global_buffer
      - .address_space:  global
        .offset:         16
        .size:           8
        .value_kind:     global_buffer
      - .offset:         24
        .size:           4
        .value_kind:     by_value
      - .offset:         32
        .size:           8
        .value_kind:     by_value
      - .address_space:  global
        .offset:         40
        .size:           8
        .value_kind:     global_buffer
      - .offset:         48
        .size:           4
        .value_kind:     by_value
      - .offset:         56
        .size:           8
        .value_kind:     by_value
      - .address_space:  global
        .offset:         64
        .size:           8
        .value_kind:     global_buffer
      - .address_space:  global
        .offset:         72
        .size:           8
        .value_kind:     global_buffer
      - .offset:         80
        .size:           4
        .value_kind:     by_value
      - .offset:         88
        .size:           8
        .value_kind:     by_value
      - .offset:         96
        .size:           4
        .value_kind:     by_value
    .group_segment_fixed_size: 2048
    .kernarg_segment_align: 8
    .kernarg_segment_size: 100
    .language:       OpenCL C
    .language_version:
      - 2
      - 0
    .max_flat_workgroup_size: 256
    .name:           _ZL29rocblas_internal_gemmt_kernelIiLi16ELi32ELi8ELc67ELc67ELc76ELb0ELb0EfPKfPKS1_PKPfEviT_T9_T10_S7_lS9_S7_lS8_T11_S7_li
    .private_segment_fixed_size: 0
    .sgpr_count:     33
    .sgpr_spill_count: 0
    .symbol:         _ZL29rocblas_internal_gemmt_kernelIiLi16ELi32ELi8ELc67ELc67ELc76ELb0ELb0EfPKfPKS1_PKPfEviT_T9_T10_S7_lS9_S7_lS8_T11_S7_li.kd
    .uniform_work_group_size: 1
    .uses_dynamic_stack: false
    .vgpr_count:     55
    .vgpr_spill_count: 0
    .wavefront_size: 32
    .workgroup_processor_mode: 1
  - .args:
      - .offset:         0
        .size:           4
        .value_kind:     by_value
      - .offset:         4
        .size:           4
        .value_kind:     by_value
      - .offset:         8
        .size:           4
        .value_kind:     by_value
      - .address_space:  global
        .offset:         16
        .size:           8
        .value_kind:     global_buffer
      - .offset:         24
        .size:           4
        .value_kind:     by_value
      - .offset:         32
        .size:           8
        .value_kind:     by_value
      - .address_space:  global
        .offset:         40
        .size:           8
        .value_kind:     global_buffer
      - .offset:         48
        .size:           4
        .value_kind:     by_value
      - .offset:         56
        .size:           8
        .value_kind:     by_value
      - .offset:         64
        .size:           4
        .value_kind:     by_value
      - .address_space:  global
        .offset:         72
        .size:           8
        .value_kind:     global_buffer
      - .offset:         80
        .size:           4
        .value_kind:     by_value
      - .offset:         88
        .size:           8
        .value_kind:     by_value
      - .offset:         96
        .size:           4
        .value_kind:     by_value
    .group_segment_fixed_size: 2048
    .kernarg_segment_align: 8
    .kernarg_segment_size: 100
    .language:       OpenCL C
    .language_version:
      - 2
      - 0
    .max_flat_workgroup_size: 256
    .name:           _ZL29rocblas_internal_gemmt_kernelIiLi16ELi32ELi8ELc78ELc78ELc85ELb0ELb0EffPKPKfPKPfEviT_T9_T10_S7_lS9_S7_lS8_T11_S7_li
    .private_segment_fixed_size: 0
    .sgpr_count:     36
    .sgpr_spill_count: 0
    .symbol:         _ZL29rocblas_internal_gemmt_kernelIiLi16ELi32ELi8ELc78ELc78ELc85ELb0ELb0EffPKPKfPKPfEviT_T9_T10_S7_lS9_S7_lS8_T11_S7_li.kd
    .uniform_work_group_size: 1
    .uses_dynamic_stack: false
    .vgpr_count:     55
    .vgpr_spill_count: 0
    .wavefront_size: 32
    .workgroup_processor_mode: 1
  - .args:
      - .offset:         0
        .size:           4
        .value_kind:     by_value
      - .offset:         4
        .size:           4
        .value_kind:     by_value
      - .offset:         8
        .size:           4
        .value_kind:     by_value
      - .address_space:  global
        .offset:         16
        .size:           8
        .value_kind:     global_buffer
      - .offset:         24
        .size:           4
        .value_kind:     by_value
      - .offset:         32
        .size:           8
        .value_kind:     by_value
      - .address_space:  global
        .offset:         40
        .size:           8
        .value_kind:     global_buffer
      - .offset:         48
        .size:           4
        .value_kind:     by_value
      - .offset:         56
        .size:           8
        .value_kind:     by_value
      - .offset:         64
        .size:           4
        .value_kind:     by_value
      - .address_space:  global
        .offset:         72
        .size:           8
        .value_kind:     global_buffer
      - .offset:         80
        .size:           4
        .value_kind:     by_value
      - .offset:         88
        .size:           8
        .value_kind:     by_value
      - .offset:         96
        .size:           4
        .value_kind:     by_value
    .group_segment_fixed_size: 2048
    .kernarg_segment_align: 8
    .kernarg_segment_size: 100
    .language:       OpenCL C
    .language_version:
      - 2
      - 0
    .max_flat_workgroup_size: 256
    .name:           _ZL29rocblas_internal_gemmt_kernelIiLi16ELi32ELi8ELc78ELc84ELc85ELb0ELb0EffPKPKfPKPfEviT_T9_T10_S7_lS9_S7_lS8_T11_S7_li
    .private_segment_fixed_size: 0
    .sgpr_count:     38
    .sgpr_spill_count: 0
    .symbol:         _ZL29rocblas_internal_gemmt_kernelIiLi16ELi32ELi8ELc78ELc84ELc85ELb0ELb0EffPKPKfPKPfEviT_T9_T10_S7_lS9_S7_lS8_T11_S7_li.kd
    .uniform_work_group_size: 1
    .uses_dynamic_stack: false
    .vgpr_count:     55
    .vgpr_spill_count: 0
    .wavefront_size: 32
    .workgroup_processor_mode: 1
  - .args:
      - .offset:         0
        .size:           4
        .value_kind:     by_value
      - .offset:         4
        .size:           4
        .value_kind:     by_value
      - .offset:         8
        .size:           4
        .value_kind:     by_value
      - .address_space:  global
        .offset:         16
        .size:           8
        .value_kind:     global_buffer
      - .offset:         24
        .size:           4
        .value_kind:     by_value
      - .offset:         32
        .size:           8
        .value_kind:     by_value
      - .address_space:  global
        .offset:         40
        .size:           8
        .value_kind:     global_buffer
      - .offset:         48
        .size:           4
        .value_kind:     by_value
      - .offset:         56
        .size:           8
        .value_kind:     by_value
      - .offset:         64
        .size:           4
        .value_kind:     by_value
      - .address_space:  global
        .offset:         72
        .size:           8
        .value_kind:     global_buffer
      - .offset:         80
        .size:           4
        .value_kind:     by_value
      - .offset:         88
        .size:           8
        .value_kind:     by_value
      - .offset:         96
        .size:           4
        .value_kind:     by_value
    .group_segment_fixed_size: 2048
    .kernarg_segment_align: 8
    .kernarg_segment_size: 100
    .language:       OpenCL C
    .language_version:
      - 2
      - 0
    .max_flat_workgroup_size: 256
    .name:           _ZL29rocblas_internal_gemmt_kernelIiLi16ELi32ELi8ELc78ELc67ELc85ELb0ELb0EffPKPKfPKPfEviT_T9_T10_S7_lS9_S7_lS8_T11_S7_li
    .private_segment_fixed_size: 0
    .sgpr_count:     38
    .sgpr_spill_count: 0
    .symbol:         _ZL29rocblas_internal_gemmt_kernelIiLi16ELi32ELi8ELc78ELc67ELc85ELb0ELb0EffPKPKfPKPfEviT_T9_T10_S7_lS9_S7_lS8_T11_S7_li.kd
    .uniform_work_group_size: 1
    .uses_dynamic_stack: false
    .vgpr_count:     55
    .vgpr_spill_count: 0
    .wavefront_size: 32
    .workgroup_processor_mode: 1
  - .args:
      - .offset:         0
        .size:           4
        .value_kind:     by_value
      - .offset:         4
        .size:           4
        .value_kind:     by_value
      - .offset:         8
        .size:           4
        .value_kind:     by_value
      - .address_space:  global
        .offset:         16
        .size:           8
        .value_kind:     global_buffer
      - .offset:         24
        .size:           4
        .value_kind:     by_value
      - .offset:         32
        .size:           8
        .value_kind:     by_value
      - .address_space:  global
        .offset:         40
        .size:           8
        .value_kind:     global_buffer
      - .offset:         48
        .size:           4
        .value_kind:     by_value
      - .offset:         56
        .size:           8
        .value_kind:     by_value
      - .offset:         64
        .size:           4
        .value_kind:     by_value
      - .address_space:  global
        .offset:         72
        .size:           8
        .value_kind:     global_buffer
      - .offset:         80
        .size:           4
        .value_kind:     by_value
      - .offset:         88
        .size:           8
        .value_kind:     by_value
      - .offset:         96
        .size:           4
        .value_kind:     by_value
    .group_segment_fixed_size: 2048
    .kernarg_segment_align: 8
    .kernarg_segment_size: 100
    .language:       OpenCL C
    .language_version:
      - 2
      - 0
    .max_flat_workgroup_size: 256
    .name:           _ZL29rocblas_internal_gemmt_kernelIiLi16ELi32ELi8ELc84ELc78ELc85ELb0ELb0EffPKPKfPKPfEviT_T9_T10_S7_lS9_S7_lS8_T11_S7_li
    .private_segment_fixed_size: 0
    .sgpr_count:     31
    .sgpr_spill_count: 0
    .symbol:         _ZL29rocblas_internal_gemmt_kernelIiLi16ELi32ELi8ELc84ELc78ELc85ELb0ELb0EffPKPKfPKPfEviT_T9_T10_S7_lS9_S7_lS8_T11_S7_li.kd
    .uniform_work_group_size: 1
    .uses_dynamic_stack: false
    .vgpr_count:     55
    .vgpr_spill_count: 0
    .wavefront_size: 32
    .workgroup_processor_mode: 1
  - .args:
      - .offset:         0
        .size:           4
        .value_kind:     by_value
      - .offset:         4
        .size:           4
        .value_kind:     by_value
      - .offset:         8
        .size:           4
        .value_kind:     by_value
      - .address_space:  global
        .offset:         16
        .size:           8
        .value_kind:     global_buffer
      - .offset:         24
        .size:           4
        .value_kind:     by_value
      - .offset:         32
        .size:           8
        .value_kind:     by_value
      - .address_space:  global
        .offset:         40
        .size:           8
        .value_kind:     global_buffer
      - .offset:         48
        .size:           4
        .value_kind:     by_value
      - .offset:         56
        .size:           8
        .value_kind:     by_value
      - .offset:         64
        .size:           4
        .value_kind:     by_value
      - .address_space:  global
        .offset:         72
        .size:           8
        .value_kind:     global_buffer
      - .offset:         80
        .size:           4
        .value_kind:     by_value
      - .offset:         88
        .size:           8
        .value_kind:     by_value
      - .offset:         96
        .size:           4
        .value_kind:     by_value
    .group_segment_fixed_size: 2048
    .kernarg_segment_align: 8
    .kernarg_segment_size: 100
    .language:       OpenCL C
    .language_version:
      - 2
      - 0
    .max_flat_workgroup_size: 256
    .name:           _ZL29rocblas_internal_gemmt_kernelIiLi16ELi32ELi8ELc84ELc84ELc85ELb0ELb0EffPKPKfPKPfEviT_T9_T10_S7_lS9_S7_lS8_T11_S7_li
    .private_segment_fixed_size: 0
    .sgpr_count:     34
    .sgpr_spill_count: 0
    .symbol:         _ZL29rocblas_internal_gemmt_kernelIiLi16ELi32ELi8ELc84ELc84ELc85ELb0ELb0EffPKPKfPKPfEviT_T9_T10_S7_lS9_S7_lS8_T11_S7_li.kd
    .uniform_work_group_size: 1
    .uses_dynamic_stack: false
    .vgpr_count:     55
    .vgpr_spill_count: 0
    .wavefront_size: 32
    .workgroup_processor_mode: 1
  - .args:
      - .offset:         0
        .size:           4
        .value_kind:     by_value
      - .offset:         4
        .size:           4
        .value_kind:     by_value
      - .offset:         8
        .size:           4
        .value_kind:     by_value
      - .address_space:  global
        .offset:         16
        .size:           8
        .value_kind:     global_buffer
      - .offset:         24
        .size:           4
        .value_kind:     by_value
      - .offset:         32
        .size:           8
        .value_kind:     by_value
      - .address_space:  global
        .offset:         40
        .size:           8
        .value_kind:     global_buffer
      - .offset:         48
        .size:           4
        .value_kind:     by_value
      - .offset:         56
        .size:           8
        .value_kind:     by_value
      - .offset:         64
        .size:           4
        .value_kind:     by_value
      - .address_space:  global
        .offset:         72
        .size:           8
        .value_kind:     global_buffer
      - .offset:         80
        .size:           4
        .value_kind:     by_value
      - .offset:         88
        .size:           8
        .value_kind:     by_value
      - .offset:         96
        .size:           4
        .value_kind:     by_value
    .group_segment_fixed_size: 2048
    .kernarg_segment_align: 8
    .kernarg_segment_size: 100
    .language:       OpenCL C
    .language_version:
      - 2
      - 0
    .max_flat_workgroup_size: 256
    .name:           _ZL29rocblas_internal_gemmt_kernelIiLi16ELi32ELi8ELc84ELc67ELc85ELb0ELb0EffPKPKfPKPfEviT_T9_T10_S7_lS9_S7_lS8_T11_S7_li
    .private_segment_fixed_size: 0
    .sgpr_count:     34
    .sgpr_spill_count: 0
    .symbol:         _ZL29rocblas_internal_gemmt_kernelIiLi16ELi32ELi8ELc84ELc67ELc85ELb0ELb0EffPKPKfPKPfEviT_T9_T10_S7_lS9_S7_lS8_T11_S7_li.kd
    .uniform_work_group_size: 1
    .uses_dynamic_stack: false
    .vgpr_count:     55
    .vgpr_spill_count: 0
    .wavefront_size: 32
    .workgroup_processor_mode: 1
  - .args:
      - .offset:         0
        .size:           4
        .value_kind:     by_value
      - .offset:         4
        .size:           4
        .value_kind:     by_value
      - .offset:         8
        .size:           4
        .value_kind:     by_value
      - .address_space:  global
        .offset:         16
        .size:           8
        .value_kind:     global_buffer
      - .offset:         24
        .size:           4
        .value_kind:     by_value
      - .offset:         32
        .size:           8
        .value_kind:     by_value
      - .address_space:  global
        .offset:         40
        .size:           8
        .value_kind:     global_buffer
      - .offset:         48
        .size:           4
        .value_kind:     by_value
      - .offset:         56
        .size:           8
        .value_kind:     by_value
      - .offset:         64
        .size:           4
        .value_kind:     by_value
      - .address_space:  global
        .offset:         72
        .size:           8
        .value_kind:     global_buffer
      - .offset:         80
        .size:           4
        .value_kind:     by_value
      - .offset:         88
        .size:           8
        .value_kind:     by_value
      - .offset:         96
        .size:           4
        .value_kind:     by_value
    .group_segment_fixed_size: 2048
    .kernarg_segment_align: 8
    .kernarg_segment_size: 100
    .language:       OpenCL C
    .language_version:
      - 2
      - 0
    .max_flat_workgroup_size: 256
    .name:           _ZL29rocblas_internal_gemmt_kernelIiLi16ELi32ELi8ELc67ELc78ELc85ELb0ELb0EffPKPKfPKPfEviT_T9_T10_S7_lS9_S7_lS8_T11_S7_li
    .private_segment_fixed_size: 0
    .sgpr_count:     31
    .sgpr_spill_count: 0
    .symbol:         _ZL29rocblas_internal_gemmt_kernelIiLi16ELi32ELi8ELc67ELc78ELc85ELb0ELb0EffPKPKfPKPfEviT_T9_T10_S7_lS9_S7_lS8_T11_S7_li.kd
    .uniform_work_group_size: 1
    .uses_dynamic_stack: false
    .vgpr_count:     55
    .vgpr_spill_count: 0
    .wavefront_size: 32
    .workgroup_processor_mode: 1
  - .args:
      - .offset:         0
        .size:           4
        .value_kind:     by_value
      - .offset:         4
        .size:           4
        .value_kind:     by_value
      - .offset:         8
        .size:           4
        .value_kind:     by_value
      - .address_space:  global
        .offset:         16
        .size:           8
        .value_kind:     global_buffer
      - .offset:         24
        .size:           4
        .value_kind:     by_value
      - .offset:         32
        .size:           8
        .value_kind:     by_value
      - .address_space:  global
        .offset:         40
        .size:           8
        .value_kind:     global_buffer
      - .offset:         48
        .size:           4
        .value_kind:     by_value
      - .offset:         56
        .size:           8
        .value_kind:     by_value
      - .offset:         64
        .size:           4
        .value_kind:     by_value
      - .address_space:  global
        .offset:         72
        .size:           8
        .value_kind:     global_buffer
      - .offset:         80
        .size:           4
        .value_kind:     by_value
      - .offset:         88
        .size:           8
        .value_kind:     by_value
      - .offset:         96
        .size:           4
        .value_kind:     by_value
    .group_segment_fixed_size: 2048
    .kernarg_segment_align: 8
    .kernarg_segment_size: 100
    .language:       OpenCL C
    .language_version:
      - 2
      - 0
    .max_flat_workgroup_size: 256
    .name:           _ZL29rocblas_internal_gemmt_kernelIiLi16ELi32ELi8ELc67ELc84ELc85ELb0ELb0EffPKPKfPKPfEviT_T9_T10_S7_lS9_S7_lS8_T11_S7_li
    .private_segment_fixed_size: 0
    .sgpr_count:     34
    .sgpr_spill_count: 0
    .symbol:         _ZL29rocblas_internal_gemmt_kernelIiLi16ELi32ELi8ELc67ELc84ELc85ELb0ELb0EffPKPKfPKPfEviT_T9_T10_S7_lS9_S7_lS8_T11_S7_li.kd
    .uniform_work_group_size: 1
    .uses_dynamic_stack: false
    .vgpr_count:     55
    .vgpr_spill_count: 0
    .wavefront_size: 32
    .workgroup_processor_mode: 1
  - .args:
      - .offset:         0
        .size:           4
        .value_kind:     by_value
      - .offset:         4
        .size:           4
        .value_kind:     by_value
      - .offset:         8
        .size:           4
        .value_kind:     by_value
      - .address_space:  global
        .offset:         16
        .size:           8
        .value_kind:     global_buffer
      - .offset:         24
        .size:           4
        .value_kind:     by_value
      - .offset:         32
        .size:           8
        .value_kind:     by_value
      - .address_space:  global
        .offset:         40
        .size:           8
        .value_kind:     global_buffer
      - .offset:         48
        .size:           4
        .value_kind:     by_value
      - .offset:         56
        .size:           8
        .value_kind:     by_value
      - .offset:         64
        .size:           4
        .value_kind:     by_value
      - .address_space:  global
        .offset:         72
        .size:           8
        .value_kind:     global_buffer
      - .offset:         80
        .size:           4
        .value_kind:     by_value
      - .offset:         88
        .size:           8
        .value_kind:     by_value
      - .offset:         96
        .size:           4
        .value_kind:     by_value
    .group_segment_fixed_size: 2048
    .kernarg_segment_align: 8
    .kernarg_segment_size: 100
    .language:       OpenCL C
    .language_version:
      - 2
      - 0
    .max_flat_workgroup_size: 256
    .name:           _ZL29rocblas_internal_gemmt_kernelIiLi16ELi32ELi8ELc67ELc67ELc85ELb0ELb0EffPKPKfPKPfEviT_T9_T10_S7_lS9_S7_lS8_T11_S7_li
    .private_segment_fixed_size: 0
    .sgpr_count:     34
    .sgpr_spill_count: 0
    .symbol:         _ZL29rocblas_internal_gemmt_kernelIiLi16ELi32ELi8ELc67ELc67ELc85ELb0ELb0EffPKPKfPKPfEviT_T9_T10_S7_lS9_S7_lS8_T11_S7_li.kd
    .uniform_work_group_size: 1
    .uses_dynamic_stack: false
    .vgpr_count:     55
    .vgpr_spill_count: 0
    .wavefront_size: 32
    .workgroup_processor_mode: 1
  - .args:
      - .offset:         0
        .size:           4
        .value_kind:     by_value
      - .offset:         4
        .size:           4
        .value_kind:     by_value
      - .offset:         8
        .size:           4
        .value_kind:     by_value
      - .address_space:  global
        .offset:         16
        .size:           8
        .value_kind:     global_buffer
      - .offset:         24
        .size:           4
        .value_kind:     by_value
      - .offset:         32
        .size:           8
        .value_kind:     by_value
      - .address_space:  global
        .offset:         40
        .size:           8
        .value_kind:     global_buffer
      - .offset:         48
        .size:           4
        .value_kind:     by_value
      - .offset:         56
        .size:           8
        .value_kind:     by_value
      - .offset:         64
        .size:           4
        .value_kind:     by_value
      - .address_space:  global
        .offset:         72
        .size:           8
        .value_kind:     global_buffer
      - .offset:         80
        .size:           4
        .value_kind:     by_value
      - .offset:         88
        .size:           8
        .value_kind:     by_value
      - .offset:         96
        .size:           4
        .value_kind:     by_value
    .group_segment_fixed_size: 2048
    .kernarg_segment_align: 8
    .kernarg_segment_size: 100
    .language:       OpenCL C
    .language_version:
      - 2
      - 0
    .max_flat_workgroup_size: 256
    .name:           _ZL29rocblas_internal_gemmt_kernelIiLi16ELi32ELi8ELc78ELc78ELc76ELb0ELb0EffPKPKfPKPfEviT_T9_T10_S7_lS9_S7_lS8_T11_S7_li
    .private_segment_fixed_size: 0
    .sgpr_count:     36
    .sgpr_spill_count: 0
    .symbol:         _ZL29rocblas_internal_gemmt_kernelIiLi16ELi32ELi8ELc78ELc78ELc76ELb0ELb0EffPKPKfPKPfEviT_T9_T10_S7_lS9_S7_lS8_T11_S7_li.kd
    .uniform_work_group_size: 1
    .uses_dynamic_stack: false
    .vgpr_count:     55
    .vgpr_spill_count: 0
    .wavefront_size: 32
    .workgroup_processor_mode: 1
  - .args:
      - .offset:         0
        .size:           4
        .value_kind:     by_value
      - .offset:         4
        .size:           4
        .value_kind:     by_value
      - .offset:         8
        .size:           4
        .value_kind:     by_value
      - .address_space:  global
        .offset:         16
        .size:           8
        .value_kind:     global_buffer
      - .offset:         24
        .size:           4
        .value_kind:     by_value
      - .offset:         32
        .size:           8
        .value_kind:     by_value
      - .address_space:  global
        .offset:         40
        .size:           8
        .value_kind:     global_buffer
      - .offset:         48
        .size:           4
        .value_kind:     by_value
      - .offset:         56
        .size:           8
        .value_kind:     by_value
      - .offset:         64
        .size:           4
        .value_kind:     by_value
      - .address_space:  global
        .offset:         72
        .size:           8
        .value_kind:     global_buffer
      - .offset:         80
        .size:           4
        .value_kind:     by_value
      - .offset:         88
        .size:           8
        .value_kind:     by_value
      - .offset:         96
        .size:           4
        .value_kind:     by_value
    .group_segment_fixed_size: 2048
    .kernarg_segment_align: 8
    .kernarg_segment_size: 100
    .language:       OpenCL C
    .language_version:
      - 2
      - 0
    .max_flat_workgroup_size: 256
    .name:           _ZL29rocblas_internal_gemmt_kernelIiLi16ELi32ELi8ELc78ELc84ELc76ELb0ELb0EffPKPKfPKPfEviT_T9_T10_S7_lS9_S7_lS8_T11_S7_li
    .private_segment_fixed_size: 0
    .sgpr_count:     38
    .sgpr_spill_count: 0
    .symbol:         _ZL29rocblas_internal_gemmt_kernelIiLi16ELi32ELi8ELc78ELc84ELc76ELb0ELb0EffPKPKfPKPfEviT_T9_T10_S7_lS9_S7_lS8_T11_S7_li.kd
    .uniform_work_group_size: 1
    .uses_dynamic_stack: false
    .vgpr_count:     55
    .vgpr_spill_count: 0
    .wavefront_size: 32
    .workgroup_processor_mode: 1
  - .args:
      - .offset:         0
        .size:           4
        .value_kind:     by_value
      - .offset:         4
        .size:           4
        .value_kind:     by_value
      - .offset:         8
        .size:           4
        .value_kind:     by_value
      - .address_space:  global
        .offset:         16
        .size:           8
        .value_kind:     global_buffer
      - .offset:         24
        .size:           4
        .value_kind:     by_value
      - .offset:         32
        .size:           8
        .value_kind:     by_value
      - .address_space:  global
        .offset:         40
        .size:           8
        .value_kind:     global_buffer
      - .offset:         48
        .size:           4
        .value_kind:     by_value
      - .offset:         56
        .size:           8
        .value_kind:     by_value
      - .offset:         64
        .size:           4
        .value_kind:     by_value
      - .address_space:  global
        .offset:         72
        .size:           8
        .value_kind:     global_buffer
      - .offset:         80
        .size:           4
        .value_kind:     by_value
      - .offset:         88
        .size:           8
        .value_kind:     by_value
      - .offset:         96
        .size:           4
        .value_kind:     by_value
    .group_segment_fixed_size: 2048
    .kernarg_segment_align: 8
    .kernarg_segment_size: 100
    .language:       OpenCL C
    .language_version:
      - 2
      - 0
    .max_flat_workgroup_size: 256
    .name:           _ZL29rocblas_internal_gemmt_kernelIiLi16ELi32ELi8ELc78ELc67ELc76ELb0ELb0EffPKPKfPKPfEviT_T9_T10_S7_lS9_S7_lS8_T11_S7_li
    .private_segment_fixed_size: 0
    .sgpr_count:     38
    .sgpr_spill_count: 0
    .symbol:         _ZL29rocblas_internal_gemmt_kernelIiLi16ELi32ELi8ELc78ELc67ELc76ELb0ELb0EffPKPKfPKPfEviT_T9_T10_S7_lS9_S7_lS8_T11_S7_li.kd
    .uniform_work_group_size: 1
    .uses_dynamic_stack: false
    .vgpr_count:     55
    .vgpr_spill_count: 0
    .wavefront_size: 32
    .workgroup_processor_mode: 1
  - .args:
      - .offset:         0
        .size:           4
        .value_kind:     by_value
      - .offset:         4
        .size:           4
        .value_kind:     by_value
      - .offset:         8
        .size:           4
        .value_kind:     by_value
      - .address_space:  global
        .offset:         16
        .size:           8
        .value_kind:     global_buffer
      - .offset:         24
        .size:           4
        .value_kind:     by_value
      - .offset:         32
        .size:           8
        .value_kind:     by_value
      - .address_space:  global
        .offset:         40
        .size:           8
        .value_kind:     global_buffer
      - .offset:         48
        .size:           4
        .value_kind:     by_value
      - .offset:         56
        .size:           8
        .value_kind:     by_value
      - .offset:         64
        .size:           4
        .value_kind:     by_value
      - .address_space:  global
        .offset:         72
        .size:           8
        .value_kind:     global_buffer
      - .offset:         80
        .size:           4
        .value_kind:     by_value
      - .offset:         88
        .size:           8
        .value_kind:     by_value
      - .offset:         96
        .size:           4
        .value_kind:     by_value
    .group_segment_fixed_size: 2048
    .kernarg_segment_align: 8
    .kernarg_segment_size: 100
    .language:       OpenCL C
    .language_version:
      - 2
      - 0
    .max_flat_workgroup_size: 256
    .name:           _ZL29rocblas_internal_gemmt_kernelIiLi16ELi32ELi8ELc84ELc78ELc76ELb0ELb0EffPKPKfPKPfEviT_T9_T10_S7_lS9_S7_lS8_T11_S7_li
    .private_segment_fixed_size: 0
    .sgpr_count:     32
    .sgpr_spill_count: 0
    .symbol:         _ZL29rocblas_internal_gemmt_kernelIiLi16ELi32ELi8ELc84ELc78ELc76ELb0ELb0EffPKPKfPKPfEviT_T9_T10_S7_lS9_S7_lS8_T11_S7_li.kd
    .uniform_work_group_size: 1
    .uses_dynamic_stack: false
    .vgpr_count:     55
    .vgpr_spill_count: 0
    .wavefront_size: 32
    .workgroup_processor_mode: 1
  - .args:
      - .offset:         0
        .size:           4
        .value_kind:     by_value
      - .offset:         4
        .size:           4
        .value_kind:     by_value
      - .offset:         8
        .size:           4
        .value_kind:     by_value
      - .address_space:  global
        .offset:         16
        .size:           8
        .value_kind:     global_buffer
      - .offset:         24
        .size:           4
        .value_kind:     by_value
      - .offset:         32
        .size:           8
        .value_kind:     by_value
      - .address_space:  global
        .offset:         40
        .size:           8
        .value_kind:     global_buffer
      - .offset:         48
        .size:           4
        .value_kind:     by_value
      - .offset:         56
        .size:           8
        .value_kind:     by_value
      - .offset:         64
        .size:           4
        .value_kind:     by_value
      - .address_space:  global
        .offset:         72
        .size:           8
        .value_kind:     global_buffer
      - .offset:         80
        .size:           4
        .value_kind:     by_value
      - .offset:         88
        .size:           8
        .value_kind:     by_value
      - .offset:         96
        .size:           4
        .value_kind:     by_value
    .group_segment_fixed_size: 2048
    .kernarg_segment_align: 8
    .kernarg_segment_size: 100
    .language:       OpenCL C
    .language_version:
      - 2
      - 0
    .max_flat_workgroup_size: 256
    .name:           _ZL29rocblas_internal_gemmt_kernelIiLi16ELi32ELi8ELc84ELc84ELc76ELb0ELb0EffPKPKfPKPfEviT_T9_T10_S7_lS9_S7_lS8_T11_S7_li
    .private_segment_fixed_size: 0
    .sgpr_count:     33
    .sgpr_spill_count: 0
    .symbol:         _ZL29rocblas_internal_gemmt_kernelIiLi16ELi32ELi8ELc84ELc84ELc76ELb0ELb0EffPKPKfPKPfEviT_T9_T10_S7_lS9_S7_lS8_T11_S7_li.kd
    .uniform_work_group_size: 1
    .uses_dynamic_stack: false
    .vgpr_count:     55
    .vgpr_spill_count: 0
    .wavefront_size: 32
    .workgroup_processor_mode: 1
  - .args:
      - .offset:         0
        .size:           4
        .value_kind:     by_value
      - .offset:         4
        .size:           4
        .value_kind:     by_value
      - .offset:         8
        .size:           4
        .value_kind:     by_value
      - .address_space:  global
        .offset:         16
        .size:           8
        .value_kind:     global_buffer
      - .offset:         24
        .size:           4
        .value_kind:     by_value
      - .offset:         32
        .size:           8
        .value_kind:     by_value
      - .address_space:  global
        .offset:         40
        .size:           8
        .value_kind:     global_buffer
      - .offset:         48
        .size:           4
        .value_kind:     by_value
      - .offset:         56
        .size:           8
        .value_kind:     by_value
      - .offset:         64
        .size:           4
        .value_kind:     by_value
      - .address_space:  global
        .offset:         72
        .size:           8
        .value_kind:     global_buffer
      - .offset:         80
        .size:           4
        .value_kind:     by_value
      - .offset:         88
        .size:           8
        .value_kind:     by_value
      - .offset:         96
        .size:           4
        .value_kind:     by_value
    .group_segment_fixed_size: 2048
    .kernarg_segment_align: 8
    .kernarg_segment_size: 100
    .language:       OpenCL C
    .language_version:
      - 2
      - 0
    .max_flat_workgroup_size: 256
    .name:           _ZL29rocblas_internal_gemmt_kernelIiLi16ELi32ELi8ELc84ELc67ELc76ELb0ELb0EffPKPKfPKPfEviT_T9_T10_S7_lS9_S7_lS8_T11_S7_li
    .private_segment_fixed_size: 0
    .sgpr_count:     33
    .sgpr_spill_count: 0
    .symbol:         _ZL29rocblas_internal_gemmt_kernelIiLi16ELi32ELi8ELc84ELc67ELc76ELb0ELb0EffPKPKfPKPfEviT_T9_T10_S7_lS9_S7_lS8_T11_S7_li.kd
    .uniform_work_group_size: 1
    .uses_dynamic_stack: false
    .vgpr_count:     55
    .vgpr_spill_count: 0
    .wavefront_size: 32
    .workgroup_processor_mode: 1
  - .args:
      - .offset:         0
        .size:           4
        .value_kind:     by_value
      - .offset:         4
        .size:           4
        .value_kind:     by_value
      - .offset:         8
        .size:           4
        .value_kind:     by_value
      - .address_space:  global
        .offset:         16
        .size:           8
        .value_kind:     global_buffer
      - .offset:         24
        .size:           4
        .value_kind:     by_value
      - .offset:         32
        .size:           8
        .value_kind:     by_value
      - .address_space:  global
        .offset:         40
        .size:           8
        .value_kind:     global_buffer
      - .offset:         48
        .size:           4
        .value_kind:     by_value
      - .offset:         56
        .size:           8
        .value_kind:     by_value
      - .offset:         64
        .size:           4
        .value_kind:     by_value
      - .address_space:  global
        .offset:         72
        .size:           8
        .value_kind:     global_buffer
      - .offset:         80
        .size:           4
        .value_kind:     by_value
      - .offset:         88
        .size:           8
        .value_kind:     by_value
      - .offset:         96
        .size:           4
        .value_kind:     by_value
    .group_segment_fixed_size: 2048
    .kernarg_segment_align: 8
    .kernarg_segment_size: 100
    .language:       OpenCL C
    .language_version:
      - 2
      - 0
    .max_flat_workgroup_size: 256
    .name:           _ZL29rocblas_internal_gemmt_kernelIiLi16ELi32ELi8ELc67ELc78ELc76ELb0ELb0EffPKPKfPKPfEviT_T9_T10_S7_lS9_S7_lS8_T11_S7_li
    .private_segment_fixed_size: 0
    .sgpr_count:     32
    .sgpr_spill_count: 0
    .symbol:         _ZL29rocblas_internal_gemmt_kernelIiLi16ELi32ELi8ELc67ELc78ELc76ELb0ELb0EffPKPKfPKPfEviT_T9_T10_S7_lS9_S7_lS8_T11_S7_li.kd
    .uniform_work_group_size: 1
    .uses_dynamic_stack: false
    .vgpr_count:     55
    .vgpr_spill_count: 0
    .wavefront_size: 32
    .workgroup_processor_mode: 1
  - .args:
      - .offset:         0
        .size:           4
        .value_kind:     by_value
      - .offset:         4
        .size:           4
        .value_kind:     by_value
      - .offset:         8
        .size:           4
        .value_kind:     by_value
      - .address_space:  global
        .offset:         16
        .size:           8
        .value_kind:     global_buffer
      - .offset:         24
        .size:           4
        .value_kind:     by_value
      - .offset:         32
        .size:           8
        .value_kind:     by_value
      - .address_space:  global
        .offset:         40
        .size:           8
        .value_kind:     global_buffer
      - .offset:         48
        .size:           4
        .value_kind:     by_value
      - .offset:         56
        .size:           8
        .value_kind:     by_value
      - .offset:         64
        .size:           4
        .value_kind:     by_value
      - .address_space:  global
        .offset:         72
        .size:           8
        .value_kind:     global_buffer
      - .offset:         80
        .size:           4
        .value_kind:     by_value
      - .offset:         88
        .size:           8
        .value_kind:     by_value
      - .offset:         96
        .size:           4
        .value_kind:     by_value
    .group_segment_fixed_size: 2048
    .kernarg_segment_align: 8
    .kernarg_segment_size: 100
    .language:       OpenCL C
    .language_version:
      - 2
      - 0
    .max_flat_workgroup_size: 256
    .name:           _ZL29rocblas_internal_gemmt_kernelIiLi16ELi32ELi8ELc67ELc84ELc76ELb0ELb0EffPKPKfPKPfEviT_T9_T10_S7_lS9_S7_lS8_T11_S7_li
    .private_segment_fixed_size: 0
    .sgpr_count:     33
    .sgpr_spill_count: 0
    .symbol:         _ZL29rocblas_internal_gemmt_kernelIiLi16ELi32ELi8ELc67ELc84ELc76ELb0ELb0EffPKPKfPKPfEviT_T9_T10_S7_lS9_S7_lS8_T11_S7_li.kd
    .uniform_work_group_size: 1
    .uses_dynamic_stack: false
    .vgpr_count:     55
    .vgpr_spill_count: 0
    .wavefront_size: 32
    .workgroup_processor_mode: 1
  - .args:
      - .offset:         0
        .size:           4
        .value_kind:     by_value
      - .offset:         4
        .size:           4
        .value_kind:     by_value
      - .offset:         8
        .size:           4
        .value_kind:     by_value
      - .address_space:  global
        .offset:         16
        .size:           8
        .value_kind:     global_buffer
      - .offset:         24
        .size:           4
        .value_kind:     by_value
      - .offset:         32
        .size:           8
        .value_kind:     by_value
      - .address_space:  global
        .offset:         40
        .size:           8
        .value_kind:     global_buffer
      - .offset:         48
        .size:           4
        .value_kind:     by_value
      - .offset:         56
        .size:           8
        .value_kind:     by_value
      - .offset:         64
        .size:           4
        .value_kind:     by_value
      - .address_space:  global
        .offset:         72
        .size:           8
        .value_kind:     global_buffer
      - .offset:         80
        .size:           4
        .value_kind:     by_value
      - .offset:         88
        .size:           8
        .value_kind:     by_value
      - .offset:         96
        .size:           4
        .value_kind:     by_value
    .group_segment_fixed_size: 2048
    .kernarg_segment_align: 8
    .kernarg_segment_size: 100
    .language:       OpenCL C
    .language_version:
      - 2
      - 0
    .max_flat_workgroup_size: 256
    .name:           _ZL29rocblas_internal_gemmt_kernelIiLi16ELi32ELi8ELc67ELc67ELc76ELb0ELb0EffPKPKfPKPfEviT_T9_T10_S7_lS9_S7_lS8_T11_S7_li
    .private_segment_fixed_size: 0
    .sgpr_count:     33
    .sgpr_spill_count: 0
    .symbol:         _ZL29rocblas_internal_gemmt_kernelIiLi16ELi32ELi8ELc67ELc67ELc76ELb0ELb0EffPKPKfPKPfEviT_T9_T10_S7_lS9_S7_lS8_T11_S7_li.kd
    .uniform_work_group_size: 1
    .uses_dynamic_stack: false
    .vgpr_count:     55
    .vgpr_spill_count: 0
    .wavefront_size: 32
    .workgroup_processor_mode: 1
  - .args:
      - .offset:         0
        .size:           4
        .value_kind:     by_value
      - .offset:         4
        .size:           4
        .value_kind:     by_value
      - .address_space:  global
        .offset:         8
        .size:           8
        .value_kind:     global_buffer
      - .address_space:  global
        .offset:         16
        .size:           8
        .value_kind:     global_buffer
      - .offset:         24
        .size:           4
        .value_kind:     by_value
      - .offset:         32
        .size:           8
        .value_kind:     by_value
      - .address_space:  global
        .offset:         40
        .size:           8
        .value_kind:     global_buffer
      - .offset:         48
        .size:           4
        .value_kind:     by_value
      - .offset:         56
        .size:           8
        .value_kind:     by_value
      - .address_space:  global
        .offset:         64
        .size:           8
        .value_kind:     global_buffer
      - .address_space:  global
        .offset:         72
        .size:           8
        .value_kind:     global_buffer
      - .offset:         80
        .size:           4
        .value_kind:     by_value
      - .offset:         88
        .size:           8
        .value_kind:     by_value
      - .offset:         96
        .size:           4
        .value_kind:     by_value
    .group_segment_fixed_size: 4096
    .kernarg_segment_align: 8
    .kernarg_segment_size: 100
    .language:       OpenCL C
    .language_version:
      - 2
      - 0
    .max_flat_workgroup_size: 256
    .name:           _ZL29rocblas_internal_gemmt_kernelIiLi16ELi32ELi8ELc78ELc78ELc85ELb0ELb0EdPKdPKS1_PKPdEviT_T9_T10_S7_lS9_S7_lS8_T11_S7_li
    .private_segment_fixed_size: 0
    .sgpr_count:     37
    .sgpr_spill_count: 0
    .symbol:         _ZL29rocblas_internal_gemmt_kernelIiLi16ELi32ELi8ELc78ELc78ELc85ELb0ELb0EdPKdPKS1_PKPdEviT_T9_T10_S7_lS9_S7_lS8_T11_S7_li.kd
    .uniform_work_group_size: 1
    .uses_dynamic_stack: false
    .vgpr_count:     55
    .vgpr_spill_count: 0
    .wavefront_size: 32
    .workgroup_processor_mode: 1
  - .args:
      - .offset:         0
        .size:           4
        .value_kind:     by_value
      - .offset:         4
        .size:           4
        .value_kind:     by_value
      - .address_space:  global
        .offset:         8
        .size:           8
        .value_kind:     global_buffer
      - .address_space:  global
        .offset:         16
        .size:           8
        .value_kind:     global_buffer
      - .offset:         24
        .size:           4
        .value_kind:     by_value
      - .offset:         32
        .size:           8
        .value_kind:     by_value
      - .address_space:  global
        .offset:         40
        .size:           8
        .value_kind:     global_buffer
      - .offset:         48
        .size:           4
        .value_kind:     by_value
      - .offset:         56
        .size:           8
        .value_kind:     by_value
      - .address_space:  global
        .offset:         64
        .size:           8
        .value_kind:     global_buffer
      - .address_space:  global
        .offset:         72
        .size:           8
        .value_kind:     global_buffer
      - .offset:         80
        .size:           4
        .value_kind:     by_value
      - .offset:         88
        .size:           8
        .value_kind:     by_value
      - .offset:         96
        .size:           4
        .value_kind:     by_value
    .group_segment_fixed_size: 4096
    .kernarg_segment_align: 8
    .kernarg_segment_size: 100
    .language:       OpenCL C
    .language_version:
      - 2
      - 0
    .max_flat_workgroup_size: 256
    .name:           _ZL29rocblas_internal_gemmt_kernelIiLi16ELi32ELi8ELc78ELc84ELc85ELb0ELb0EdPKdPKS1_PKPdEviT_T9_T10_S7_lS9_S7_lS8_T11_S7_li
    .private_segment_fixed_size: 0
    .sgpr_count:     39
    .sgpr_spill_count: 0
    .symbol:         _ZL29rocblas_internal_gemmt_kernelIiLi16ELi32ELi8ELc78ELc84ELc85ELb0ELb0EdPKdPKS1_PKPdEviT_T9_T10_S7_lS9_S7_lS8_T11_S7_li.kd
    .uniform_work_group_size: 1
    .uses_dynamic_stack: false
    .vgpr_count:     55
    .vgpr_spill_count: 0
    .wavefront_size: 32
    .workgroup_processor_mode: 1
  - .args:
      - .offset:         0
        .size:           4
        .value_kind:     by_value
      - .offset:         4
        .size:           4
        .value_kind:     by_value
      - .address_space:  global
        .offset:         8
        .size:           8
        .value_kind:     global_buffer
      - .address_space:  global
        .offset:         16
        .size:           8
        .value_kind:     global_buffer
      - .offset:         24
        .size:           4
        .value_kind:     by_value
      - .offset:         32
        .size:           8
        .value_kind:     by_value
      - .address_space:  global
        .offset:         40
        .size:           8
        .value_kind:     global_buffer
      - .offset:         48
        .size:           4
        .value_kind:     by_value
      - .offset:         56
        .size:           8
        .value_kind:     by_value
      - .address_space:  global
        .offset:         64
        .size:           8
        .value_kind:     global_buffer
      - .address_space:  global
        .offset:         72
        .size:           8
        .value_kind:     global_buffer
      - .offset:         80
        .size:           4
        .value_kind:     by_value
      - .offset:         88
        .size:           8
        .value_kind:     by_value
      - .offset:         96
        .size:           4
        .value_kind:     by_value
    .group_segment_fixed_size: 4096
    .kernarg_segment_align: 8
    .kernarg_segment_size: 100
    .language:       OpenCL C
    .language_version:
      - 2
      - 0
    .max_flat_workgroup_size: 256
    .name:           _ZL29rocblas_internal_gemmt_kernelIiLi16ELi32ELi8ELc78ELc67ELc85ELb0ELb0EdPKdPKS1_PKPdEviT_T9_T10_S7_lS9_S7_lS8_T11_S7_li
    .private_segment_fixed_size: 0
    .sgpr_count:     39
    .sgpr_spill_count: 0
    .symbol:         _ZL29rocblas_internal_gemmt_kernelIiLi16ELi32ELi8ELc78ELc67ELc85ELb0ELb0EdPKdPKS1_PKPdEviT_T9_T10_S7_lS9_S7_lS8_T11_S7_li.kd
    .uniform_work_group_size: 1
    .uses_dynamic_stack: false
    .vgpr_count:     55
    .vgpr_spill_count: 0
    .wavefront_size: 32
    .workgroup_processor_mode: 1
  - .args:
      - .offset:         0
        .size:           4
        .value_kind:     by_value
      - .offset:         4
        .size:           4
        .value_kind:     by_value
      - .address_space:  global
        .offset:         8
        .size:           8
        .value_kind:     global_buffer
      - .address_space:  global
        .offset:         16
        .size:           8
        .value_kind:     global_buffer
      - .offset:         24
        .size:           4
        .value_kind:     by_value
      - .offset:         32
        .size:           8
        .value_kind:     by_value
      - .address_space:  global
        .offset:         40
        .size:           8
        .value_kind:     global_buffer
      - .offset:         48
        .size:           4
        .value_kind:     by_value
      - .offset:         56
        .size:           8
        .value_kind:     by_value
      - .address_space:  global
        .offset:         64
        .size:           8
        .value_kind:     global_buffer
      - .address_space:  global
        .offset:         72
        .size:           8
        .value_kind:     global_buffer
      - .offset:         80
        .size:           4
        .value_kind:     by_value
      - .offset:         88
        .size:           8
        .value_kind:     by_value
      - .offset:         96
        .size:           4
        .value_kind:     by_value
    .group_segment_fixed_size: 4096
    .kernarg_segment_align: 8
    .kernarg_segment_size: 100
    .language:       OpenCL C
    .language_version:
      - 2
      - 0
    .max_flat_workgroup_size: 256
    .name:           _ZL29rocblas_internal_gemmt_kernelIiLi16ELi32ELi8ELc84ELc78ELc85ELb0ELb0EdPKdPKS1_PKPdEviT_T9_T10_S7_lS9_S7_lS8_T11_S7_li
    .private_segment_fixed_size: 0
    .sgpr_count:     36
    .sgpr_spill_count: 0
    .symbol:         _ZL29rocblas_internal_gemmt_kernelIiLi16ELi32ELi8ELc84ELc78ELc85ELb0ELb0EdPKdPKS1_PKPdEviT_T9_T10_S7_lS9_S7_lS8_T11_S7_li.kd
    .uniform_work_group_size: 1
    .uses_dynamic_stack: false
    .vgpr_count:     55
    .vgpr_spill_count: 0
    .wavefront_size: 32
    .workgroup_processor_mode: 1
  - .args:
      - .offset:         0
        .size:           4
        .value_kind:     by_value
      - .offset:         4
        .size:           4
        .value_kind:     by_value
      - .address_space:  global
        .offset:         8
        .size:           8
        .value_kind:     global_buffer
      - .address_space:  global
        .offset:         16
        .size:           8
        .value_kind:     global_buffer
      - .offset:         24
        .size:           4
        .value_kind:     by_value
      - .offset:         32
        .size:           8
        .value_kind:     by_value
      - .address_space:  global
        .offset:         40
        .size:           8
        .value_kind:     global_buffer
      - .offset:         48
        .size:           4
        .value_kind:     by_value
      - .offset:         56
        .size:           8
        .value_kind:     by_value
      - .address_space:  global
        .offset:         64
        .size:           8
        .value_kind:     global_buffer
      - .address_space:  global
        .offset:         72
        .size:           8
        .value_kind:     global_buffer
      - .offset:         80
        .size:           4
        .value_kind:     by_value
      - .offset:         88
        .size:           8
        .value_kind:     by_value
      - .offset:         96
        .size:           4
        .value_kind:     by_value
    .group_segment_fixed_size: 4096
    .kernarg_segment_align: 8
    .kernarg_segment_size: 100
    .language:       OpenCL C
    .language_version:
      - 2
      - 0
    .max_flat_workgroup_size: 256
    .name:           _ZL29rocblas_internal_gemmt_kernelIiLi16ELi32ELi8ELc84ELc84ELc85ELb0ELb0EdPKdPKS1_PKPdEviT_T9_T10_S7_lS9_S7_lS8_T11_S7_li
    .private_segment_fixed_size: 0
    .sgpr_count:     37
    .sgpr_spill_count: 0
    .symbol:         _ZL29rocblas_internal_gemmt_kernelIiLi16ELi32ELi8ELc84ELc84ELc85ELb0ELb0EdPKdPKS1_PKPdEviT_T9_T10_S7_lS9_S7_lS8_T11_S7_li.kd
    .uniform_work_group_size: 1
    .uses_dynamic_stack: false
    .vgpr_count:     55
    .vgpr_spill_count: 0
    .wavefront_size: 32
    .workgroup_processor_mode: 1
  - .args:
      - .offset:         0
        .size:           4
        .value_kind:     by_value
      - .offset:         4
        .size:           4
        .value_kind:     by_value
      - .address_space:  global
        .offset:         8
        .size:           8
        .value_kind:     global_buffer
      - .address_space:  global
        .offset:         16
        .size:           8
        .value_kind:     global_buffer
      - .offset:         24
        .size:           4
        .value_kind:     by_value
      - .offset:         32
        .size:           8
        .value_kind:     by_value
      - .address_space:  global
        .offset:         40
        .size:           8
        .value_kind:     global_buffer
      - .offset:         48
        .size:           4
        .value_kind:     by_value
      - .offset:         56
        .size:           8
        .value_kind:     by_value
      - .address_space:  global
        .offset:         64
        .size:           8
        .value_kind:     global_buffer
      - .address_space:  global
        .offset:         72
        .size:           8
        .value_kind:     global_buffer
      - .offset:         80
        .size:           4
        .value_kind:     by_value
      - .offset:         88
        .size:           8
        .value_kind:     by_value
      - .offset:         96
        .size:           4
        .value_kind:     by_value
    .group_segment_fixed_size: 4096
    .kernarg_segment_align: 8
    .kernarg_segment_size: 100
    .language:       OpenCL C
    .language_version:
      - 2
      - 0
    .max_flat_workgroup_size: 256
    .name:           _ZL29rocblas_internal_gemmt_kernelIiLi16ELi32ELi8ELc84ELc67ELc85ELb0ELb0EdPKdPKS1_PKPdEviT_T9_T10_S7_lS9_S7_lS8_T11_S7_li
    .private_segment_fixed_size: 0
    .sgpr_count:     37
    .sgpr_spill_count: 0
    .symbol:         _ZL29rocblas_internal_gemmt_kernelIiLi16ELi32ELi8ELc84ELc67ELc85ELb0ELb0EdPKdPKS1_PKPdEviT_T9_T10_S7_lS9_S7_lS8_T11_S7_li.kd
    .uniform_work_group_size: 1
    .uses_dynamic_stack: false
    .vgpr_count:     55
    .vgpr_spill_count: 0
    .wavefront_size: 32
    .workgroup_processor_mode: 1
  - .args:
      - .offset:         0
        .size:           4
        .value_kind:     by_value
      - .offset:         4
        .size:           4
        .value_kind:     by_value
      - .address_space:  global
        .offset:         8
        .size:           8
        .value_kind:     global_buffer
      - .address_space:  global
        .offset:         16
        .size:           8
        .value_kind:     global_buffer
      - .offset:         24
        .size:           4
        .value_kind:     by_value
      - .offset:         32
        .size:           8
        .value_kind:     by_value
      - .address_space:  global
        .offset:         40
        .size:           8
        .value_kind:     global_buffer
      - .offset:         48
        .size:           4
        .value_kind:     by_value
      - .offset:         56
        .size:           8
        .value_kind:     by_value
      - .address_space:  global
        .offset:         64
        .size:           8
        .value_kind:     global_buffer
      - .address_space:  global
        .offset:         72
        .size:           8
        .value_kind:     global_buffer
      - .offset:         80
        .size:           4
        .value_kind:     by_value
      - .offset:         88
        .size:           8
        .value_kind:     by_value
      - .offset:         96
        .size:           4
        .value_kind:     by_value
    .group_segment_fixed_size: 4096
    .kernarg_segment_align: 8
    .kernarg_segment_size: 100
    .language:       OpenCL C
    .language_version:
      - 2
      - 0
    .max_flat_workgroup_size: 256
    .name:           _ZL29rocblas_internal_gemmt_kernelIiLi16ELi32ELi8ELc67ELc78ELc85ELb0ELb0EdPKdPKS1_PKPdEviT_T9_T10_S7_lS9_S7_lS8_T11_S7_li
    .private_segment_fixed_size: 0
    .sgpr_count:     36
    .sgpr_spill_count: 0
    .symbol:         _ZL29rocblas_internal_gemmt_kernelIiLi16ELi32ELi8ELc67ELc78ELc85ELb0ELb0EdPKdPKS1_PKPdEviT_T9_T10_S7_lS9_S7_lS8_T11_S7_li.kd
    .uniform_work_group_size: 1
    .uses_dynamic_stack: false
    .vgpr_count:     55
    .vgpr_spill_count: 0
    .wavefront_size: 32
    .workgroup_processor_mode: 1
  - .args:
      - .offset:         0
        .size:           4
        .value_kind:     by_value
      - .offset:         4
        .size:           4
        .value_kind:     by_value
      - .address_space:  global
        .offset:         8
        .size:           8
        .value_kind:     global_buffer
      - .address_space:  global
        .offset:         16
        .size:           8
        .value_kind:     global_buffer
      - .offset:         24
        .size:           4
        .value_kind:     by_value
      - .offset:         32
        .size:           8
        .value_kind:     by_value
      - .address_space:  global
        .offset:         40
        .size:           8
        .value_kind:     global_buffer
      - .offset:         48
        .size:           4
        .value_kind:     by_value
      - .offset:         56
        .size:           8
        .value_kind:     by_value
      - .address_space:  global
        .offset:         64
        .size:           8
        .value_kind:     global_buffer
      - .address_space:  global
        .offset:         72
        .size:           8
        .value_kind:     global_buffer
      - .offset:         80
        .size:           4
        .value_kind:     by_value
      - .offset:         88
        .size:           8
        .value_kind:     by_value
      - .offset:         96
        .size:           4
        .value_kind:     by_value
    .group_segment_fixed_size: 4096
    .kernarg_segment_align: 8
    .kernarg_segment_size: 100
    .language:       OpenCL C
    .language_version:
      - 2
      - 0
    .max_flat_workgroup_size: 256
    .name:           _ZL29rocblas_internal_gemmt_kernelIiLi16ELi32ELi8ELc67ELc84ELc85ELb0ELb0EdPKdPKS1_PKPdEviT_T9_T10_S7_lS9_S7_lS8_T11_S7_li
    .private_segment_fixed_size: 0
    .sgpr_count:     37
    .sgpr_spill_count: 0
    .symbol:         _ZL29rocblas_internal_gemmt_kernelIiLi16ELi32ELi8ELc67ELc84ELc85ELb0ELb0EdPKdPKS1_PKPdEviT_T9_T10_S7_lS9_S7_lS8_T11_S7_li.kd
    .uniform_work_group_size: 1
    .uses_dynamic_stack: false
    .vgpr_count:     55
    .vgpr_spill_count: 0
    .wavefront_size: 32
    .workgroup_processor_mode: 1
  - .args:
      - .offset:         0
        .size:           4
        .value_kind:     by_value
      - .offset:         4
        .size:           4
        .value_kind:     by_value
      - .address_space:  global
        .offset:         8
        .size:           8
        .value_kind:     global_buffer
      - .address_space:  global
        .offset:         16
        .size:           8
        .value_kind:     global_buffer
      - .offset:         24
        .size:           4
        .value_kind:     by_value
      - .offset:         32
        .size:           8
        .value_kind:     by_value
      - .address_space:  global
        .offset:         40
        .size:           8
        .value_kind:     global_buffer
      - .offset:         48
        .size:           4
        .value_kind:     by_value
      - .offset:         56
        .size:           8
        .value_kind:     by_value
      - .address_space:  global
        .offset:         64
        .size:           8
        .value_kind:     global_buffer
      - .address_space:  global
        .offset:         72
        .size:           8
        .value_kind:     global_buffer
      - .offset:         80
        .size:           4
        .value_kind:     by_value
      - .offset:         88
        .size:           8
        .value_kind:     by_value
      - .offset:         96
        .size:           4
        .value_kind:     by_value
    .group_segment_fixed_size: 4096
    .kernarg_segment_align: 8
    .kernarg_segment_size: 100
    .language:       OpenCL C
    .language_version:
      - 2
      - 0
    .max_flat_workgroup_size: 256
    .name:           _ZL29rocblas_internal_gemmt_kernelIiLi16ELi32ELi8ELc67ELc67ELc85ELb0ELb0EdPKdPKS1_PKPdEviT_T9_T10_S7_lS9_S7_lS8_T11_S7_li
    .private_segment_fixed_size: 0
    .sgpr_count:     37
    .sgpr_spill_count: 0
    .symbol:         _ZL29rocblas_internal_gemmt_kernelIiLi16ELi32ELi8ELc67ELc67ELc85ELb0ELb0EdPKdPKS1_PKPdEviT_T9_T10_S7_lS9_S7_lS8_T11_S7_li.kd
    .uniform_work_group_size: 1
    .uses_dynamic_stack: false
    .vgpr_count:     55
    .vgpr_spill_count: 0
    .wavefront_size: 32
    .workgroup_processor_mode: 1
  - .args:
      - .offset:         0
        .size:           4
        .value_kind:     by_value
      - .offset:         4
        .size:           4
        .value_kind:     by_value
      - .address_space:  global
        .offset:         8
        .size:           8
        .value_kind:     global_buffer
      - .address_space:  global
        .offset:         16
        .size:           8
        .value_kind:     global_buffer
      - .offset:         24
        .size:           4
        .value_kind:     by_value
      - .offset:         32
        .size:           8
        .value_kind:     by_value
      - .address_space:  global
        .offset:         40
        .size:           8
        .value_kind:     global_buffer
      - .offset:         48
        .size:           4
        .value_kind:     by_value
      - .offset:         56
        .size:           8
        .value_kind:     by_value
      - .address_space:  global
        .offset:         64
        .size:           8
        .value_kind:     global_buffer
      - .address_space:  global
        .offset:         72
        .size:           8
        .value_kind:     global_buffer
      - .offset:         80
        .size:           4
        .value_kind:     by_value
      - .offset:         88
        .size:           8
        .value_kind:     by_value
      - .offset:         96
        .size:           4
        .value_kind:     by_value
    .group_segment_fixed_size: 4096
    .kernarg_segment_align: 8
    .kernarg_segment_size: 100
    .language:       OpenCL C
    .language_version:
      - 2
      - 0
    .max_flat_workgroup_size: 256
    .name:           _ZL29rocblas_internal_gemmt_kernelIiLi16ELi32ELi8ELc78ELc78ELc76ELb0ELb0EdPKdPKS1_PKPdEviT_T9_T10_S7_lS9_S7_lS8_T11_S7_li
    .private_segment_fixed_size: 0
    .sgpr_count:     37
    .sgpr_spill_count: 0
    .symbol:         _ZL29rocblas_internal_gemmt_kernelIiLi16ELi32ELi8ELc78ELc78ELc76ELb0ELb0EdPKdPKS1_PKPdEviT_T9_T10_S7_lS9_S7_lS8_T11_S7_li.kd
    .uniform_work_group_size: 1
    .uses_dynamic_stack: false
    .vgpr_count:     55
    .vgpr_spill_count: 0
    .wavefront_size: 32
    .workgroup_processor_mode: 1
  - .args:
      - .offset:         0
        .size:           4
        .value_kind:     by_value
      - .offset:         4
        .size:           4
        .value_kind:     by_value
      - .address_space:  global
        .offset:         8
        .size:           8
        .value_kind:     global_buffer
      - .address_space:  global
        .offset:         16
        .size:           8
        .value_kind:     global_buffer
      - .offset:         24
        .size:           4
        .value_kind:     by_value
      - .offset:         32
        .size:           8
        .value_kind:     by_value
      - .address_space:  global
        .offset:         40
        .size:           8
        .value_kind:     global_buffer
      - .offset:         48
        .size:           4
        .value_kind:     by_value
      - .offset:         56
        .size:           8
        .value_kind:     by_value
      - .address_space:  global
        .offset:         64
        .size:           8
        .value_kind:     global_buffer
      - .address_space:  global
        .offset:         72
        .size:           8
        .value_kind:     global_buffer
      - .offset:         80
        .size:           4
        .value_kind:     by_value
      - .offset:         88
        .size:           8
        .value_kind:     by_value
      - .offset:         96
        .size:           4
        .value_kind:     by_value
    .group_segment_fixed_size: 4096
    .kernarg_segment_align: 8
    .kernarg_segment_size: 100
    .language:       OpenCL C
    .language_version:
      - 2
      - 0
    .max_flat_workgroup_size: 256
    .name:           _ZL29rocblas_internal_gemmt_kernelIiLi16ELi32ELi8ELc78ELc84ELc76ELb0ELb0EdPKdPKS1_PKPdEviT_T9_T10_S7_lS9_S7_lS8_T11_S7_li
    .private_segment_fixed_size: 0
    .sgpr_count:     39
    .sgpr_spill_count: 0
    .symbol:         _ZL29rocblas_internal_gemmt_kernelIiLi16ELi32ELi8ELc78ELc84ELc76ELb0ELb0EdPKdPKS1_PKPdEviT_T9_T10_S7_lS9_S7_lS8_T11_S7_li.kd
    .uniform_work_group_size: 1
    .uses_dynamic_stack: false
    .vgpr_count:     55
    .vgpr_spill_count: 0
    .wavefront_size: 32
    .workgroup_processor_mode: 1
  - .args:
      - .offset:         0
        .size:           4
        .value_kind:     by_value
      - .offset:         4
        .size:           4
        .value_kind:     by_value
      - .address_space:  global
        .offset:         8
        .size:           8
        .value_kind:     global_buffer
      - .address_space:  global
        .offset:         16
        .size:           8
        .value_kind:     global_buffer
      - .offset:         24
        .size:           4
        .value_kind:     by_value
      - .offset:         32
        .size:           8
        .value_kind:     by_value
      - .address_space:  global
        .offset:         40
        .size:           8
        .value_kind:     global_buffer
      - .offset:         48
        .size:           4
        .value_kind:     by_value
      - .offset:         56
        .size:           8
        .value_kind:     by_value
      - .address_space:  global
        .offset:         64
        .size:           8
        .value_kind:     global_buffer
      - .address_space:  global
        .offset:         72
        .size:           8
        .value_kind:     global_buffer
      - .offset:         80
        .size:           4
        .value_kind:     by_value
      - .offset:         88
        .size:           8
        .value_kind:     by_value
      - .offset:         96
        .size:           4
        .value_kind:     by_value
    .group_segment_fixed_size: 4096
    .kernarg_segment_align: 8
    .kernarg_segment_size: 100
    .language:       OpenCL C
    .language_version:
      - 2
      - 0
    .max_flat_workgroup_size: 256
    .name:           _ZL29rocblas_internal_gemmt_kernelIiLi16ELi32ELi8ELc78ELc67ELc76ELb0ELb0EdPKdPKS1_PKPdEviT_T9_T10_S7_lS9_S7_lS8_T11_S7_li
    .private_segment_fixed_size: 0
    .sgpr_count:     39
    .sgpr_spill_count: 0
    .symbol:         _ZL29rocblas_internal_gemmt_kernelIiLi16ELi32ELi8ELc78ELc67ELc76ELb0ELb0EdPKdPKS1_PKPdEviT_T9_T10_S7_lS9_S7_lS8_T11_S7_li.kd
    .uniform_work_group_size: 1
    .uses_dynamic_stack: false
    .vgpr_count:     55
    .vgpr_spill_count: 0
    .wavefront_size: 32
    .workgroup_processor_mode: 1
  - .args:
      - .offset:         0
        .size:           4
        .value_kind:     by_value
      - .offset:         4
        .size:           4
        .value_kind:     by_value
      - .address_space:  global
        .offset:         8
        .size:           8
        .value_kind:     global_buffer
      - .address_space:  global
        .offset:         16
        .size:           8
        .value_kind:     global_buffer
      - .offset:         24
        .size:           4
        .value_kind:     by_value
      - .offset:         32
        .size:           8
        .value_kind:     by_value
      - .address_space:  global
        .offset:         40
        .size:           8
        .value_kind:     global_buffer
      - .offset:         48
        .size:           4
        .value_kind:     by_value
      - .offset:         56
        .size:           8
        .value_kind:     by_value
      - .address_space:  global
        .offset:         64
        .size:           8
        .value_kind:     global_buffer
      - .address_space:  global
        .offset:         72
        .size:           8
        .value_kind:     global_buffer
      - .offset:         80
        .size:           4
        .value_kind:     by_value
      - .offset:         88
        .size:           8
        .value_kind:     by_value
      - .offset:         96
        .size:           4
        .value_kind:     by_value
    .group_segment_fixed_size: 4096
    .kernarg_segment_align: 8
    .kernarg_segment_size: 100
    .language:       OpenCL C
    .language_version:
      - 2
      - 0
    .max_flat_workgroup_size: 256
    .name:           _ZL29rocblas_internal_gemmt_kernelIiLi16ELi32ELi8ELc84ELc78ELc76ELb0ELb0EdPKdPKS1_PKPdEviT_T9_T10_S7_lS9_S7_lS8_T11_S7_li
    .private_segment_fixed_size: 0
    .sgpr_count:     36
    .sgpr_spill_count: 0
    .symbol:         _ZL29rocblas_internal_gemmt_kernelIiLi16ELi32ELi8ELc84ELc78ELc76ELb0ELb0EdPKdPKS1_PKPdEviT_T9_T10_S7_lS9_S7_lS8_T11_S7_li.kd
    .uniform_work_group_size: 1
    .uses_dynamic_stack: false
    .vgpr_count:     55
    .vgpr_spill_count: 0
    .wavefront_size: 32
    .workgroup_processor_mode: 1
  - .args:
      - .offset:         0
        .size:           4
        .value_kind:     by_value
      - .offset:         4
        .size:           4
        .value_kind:     by_value
      - .address_space:  global
        .offset:         8
        .size:           8
        .value_kind:     global_buffer
      - .address_space:  global
        .offset:         16
        .size:           8
        .value_kind:     global_buffer
      - .offset:         24
        .size:           4
        .value_kind:     by_value
      - .offset:         32
        .size:           8
        .value_kind:     by_value
      - .address_space:  global
        .offset:         40
        .size:           8
        .value_kind:     global_buffer
      - .offset:         48
        .size:           4
        .value_kind:     by_value
      - .offset:         56
        .size:           8
        .value_kind:     by_value
      - .address_space:  global
        .offset:         64
        .size:           8
        .value_kind:     global_buffer
      - .address_space:  global
        .offset:         72
        .size:           8
        .value_kind:     global_buffer
      - .offset:         80
        .size:           4
        .value_kind:     by_value
      - .offset:         88
        .size:           8
        .value_kind:     by_value
      - .offset:         96
        .size:           4
        .value_kind:     by_value
    .group_segment_fixed_size: 4096
    .kernarg_segment_align: 8
    .kernarg_segment_size: 100
    .language:       OpenCL C
    .language_version:
      - 2
      - 0
    .max_flat_workgroup_size: 256
    .name:           _ZL29rocblas_internal_gemmt_kernelIiLi16ELi32ELi8ELc84ELc84ELc76ELb0ELb0EdPKdPKS1_PKPdEviT_T9_T10_S7_lS9_S7_lS8_T11_S7_li
    .private_segment_fixed_size: 0
    .sgpr_count:     36
    .sgpr_spill_count: 0
    .symbol:         _ZL29rocblas_internal_gemmt_kernelIiLi16ELi32ELi8ELc84ELc84ELc76ELb0ELb0EdPKdPKS1_PKPdEviT_T9_T10_S7_lS9_S7_lS8_T11_S7_li.kd
    .uniform_work_group_size: 1
    .uses_dynamic_stack: false
    .vgpr_count:     55
    .vgpr_spill_count: 0
    .wavefront_size: 32
    .workgroup_processor_mode: 1
  - .args:
      - .offset:         0
        .size:           4
        .value_kind:     by_value
      - .offset:         4
        .size:           4
        .value_kind:     by_value
      - .address_space:  global
        .offset:         8
        .size:           8
        .value_kind:     global_buffer
      - .address_space:  global
        .offset:         16
        .size:           8
        .value_kind:     global_buffer
      - .offset:         24
        .size:           4
        .value_kind:     by_value
      - .offset:         32
        .size:           8
        .value_kind:     by_value
      - .address_space:  global
        .offset:         40
        .size:           8
        .value_kind:     global_buffer
      - .offset:         48
        .size:           4
        .value_kind:     by_value
      - .offset:         56
        .size:           8
        .value_kind:     by_value
      - .address_space:  global
        .offset:         64
        .size:           8
        .value_kind:     global_buffer
      - .address_space:  global
        .offset:         72
        .size:           8
        .value_kind:     global_buffer
      - .offset:         80
        .size:           4
        .value_kind:     by_value
      - .offset:         88
        .size:           8
        .value_kind:     by_value
      - .offset:         96
        .size:           4
        .value_kind:     by_value
    .group_segment_fixed_size: 4096
    .kernarg_segment_align: 8
    .kernarg_segment_size: 100
    .language:       OpenCL C
    .language_version:
      - 2
      - 0
    .max_flat_workgroup_size: 256
    .name:           _ZL29rocblas_internal_gemmt_kernelIiLi16ELi32ELi8ELc84ELc67ELc76ELb0ELb0EdPKdPKS1_PKPdEviT_T9_T10_S7_lS9_S7_lS8_T11_S7_li
    .private_segment_fixed_size: 0
    .sgpr_count:     36
    .sgpr_spill_count: 0
    .symbol:         _ZL29rocblas_internal_gemmt_kernelIiLi16ELi32ELi8ELc84ELc67ELc76ELb0ELb0EdPKdPKS1_PKPdEviT_T9_T10_S7_lS9_S7_lS8_T11_S7_li.kd
    .uniform_work_group_size: 1
    .uses_dynamic_stack: false
    .vgpr_count:     55
    .vgpr_spill_count: 0
    .wavefront_size: 32
    .workgroup_processor_mode: 1
  - .args:
      - .offset:         0
        .size:           4
        .value_kind:     by_value
      - .offset:         4
        .size:           4
        .value_kind:     by_value
      - .address_space:  global
        .offset:         8
        .size:           8
        .value_kind:     global_buffer
      - .address_space:  global
        .offset:         16
        .size:           8
        .value_kind:     global_buffer
      - .offset:         24
        .size:           4
        .value_kind:     by_value
      - .offset:         32
        .size:           8
        .value_kind:     by_value
      - .address_space:  global
        .offset:         40
        .size:           8
        .value_kind:     global_buffer
      - .offset:         48
        .size:           4
        .value_kind:     by_value
      - .offset:         56
        .size:           8
        .value_kind:     by_value
      - .address_space:  global
        .offset:         64
        .size:           8
        .value_kind:     global_buffer
      - .address_space:  global
        .offset:         72
        .size:           8
        .value_kind:     global_buffer
      - .offset:         80
        .size:           4
        .value_kind:     by_value
      - .offset:         88
        .size:           8
        .value_kind:     by_value
      - .offset:         96
        .size:           4
        .value_kind:     by_value
    .group_segment_fixed_size: 4096
    .kernarg_segment_align: 8
    .kernarg_segment_size: 100
    .language:       OpenCL C
    .language_version:
      - 2
      - 0
    .max_flat_workgroup_size: 256
    .name:           _ZL29rocblas_internal_gemmt_kernelIiLi16ELi32ELi8ELc67ELc78ELc76ELb0ELb0EdPKdPKS1_PKPdEviT_T9_T10_S7_lS9_S7_lS8_T11_S7_li
    .private_segment_fixed_size: 0
    .sgpr_count:     36
    .sgpr_spill_count: 0
    .symbol:         _ZL29rocblas_internal_gemmt_kernelIiLi16ELi32ELi8ELc67ELc78ELc76ELb0ELb0EdPKdPKS1_PKPdEviT_T9_T10_S7_lS9_S7_lS8_T11_S7_li.kd
    .uniform_work_group_size: 1
    .uses_dynamic_stack: false
    .vgpr_count:     55
    .vgpr_spill_count: 0
    .wavefront_size: 32
    .workgroup_processor_mode: 1
  - .args:
      - .offset:         0
        .size:           4
        .value_kind:     by_value
      - .offset:         4
        .size:           4
        .value_kind:     by_value
      - .address_space:  global
        .offset:         8
        .size:           8
        .value_kind:     global_buffer
      - .address_space:  global
        .offset:         16
        .size:           8
        .value_kind:     global_buffer
      - .offset:         24
        .size:           4
        .value_kind:     by_value
      - .offset:         32
        .size:           8
        .value_kind:     by_value
      - .address_space:  global
        .offset:         40
        .size:           8
        .value_kind:     global_buffer
      - .offset:         48
        .size:           4
        .value_kind:     by_value
      - .offset:         56
        .size:           8
        .value_kind:     by_value
      - .address_space:  global
        .offset:         64
        .size:           8
        .value_kind:     global_buffer
      - .address_space:  global
        .offset:         72
        .size:           8
        .value_kind:     global_buffer
      - .offset:         80
        .size:           4
        .value_kind:     by_value
      - .offset:         88
        .size:           8
        .value_kind:     by_value
      - .offset:         96
        .size:           4
        .value_kind:     by_value
    .group_segment_fixed_size: 4096
    .kernarg_segment_align: 8
    .kernarg_segment_size: 100
    .language:       OpenCL C
    .language_version:
      - 2
      - 0
    .max_flat_workgroup_size: 256
    .name:           _ZL29rocblas_internal_gemmt_kernelIiLi16ELi32ELi8ELc67ELc84ELc76ELb0ELb0EdPKdPKS1_PKPdEviT_T9_T10_S7_lS9_S7_lS8_T11_S7_li
    .private_segment_fixed_size: 0
    .sgpr_count:     36
    .sgpr_spill_count: 0
    .symbol:         _ZL29rocblas_internal_gemmt_kernelIiLi16ELi32ELi8ELc67ELc84ELc76ELb0ELb0EdPKdPKS1_PKPdEviT_T9_T10_S7_lS9_S7_lS8_T11_S7_li.kd
    .uniform_work_group_size: 1
    .uses_dynamic_stack: false
    .vgpr_count:     55
    .vgpr_spill_count: 0
    .wavefront_size: 32
    .workgroup_processor_mode: 1
  - .args:
      - .offset:         0
        .size:           4
        .value_kind:     by_value
      - .offset:         4
        .size:           4
        .value_kind:     by_value
      - .address_space:  global
        .offset:         8
        .size:           8
        .value_kind:     global_buffer
      - .address_space:  global
        .offset:         16
        .size:           8
        .value_kind:     global_buffer
      - .offset:         24
        .size:           4
        .value_kind:     by_value
      - .offset:         32
        .size:           8
        .value_kind:     by_value
      - .address_space:  global
        .offset:         40
        .size:           8
        .value_kind:     global_buffer
      - .offset:         48
        .size:           4
        .value_kind:     by_value
      - .offset:         56
        .size:           8
        .value_kind:     by_value
      - .address_space:  global
        .offset:         64
        .size:           8
        .value_kind:     global_buffer
      - .address_space:  global
        .offset:         72
        .size:           8
        .value_kind:     global_buffer
      - .offset:         80
        .size:           4
        .value_kind:     by_value
      - .offset:         88
        .size:           8
        .value_kind:     by_value
      - .offset:         96
        .size:           4
        .value_kind:     by_value
    .group_segment_fixed_size: 4096
    .kernarg_segment_align: 8
    .kernarg_segment_size: 100
    .language:       OpenCL C
    .language_version:
      - 2
      - 0
    .max_flat_workgroup_size: 256
    .name:           _ZL29rocblas_internal_gemmt_kernelIiLi16ELi32ELi8ELc67ELc67ELc76ELb0ELb0EdPKdPKS1_PKPdEviT_T9_T10_S7_lS9_S7_lS8_T11_S7_li
    .private_segment_fixed_size: 0
    .sgpr_count:     36
    .sgpr_spill_count: 0
    .symbol:         _ZL29rocblas_internal_gemmt_kernelIiLi16ELi32ELi8ELc67ELc67ELc76ELb0ELb0EdPKdPKS1_PKPdEviT_T9_T10_S7_lS9_S7_lS8_T11_S7_li.kd
    .uniform_work_group_size: 1
    .uses_dynamic_stack: false
    .vgpr_count:     55
    .vgpr_spill_count: 0
    .wavefront_size: 32
    .workgroup_processor_mode: 1
  - .args:
      - .offset:         0
        .size:           4
        .value_kind:     by_value
      - .offset:         4
        .size:           4
        .value_kind:     by_value
      - .offset:         8
        .size:           8
        .value_kind:     by_value
      - .address_space:  global
        .offset:         16
        .size:           8
        .value_kind:     global_buffer
      - .offset:         24
        .size:           4
        .value_kind:     by_value
      - .offset:         32
        .size:           8
        .value_kind:     by_value
      - .address_space:  global
        .offset:         40
        .size:           8
        .value_kind:     global_buffer
      - .offset:         48
        .size:           4
        .value_kind:     by_value
      - .offset:         56
        .size:           8
        .value_kind:     by_value
      - .offset:         64
        .size:           8
        .value_kind:     by_value
      - .address_space:  global
        .offset:         72
        .size:           8
        .value_kind:     global_buffer
      - .offset:         80
        .size:           4
        .value_kind:     by_value
      - .offset:         88
        .size:           8
        .value_kind:     by_value
      - .offset:         96
        .size:           4
        .value_kind:     by_value
    .group_segment_fixed_size: 4096
    .kernarg_segment_align: 8
    .kernarg_segment_size: 100
    .language:       OpenCL C
    .language_version:
      - 2
      - 0
    .max_flat_workgroup_size: 256
    .name:           _ZL29rocblas_internal_gemmt_kernelIiLi16ELi32ELi8ELc78ELc78ELc85ELb0ELb0EddPKPKdPKPdEviT_T9_T10_S7_lS9_S7_lS8_T11_S7_li
    .private_segment_fixed_size: 0
    .sgpr_count:     37
    .sgpr_spill_count: 0
    .symbol:         _ZL29rocblas_internal_gemmt_kernelIiLi16ELi32ELi8ELc78ELc78ELc85ELb0ELb0EddPKPKdPKPdEviT_T9_T10_S7_lS9_S7_lS8_T11_S7_li.kd
    .uniform_work_group_size: 1
    .uses_dynamic_stack: false
    .vgpr_count:     55
    .vgpr_spill_count: 0
    .wavefront_size: 32
    .workgroup_processor_mode: 1
  - .args:
      - .offset:         0
        .size:           4
        .value_kind:     by_value
      - .offset:         4
        .size:           4
        .value_kind:     by_value
      - .offset:         8
        .size:           8
        .value_kind:     by_value
      - .address_space:  global
        .offset:         16
        .size:           8
        .value_kind:     global_buffer
      - .offset:         24
        .size:           4
        .value_kind:     by_value
      - .offset:         32
        .size:           8
        .value_kind:     by_value
      - .address_space:  global
        .offset:         40
        .size:           8
        .value_kind:     global_buffer
      - .offset:         48
        .size:           4
        .value_kind:     by_value
      - .offset:         56
        .size:           8
        .value_kind:     by_value
      - .offset:         64
        .size:           8
        .value_kind:     by_value
      - .address_space:  global
        .offset:         72
        .size:           8
        .value_kind:     global_buffer
      - .offset:         80
        .size:           4
        .value_kind:     by_value
      - .offset:         88
        .size:           8
        .value_kind:     by_value
      - .offset:         96
        .size:           4
        .value_kind:     by_value
    .group_segment_fixed_size: 4096
    .kernarg_segment_align: 8
    .kernarg_segment_size: 100
    .language:       OpenCL C
    .language_version:
      - 2
      - 0
    .max_flat_workgroup_size: 256
    .name:           _ZL29rocblas_internal_gemmt_kernelIiLi16ELi32ELi8ELc78ELc84ELc85ELb0ELb0EddPKPKdPKPdEviT_T9_T10_S7_lS9_S7_lS8_T11_S7_li
    .private_segment_fixed_size: 0
    .sgpr_count:     39
    .sgpr_spill_count: 0
    .symbol:         _ZL29rocblas_internal_gemmt_kernelIiLi16ELi32ELi8ELc78ELc84ELc85ELb0ELb0EddPKPKdPKPdEviT_T9_T10_S7_lS9_S7_lS8_T11_S7_li.kd
    .uniform_work_group_size: 1
    .uses_dynamic_stack: false
    .vgpr_count:     55
    .vgpr_spill_count: 0
    .wavefront_size: 32
    .workgroup_processor_mode: 1
  - .args:
      - .offset:         0
        .size:           4
        .value_kind:     by_value
      - .offset:         4
        .size:           4
        .value_kind:     by_value
      - .offset:         8
        .size:           8
        .value_kind:     by_value
      - .address_space:  global
        .offset:         16
        .size:           8
        .value_kind:     global_buffer
      - .offset:         24
        .size:           4
        .value_kind:     by_value
      - .offset:         32
        .size:           8
        .value_kind:     by_value
      - .address_space:  global
        .offset:         40
        .size:           8
        .value_kind:     global_buffer
      - .offset:         48
        .size:           4
        .value_kind:     by_value
      - .offset:         56
        .size:           8
        .value_kind:     by_value
      - .offset:         64
        .size:           8
        .value_kind:     by_value
      - .address_space:  global
        .offset:         72
        .size:           8
        .value_kind:     global_buffer
      - .offset:         80
        .size:           4
        .value_kind:     by_value
      - .offset:         88
        .size:           8
        .value_kind:     by_value
      - .offset:         96
        .size:           4
        .value_kind:     by_value
    .group_segment_fixed_size: 4096
    .kernarg_segment_align: 8
    .kernarg_segment_size: 100
    .language:       OpenCL C
    .language_version:
      - 2
      - 0
    .max_flat_workgroup_size: 256
    .name:           _ZL29rocblas_internal_gemmt_kernelIiLi16ELi32ELi8ELc78ELc67ELc85ELb0ELb0EddPKPKdPKPdEviT_T9_T10_S7_lS9_S7_lS8_T11_S7_li
    .private_segment_fixed_size: 0
    .sgpr_count:     39
    .sgpr_spill_count: 0
    .symbol:         _ZL29rocblas_internal_gemmt_kernelIiLi16ELi32ELi8ELc78ELc67ELc85ELb0ELb0EddPKPKdPKPdEviT_T9_T10_S7_lS9_S7_lS8_T11_S7_li.kd
    .uniform_work_group_size: 1
    .uses_dynamic_stack: false
    .vgpr_count:     55
    .vgpr_spill_count: 0
    .wavefront_size: 32
    .workgroup_processor_mode: 1
  - .args:
      - .offset:         0
        .size:           4
        .value_kind:     by_value
      - .offset:         4
        .size:           4
        .value_kind:     by_value
      - .offset:         8
        .size:           8
        .value_kind:     by_value
      - .address_space:  global
        .offset:         16
        .size:           8
        .value_kind:     global_buffer
      - .offset:         24
        .size:           4
        .value_kind:     by_value
      - .offset:         32
        .size:           8
        .value_kind:     by_value
      - .address_space:  global
        .offset:         40
        .size:           8
        .value_kind:     global_buffer
      - .offset:         48
        .size:           4
        .value_kind:     by_value
      - .offset:         56
        .size:           8
        .value_kind:     by_value
      - .offset:         64
        .size:           8
        .value_kind:     by_value
      - .address_space:  global
        .offset:         72
        .size:           8
        .value_kind:     global_buffer
      - .offset:         80
        .size:           4
        .value_kind:     by_value
      - .offset:         88
        .size:           8
        .value_kind:     by_value
      - .offset:         96
        .size:           4
        .value_kind:     by_value
    .group_segment_fixed_size: 4096
    .kernarg_segment_align: 8
    .kernarg_segment_size: 100
    .language:       OpenCL C
    .language_version:
      - 2
      - 0
    .max_flat_workgroup_size: 256
    .name:           _ZL29rocblas_internal_gemmt_kernelIiLi16ELi32ELi8ELc84ELc78ELc85ELb0ELb0EddPKPKdPKPdEviT_T9_T10_S7_lS9_S7_lS8_T11_S7_li
    .private_segment_fixed_size: 0
    .sgpr_count:     34
    .sgpr_spill_count: 0
    .symbol:         _ZL29rocblas_internal_gemmt_kernelIiLi16ELi32ELi8ELc84ELc78ELc85ELb0ELb0EddPKPKdPKPdEviT_T9_T10_S7_lS9_S7_lS8_T11_S7_li.kd
    .uniform_work_group_size: 1
    .uses_dynamic_stack: false
    .vgpr_count:     55
    .vgpr_spill_count: 0
    .wavefront_size: 32
    .workgroup_processor_mode: 1
  - .args:
      - .offset:         0
        .size:           4
        .value_kind:     by_value
      - .offset:         4
        .size:           4
        .value_kind:     by_value
      - .offset:         8
        .size:           8
        .value_kind:     by_value
      - .address_space:  global
        .offset:         16
        .size:           8
        .value_kind:     global_buffer
      - .offset:         24
        .size:           4
        .value_kind:     by_value
      - .offset:         32
        .size:           8
        .value_kind:     by_value
      - .address_space:  global
        .offset:         40
        .size:           8
        .value_kind:     global_buffer
      - .offset:         48
        .size:           4
        .value_kind:     by_value
      - .offset:         56
        .size:           8
        .value_kind:     by_value
      - .offset:         64
        .size:           8
        .value_kind:     by_value
      - .address_space:  global
        .offset:         72
        .size:           8
        .value_kind:     global_buffer
      - .offset:         80
        .size:           4
        .value_kind:     by_value
      - .offset:         88
        .size:           8
        .value_kind:     by_value
      - .offset:         96
        .size:           4
        .value_kind:     by_value
    .group_segment_fixed_size: 4096
    .kernarg_segment_align: 8
    .kernarg_segment_size: 100
    .language:       OpenCL C
    .language_version:
      - 2
      - 0
    .max_flat_workgroup_size: 256
    .name:           _ZL29rocblas_internal_gemmt_kernelIiLi16ELi32ELi8ELc84ELc84ELc85ELb0ELb0EddPKPKdPKPdEviT_T9_T10_S7_lS9_S7_lS8_T11_S7_li
    .private_segment_fixed_size: 0
    .sgpr_count:     37
    .sgpr_spill_count: 0
    .symbol:         _ZL29rocblas_internal_gemmt_kernelIiLi16ELi32ELi8ELc84ELc84ELc85ELb0ELb0EddPKPKdPKPdEviT_T9_T10_S7_lS9_S7_lS8_T11_S7_li.kd
    .uniform_work_group_size: 1
    .uses_dynamic_stack: false
    .vgpr_count:     55
    .vgpr_spill_count: 0
    .wavefront_size: 32
    .workgroup_processor_mode: 1
  - .args:
      - .offset:         0
        .size:           4
        .value_kind:     by_value
      - .offset:         4
        .size:           4
        .value_kind:     by_value
      - .offset:         8
        .size:           8
        .value_kind:     by_value
      - .address_space:  global
        .offset:         16
        .size:           8
        .value_kind:     global_buffer
      - .offset:         24
        .size:           4
        .value_kind:     by_value
      - .offset:         32
        .size:           8
        .value_kind:     by_value
      - .address_space:  global
        .offset:         40
        .size:           8
        .value_kind:     global_buffer
      - .offset:         48
        .size:           4
        .value_kind:     by_value
      - .offset:         56
        .size:           8
        .value_kind:     by_value
      - .offset:         64
        .size:           8
        .value_kind:     by_value
      - .address_space:  global
        .offset:         72
        .size:           8
        .value_kind:     global_buffer
      - .offset:         80
        .size:           4
        .value_kind:     by_value
      - .offset:         88
        .size:           8
        .value_kind:     by_value
      - .offset:         96
        .size:           4
        .value_kind:     by_value
    .group_segment_fixed_size: 4096
    .kernarg_segment_align: 8
    .kernarg_segment_size: 100
    .language:       OpenCL C
    .language_version:
      - 2
      - 0
    .max_flat_workgroup_size: 256
    .name:           _ZL29rocblas_internal_gemmt_kernelIiLi16ELi32ELi8ELc84ELc67ELc85ELb0ELb0EddPKPKdPKPdEviT_T9_T10_S7_lS9_S7_lS8_T11_S7_li
    .private_segment_fixed_size: 0
    .sgpr_count:     37
    .sgpr_spill_count: 0
    .symbol:         _ZL29rocblas_internal_gemmt_kernelIiLi16ELi32ELi8ELc84ELc67ELc85ELb0ELb0EddPKPKdPKPdEviT_T9_T10_S7_lS9_S7_lS8_T11_S7_li.kd
    .uniform_work_group_size: 1
    .uses_dynamic_stack: false
    .vgpr_count:     55
    .vgpr_spill_count: 0
    .wavefront_size: 32
    .workgroup_processor_mode: 1
  - .args:
      - .offset:         0
        .size:           4
        .value_kind:     by_value
      - .offset:         4
        .size:           4
        .value_kind:     by_value
      - .offset:         8
        .size:           8
        .value_kind:     by_value
      - .address_space:  global
        .offset:         16
        .size:           8
        .value_kind:     global_buffer
      - .offset:         24
        .size:           4
        .value_kind:     by_value
      - .offset:         32
        .size:           8
        .value_kind:     by_value
      - .address_space:  global
        .offset:         40
        .size:           8
        .value_kind:     global_buffer
      - .offset:         48
        .size:           4
        .value_kind:     by_value
      - .offset:         56
        .size:           8
        .value_kind:     by_value
      - .offset:         64
        .size:           8
        .value_kind:     by_value
      - .address_space:  global
        .offset:         72
        .size:           8
        .value_kind:     global_buffer
      - .offset:         80
        .size:           4
        .value_kind:     by_value
      - .offset:         88
        .size:           8
        .value_kind:     by_value
      - .offset:         96
        .size:           4
        .value_kind:     by_value
    .group_segment_fixed_size: 4096
    .kernarg_segment_align: 8
    .kernarg_segment_size: 100
    .language:       OpenCL C
    .language_version:
      - 2
      - 0
    .max_flat_workgroup_size: 256
    .name:           _ZL29rocblas_internal_gemmt_kernelIiLi16ELi32ELi8ELc67ELc78ELc85ELb0ELb0EddPKPKdPKPdEviT_T9_T10_S7_lS9_S7_lS8_T11_S7_li
    .private_segment_fixed_size: 0
    .sgpr_count:     34
    .sgpr_spill_count: 0
    .symbol:         _ZL29rocblas_internal_gemmt_kernelIiLi16ELi32ELi8ELc67ELc78ELc85ELb0ELb0EddPKPKdPKPdEviT_T9_T10_S7_lS9_S7_lS8_T11_S7_li.kd
    .uniform_work_group_size: 1
    .uses_dynamic_stack: false
    .vgpr_count:     55
    .vgpr_spill_count: 0
    .wavefront_size: 32
    .workgroup_processor_mode: 1
  - .args:
      - .offset:         0
        .size:           4
        .value_kind:     by_value
      - .offset:         4
        .size:           4
        .value_kind:     by_value
      - .offset:         8
        .size:           8
        .value_kind:     by_value
      - .address_space:  global
        .offset:         16
        .size:           8
        .value_kind:     global_buffer
      - .offset:         24
        .size:           4
        .value_kind:     by_value
      - .offset:         32
        .size:           8
        .value_kind:     by_value
      - .address_space:  global
        .offset:         40
        .size:           8
        .value_kind:     global_buffer
      - .offset:         48
        .size:           4
        .value_kind:     by_value
      - .offset:         56
        .size:           8
        .value_kind:     by_value
      - .offset:         64
        .size:           8
        .value_kind:     by_value
      - .address_space:  global
        .offset:         72
        .size:           8
        .value_kind:     global_buffer
      - .offset:         80
        .size:           4
        .value_kind:     by_value
      - .offset:         88
        .size:           8
        .value_kind:     by_value
      - .offset:         96
        .size:           4
        .value_kind:     by_value
    .group_segment_fixed_size: 4096
    .kernarg_segment_align: 8
    .kernarg_segment_size: 100
    .language:       OpenCL C
    .language_version:
      - 2
      - 0
    .max_flat_workgroup_size: 256
    .name:           _ZL29rocblas_internal_gemmt_kernelIiLi16ELi32ELi8ELc67ELc84ELc85ELb0ELb0EddPKPKdPKPdEviT_T9_T10_S7_lS9_S7_lS8_T11_S7_li
    .private_segment_fixed_size: 0
    .sgpr_count:     37
    .sgpr_spill_count: 0
    .symbol:         _ZL29rocblas_internal_gemmt_kernelIiLi16ELi32ELi8ELc67ELc84ELc85ELb0ELb0EddPKPKdPKPdEviT_T9_T10_S7_lS9_S7_lS8_T11_S7_li.kd
    .uniform_work_group_size: 1
    .uses_dynamic_stack: false
    .vgpr_count:     55
    .vgpr_spill_count: 0
    .wavefront_size: 32
    .workgroup_processor_mode: 1
  - .args:
      - .offset:         0
        .size:           4
        .value_kind:     by_value
      - .offset:         4
        .size:           4
        .value_kind:     by_value
      - .offset:         8
        .size:           8
        .value_kind:     by_value
      - .address_space:  global
        .offset:         16
        .size:           8
        .value_kind:     global_buffer
      - .offset:         24
        .size:           4
        .value_kind:     by_value
      - .offset:         32
        .size:           8
        .value_kind:     by_value
      - .address_space:  global
        .offset:         40
        .size:           8
        .value_kind:     global_buffer
      - .offset:         48
        .size:           4
        .value_kind:     by_value
      - .offset:         56
        .size:           8
        .value_kind:     by_value
      - .offset:         64
        .size:           8
        .value_kind:     by_value
      - .address_space:  global
        .offset:         72
        .size:           8
        .value_kind:     global_buffer
      - .offset:         80
        .size:           4
        .value_kind:     by_value
      - .offset:         88
        .size:           8
        .value_kind:     by_value
      - .offset:         96
        .size:           4
        .value_kind:     by_value
    .group_segment_fixed_size: 4096
    .kernarg_segment_align: 8
    .kernarg_segment_size: 100
    .language:       OpenCL C
    .language_version:
      - 2
      - 0
    .max_flat_workgroup_size: 256
    .name:           _ZL29rocblas_internal_gemmt_kernelIiLi16ELi32ELi8ELc67ELc67ELc85ELb0ELb0EddPKPKdPKPdEviT_T9_T10_S7_lS9_S7_lS8_T11_S7_li
    .private_segment_fixed_size: 0
    .sgpr_count:     37
    .sgpr_spill_count: 0
    .symbol:         _ZL29rocblas_internal_gemmt_kernelIiLi16ELi32ELi8ELc67ELc67ELc85ELb0ELb0EddPKPKdPKPdEviT_T9_T10_S7_lS9_S7_lS8_T11_S7_li.kd
    .uniform_work_group_size: 1
    .uses_dynamic_stack: false
    .vgpr_count:     55
    .vgpr_spill_count: 0
    .wavefront_size: 32
    .workgroup_processor_mode: 1
  - .args:
      - .offset:         0
        .size:           4
        .value_kind:     by_value
      - .offset:         4
        .size:           4
        .value_kind:     by_value
      - .offset:         8
        .size:           8
        .value_kind:     by_value
      - .address_space:  global
        .offset:         16
        .size:           8
        .value_kind:     global_buffer
      - .offset:         24
        .size:           4
        .value_kind:     by_value
      - .offset:         32
        .size:           8
        .value_kind:     by_value
      - .address_space:  global
        .offset:         40
        .size:           8
        .value_kind:     global_buffer
      - .offset:         48
        .size:           4
        .value_kind:     by_value
      - .offset:         56
        .size:           8
        .value_kind:     by_value
      - .offset:         64
        .size:           8
        .value_kind:     by_value
      - .address_space:  global
        .offset:         72
        .size:           8
        .value_kind:     global_buffer
      - .offset:         80
        .size:           4
        .value_kind:     by_value
      - .offset:         88
        .size:           8
        .value_kind:     by_value
      - .offset:         96
        .size:           4
        .value_kind:     by_value
    .group_segment_fixed_size: 4096
    .kernarg_segment_align: 8
    .kernarg_segment_size: 100
    .language:       OpenCL C
    .language_version:
      - 2
      - 0
    .max_flat_workgroup_size: 256
    .name:           _ZL29rocblas_internal_gemmt_kernelIiLi16ELi32ELi8ELc78ELc78ELc76ELb0ELb0EddPKPKdPKPdEviT_T9_T10_S7_lS9_S7_lS8_T11_S7_li
    .private_segment_fixed_size: 0
    .sgpr_count:     37
    .sgpr_spill_count: 0
    .symbol:         _ZL29rocblas_internal_gemmt_kernelIiLi16ELi32ELi8ELc78ELc78ELc76ELb0ELb0EddPKPKdPKPdEviT_T9_T10_S7_lS9_S7_lS8_T11_S7_li.kd
    .uniform_work_group_size: 1
    .uses_dynamic_stack: false
    .vgpr_count:     55
    .vgpr_spill_count: 0
    .wavefront_size: 32
    .workgroup_processor_mode: 1
  - .args:
      - .offset:         0
        .size:           4
        .value_kind:     by_value
      - .offset:         4
        .size:           4
        .value_kind:     by_value
      - .offset:         8
        .size:           8
        .value_kind:     by_value
      - .address_space:  global
        .offset:         16
        .size:           8
        .value_kind:     global_buffer
      - .offset:         24
        .size:           4
        .value_kind:     by_value
      - .offset:         32
        .size:           8
        .value_kind:     by_value
      - .address_space:  global
        .offset:         40
        .size:           8
        .value_kind:     global_buffer
      - .offset:         48
        .size:           4
        .value_kind:     by_value
      - .offset:         56
        .size:           8
        .value_kind:     by_value
      - .offset:         64
        .size:           8
        .value_kind:     by_value
      - .address_space:  global
        .offset:         72
        .size:           8
        .value_kind:     global_buffer
      - .offset:         80
        .size:           4
        .value_kind:     by_value
      - .offset:         88
        .size:           8
        .value_kind:     by_value
      - .offset:         96
        .size:           4
        .value_kind:     by_value
    .group_segment_fixed_size: 4096
    .kernarg_segment_align: 8
    .kernarg_segment_size: 100
    .language:       OpenCL C
    .language_version:
      - 2
      - 0
    .max_flat_workgroup_size: 256
    .name:           _ZL29rocblas_internal_gemmt_kernelIiLi16ELi32ELi8ELc78ELc84ELc76ELb0ELb0EddPKPKdPKPdEviT_T9_T10_S7_lS9_S7_lS8_T11_S7_li
    .private_segment_fixed_size: 0
    .sgpr_count:     39
    .sgpr_spill_count: 0
    .symbol:         _ZL29rocblas_internal_gemmt_kernelIiLi16ELi32ELi8ELc78ELc84ELc76ELb0ELb0EddPKPKdPKPdEviT_T9_T10_S7_lS9_S7_lS8_T11_S7_li.kd
    .uniform_work_group_size: 1
    .uses_dynamic_stack: false
    .vgpr_count:     55
    .vgpr_spill_count: 0
    .wavefront_size: 32
    .workgroup_processor_mode: 1
  - .args:
      - .offset:         0
        .size:           4
        .value_kind:     by_value
      - .offset:         4
        .size:           4
        .value_kind:     by_value
      - .offset:         8
        .size:           8
        .value_kind:     by_value
      - .address_space:  global
        .offset:         16
        .size:           8
        .value_kind:     global_buffer
      - .offset:         24
        .size:           4
        .value_kind:     by_value
      - .offset:         32
        .size:           8
        .value_kind:     by_value
      - .address_space:  global
        .offset:         40
        .size:           8
        .value_kind:     global_buffer
      - .offset:         48
        .size:           4
        .value_kind:     by_value
      - .offset:         56
        .size:           8
        .value_kind:     by_value
      - .offset:         64
        .size:           8
        .value_kind:     by_value
      - .address_space:  global
        .offset:         72
        .size:           8
        .value_kind:     global_buffer
      - .offset:         80
        .size:           4
        .value_kind:     by_value
      - .offset:         88
        .size:           8
        .value_kind:     by_value
      - .offset:         96
        .size:           4
        .value_kind:     by_value
    .group_segment_fixed_size: 4096
    .kernarg_segment_align: 8
    .kernarg_segment_size: 100
    .language:       OpenCL C
    .language_version:
      - 2
      - 0
    .max_flat_workgroup_size: 256
    .name:           _ZL29rocblas_internal_gemmt_kernelIiLi16ELi32ELi8ELc78ELc67ELc76ELb0ELb0EddPKPKdPKPdEviT_T9_T10_S7_lS9_S7_lS8_T11_S7_li
    .private_segment_fixed_size: 0
    .sgpr_count:     39
    .sgpr_spill_count: 0
    .symbol:         _ZL29rocblas_internal_gemmt_kernelIiLi16ELi32ELi8ELc78ELc67ELc76ELb0ELb0EddPKPKdPKPdEviT_T9_T10_S7_lS9_S7_lS8_T11_S7_li.kd
    .uniform_work_group_size: 1
    .uses_dynamic_stack: false
    .vgpr_count:     55
    .vgpr_spill_count: 0
    .wavefront_size: 32
    .workgroup_processor_mode: 1
  - .args:
      - .offset:         0
        .size:           4
        .value_kind:     by_value
      - .offset:         4
        .size:           4
        .value_kind:     by_value
      - .offset:         8
        .size:           8
        .value_kind:     by_value
      - .address_space:  global
        .offset:         16
        .size:           8
        .value_kind:     global_buffer
      - .offset:         24
        .size:           4
        .value_kind:     by_value
      - .offset:         32
        .size:           8
        .value_kind:     by_value
      - .address_space:  global
        .offset:         40
        .size:           8
        .value_kind:     global_buffer
      - .offset:         48
        .size:           4
        .value_kind:     by_value
      - .offset:         56
        .size:           8
        .value_kind:     by_value
      - .offset:         64
        .size:           8
        .value_kind:     by_value
      - .address_space:  global
        .offset:         72
        .size:           8
        .value_kind:     global_buffer
      - .offset:         80
        .size:           4
        .value_kind:     by_value
      - .offset:         88
        .size:           8
        .value_kind:     by_value
      - .offset:         96
        .size:           4
        .value_kind:     by_value
    .group_segment_fixed_size: 4096
    .kernarg_segment_align: 8
    .kernarg_segment_size: 100
    .language:       OpenCL C
    .language_version:
      - 2
      - 0
    .max_flat_workgroup_size: 256
    .name:           _ZL29rocblas_internal_gemmt_kernelIiLi16ELi32ELi8ELc84ELc78ELc76ELb0ELb0EddPKPKdPKPdEviT_T9_T10_S7_lS9_S7_lS8_T11_S7_li
    .private_segment_fixed_size: 0
    .sgpr_count:     36
    .sgpr_spill_count: 0
    .symbol:         _ZL29rocblas_internal_gemmt_kernelIiLi16ELi32ELi8ELc84ELc78ELc76ELb0ELb0EddPKPKdPKPdEviT_T9_T10_S7_lS9_S7_lS8_T11_S7_li.kd
    .uniform_work_group_size: 1
    .uses_dynamic_stack: false
    .vgpr_count:     55
    .vgpr_spill_count: 0
    .wavefront_size: 32
    .workgroup_processor_mode: 1
  - .args:
      - .offset:         0
        .size:           4
        .value_kind:     by_value
      - .offset:         4
        .size:           4
        .value_kind:     by_value
      - .offset:         8
        .size:           8
        .value_kind:     by_value
      - .address_space:  global
        .offset:         16
        .size:           8
        .value_kind:     global_buffer
      - .offset:         24
        .size:           4
        .value_kind:     by_value
      - .offset:         32
        .size:           8
        .value_kind:     by_value
      - .address_space:  global
        .offset:         40
        .size:           8
        .value_kind:     global_buffer
      - .offset:         48
        .size:           4
        .value_kind:     by_value
      - .offset:         56
        .size:           8
        .value_kind:     by_value
      - .offset:         64
        .size:           8
        .value_kind:     by_value
      - .address_space:  global
        .offset:         72
        .size:           8
        .value_kind:     global_buffer
      - .offset:         80
        .size:           4
        .value_kind:     by_value
      - .offset:         88
        .size:           8
        .value_kind:     by_value
      - .offset:         96
        .size:           4
        .value_kind:     by_value
    .group_segment_fixed_size: 4096
    .kernarg_segment_align: 8
    .kernarg_segment_size: 100
    .language:       OpenCL C
    .language_version:
      - 2
      - 0
    .max_flat_workgroup_size: 256
    .name:           _ZL29rocblas_internal_gemmt_kernelIiLi16ELi32ELi8ELc84ELc84ELc76ELb0ELb0EddPKPKdPKPdEviT_T9_T10_S7_lS9_S7_lS8_T11_S7_li
    .private_segment_fixed_size: 0
    .sgpr_count:     36
    .sgpr_spill_count: 0
    .symbol:         _ZL29rocblas_internal_gemmt_kernelIiLi16ELi32ELi8ELc84ELc84ELc76ELb0ELb0EddPKPKdPKPdEviT_T9_T10_S7_lS9_S7_lS8_T11_S7_li.kd
    .uniform_work_group_size: 1
    .uses_dynamic_stack: false
    .vgpr_count:     55
    .vgpr_spill_count: 0
    .wavefront_size: 32
    .workgroup_processor_mode: 1
  - .args:
      - .offset:         0
        .size:           4
        .value_kind:     by_value
      - .offset:         4
        .size:           4
        .value_kind:     by_value
      - .offset:         8
        .size:           8
        .value_kind:     by_value
      - .address_space:  global
        .offset:         16
        .size:           8
        .value_kind:     global_buffer
      - .offset:         24
        .size:           4
        .value_kind:     by_value
      - .offset:         32
        .size:           8
        .value_kind:     by_value
      - .address_space:  global
        .offset:         40
        .size:           8
        .value_kind:     global_buffer
      - .offset:         48
        .size:           4
        .value_kind:     by_value
      - .offset:         56
        .size:           8
        .value_kind:     by_value
      - .offset:         64
        .size:           8
        .value_kind:     by_value
      - .address_space:  global
        .offset:         72
        .size:           8
        .value_kind:     global_buffer
      - .offset:         80
        .size:           4
        .value_kind:     by_value
      - .offset:         88
        .size:           8
        .value_kind:     by_value
      - .offset:         96
        .size:           4
        .value_kind:     by_value
    .group_segment_fixed_size: 4096
    .kernarg_segment_align: 8
    .kernarg_segment_size: 100
    .language:       OpenCL C
    .language_version:
      - 2
      - 0
    .max_flat_workgroup_size: 256
    .name:           _ZL29rocblas_internal_gemmt_kernelIiLi16ELi32ELi8ELc84ELc67ELc76ELb0ELb0EddPKPKdPKPdEviT_T9_T10_S7_lS9_S7_lS8_T11_S7_li
    .private_segment_fixed_size: 0
    .sgpr_count:     36
    .sgpr_spill_count: 0
    .symbol:         _ZL29rocblas_internal_gemmt_kernelIiLi16ELi32ELi8ELc84ELc67ELc76ELb0ELb0EddPKPKdPKPdEviT_T9_T10_S7_lS9_S7_lS8_T11_S7_li.kd
    .uniform_work_group_size: 1
    .uses_dynamic_stack: false
    .vgpr_count:     55
    .vgpr_spill_count: 0
    .wavefront_size: 32
    .workgroup_processor_mode: 1
  - .args:
      - .offset:         0
        .size:           4
        .value_kind:     by_value
      - .offset:         4
        .size:           4
        .value_kind:     by_value
      - .offset:         8
        .size:           8
        .value_kind:     by_value
      - .address_space:  global
        .offset:         16
        .size:           8
        .value_kind:     global_buffer
      - .offset:         24
        .size:           4
        .value_kind:     by_value
      - .offset:         32
        .size:           8
        .value_kind:     by_value
      - .address_space:  global
        .offset:         40
        .size:           8
        .value_kind:     global_buffer
      - .offset:         48
        .size:           4
        .value_kind:     by_value
      - .offset:         56
        .size:           8
        .value_kind:     by_value
      - .offset:         64
        .size:           8
        .value_kind:     by_value
      - .address_space:  global
        .offset:         72
        .size:           8
        .value_kind:     global_buffer
      - .offset:         80
        .size:           4
        .value_kind:     by_value
      - .offset:         88
        .size:           8
        .value_kind:     by_value
      - .offset:         96
        .size:           4
        .value_kind:     by_value
    .group_segment_fixed_size: 4096
    .kernarg_segment_align: 8
    .kernarg_segment_size: 100
    .language:       OpenCL C
    .language_version:
      - 2
      - 0
    .max_flat_workgroup_size: 256
    .name:           _ZL29rocblas_internal_gemmt_kernelIiLi16ELi32ELi8ELc67ELc78ELc76ELb0ELb0EddPKPKdPKPdEviT_T9_T10_S7_lS9_S7_lS8_T11_S7_li
    .private_segment_fixed_size: 0
    .sgpr_count:     36
    .sgpr_spill_count: 0
    .symbol:         _ZL29rocblas_internal_gemmt_kernelIiLi16ELi32ELi8ELc67ELc78ELc76ELb0ELb0EddPKPKdPKPdEviT_T9_T10_S7_lS9_S7_lS8_T11_S7_li.kd
    .uniform_work_group_size: 1
    .uses_dynamic_stack: false
    .vgpr_count:     55
    .vgpr_spill_count: 0
    .wavefront_size: 32
    .workgroup_processor_mode: 1
  - .args:
      - .offset:         0
        .size:           4
        .value_kind:     by_value
      - .offset:         4
        .size:           4
        .value_kind:     by_value
      - .offset:         8
        .size:           8
        .value_kind:     by_value
      - .address_space:  global
        .offset:         16
        .size:           8
        .value_kind:     global_buffer
      - .offset:         24
        .size:           4
        .value_kind:     by_value
      - .offset:         32
        .size:           8
        .value_kind:     by_value
      - .address_space:  global
        .offset:         40
        .size:           8
        .value_kind:     global_buffer
      - .offset:         48
        .size:           4
        .value_kind:     by_value
      - .offset:         56
        .size:           8
        .value_kind:     by_value
      - .offset:         64
        .size:           8
        .value_kind:     by_value
      - .address_space:  global
        .offset:         72
        .size:           8
        .value_kind:     global_buffer
      - .offset:         80
        .size:           4
        .value_kind:     by_value
      - .offset:         88
        .size:           8
        .value_kind:     by_value
      - .offset:         96
        .size:           4
        .value_kind:     by_value
    .group_segment_fixed_size: 4096
    .kernarg_segment_align: 8
    .kernarg_segment_size: 100
    .language:       OpenCL C
    .language_version:
      - 2
      - 0
    .max_flat_workgroup_size: 256
    .name:           _ZL29rocblas_internal_gemmt_kernelIiLi16ELi32ELi8ELc67ELc84ELc76ELb0ELb0EddPKPKdPKPdEviT_T9_T10_S7_lS9_S7_lS8_T11_S7_li
    .private_segment_fixed_size: 0
    .sgpr_count:     36
    .sgpr_spill_count: 0
    .symbol:         _ZL29rocblas_internal_gemmt_kernelIiLi16ELi32ELi8ELc67ELc84ELc76ELb0ELb0EddPKPKdPKPdEviT_T9_T10_S7_lS9_S7_lS8_T11_S7_li.kd
    .uniform_work_group_size: 1
    .uses_dynamic_stack: false
    .vgpr_count:     55
    .vgpr_spill_count: 0
    .wavefront_size: 32
    .workgroup_processor_mode: 1
  - .args:
      - .offset:         0
        .size:           4
        .value_kind:     by_value
      - .offset:         4
        .size:           4
        .value_kind:     by_value
      - .offset:         8
        .size:           8
        .value_kind:     by_value
      - .address_space:  global
        .offset:         16
        .size:           8
        .value_kind:     global_buffer
      - .offset:         24
        .size:           4
        .value_kind:     by_value
      - .offset:         32
        .size:           8
        .value_kind:     by_value
      - .address_space:  global
        .offset:         40
        .size:           8
        .value_kind:     global_buffer
      - .offset:         48
        .size:           4
        .value_kind:     by_value
      - .offset:         56
        .size:           8
        .value_kind:     by_value
      - .offset:         64
        .size:           8
        .value_kind:     by_value
      - .address_space:  global
        .offset:         72
        .size:           8
        .value_kind:     global_buffer
      - .offset:         80
        .size:           4
        .value_kind:     by_value
      - .offset:         88
        .size:           8
        .value_kind:     by_value
      - .offset:         96
        .size:           4
        .value_kind:     by_value
    .group_segment_fixed_size: 4096
    .kernarg_segment_align: 8
    .kernarg_segment_size: 100
    .language:       OpenCL C
    .language_version:
      - 2
      - 0
    .max_flat_workgroup_size: 256
    .name:           _ZL29rocblas_internal_gemmt_kernelIiLi16ELi32ELi8ELc67ELc67ELc76ELb0ELb0EddPKPKdPKPdEviT_T9_T10_S7_lS9_S7_lS8_T11_S7_li
    .private_segment_fixed_size: 0
    .sgpr_count:     36
    .sgpr_spill_count: 0
    .symbol:         _ZL29rocblas_internal_gemmt_kernelIiLi16ELi32ELi8ELc67ELc67ELc76ELb0ELb0EddPKPKdPKPdEviT_T9_T10_S7_lS9_S7_lS8_T11_S7_li.kd
    .uniform_work_group_size: 1
    .uses_dynamic_stack: false
    .vgpr_count:     55
    .vgpr_spill_count: 0
    .wavefront_size: 32
    .workgroup_processor_mode: 1
  - .args:
      - .offset:         0
        .size:           4
        .value_kind:     by_value
      - .offset:         4
        .size:           4
        .value_kind:     by_value
      - .address_space:  global
        .offset:         8
        .size:           8
        .value_kind:     global_buffer
      - .address_space:  global
        .offset:         16
        .size:           8
        .value_kind:     global_buffer
      - .offset:         24
        .size:           4
        .value_kind:     by_value
      - .offset:         32
        .size:           8
        .value_kind:     by_value
      - .address_space:  global
        .offset:         40
        .size:           8
        .value_kind:     global_buffer
      - .offset:         48
        .size:           4
        .value_kind:     by_value
      - .offset:         56
        .size:           8
        .value_kind:     by_value
      - .address_space:  global
        .offset:         64
        .size:           8
        .value_kind:     global_buffer
      - .address_space:  global
        .offset:         72
        .size:           8
        .value_kind:     global_buffer
      - .offset:         80
        .size:           4
        .value_kind:     by_value
      - .offset:         88
        .size:           8
        .value_kind:     by_value
      - .offset:         96
        .size:           4
        .value_kind:     by_value
    .group_segment_fixed_size: 4096
    .kernarg_segment_align: 8
    .kernarg_segment_size: 100
    .language:       OpenCL C
    .language_version:
      - 2
      - 0
    .max_flat_workgroup_size: 256
    .name:           _ZL29rocblas_internal_gemmt_kernelIiLi16ELi32ELi8ELc78ELc78ELc85ELb0ELb0E19rocblas_complex_numIfEPKS1_PKS3_PKPS1_EviT_T9_T10_S9_lSB_S9_lSA_T11_S9_li
    .private_segment_fixed_size: 0
    .sgpr_count:     39
    .sgpr_spill_count: 0
    .symbol:         _ZL29rocblas_internal_gemmt_kernelIiLi16ELi32ELi8ELc78ELc78ELc85ELb0ELb0E19rocblas_complex_numIfEPKS1_PKS3_PKPS1_EviT_T9_T10_S9_lSB_S9_lSA_T11_S9_li.kd
    .uniform_work_group_size: 1
    .uses_dynamic_stack: false
    .vgpr_count:     71
    .vgpr_spill_count: 0
    .wavefront_size: 32
    .workgroup_processor_mode: 1
  - .args:
      - .offset:         0
        .size:           4
        .value_kind:     by_value
      - .offset:         4
        .size:           4
        .value_kind:     by_value
      - .address_space:  global
        .offset:         8
        .size:           8
        .value_kind:     global_buffer
      - .address_space:  global
        .offset:         16
        .size:           8
        .value_kind:     global_buffer
      - .offset:         24
        .size:           4
        .value_kind:     by_value
      - .offset:         32
        .size:           8
        .value_kind:     by_value
      - .address_space:  global
        .offset:         40
        .size:           8
        .value_kind:     global_buffer
      - .offset:         48
        .size:           4
        .value_kind:     by_value
      - .offset:         56
        .size:           8
        .value_kind:     by_value
      - .address_space:  global
        .offset:         64
        .size:           8
        .value_kind:     global_buffer
      - .address_space:  global
        .offset:         72
        .size:           8
        .value_kind:     global_buffer
      - .offset:         80
        .size:           4
        .value_kind:     by_value
      - .offset:         88
        .size:           8
        .value_kind:     by_value
      - .offset:         96
        .size:           4
        .value_kind:     by_value
    .group_segment_fixed_size: 4096
    .kernarg_segment_align: 8
    .kernarg_segment_size: 100
    .language:       OpenCL C
    .language_version:
      - 2
      - 0
    .max_flat_workgroup_size: 256
    .name:           _ZL29rocblas_internal_gemmt_kernelIiLi16ELi32ELi8ELc78ELc84ELc85ELb0ELb0E19rocblas_complex_numIfEPKS1_PKS3_PKPS1_EviT_T9_T10_S9_lSB_S9_lSA_T11_S9_li
    .private_segment_fixed_size: 0
    .sgpr_count:     41
    .sgpr_spill_count: 0
    .symbol:         _ZL29rocblas_internal_gemmt_kernelIiLi16ELi32ELi8ELc78ELc84ELc85ELb0ELb0E19rocblas_complex_numIfEPKS1_PKS3_PKPS1_EviT_T9_T10_S9_lSB_S9_lSA_T11_S9_li.kd
    .uniform_work_group_size: 1
    .uses_dynamic_stack: false
    .vgpr_count:     71
    .vgpr_spill_count: 0
    .wavefront_size: 32
    .workgroup_processor_mode: 1
  - .args:
      - .offset:         0
        .size:           4
        .value_kind:     by_value
      - .offset:         4
        .size:           4
        .value_kind:     by_value
      - .address_space:  global
        .offset:         8
        .size:           8
        .value_kind:     global_buffer
      - .address_space:  global
        .offset:         16
        .size:           8
        .value_kind:     global_buffer
      - .offset:         24
        .size:           4
        .value_kind:     by_value
      - .offset:         32
        .size:           8
        .value_kind:     by_value
      - .address_space:  global
        .offset:         40
        .size:           8
        .value_kind:     global_buffer
      - .offset:         48
        .size:           4
        .value_kind:     by_value
      - .offset:         56
        .size:           8
        .value_kind:     by_value
      - .address_space:  global
        .offset:         64
        .size:           8
        .value_kind:     global_buffer
      - .address_space:  global
        .offset:         72
        .size:           8
        .value_kind:     global_buffer
      - .offset:         80
        .size:           4
        .value_kind:     by_value
      - .offset:         88
        .size:           8
        .value_kind:     by_value
      - .offset:         96
        .size:           4
        .value_kind:     by_value
    .group_segment_fixed_size: 4096
    .kernarg_segment_align: 8
    .kernarg_segment_size: 100
    .language:       OpenCL C
    .language_version:
      - 2
      - 0
    .max_flat_workgroup_size: 256
    .name:           _ZL29rocblas_internal_gemmt_kernelIiLi16ELi32ELi8ELc78ELc67ELc85ELb0ELb1E19rocblas_complex_numIfEPKS1_PKS3_PKPS1_EviT_T9_T10_S9_lSB_S9_lSA_T11_S9_li
    .private_segment_fixed_size: 0
    .sgpr_count:     39
    .sgpr_spill_count: 0
    .symbol:         _ZL29rocblas_internal_gemmt_kernelIiLi16ELi32ELi8ELc78ELc67ELc85ELb0ELb1E19rocblas_complex_numIfEPKS1_PKS3_PKPS1_EviT_T9_T10_S9_lSB_S9_lSA_T11_S9_li.kd
    .uniform_work_group_size: 1
    .uses_dynamic_stack: false
    .vgpr_count:     71
    .vgpr_spill_count: 0
    .wavefront_size: 32
    .workgroup_processor_mode: 1
  - .args:
      - .offset:         0
        .size:           4
        .value_kind:     by_value
      - .offset:         4
        .size:           4
        .value_kind:     by_value
      - .address_space:  global
        .offset:         8
        .size:           8
        .value_kind:     global_buffer
      - .address_space:  global
        .offset:         16
        .size:           8
        .value_kind:     global_buffer
      - .offset:         24
        .size:           4
        .value_kind:     by_value
      - .offset:         32
        .size:           8
        .value_kind:     by_value
      - .address_space:  global
        .offset:         40
        .size:           8
        .value_kind:     global_buffer
      - .offset:         48
        .size:           4
        .value_kind:     by_value
      - .offset:         56
        .size:           8
        .value_kind:     by_value
      - .address_space:  global
        .offset:         64
        .size:           8
        .value_kind:     global_buffer
      - .address_space:  global
        .offset:         72
        .size:           8
        .value_kind:     global_buffer
      - .offset:         80
        .size:           4
        .value_kind:     by_value
      - .offset:         88
        .size:           8
        .value_kind:     by_value
      - .offset:         96
        .size:           4
        .value_kind:     by_value
    .group_segment_fixed_size: 4096
    .kernarg_segment_align: 8
    .kernarg_segment_size: 100
    .language:       OpenCL C
    .language_version:
      - 2
      - 0
    .max_flat_workgroup_size: 256
    .name:           _ZL29rocblas_internal_gemmt_kernelIiLi16ELi32ELi8ELc84ELc78ELc85ELb0ELb0E19rocblas_complex_numIfEPKS1_PKS3_PKPS1_EviT_T9_T10_S9_lSB_S9_lSA_T11_S9_li
    .private_segment_fixed_size: 0
    .sgpr_count:     37
    .sgpr_spill_count: 0
    .symbol:         _ZL29rocblas_internal_gemmt_kernelIiLi16ELi32ELi8ELc84ELc78ELc85ELb0ELb0E19rocblas_complex_numIfEPKS1_PKS3_PKPS1_EviT_T9_T10_S9_lSB_S9_lSA_T11_S9_li.kd
    .uniform_work_group_size: 1
    .uses_dynamic_stack: false
    .vgpr_count:     71
    .vgpr_spill_count: 0
    .wavefront_size: 32
    .workgroup_processor_mode: 1
  - .args:
      - .offset:         0
        .size:           4
        .value_kind:     by_value
      - .offset:         4
        .size:           4
        .value_kind:     by_value
      - .address_space:  global
        .offset:         8
        .size:           8
        .value_kind:     global_buffer
      - .address_space:  global
        .offset:         16
        .size:           8
        .value_kind:     global_buffer
      - .offset:         24
        .size:           4
        .value_kind:     by_value
      - .offset:         32
        .size:           8
        .value_kind:     by_value
      - .address_space:  global
        .offset:         40
        .size:           8
        .value_kind:     global_buffer
      - .offset:         48
        .size:           4
        .value_kind:     by_value
      - .offset:         56
        .size:           8
        .value_kind:     by_value
      - .address_space:  global
        .offset:         64
        .size:           8
        .value_kind:     global_buffer
      - .address_space:  global
        .offset:         72
        .size:           8
        .value_kind:     global_buffer
      - .offset:         80
        .size:           4
        .value_kind:     by_value
      - .offset:         88
        .size:           8
        .value_kind:     by_value
      - .offset:         96
        .size:           4
        .value_kind:     by_value
    .group_segment_fixed_size: 4096
    .kernarg_segment_align: 8
    .kernarg_segment_size: 100
    .language:       OpenCL C
    .language_version:
      - 2
      - 0
    .max_flat_workgroup_size: 256
    .name:           _ZL29rocblas_internal_gemmt_kernelIiLi16ELi32ELi8ELc84ELc84ELc85ELb0ELb0E19rocblas_complex_numIfEPKS1_PKS3_PKPS1_EviT_T9_T10_S9_lSB_S9_lSA_T11_S9_li
    .private_segment_fixed_size: 0
    .sgpr_count:     38
    .sgpr_spill_count: 0
    .symbol:         _ZL29rocblas_internal_gemmt_kernelIiLi16ELi32ELi8ELc84ELc84ELc85ELb0ELb0E19rocblas_complex_numIfEPKS1_PKS3_PKPS1_EviT_T9_T10_S9_lSB_S9_lSA_T11_S9_li.kd
    .uniform_work_group_size: 1
    .uses_dynamic_stack: false
    .vgpr_count:     71
    .vgpr_spill_count: 0
    .wavefront_size: 32
    .workgroup_processor_mode: 1
  - .args:
      - .offset:         0
        .size:           4
        .value_kind:     by_value
      - .offset:         4
        .size:           4
        .value_kind:     by_value
      - .address_space:  global
        .offset:         8
        .size:           8
        .value_kind:     global_buffer
      - .address_space:  global
        .offset:         16
        .size:           8
        .value_kind:     global_buffer
      - .offset:         24
        .size:           4
        .value_kind:     by_value
      - .offset:         32
        .size:           8
        .value_kind:     by_value
      - .address_space:  global
        .offset:         40
        .size:           8
        .value_kind:     global_buffer
      - .offset:         48
        .size:           4
        .value_kind:     by_value
      - .offset:         56
        .size:           8
        .value_kind:     by_value
      - .address_space:  global
        .offset:         64
        .size:           8
        .value_kind:     global_buffer
      - .address_space:  global
        .offset:         72
        .size:           8
        .value_kind:     global_buffer
      - .offset:         80
        .size:           4
        .value_kind:     by_value
      - .offset:         88
        .size:           8
        .value_kind:     by_value
      - .offset:         96
        .size:           4
        .value_kind:     by_value
    .group_segment_fixed_size: 4096
    .kernarg_segment_align: 8
    .kernarg_segment_size: 100
    .language:       OpenCL C
    .language_version:
      - 2
      - 0
    .max_flat_workgroup_size: 256
    .name:           _ZL29rocblas_internal_gemmt_kernelIiLi16ELi32ELi8ELc84ELc67ELc85ELb0ELb1E19rocblas_complex_numIfEPKS1_PKS3_PKPS1_EviT_T9_T10_S9_lSB_S9_lSA_T11_S9_li
    .private_segment_fixed_size: 0
    .sgpr_count:     38
    .sgpr_spill_count: 0
    .symbol:         _ZL29rocblas_internal_gemmt_kernelIiLi16ELi32ELi8ELc84ELc67ELc85ELb0ELb1E19rocblas_complex_numIfEPKS1_PKS3_PKPS1_EviT_T9_T10_S9_lSB_S9_lSA_T11_S9_li.kd
    .uniform_work_group_size: 1
    .uses_dynamic_stack: false
    .vgpr_count:     71
    .vgpr_spill_count: 0
    .wavefront_size: 32
    .workgroup_processor_mode: 1
  - .args:
      - .offset:         0
        .size:           4
        .value_kind:     by_value
      - .offset:         4
        .size:           4
        .value_kind:     by_value
      - .address_space:  global
        .offset:         8
        .size:           8
        .value_kind:     global_buffer
      - .address_space:  global
        .offset:         16
        .size:           8
        .value_kind:     global_buffer
      - .offset:         24
        .size:           4
        .value_kind:     by_value
      - .offset:         32
        .size:           8
        .value_kind:     by_value
      - .address_space:  global
        .offset:         40
        .size:           8
        .value_kind:     global_buffer
      - .offset:         48
        .size:           4
        .value_kind:     by_value
      - .offset:         56
        .size:           8
        .value_kind:     by_value
      - .address_space:  global
        .offset:         64
        .size:           8
        .value_kind:     global_buffer
      - .address_space:  global
        .offset:         72
        .size:           8
        .value_kind:     global_buffer
      - .offset:         80
        .size:           4
        .value_kind:     by_value
      - .offset:         88
        .size:           8
        .value_kind:     by_value
      - .offset:         96
        .size:           4
        .value_kind:     by_value
    .group_segment_fixed_size: 4096
    .kernarg_segment_align: 8
    .kernarg_segment_size: 100
    .language:       OpenCL C
    .language_version:
      - 2
      - 0
    .max_flat_workgroup_size: 256
    .name:           _ZL29rocblas_internal_gemmt_kernelIiLi16ELi32ELi8ELc67ELc78ELc85ELb1ELb0E19rocblas_complex_numIfEPKS1_PKS3_PKPS1_EviT_T9_T10_S9_lSB_S9_lSA_T11_S9_li
    .private_segment_fixed_size: 0
    .sgpr_count:     37
    .sgpr_spill_count: 0
    .symbol:         _ZL29rocblas_internal_gemmt_kernelIiLi16ELi32ELi8ELc67ELc78ELc85ELb1ELb0E19rocblas_complex_numIfEPKS1_PKS3_PKPS1_EviT_T9_T10_S9_lSB_S9_lSA_T11_S9_li.kd
    .uniform_work_group_size: 1
    .uses_dynamic_stack: false
    .vgpr_count:     71
    .vgpr_spill_count: 0
    .wavefront_size: 32
    .workgroup_processor_mode: 1
  - .args:
      - .offset:         0
        .size:           4
        .value_kind:     by_value
      - .offset:         4
        .size:           4
        .value_kind:     by_value
      - .address_space:  global
        .offset:         8
        .size:           8
        .value_kind:     global_buffer
      - .address_space:  global
        .offset:         16
        .size:           8
        .value_kind:     global_buffer
      - .offset:         24
        .size:           4
        .value_kind:     by_value
      - .offset:         32
        .size:           8
        .value_kind:     by_value
      - .address_space:  global
        .offset:         40
        .size:           8
        .value_kind:     global_buffer
      - .offset:         48
        .size:           4
        .value_kind:     by_value
      - .offset:         56
        .size:           8
        .value_kind:     by_value
      - .address_space:  global
        .offset:         64
        .size:           8
        .value_kind:     global_buffer
      - .address_space:  global
        .offset:         72
        .size:           8
        .value_kind:     global_buffer
      - .offset:         80
        .size:           4
        .value_kind:     by_value
      - .offset:         88
        .size:           8
        .value_kind:     by_value
      - .offset:         96
        .size:           4
        .value_kind:     by_value
    .group_segment_fixed_size: 4096
    .kernarg_segment_align: 8
    .kernarg_segment_size: 100
    .language:       OpenCL C
    .language_version:
      - 2
      - 0
    .max_flat_workgroup_size: 256
    .name:           _ZL29rocblas_internal_gemmt_kernelIiLi16ELi32ELi8ELc67ELc84ELc85ELb1ELb0E19rocblas_complex_numIfEPKS1_PKS3_PKPS1_EviT_T9_T10_S9_lSB_S9_lSA_T11_S9_li
    .private_segment_fixed_size: 0
    .sgpr_count:     38
    .sgpr_spill_count: 0
    .symbol:         _ZL29rocblas_internal_gemmt_kernelIiLi16ELi32ELi8ELc67ELc84ELc85ELb1ELb0E19rocblas_complex_numIfEPKS1_PKS3_PKPS1_EviT_T9_T10_S9_lSB_S9_lSA_T11_S9_li.kd
    .uniform_work_group_size: 1
    .uses_dynamic_stack: false
    .vgpr_count:     71
    .vgpr_spill_count: 0
    .wavefront_size: 32
    .workgroup_processor_mode: 1
  - .args:
      - .offset:         0
        .size:           4
        .value_kind:     by_value
      - .offset:         4
        .size:           4
        .value_kind:     by_value
      - .address_space:  global
        .offset:         8
        .size:           8
        .value_kind:     global_buffer
      - .address_space:  global
        .offset:         16
        .size:           8
        .value_kind:     global_buffer
      - .offset:         24
        .size:           4
        .value_kind:     by_value
      - .offset:         32
        .size:           8
        .value_kind:     by_value
      - .address_space:  global
        .offset:         40
        .size:           8
        .value_kind:     global_buffer
      - .offset:         48
        .size:           4
        .value_kind:     by_value
      - .offset:         56
        .size:           8
        .value_kind:     by_value
      - .address_space:  global
        .offset:         64
        .size:           8
        .value_kind:     global_buffer
      - .address_space:  global
        .offset:         72
        .size:           8
        .value_kind:     global_buffer
      - .offset:         80
        .size:           4
        .value_kind:     by_value
      - .offset:         88
        .size:           8
        .value_kind:     by_value
      - .offset:         96
        .size:           4
        .value_kind:     by_value
    .group_segment_fixed_size: 4096
    .kernarg_segment_align: 8
    .kernarg_segment_size: 100
    .language:       OpenCL C
    .language_version:
      - 2
      - 0
    .max_flat_workgroup_size: 256
    .name:           _ZL29rocblas_internal_gemmt_kernelIiLi16ELi32ELi8ELc67ELc67ELc85ELb1ELb1E19rocblas_complex_numIfEPKS1_PKS3_PKPS1_EviT_T9_T10_S9_lSB_S9_lSA_T11_S9_li
    .private_segment_fixed_size: 0
    .sgpr_count:     38
    .sgpr_spill_count: 0
    .symbol:         _ZL29rocblas_internal_gemmt_kernelIiLi16ELi32ELi8ELc67ELc67ELc85ELb1ELb1E19rocblas_complex_numIfEPKS1_PKS3_PKPS1_EviT_T9_T10_S9_lSB_S9_lSA_T11_S9_li.kd
    .uniform_work_group_size: 1
    .uses_dynamic_stack: false
    .vgpr_count:     71
    .vgpr_spill_count: 0
    .wavefront_size: 32
    .workgroup_processor_mode: 1
  - .args:
      - .offset:         0
        .size:           4
        .value_kind:     by_value
      - .offset:         4
        .size:           4
        .value_kind:     by_value
      - .address_space:  global
        .offset:         8
        .size:           8
        .value_kind:     global_buffer
      - .address_space:  global
        .offset:         16
        .size:           8
        .value_kind:     global_buffer
      - .offset:         24
        .size:           4
        .value_kind:     by_value
      - .offset:         32
        .size:           8
        .value_kind:     by_value
      - .address_space:  global
        .offset:         40
        .size:           8
        .value_kind:     global_buffer
      - .offset:         48
        .size:           4
        .value_kind:     by_value
      - .offset:         56
        .size:           8
        .value_kind:     by_value
      - .address_space:  global
        .offset:         64
        .size:           8
        .value_kind:     global_buffer
      - .address_space:  global
        .offset:         72
        .size:           8
        .value_kind:     global_buffer
      - .offset:         80
        .size:           4
        .value_kind:     by_value
      - .offset:         88
        .size:           8
        .value_kind:     by_value
      - .offset:         96
        .size:           4
        .value_kind:     by_value
    .group_segment_fixed_size: 4096
    .kernarg_segment_align: 8
    .kernarg_segment_size: 100
    .language:       OpenCL C
    .language_version:
      - 2
      - 0
    .max_flat_workgroup_size: 256
    .name:           _ZL29rocblas_internal_gemmt_kernelIiLi16ELi32ELi8ELc78ELc78ELc76ELb0ELb0E19rocblas_complex_numIfEPKS1_PKS3_PKPS1_EviT_T9_T10_S9_lSB_S9_lSA_T11_S9_li
    .private_segment_fixed_size: 0
    .sgpr_count:     39
    .sgpr_spill_count: 0
    .symbol:         _ZL29rocblas_internal_gemmt_kernelIiLi16ELi32ELi8ELc78ELc78ELc76ELb0ELb0E19rocblas_complex_numIfEPKS1_PKS3_PKPS1_EviT_T9_T10_S9_lSB_S9_lSA_T11_S9_li.kd
    .uniform_work_group_size: 1
    .uses_dynamic_stack: false
    .vgpr_count:     71
    .vgpr_spill_count: 0
    .wavefront_size: 32
    .workgroup_processor_mode: 1
  - .args:
      - .offset:         0
        .size:           4
        .value_kind:     by_value
      - .offset:         4
        .size:           4
        .value_kind:     by_value
      - .address_space:  global
        .offset:         8
        .size:           8
        .value_kind:     global_buffer
      - .address_space:  global
        .offset:         16
        .size:           8
        .value_kind:     global_buffer
      - .offset:         24
        .size:           4
        .value_kind:     by_value
      - .offset:         32
        .size:           8
        .value_kind:     by_value
      - .address_space:  global
        .offset:         40
        .size:           8
        .value_kind:     global_buffer
      - .offset:         48
        .size:           4
        .value_kind:     by_value
      - .offset:         56
        .size:           8
        .value_kind:     by_value
      - .address_space:  global
        .offset:         64
        .size:           8
        .value_kind:     global_buffer
      - .address_space:  global
        .offset:         72
        .size:           8
        .value_kind:     global_buffer
      - .offset:         80
        .size:           4
        .value_kind:     by_value
      - .offset:         88
        .size:           8
        .value_kind:     by_value
      - .offset:         96
        .size:           4
        .value_kind:     by_value
    .group_segment_fixed_size: 4096
    .kernarg_segment_align: 8
    .kernarg_segment_size: 100
    .language:       OpenCL C
    .language_version:
      - 2
      - 0
    .max_flat_workgroup_size: 256
    .name:           _ZL29rocblas_internal_gemmt_kernelIiLi16ELi32ELi8ELc78ELc84ELc76ELb0ELb0E19rocblas_complex_numIfEPKS1_PKS3_PKPS1_EviT_T9_T10_S9_lSB_S9_lSA_T11_S9_li
    .private_segment_fixed_size: 0
    .sgpr_count:     41
    .sgpr_spill_count: 0
    .symbol:         _ZL29rocblas_internal_gemmt_kernelIiLi16ELi32ELi8ELc78ELc84ELc76ELb0ELb0E19rocblas_complex_numIfEPKS1_PKS3_PKPS1_EviT_T9_T10_S9_lSB_S9_lSA_T11_S9_li.kd
    .uniform_work_group_size: 1
    .uses_dynamic_stack: false
    .vgpr_count:     71
    .vgpr_spill_count: 0
    .wavefront_size: 32
    .workgroup_processor_mode: 1
  - .args:
      - .offset:         0
        .size:           4
        .value_kind:     by_value
      - .offset:         4
        .size:           4
        .value_kind:     by_value
      - .address_space:  global
        .offset:         8
        .size:           8
        .value_kind:     global_buffer
      - .address_space:  global
        .offset:         16
        .size:           8
        .value_kind:     global_buffer
      - .offset:         24
        .size:           4
        .value_kind:     by_value
      - .offset:         32
        .size:           8
        .value_kind:     by_value
      - .address_space:  global
        .offset:         40
        .size:           8
        .value_kind:     global_buffer
      - .offset:         48
        .size:           4
        .value_kind:     by_value
      - .offset:         56
        .size:           8
        .value_kind:     by_value
      - .address_space:  global
        .offset:         64
        .size:           8
        .value_kind:     global_buffer
      - .address_space:  global
        .offset:         72
        .size:           8
        .value_kind:     global_buffer
      - .offset:         80
        .size:           4
        .value_kind:     by_value
      - .offset:         88
        .size:           8
        .value_kind:     by_value
      - .offset:         96
        .size:           4
        .value_kind:     by_value
    .group_segment_fixed_size: 4096
    .kernarg_segment_align: 8
    .kernarg_segment_size: 100
    .language:       OpenCL C
    .language_version:
      - 2
      - 0
    .max_flat_workgroup_size: 256
    .name:           _ZL29rocblas_internal_gemmt_kernelIiLi16ELi32ELi8ELc78ELc67ELc76ELb0ELb1E19rocblas_complex_numIfEPKS1_PKS3_PKPS1_EviT_T9_T10_S9_lSB_S9_lSA_T11_S9_li
    .private_segment_fixed_size: 0
    .sgpr_count:     41
    .sgpr_spill_count: 0
    .symbol:         _ZL29rocblas_internal_gemmt_kernelIiLi16ELi32ELi8ELc78ELc67ELc76ELb0ELb1E19rocblas_complex_numIfEPKS1_PKS3_PKPS1_EviT_T9_T10_S9_lSB_S9_lSA_T11_S9_li.kd
    .uniform_work_group_size: 1
    .uses_dynamic_stack: false
    .vgpr_count:     71
    .vgpr_spill_count: 0
    .wavefront_size: 32
    .workgroup_processor_mode: 1
  - .args:
      - .offset:         0
        .size:           4
        .value_kind:     by_value
      - .offset:         4
        .size:           4
        .value_kind:     by_value
      - .address_space:  global
        .offset:         8
        .size:           8
        .value_kind:     global_buffer
      - .address_space:  global
        .offset:         16
        .size:           8
        .value_kind:     global_buffer
      - .offset:         24
        .size:           4
        .value_kind:     by_value
      - .offset:         32
        .size:           8
        .value_kind:     by_value
      - .address_space:  global
        .offset:         40
        .size:           8
        .value_kind:     global_buffer
      - .offset:         48
        .size:           4
        .value_kind:     by_value
      - .offset:         56
        .size:           8
        .value_kind:     by_value
      - .address_space:  global
        .offset:         64
        .size:           8
        .value_kind:     global_buffer
      - .address_space:  global
        .offset:         72
        .size:           8
        .value_kind:     global_buffer
      - .offset:         80
        .size:           4
        .value_kind:     by_value
      - .offset:         88
        .size:           8
        .value_kind:     by_value
      - .offset:         96
        .size:           4
        .value_kind:     by_value
    .group_segment_fixed_size: 4096
    .kernarg_segment_align: 8
    .kernarg_segment_size: 100
    .language:       OpenCL C
    .language_version:
      - 2
      - 0
    .max_flat_workgroup_size: 256
    .name:           _ZL29rocblas_internal_gemmt_kernelIiLi16ELi32ELi8ELc84ELc78ELc76ELb0ELb0E19rocblas_complex_numIfEPKS1_PKS3_PKPS1_EviT_T9_T10_S9_lSB_S9_lSA_T11_S9_li
    .private_segment_fixed_size: 0
    .sgpr_count:     37
    .sgpr_spill_count: 0
    .symbol:         _ZL29rocblas_internal_gemmt_kernelIiLi16ELi32ELi8ELc84ELc78ELc76ELb0ELb0E19rocblas_complex_numIfEPKS1_PKS3_PKPS1_EviT_T9_T10_S9_lSB_S9_lSA_T11_S9_li.kd
    .uniform_work_group_size: 1
    .uses_dynamic_stack: false
    .vgpr_count:     71
    .vgpr_spill_count: 0
    .wavefront_size: 32
    .workgroup_processor_mode: 1
  - .args:
      - .offset:         0
        .size:           4
        .value_kind:     by_value
      - .offset:         4
        .size:           4
        .value_kind:     by_value
      - .address_space:  global
        .offset:         8
        .size:           8
        .value_kind:     global_buffer
      - .address_space:  global
        .offset:         16
        .size:           8
        .value_kind:     global_buffer
      - .offset:         24
        .size:           4
        .value_kind:     by_value
      - .offset:         32
        .size:           8
        .value_kind:     by_value
      - .address_space:  global
        .offset:         40
        .size:           8
        .value_kind:     global_buffer
      - .offset:         48
        .size:           4
        .value_kind:     by_value
      - .offset:         56
        .size:           8
        .value_kind:     by_value
      - .address_space:  global
        .offset:         64
        .size:           8
        .value_kind:     global_buffer
      - .address_space:  global
        .offset:         72
        .size:           8
        .value_kind:     global_buffer
      - .offset:         80
        .size:           4
        .value_kind:     by_value
      - .offset:         88
        .size:           8
        .value_kind:     by_value
      - .offset:         96
        .size:           4
        .value_kind:     by_value
    .group_segment_fixed_size: 4096
    .kernarg_segment_align: 8
    .kernarg_segment_size: 100
    .language:       OpenCL C
    .language_version:
      - 2
      - 0
    .max_flat_workgroup_size: 256
    .name:           _ZL29rocblas_internal_gemmt_kernelIiLi16ELi32ELi8ELc84ELc84ELc76ELb0ELb0E19rocblas_complex_numIfEPKS1_PKS3_PKPS1_EviT_T9_T10_S9_lSB_S9_lSA_T11_S9_li
    .private_segment_fixed_size: 0
    .sgpr_count:     39
    .sgpr_spill_count: 0
    .symbol:         _ZL29rocblas_internal_gemmt_kernelIiLi16ELi32ELi8ELc84ELc84ELc76ELb0ELb0E19rocblas_complex_numIfEPKS1_PKS3_PKPS1_EviT_T9_T10_S9_lSB_S9_lSA_T11_S9_li.kd
    .uniform_work_group_size: 1
    .uses_dynamic_stack: false
    .vgpr_count:     71
    .vgpr_spill_count: 0
    .wavefront_size: 32
    .workgroup_processor_mode: 1
  - .args:
      - .offset:         0
        .size:           4
        .value_kind:     by_value
      - .offset:         4
        .size:           4
        .value_kind:     by_value
      - .address_space:  global
        .offset:         8
        .size:           8
        .value_kind:     global_buffer
      - .address_space:  global
        .offset:         16
        .size:           8
        .value_kind:     global_buffer
      - .offset:         24
        .size:           4
        .value_kind:     by_value
      - .offset:         32
        .size:           8
        .value_kind:     by_value
      - .address_space:  global
        .offset:         40
        .size:           8
        .value_kind:     global_buffer
      - .offset:         48
        .size:           4
        .value_kind:     by_value
      - .offset:         56
        .size:           8
        .value_kind:     by_value
      - .address_space:  global
        .offset:         64
        .size:           8
        .value_kind:     global_buffer
      - .address_space:  global
        .offset:         72
        .size:           8
        .value_kind:     global_buffer
      - .offset:         80
        .size:           4
        .value_kind:     by_value
      - .offset:         88
        .size:           8
        .value_kind:     by_value
      - .offset:         96
        .size:           4
        .value_kind:     by_value
    .group_segment_fixed_size: 4096
    .kernarg_segment_align: 8
    .kernarg_segment_size: 100
    .language:       OpenCL C
    .language_version:
      - 2
      - 0
    .max_flat_workgroup_size: 256
    .name:           _ZL29rocblas_internal_gemmt_kernelIiLi16ELi32ELi8ELc84ELc67ELc76ELb0ELb1E19rocblas_complex_numIfEPKS1_PKS3_PKPS1_EviT_T9_T10_S9_lSB_S9_lSA_T11_S9_li
    .private_segment_fixed_size: 0
    .sgpr_count:     39
    .sgpr_spill_count: 0
    .symbol:         _ZL29rocblas_internal_gemmt_kernelIiLi16ELi32ELi8ELc84ELc67ELc76ELb0ELb1E19rocblas_complex_numIfEPKS1_PKS3_PKPS1_EviT_T9_T10_S9_lSB_S9_lSA_T11_S9_li.kd
    .uniform_work_group_size: 1
    .uses_dynamic_stack: false
    .vgpr_count:     71
    .vgpr_spill_count: 0
    .wavefront_size: 32
    .workgroup_processor_mode: 1
  - .args:
      - .offset:         0
        .size:           4
        .value_kind:     by_value
      - .offset:         4
        .size:           4
        .value_kind:     by_value
      - .address_space:  global
        .offset:         8
        .size:           8
        .value_kind:     global_buffer
      - .address_space:  global
        .offset:         16
        .size:           8
        .value_kind:     global_buffer
      - .offset:         24
        .size:           4
        .value_kind:     by_value
      - .offset:         32
        .size:           8
        .value_kind:     by_value
      - .address_space:  global
        .offset:         40
        .size:           8
        .value_kind:     global_buffer
      - .offset:         48
        .size:           4
        .value_kind:     by_value
      - .offset:         56
        .size:           8
        .value_kind:     by_value
      - .address_space:  global
        .offset:         64
        .size:           8
        .value_kind:     global_buffer
      - .address_space:  global
        .offset:         72
        .size:           8
        .value_kind:     global_buffer
      - .offset:         80
        .size:           4
        .value_kind:     by_value
      - .offset:         88
        .size:           8
        .value_kind:     by_value
      - .offset:         96
        .size:           4
        .value_kind:     by_value
    .group_segment_fixed_size: 4096
    .kernarg_segment_align: 8
    .kernarg_segment_size: 100
    .language:       OpenCL C
    .language_version:
      - 2
      - 0
    .max_flat_workgroup_size: 256
    .name:           _ZL29rocblas_internal_gemmt_kernelIiLi16ELi32ELi8ELc67ELc78ELc76ELb1ELb0E19rocblas_complex_numIfEPKS1_PKS3_PKPS1_EviT_T9_T10_S9_lSB_S9_lSA_T11_S9_li
    .private_segment_fixed_size: 0
    .sgpr_count:     37
    .sgpr_spill_count: 0
    .symbol:         _ZL29rocblas_internal_gemmt_kernelIiLi16ELi32ELi8ELc67ELc78ELc76ELb1ELb0E19rocblas_complex_numIfEPKS1_PKS3_PKPS1_EviT_T9_T10_S9_lSB_S9_lSA_T11_S9_li.kd
    .uniform_work_group_size: 1
    .uses_dynamic_stack: false
    .vgpr_count:     71
    .vgpr_spill_count: 0
    .wavefront_size: 32
    .workgroup_processor_mode: 1
  - .args:
      - .offset:         0
        .size:           4
        .value_kind:     by_value
      - .offset:         4
        .size:           4
        .value_kind:     by_value
      - .address_space:  global
        .offset:         8
        .size:           8
        .value_kind:     global_buffer
      - .address_space:  global
        .offset:         16
        .size:           8
        .value_kind:     global_buffer
      - .offset:         24
        .size:           4
        .value_kind:     by_value
      - .offset:         32
        .size:           8
        .value_kind:     by_value
      - .address_space:  global
        .offset:         40
        .size:           8
        .value_kind:     global_buffer
      - .offset:         48
        .size:           4
        .value_kind:     by_value
      - .offset:         56
        .size:           8
        .value_kind:     by_value
      - .address_space:  global
        .offset:         64
        .size:           8
        .value_kind:     global_buffer
      - .address_space:  global
        .offset:         72
        .size:           8
        .value_kind:     global_buffer
      - .offset:         80
        .size:           4
        .value_kind:     by_value
      - .offset:         88
        .size:           8
        .value_kind:     by_value
      - .offset:         96
        .size:           4
        .value_kind:     by_value
    .group_segment_fixed_size: 4096
    .kernarg_segment_align: 8
    .kernarg_segment_size: 100
    .language:       OpenCL C
    .language_version:
      - 2
      - 0
    .max_flat_workgroup_size: 256
    .name:           _ZL29rocblas_internal_gemmt_kernelIiLi16ELi32ELi8ELc67ELc84ELc76ELb1ELb0E19rocblas_complex_numIfEPKS1_PKS3_PKPS1_EviT_T9_T10_S9_lSB_S9_lSA_T11_S9_li
    .private_segment_fixed_size: 0
    .sgpr_count:     39
    .sgpr_spill_count: 0
    .symbol:         _ZL29rocblas_internal_gemmt_kernelIiLi16ELi32ELi8ELc67ELc84ELc76ELb1ELb0E19rocblas_complex_numIfEPKS1_PKS3_PKPS1_EviT_T9_T10_S9_lSB_S9_lSA_T11_S9_li.kd
    .uniform_work_group_size: 1
    .uses_dynamic_stack: false
    .vgpr_count:     71
    .vgpr_spill_count: 0
    .wavefront_size: 32
    .workgroup_processor_mode: 1
  - .args:
      - .offset:         0
        .size:           4
        .value_kind:     by_value
      - .offset:         4
        .size:           4
        .value_kind:     by_value
      - .address_space:  global
        .offset:         8
        .size:           8
        .value_kind:     global_buffer
      - .address_space:  global
        .offset:         16
        .size:           8
        .value_kind:     global_buffer
      - .offset:         24
        .size:           4
        .value_kind:     by_value
      - .offset:         32
        .size:           8
        .value_kind:     by_value
      - .address_space:  global
        .offset:         40
        .size:           8
        .value_kind:     global_buffer
      - .offset:         48
        .size:           4
        .value_kind:     by_value
      - .offset:         56
        .size:           8
        .value_kind:     by_value
      - .address_space:  global
        .offset:         64
        .size:           8
        .value_kind:     global_buffer
      - .address_space:  global
        .offset:         72
        .size:           8
        .value_kind:     global_buffer
      - .offset:         80
        .size:           4
        .value_kind:     by_value
      - .offset:         88
        .size:           8
        .value_kind:     by_value
      - .offset:         96
        .size:           4
        .value_kind:     by_value
    .group_segment_fixed_size: 4096
    .kernarg_segment_align: 8
    .kernarg_segment_size: 100
    .language:       OpenCL C
    .language_version:
      - 2
      - 0
    .max_flat_workgroup_size: 256
    .name:           _ZL29rocblas_internal_gemmt_kernelIiLi16ELi32ELi8ELc67ELc67ELc76ELb1ELb1E19rocblas_complex_numIfEPKS1_PKS3_PKPS1_EviT_T9_T10_S9_lSB_S9_lSA_T11_S9_li
    .private_segment_fixed_size: 0
    .sgpr_count:     39
    .sgpr_spill_count: 0
    .symbol:         _ZL29rocblas_internal_gemmt_kernelIiLi16ELi32ELi8ELc67ELc67ELc76ELb1ELb1E19rocblas_complex_numIfEPKS1_PKS3_PKPS1_EviT_T9_T10_S9_lSB_S9_lSA_T11_S9_li.kd
    .uniform_work_group_size: 1
    .uses_dynamic_stack: false
    .vgpr_count:     71
    .vgpr_spill_count: 0
    .wavefront_size: 32
    .workgroup_processor_mode: 1
  - .args:
      - .offset:         0
        .size:           4
        .value_kind:     by_value
      - .offset:         4
        .size:           4
        .value_kind:     by_value
      - .offset:         8
        .size:           8
        .value_kind:     by_value
      - .address_space:  global
        .offset:         16
        .size:           8
        .value_kind:     global_buffer
      - .offset:         24
        .size:           4
        .value_kind:     by_value
      - .offset:         32
        .size:           8
        .value_kind:     by_value
      - .address_space:  global
        .offset:         40
        .size:           8
        .value_kind:     global_buffer
      - .offset:         48
        .size:           4
        .value_kind:     by_value
      - .offset:         56
        .size:           8
        .value_kind:     by_value
      - .offset:         64
        .size:           8
        .value_kind:     by_value
      - .address_space:  global
        .offset:         72
        .size:           8
        .value_kind:     global_buffer
      - .offset:         80
        .size:           4
        .value_kind:     by_value
      - .offset:         88
        .size:           8
        .value_kind:     by_value
      - .offset:         96
        .size:           4
        .value_kind:     by_value
    .group_segment_fixed_size: 4096
    .kernarg_segment_align: 8
    .kernarg_segment_size: 100
    .language:       OpenCL C
    .language_version:
      - 2
      - 0
    .max_flat_workgroup_size: 256
    .name:           _ZL29rocblas_internal_gemmt_kernelIiLi16ELi32ELi8ELc78ELc78ELc85ELb0ELb0E19rocblas_complex_numIfES1_PKPKS1_PKPS1_EviT_T9_T10_S9_lSB_S9_lSA_T11_S9_li
    .private_segment_fixed_size: 0
    .sgpr_count:     38
    .sgpr_spill_count: 0
    .symbol:         _ZL29rocblas_internal_gemmt_kernelIiLi16ELi32ELi8ELc78ELc78ELc85ELb0ELb0E19rocblas_complex_numIfES1_PKPKS1_PKPS1_EviT_T9_T10_S9_lSB_S9_lSA_T11_S9_li.kd
    .uniform_work_group_size: 1
    .uses_dynamic_stack: false
    .vgpr_count:     71
    .vgpr_spill_count: 0
    .wavefront_size: 32
    .workgroup_processor_mode: 1
  - .args:
      - .offset:         0
        .size:           4
        .value_kind:     by_value
      - .offset:         4
        .size:           4
        .value_kind:     by_value
      - .offset:         8
        .size:           8
        .value_kind:     by_value
      - .address_space:  global
        .offset:         16
        .size:           8
        .value_kind:     global_buffer
      - .offset:         24
        .size:           4
        .value_kind:     by_value
      - .offset:         32
        .size:           8
        .value_kind:     by_value
      - .address_space:  global
        .offset:         40
        .size:           8
        .value_kind:     global_buffer
      - .offset:         48
        .size:           4
        .value_kind:     by_value
      - .offset:         56
        .size:           8
        .value_kind:     by_value
      - .offset:         64
        .size:           8
        .value_kind:     by_value
      - .address_space:  global
        .offset:         72
        .size:           8
        .value_kind:     global_buffer
      - .offset:         80
        .size:           4
        .value_kind:     by_value
      - .offset:         88
        .size:           8
        .value_kind:     by_value
      - .offset:         96
        .size:           4
        .value_kind:     by_value
    .group_segment_fixed_size: 4096
    .kernarg_segment_align: 8
    .kernarg_segment_size: 100
    .language:       OpenCL C
    .language_version:
      - 2
      - 0
    .max_flat_workgroup_size: 256
    .name:           _ZL29rocblas_internal_gemmt_kernelIiLi16ELi32ELi8ELc78ELc84ELc85ELb0ELb0E19rocblas_complex_numIfES1_PKPKS1_PKPS1_EviT_T9_T10_S9_lSB_S9_lSA_T11_S9_li
    .private_segment_fixed_size: 0
    .sgpr_count:     40
    .sgpr_spill_count: 0
    .symbol:         _ZL29rocblas_internal_gemmt_kernelIiLi16ELi32ELi8ELc78ELc84ELc85ELb0ELb0E19rocblas_complex_numIfES1_PKPKS1_PKPS1_EviT_T9_T10_S9_lSB_S9_lSA_T11_S9_li.kd
    .uniform_work_group_size: 1
    .uses_dynamic_stack: false
    .vgpr_count:     71
    .vgpr_spill_count: 0
    .wavefront_size: 32
    .workgroup_processor_mode: 1
  - .args:
      - .offset:         0
        .size:           4
        .value_kind:     by_value
      - .offset:         4
        .size:           4
        .value_kind:     by_value
      - .offset:         8
        .size:           8
        .value_kind:     by_value
      - .address_space:  global
        .offset:         16
        .size:           8
        .value_kind:     global_buffer
      - .offset:         24
        .size:           4
        .value_kind:     by_value
      - .offset:         32
        .size:           8
        .value_kind:     by_value
      - .address_space:  global
        .offset:         40
        .size:           8
        .value_kind:     global_buffer
      - .offset:         48
        .size:           4
        .value_kind:     by_value
      - .offset:         56
        .size:           8
        .value_kind:     by_value
      - .offset:         64
        .size:           8
        .value_kind:     by_value
      - .address_space:  global
        .offset:         72
        .size:           8
        .value_kind:     global_buffer
      - .offset:         80
        .size:           4
        .value_kind:     by_value
      - .offset:         88
        .size:           8
        .value_kind:     by_value
      - .offset:         96
        .size:           4
        .value_kind:     by_value
    .group_segment_fixed_size: 4096
    .kernarg_segment_align: 8
    .kernarg_segment_size: 100
    .language:       OpenCL C
    .language_version:
      - 2
      - 0
    .max_flat_workgroup_size: 256
    .name:           _ZL29rocblas_internal_gemmt_kernelIiLi16ELi32ELi8ELc78ELc67ELc85ELb0ELb1E19rocblas_complex_numIfES1_PKPKS1_PKPS1_EviT_T9_T10_S9_lSB_S9_lSA_T11_S9_li
    .private_segment_fixed_size: 0
    .sgpr_count:     40
    .sgpr_spill_count: 0
    .symbol:         _ZL29rocblas_internal_gemmt_kernelIiLi16ELi32ELi8ELc78ELc67ELc85ELb0ELb1E19rocblas_complex_numIfES1_PKPKS1_PKPS1_EviT_T9_T10_S9_lSB_S9_lSA_T11_S9_li.kd
    .uniform_work_group_size: 1
    .uses_dynamic_stack: false
    .vgpr_count:     71
    .vgpr_spill_count: 0
    .wavefront_size: 32
    .workgroup_processor_mode: 1
  - .args:
      - .offset:         0
        .size:           4
        .value_kind:     by_value
      - .offset:         4
        .size:           4
        .value_kind:     by_value
      - .offset:         8
        .size:           8
        .value_kind:     by_value
      - .address_space:  global
        .offset:         16
        .size:           8
        .value_kind:     global_buffer
      - .offset:         24
        .size:           4
        .value_kind:     by_value
      - .offset:         32
        .size:           8
        .value_kind:     by_value
      - .address_space:  global
        .offset:         40
        .size:           8
        .value_kind:     global_buffer
      - .offset:         48
        .size:           4
        .value_kind:     by_value
      - .offset:         56
        .size:           8
        .value_kind:     by_value
      - .offset:         64
        .size:           8
        .value_kind:     by_value
      - .address_space:  global
        .offset:         72
        .size:           8
        .value_kind:     global_buffer
      - .offset:         80
        .size:           4
        .value_kind:     by_value
      - .offset:         88
        .size:           8
        .value_kind:     by_value
      - .offset:         96
        .size:           4
        .value_kind:     by_value
    .group_segment_fixed_size: 4096
    .kernarg_segment_align: 8
    .kernarg_segment_size: 100
    .language:       OpenCL C
    .language_version:
      - 2
      - 0
    .max_flat_workgroup_size: 256
    .name:           _ZL29rocblas_internal_gemmt_kernelIiLi16ELi32ELi8ELc84ELc78ELc85ELb0ELb0E19rocblas_complex_numIfES1_PKPKS1_PKPS1_EviT_T9_T10_S9_lSB_S9_lSA_T11_S9_li
    .private_segment_fixed_size: 0
    .sgpr_count:     37
    .sgpr_spill_count: 0
    .symbol:         _ZL29rocblas_internal_gemmt_kernelIiLi16ELi32ELi8ELc84ELc78ELc85ELb0ELb0E19rocblas_complex_numIfES1_PKPKS1_PKPS1_EviT_T9_T10_S9_lSB_S9_lSA_T11_S9_li.kd
    .uniform_work_group_size: 1
    .uses_dynamic_stack: false
    .vgpr_count:     71
    .vgpr_spill_count: 0
    .wavefront_size: 32
    .workgroup_processor_mode: 1
  - .args:
      - .offset:         0
        .size:           4
        .value_kind:     by_value
      - .offset:         4
        .size:           4
        .value_kind:     by_value
      - .offset:         8
        .size:           8
        .value_kind:     by_value
      - .address_space:  global
        .offset:         16
        .size:           8
        .value_kind:     global_buffer
      - .offset:         24
        .size:           4
        .value_kind:     by_value
      - .offset:         32
        .size:           8
        .value_kind:     by_value
      - .address_space:  global
        .offset:         40
        .size:           8
        .value_kind:     global_buffer
      - .offset:         48
        .size:           4
        .value_kind:     by_value
      - .offset:         56
        .size:           8
        .value_kind:     by_value
      - .offset:         64
        .size:           8
        .value_kind:     by_value
      - .address_space:  global
        .offset:         72
        .size:           8
        .value_kind:     global_buffer
      - .offset:         80
        .size:           4
        .value_kind:     by_value
      - .offset:         88
        .size:           8
        .value_kind:     by_value
      - .offset:         96
        .size:           4
        .value_kind:     by_value
    .group_segment_fixed_size: 4096
    .kernarg_segment_align: 8
    .kernarg_segment_size: 100
    .language:       OpenCL C
    .language_version:
      - 2
      - 0
    .max_flat_workgroup_size: 256
    .name:           _ZL29rocblas_internal_gemmt_kernelIiLi16ELi32ELi8ELc84ELc84ELc85ELb0ELb0E19rocblas_complex_numIfES1_PKPKS1_PKPS1_EviT_T9_T10_S9_lSB_S9_lSA_T11_S9_li
    .private_segment_fixed_size: 0
    .sgpr_count:     38
    .sgpr_spill_count: 0
    .symbol:         _ZL29rocblas_internal_gemmt_kernelIiLi16ELi32ELi8ELc84ELc84ELc85ELb0ELb0E19rocblas_complex_numIfES1_PKPKS1_PKPS1_EviT_T9_T10_S9_lSB_S9_lSA_T11_S9_li.kd
    .uniform_work_group_size: 1
    .uses_dynamic_stack: false
    .vgpr_count:     71
    .vgpr_spill_count: 0
    .wavefront_size: 32
    .workgroup_processor_mode: 1
  - .args:
      - .offset:         0
        .size:           4
        .value_kind:     by_value
      - .offset:         4
        .size:           4
        .value_kind:     by_value
      - .offset:         8
        .size:           8
        .value_kind:     by_value
      - .address_space:  global
        .offset:         16
        .size:           8
        .value_kind:     global_buffer
      - .offset:         24
        .size:           4
        .value_kind:     by_value
      - .offset:         32
        .size:           8
        .value_kind:     by_value
      - .address_space:  global
        .offset:         40
        .size:           8
        .value_kind:     global_buffer
      - .offset:         48
        .size:           4
        .value_kind:     by_value
      - .offset:         56
        .size:           8
        .value_kind:     by_value
      - .offset:         64
        .size:           8
        .value_kind:     by_value
      - .address_space:  global
        .offset:         72
        .size:           8
        .value_kind:     global_buffer
      - .offset:         80
        .size:           4
        .value_kind:     by_value
      - .offset:         88
        .size:           8
        .value_kind:     by_value
      - .offset:         96
        .size:           4
        .value_kind:     by_value
    .group_segment_fixed_size: 4096
    .kernarg_segment_align: 8
    .kernarg_segment_size: 100
    .language:       OpenCL C
    .language_version:
      - 2
      - 0
    .max_flat_workgroup_size: 256
    .name:           _ZL29rocblas_internal_gemmt_kernelIiLi16ELi32ELi8ELc84ELc67ELc85ELb0ELb1E19rocblas_complex_numIfES1_PKPKS1_PKPS1_EviT_T9_T10_S9_lSB_S9_lSA_T11_S9_li
    .private_segment_fixed_size: 0
    .sgpr_count:     38
    .sgpr_spill_count: 0
    .symbol:         _ZL29rocblas_internal_gemmt_kernelIiLi16ELi32ELi8ELc84ELc67ELc85ELb0ELb1E19rocblas_complex_numIfES1_PKPKS1_PKPS1_EviT_T9_T10_S9_lSB_S9_lSA_T11_S9_li.kd
    .uniform_work_group_size: 1
    .uses_dynamic_stack: false
    .vgpr_count:     71
    .vgpr_spill_count: 0
    .wavefront_size: 32
    .workgroup_processor_mode: 1
  - .args:
      - .offset:         0
        .size:           4
        .value_kind:     by_value
      - .offset:         4
        .size:           4
        .value_kind:     by_value
      - .offset:         8
        .size:           8
        .value_kind:     by_value
      - .address_space:  global
        .offset:         16
        .size:           8
        .value_kind:     global_buffer
      - .offset:         24
        .size:           4
        .value_kind:     by_value
      - .offset:         32
        .size:           8
        .value_kind:     by_value
      - .address_space:  global
        .offset:         40
        .size:           8
        .value_kind:     global_buffer
      - .offset:         48
        .size:           4
        .value_kind:     by_value
      - .offset:         56
        .size:           8
        .value_kind:     by_value
      - .offset:         64
        .size:           8
        .value_kind:     by_value
      - .address_space:  global
        .offset:         72
        .size:           8
        .value_kind:     global_buffer
      - .offset:         80
        .size:           4
        .value_kind:     by_value
      - .offset:         88
        .size:           8
        .value_kind:     by_value
      - .offset:         96
        .size:           4
        .value_kind:     by_value
    .group_segment_fixed_size: 4096
    .kernarg_segment_align: 8
    .kernarg_segment_size: 100
    .language:       OpenCL C
    .language_version:
      - 2
      - 0
    .max_flat_workgroup_size: 256
    .name:           _ZL29rocblas_internal_gemmt_kernelIiLi16ELi32ELi8ELc67ELc78ELc85ELb1ELb0E19rocblas_complex_numIfES1_PKPKS1_PKPS1_EviT_T9_T10_S9_lSB_S9_lSA_T11_S9_li
    .private_segment_fixed_size: 0
    .sgpr_count:     37
    .sgpr_spill_count: 0
    .symbol:         _ZL29rocblas_internal_gemmt_kernelIiLi16ELi32ELi8ELc67ELc78ELc85ELb1ELb0E19rocblas_complex_numIfES1_PKPKS1_PKPS1_EviT_T9_T10_S9_lSB_S9_lSA_T11_S9_li.kd
    .uniform_work_group_size: 1
    .uses_dynamic_stack: false
    .vgpr_count:     71
    .vgpr_spill_count: 0
    .wavefront_size: 32
    .workgroup_processor_mode: 1
  - .args:
      - .offset:         0
        .size:           4
        .value_kind:     by_value
      - .offset:         4
        .size:           4
        .value_kind:     by_value
      - .offset:         8
        .size:           8
        .value_kind:     by_value
      - .address_space:  global
        .offset:         16
        .size:           8
        .value_kind:     global_buffer
      - .offset:         24
        .size:           4
        .value_kind:     by_value
      - .offset:         32
        .size:           8
        .value_kind:     by_value
      - .address_space:  global
        .offset:         40
        .size:           8
        .value_kind:     global_buffer
      - .offset:         48
        .size:           4
        .value_kind:     by_value
      - .offset:         56
        .size:           8
        .value_kind:     by_value
      - .offset:         64
        .size:           8
        .value_kind:     by_value
      - .address_space:  global
        .offset:         72
        .size:           8
        .value_kind:     global_buffer
      - .offset:         80
        .size:           4
        .value_kind:     by_value
      - .offset:         88
        .size:           8
        .value_kind:     by_value
      - .offset:         96
        .size:           4
        .value_kind:     by_value
    .group_segment_fixed_size: 4096
    .kernarg_segment_align: 8
    .kernarg_segment_size: 100
    .language:       OpenCL C
    .language_version:
      - 2
      - 0
    .max_flat_workgroup_size: 256
    .name:           _ZL29rocblas_internal_gemmt_kernelIiLi16ELi32ELi8ELc67ELc84ELc85ELb1ELb0E19rocblas_complex_numIfES1_PKPKS1_PKPS1_EviT_T9_T10_S9_lSB_S9_lSA_T11_S9_li
    .private_segment_fixed_size: 0
    .sgpr_count:     38
    .sgpr_spill_count: 0
    .symbol:         _ZL29rocblas_internal_gemmt_kernelIiLi16ELi32ELi8ELc67ELc84ELc85ELb1ELb0E19rocblas_complex_numIfES1_PKPKS1_PKPS1_EviT_T9_T10_S9_lSB_S9_lSA_T11_S9_li.kd
    .uniform_work_group_size: 1
    .uses_dynamic_stack: false
    .vgpr_count:     71
    .vgpr_spill_count: 0
    .wavefront_size: 32
    .workgroup_processor_mode: 1
  - .args:
      - .offset:         0
        .size:           4
        .value_kind:     by_value
      - .offset:         4
        .size:           4
        .value_kind:     by_value
      - .offset:         8
        .size:           8
        .value_kind:     by_value
      - .address_space:  global
        .offset:         16
        .size:           8
        .value_kind:     global_buffer
      - .offset:         24
        .size:           4
        .value_kind:     by_value
      - .offset:         32
        .size:           8
        .value_kind:     by_value
      - .address_space:  global
        .offset:         40
        .size:           8
        .value_kind:     global_buffer
      - .offset:         48
        .size:           4
        .value_kind:     by_value
      - .offset:         56
        .size:           8
        .value_kind:     by_value
      - .offset:         64
        .size:           8
        .value_kind:     by_value
      - .address_space:  global
        .offset:         72
        .size:           8
        .value_kind:     global_buffer
      - .offset:         80
        .size:           4
        .value_kind:     by_value
      - .offset:         88
        .size:           8
        .value_kind:     by_value
      - .offset:         96
        .size:           4
        .value_kind:     by_value
    .group_segment_fixed_size: 4096
    .kernarg_segment_align: 8
    .kernarg_segment_size: 100
    .language:       OpenCL C
    .language_version:
      - 2
      - 0
    .max_flat_workgroup_size: 256
    .name:           _ZL29rocblas_internal_gemmt_kernelIiLi16ELi32ELi8ELc67ELc67ELc85ELb1ELb1E19rocblas_complex_numIfES1_PKPKS1_PKPS1_EviT_T9_T10_S9_lSB_S9_lSA_T11_S9_li
    .private_segment_fixed_size: 0
    .sgpr_count:     38
    .sgpr_spill_count: 0
    .symbol:         _ZL29rocblas_internal_gemmt_kernelIiLi16ELi32ELi8ELc67ELc67ELc85ELb1ELb1E19rocblas_complex_numIfES1_PKPKS1_PKPS1_EviT_T9_T10_S9_lSB_S9_lSA_T11_S9_li.kd
    .uniform_work_group_size: 1
    .uses_dynamic_stack: false
    .vgpr_count:     71
    .vgpr_spill_count: 0
    .wavefront_size: 32
    .workgroup_processor_mode: 1
  - .args:
      - .offset:         0
        .size:           4
        .value_kind:     by_value
      - .offset:         4
        .size:           4
        .value_kind:     by_value
      - .offset:         8
        .size:           8
        .value_kind:     by_value
      - .address_space:  global
        .offset:         16
        .size:           8
        .value_kind:     global_buffer
      - .offset:         24
        .size:           4
        .value_kind:     by_value
      - .offset:         32
        .size:           8
        .value_kind:     by_value
      - .address_space:  global
        .offset:         40
        .size:           8
        .value_kind:     global_buffer
      - .offset:         48
        .size:           4
        .value_kind:     by_value
      - .offset:         56
        .size:           8
        .value_kind:     by_value
      - .offset:         64
        .size:           8
        .value_kind:     by_value
      - .address_space:  global
        .offset:         72
        .size:           8
        .value_kind:     global_buffer
      - .offset:         80
        .size:           4
        .value_kind:     by_value
      - .offset:         88
        .size:           8
        .value_kind:     by_value
      - .offset:         96
        .size:           4
        .value_kind:     by_value
    .group_segment_fixed_size: 4096
    .kernarg_segment_align: 8
    .kernarg_segment_size: 100
    .language:       OpenCL C
    .language_version:
      - 2
      - 0
    .max_flat_workgroup_size: 256
    .name:           _ZL29rocblas_internal_gemmt_kernelIiLi16ELi32ELi8ELc78ELc78ELc76ELb0ELb0E19rocblas_complex_numIfES1_PKPKS1_PKPS1_EviT_T9_T10_S9_lSB_S9_lSA_T11_S9_li
    .private_segment_fixed_size: 0
    .sgpr_count:     38
    .sgpr_spill_count: 0
    .symbol:         _ZL29rocblas_internal_gemmt_kernelIiLi16ELi32ELi8ELc78ELc78ELc76ELb0ELb0E19rocblas_complex_numIfES1_PKPKS1_PKPS1_EviT_T9_T10_S9_lSB_S9_lSA_T11_S9_li.kd
    .uniform_work_group_size: 1
    .uses_dynamic_stack: false
    .vgpr_count:     71
    .vgpr_spill_count: 0
    .wavefront_size: 32
    .workgroup_processor_mode: 1
  - .args:
      - .offset:         0
        .size:           4
        .value_kind:     by_value
      - .offset:         4
        .size:           4
        .value_kind:     by_value
      - .offset:         8
        .size:           8
        .value_kind:     by_value
      - .address_space:  global
        .offset:         16
        .size:           8
        .value_kind:     global_buffer
      - .offset:         24
        .size:           4
        .value_kind:     by_value
      - .offset:         32
        .size:           8
        .value_kind:     by_value
      - .address_space:  global
        .offset:         40
        .size:           8
        .value_kind:     global_buffer
      - .offset:         48
        .size:           4
        .value_kind:     by_value
      - .offset:         56
        .size:           8
        .value_kind:     by_value
      - .offset:         64
        .size:           8
        .value_kind:     by_value
      - .address_space:  global
        .offset:         72
        .size:           8
        .value_kind:     global_buffer
      - .offset:         80
        .size:           4
        .value_kind:     by_value
      - .offset:         88
        .size:           8
        .value_kind:     by_value
      - .offset:         96
        .size:           4
        .value_kind:     by_value
    .group_segment_fixed_size: 4096
    .kernarg_segment_align: 8
    .kernarg_segment_size: 100
    .language:       OpenCL C
    .language_version:
      - 2
      - 0
    .max_flat_workgroup_size: 256
    .name:           _ZL29rocblas_internal_gemmt_kernelIiLi16ELi32ELi8ELc78ELc84ELc76ELb0ELb0E19rocblas_complex_numIfES1_PKPKS1_PKPS1_EviT_T9_T10_S9_lSB_S9_lSA_T11_S9_li
    .private_segment_fixed_size: 0
    .sgpr_count:     40
    .sgpr_spill_count: 0
    .symbol:         _ZL29rocblas_internal_gemmt_kernelIiLi16ELi32ELi8ELc78ELc84ELc76ELb0ELb0E19rocblas_complex_numIfES1_PKPKS1_PKPS1_EviT_T9_T10_S9_lSB_S9_lSA_T11_S9_li.kd
    .uniform_work_group_size: 1
    .uses_dynamic_stack: false
    .vgpr_count:     71
    .vgpr_spill_count: 0
    .wavefront_size: 32
    .workgroup_processor_mode: 1
  - .args:
      - .offset:         0
        .size:           4
        .value_kind:     by_value
      - .offset:         4
        .size:           4
        .value_kind:     by_value
      - .offset:         8
        .size:           8
        .value_kind:     by_value
      - .address_space:  global
        .offset:         16
        .size:           8
        .value_kind:     global_buffer
      - .offset:         24
        .size:           4
        .value_kind:     by_value
      - .offset:         32
        .size:           8
        .value_kind:     by_value
      - .address_space:  global
        .offset:         40
        .size:           8
        .value_kind:     global_buffer
      - .offset:         48
        .size:           4
        .value_kind:     by_value
      - .offset:         56
        .size:           8
        .value_kind:     by_value
      - .offset:         64
        .size:           8
        .value_kind:     by_value
      - .address_space:  global
        .offset:         72
        .size:           8
        .value_kind:     global_buffer
      - .offset:         80
        .size:           4
        .value_kind:     by_value
      - .offset:         88
        .size:           8
        .value_kind:     by_value
      - .offset:         96
        .size:           4
        .value_kind:     by_value
    .group_segment_fixed_size: 4096
    .kernarg_segment_align: 8
    .kernarg_segment_size: 100
    .language:       OpenCL C
    .language_version:
      - 2
      - 0
    .max_flat_workgroup_size: 256
    .name:           _ZL29rocblas_internal_gemmt_kernelIiLi16ELi32ELi8ELc78ELc67ELc76ELb0ELb1E19rocblas_complex_numIfES1_PKPKS1_PKPS1_EviT_T9_T10_S9_lSB_S9_lSA_T11_S9_li
    .private_segment_fixed_size: 0
    .sgpr_count:     40
    .sgpr_spill_count: 0
    .symbol:         _ZL29rocblas_internal_gemmt_kernelIiLi16ELi32ELi8ELc78ELc67ELc76ELb0ELb1E19rocblas_complex_numIfES1_PKPKS1_PKPS1_EviT_T9_T10_S9_lSB_S9_lSA_T11_S9_li.kd
    .uniform_work_group_size: 1
    .uses_dynamic_stack: false
    .vgpr_count:     71
    .vgpr_spill_count: 0
    .wavefront_size: 32
    .workgroup_processor_mode: 1
  - .args:
      - .offset:         0
        .size:           4
        .value_kind:     by_value
      - .offset:         4
        .size:           4
        .value_kind:     by_value
      - .offset:         8
        .size:           8
        .value_kind:     by_value
      - .address_space:  global
        .offset:         16
        .size:           8
        .value_kind:     global_buffer
      - .offset:         24
        .size:           4
        .value_kind:     by_value
      - .offset:         32
        .size:           8
        .value_kind:     by_value
      - .address_space:  global
        .offset:         40
        .size:           8
        .value_kind:     global_buffer
      - .offset:         48
        .size:           4
        .value_kind:     by_value
      - .offset:         56
        .size:           8
        .value_kind:     by_value
      - .offset:         64
        .size:           8
        .value_kind:     by_value
      - .address_space:  global
        .offset:         72
        .size:           8
        .value_kind:     global_buffer
      - .offset:         80
        .size:           4
        .value_kind:     by_value
      - .offset:         88
        .size:           8
        .value_kind:     by_value
      - .offset:         96
        .size:           4
        .value_kind:     by_value
    .group_segment_fixed_size: 4096
    .kernarg_segment_align: 8
    .kernarg_segment_size: 100
    .language:       OpenCL C
    .language_version:
      - 2
      - 0
    .max_flat_workgroup_size: 256
    .name:           _ZL29rocblas_internal_gemmt_kernelIiLi16ELi32ELi8ELc84ELc78ELc76ELb0ELb0E19rocblas_complex_numIfES1_PKPKS1_PKPS1_EviT_T9_T10_S9_lSB_S9_lSA_T11_S9_li
    .private_segment_fixed_size: 0
    .sgpr_count:     37
    .sgpr_spill_count: 0
    .symbol:         _ZL29rocblas_internal_gemmt_kernelIiLi16ELi32ELi8ELc84ELc78ELc76ELb0ELb0E19rocblas_complex_numIfES1_PKPKS1_PKPS1_EviT_T9_T10_S9_lSB_S9_lSA_T11_S9_li.kd
    .uniform_work_group_size: 1
    .uses_dynamic_stack: false
    .vgpr_count:     71
    .vgpr_spill_count: 0
    .wavefront_size: 32
    .workgroup_processor_mode: 1
  - .args:
      - .offset:         0
        .size:           4
        .value_kind:     by_value
      - .offset:         4
        .size:           4
        .value_kind:     by_value
      - .offset:         8
        .size:           8
        .value_kind:     by_value
      - .address_space:  global
        .offset:         16
        .size:           8
        .value_kind:     global_buffer
      - .offset:         24
        .size:           4
        .value_kind:     by_value
      - .offset:         32
        .size:           8
        .value_kind:     by_value
      - .address_space:  global
        .offset:         40
        .size:           8
        .value_kind:     global_buffer
      - .offset:         48
        .size:           4
        .value_kind:     by_value
      - .offset:         56
        .size:           8
        .value_kind:     by_value
      - .offset:         64
        .size:           8
        .value_kind:     by_value
      - .address_space:  global
        .offset:         72
        .size:           8
        .value_kind:     global_buffer
      - .offset:         80
        .size:           4
        .value_kind:     by_value
      - .offset:         88
        .size:           8
        .value_kind:     by_value
      - .offset:         96
        .size:           4
        .value_kind:     by_value
    .group_segment_fixed_size: 4096
    .kernarg_segment_align: 8
    .kernarg_segment_size: 100
    .language:       OpenCL C
    .language_version:
      - 2
      - 0
    .max_flat_workgroup_size: 256
    .name:           _ZL29rocblas_internal_gemmt_kernelIiLi16ELi32ELi8ELc84ELc84ELc76ELb0ELb0E19rocblas_complex_numIfES1_PKPKS1_PKPS1_EviT_T9_T10_S9_lSB_S9_lSA_T11_S9_li
    .private_segment_fixed_size: 0
    .sgpr_count:     38
    .sgpr_spill_count: 0
    .symbol:         _ZL29rocblas_internal_gemmt_kernelIiLi16ELi32ELi8ELc84ELc84ELc76ELb0ELb0E19rocblas_complex_numIfES1_PKPKS1_PKPS1_EviT_T9_T10_S9_lSB_S9_lSA_T11_S9_li.kd
    .uniform_work_group_size: 1
    .uses_dynamic_stack: false
    .vgpr_count:     71
    .vgpr_spill_count: 0
    .wavefront_size: 32
    .workgroup_processor_mode: 1
  - .args:
      - .offset:         0
        .size:           4
        .value_kind:     by_value
      - .offset:         4
        .size:           4
        .value_kind:     by_value
      - .offset:         8
        .size:           8
        .value_kind:     by_value
      - .address_space:  global
        .offset:         16
        .size:           8
        .value_kind:     global_buffer
      - .offset:         24
        .size:           4
        .value_kind:     by_value
      - .offset:         32
        .size:           8
        .value_kind:     by_value
      - .address_space:  global
        .offset:         40
        .size:           8
        .value_kind:     global_buffer
      - .offset:         48
        .size:           4
        .value_kind:     by_value
      - .offset:         56
        .size:           8
        .value_kind:     by_value
      - .offset:         64
        .size:           8
        .value_kind:     by_value
      - .address_space:  global
        .offset:         72
        .size:           8
        .value_kind:     global_buffer
      - .offset:         80
        .size:           4
        .value_kind:     by_value
      - .offset:         88
        .size:           8
        .value_kind:     by_value
      - .offset:         96
        .size:           4
        .value_kind:     by_value
    .group_segment_fixed_size: 4096
    .kernarg_segment_align: 8
    .kernarg_segment_size: 100
    .language:       OpenCL C
    .language_version:
      - 2
      - 0
    .max_flat_workgroup_size: 256
    .name:           _ZL29rocblas_internal_gemmt_kernelIiLi16ELi32ELi8ELc84ELc67ELc76ELb0ELb1E19rocblas_complex_numIfES1_PKPKS1_PKPS1_EviT_T9_T10_S9_lSB_S9_lSA_T11_S9_li
    .private_segment_fixed_size: 0
    .sgpr_count:     38
    .sgpr_spill_count: 0
    .symbol:         _ZL29rocblas_internal_gemmt_kernelIiLi16ELi32ELi8ELc84ELc67ELc76ELb0ELb1E19rocblas_complex_numIfES1_PKPKS1_PKPS1_EviT_T9_T10_S9_lSB_S9_lSA_T11_S9_li.kd
    .uniform_work_group_size: 1
    .uses_dynamic_stack: false
    .vgpr_count:     71
    .vgpr_spill_count: 0
    .wavefront_size: 32
    .workgroup_processor_mode: 1
  - .args:
      - .offset:         0
        .size:           4
        .value_kind:     by_value
      - .offset:         4
        .size:           4
        .value_kind:     by_value
      - .offset:         8
        .size:           8
        .value_kind:     by_value
      - .address_space:  global
        .offset:         16
        .size:           8
        .value_kind:     global_buffer
      - .offset:         24
        .size:           4
        .value_kind:     by_value
      - .offset:         32
        .size:           8
        .value_kind:     by_value
      - .address_space:  global
        .offset:         40
        .size:           8
        .value_kind:     global_buffer
      - .offset:         48
        .size:           4
        .value_kind:     by_value
      - .offset:         56
        .size:           8
        .value_kind:     by_value
      - .offset:         64
        .size:           8
        .value_kind:     by_value
      - .address_space:  global
        .offset:         72
        .size:           8
        .value_kind:     global_buffer
      - .offset:         80
        .size:           4
        .value_kind:     by_value
      - .offset:         88
        .size:           8
        .value_kind:     by_value
      - .offset:         96
        .size:           4
        .value_kind:     by_value
    .group_segment_fixed_size: 4096
    .kernarg_segment_align: 8
    .kernarg_segment_size: 100
    .language:       OpenCL C
    .language_version:
      - 2
      - 0
    .max_flat_workgroup_size: 256
    .name:           _ZL29rocblas_internal_gemmt_kernelIiLi16ELi32ELi8ELc67ELc78ELc76ELb1ELb0E19rocblas_complex_numIfES1_PKPKS1_PKPS1_EviT_T9_T10_S9_lSB_S9_lSA_T11_S9_li
    .private_segment_fixed_size: 0
    .sgpr_count:     37
    .sgpr_spill_count: 0
    .symbol:         _ZL29rocblas_internal_gemmt_kernelIiLi16ELi32ELi8ELc67ELc78ELc76ELb1ELb0E19rocblas_complex_numIfES1_PKPKS1_PKPS1_EviT_T9_T10_S9_lSB_S9_lSA_T11_S9_li.kd
    .uniform_work_group_size: 1
    .uses_dynamic_stack: false
    .vgpr_count:     71
    .vgpr_spill_count: 0
    .wavefront_size: 32
    .workgroup_processor_mode: 1
  - .args:
      - .offset:         0
        .size:           4
        .value_kind:     by_value
      - .offset:         4
        .size:           4
        .value_kind:     by_value
      - .offset:         8
        .size:           8
        .value_kind:     by_value
      - .address_space:  global
        .offset:         16
        .size:           8
        .value_kind:     global_buffer
      - .offset:         24
        .size:           4
        .value_kind:     by_value
      - .offset:         32
        .size:           8
        .value_kind:     by_value
      - .address_space:  global
        .offset:         40
        .size:           8
        .value_kind:     global_buffer
      - .offset:         48
        .size:           4
        .value_kind:     by_value
      - .offset:         56
        .size:           8
        .value_kind:     by_value
      - .offset:         64
        .size:           8
        .value_kind:     by_value
      - .address_space:  global
        .offset:         72
        .size:           8
        .value_kind:     global_buffer
      - .offset:         80
        .size:           4
        .value_kind:     by_value
      - .offset:         88
        .size:           8
        .value_kind:     by_value
      - .offset:         96
        .size:           4
        .value_kind:     by_value
    .group_segment_fixed_size: 4096
    .kernarg_segment_align: 8
    .kernarg_segment_size: 100
    .language:       OpenCL C
    .language_version:
      - 2
      - 0
    .max_flat_workgroup_size: 256
    .name:           _ZL29rocblas_internal_gemmt_kernelIiLi16ELi32ELi8ELc67ELc84ELc76ELb1ELb0E19rocblas_complex_numIfES1_PKPKS1_PKPS1_EviT_T9_T10_S9_lSB_S9_lSA_T11_S9_li
    .private_segment_fixed_size: 0
    .sgpr_count:     38
    .sgpr_spill_count: 0
    .symbol:         _ZL29rocblas_internal_gemmt_kernelIiLi16ELi32ELi8ELc67ELc84ELc76ELb1ELb0E19rocblas_complex_numIfES1_PKPKS1_PKPS1_EviT_T9_T10_S9_lSB_S9_lSA_T11_S9_li.kd
    .uniform_work_group_size: 1
    .uses_dynamic_stack: false
    .vgpr_count:     71
    .vgpr_spill_count: 0
    .wavefront_size: 32
    .workgroup_processor_mode: 1
  - .args:
      - .offset:         0
        .size:           4
        .value_kind:     by_value
      - .offset:         4
        .size:           4
        .value_kind:     by_value
      - .offset:         8
        .size:           8
        .value_kind:     by_value
      - .address_space:  global
        .offset:         16
        .size:           8
        .value_kind:     global_buffer
      - .offset:         24
        .size:           4
        .value_kind:     by_value
      - .offset:         32
        .size:           8
        .value_kind:     by_value
      - .address_space:  global
        .offset:         40
        .size:           8
        .value_kind:     global_buffer
      - .offset:         48
        .size:           4
        .value_kind:     by_value
      - .offset:         56
        .size:           8
        .value_kind:     by_value
      - .offset:         64
        .size:           8
        .value_kind:     by_value
      - .address_space:  global
        .offset:         72
        .size:           8
        .value_kind:     global_buffer
      - .offset:         80
        .size:           4
        .value_kind:     by_value
      - .offset:         88
        .size:           8
        .value_kind:     by_value
      - .offset:         96
        .size:           4
        .value_kind:     by_value
    .group_segment_fixed_size: 4096
    .kernarg_segment_align: 8
    .kernarg_segment_size: 100
    .language:       OpenCL C
    .language_version:
      - 2
      - 0
    .max_flat_workgroup_size: 256
    .name:           _ZL29rocblas_internal_gemmt_kernelIiLi16ELi32ELi8ELc67ELc67ELc76ELb1ELb1E19rocblas_complex_numIfES1_PKPKS1_PKPS1_EviT_T9_T10_S9_lSB_S9_lSA_T11_S9_li
    .private_segment_fixed_size: 0
    .sgpr_count:     38
    .sgpr_spill_count: 0
    .symbol:         _ZL29rocblas_internal_gemmt_kernelIiLi16ELi32ELi8ELc67ELc67ELc76ELb1ELb1E19rocblas_complex_numIfES1_PKPKS1_PKPS1_EviT_T9_T10_S9_lSB_S9_lSA_T11_S9_li.kd
    .uniform_work_group_size: 1
    .uses_dynamic_stack: false
    .vgpr_count:     71
    .vgpr_spill_count: 0
    .wavefront_size: 32
    .workgroup_processor_mode: 1
  - .args:
      - .offset:         0
        .size:           4
        .value_kind:     by_value
      - .offset:         4
        .size:           4
        .value_kind:     by_value
      - .address_space:  global
        .offset:         8
        .size:           8
        .value_kind:     global_buffer
      - .address_space:  global
        .offset:         16
        .size:           8
        .value_kind:     global_buffer
      - .offset:         24
        .size:           4
        .value_kind:     by_value
      - .offset:         32
        .size:           8
        .value_kind:     by_value
      - .address_space:  global
        .offset:         40
        .size:           8
        .value_kind:     global_buffer
      - .offset:         48
        .size:           4
        .value_kind:     by_value
      - .offset:         56
        .size:           8
        .value_kind:     by_value
      - .address_space:  global
        .offset:         64
        .size:           8
        .value_kind:     global_buffer
      - .address_space:  global
        .offset:         72
        .size:           8
        .value_kind:     global_buffer
      - .offset:         80
        .size:           4
        .value_kind:     by_value
      - .offset:         88
        .size:           8
        .value_kind:     by_value
      - .offset:         96
        .size:           4
        .value_kind:     by_value
    .group_segment_fixed_size: 8192
    .kernarg_segment_align: 8
    .kernarg_segment_size: 100
    .language:       OpenCL C
    .language_version:
      - 2
      - 0
    .max_flat_workgroup_size: 256
    .name:           _ZL29rocblas_internal_gemmt_kernelIiLi16ELi32ELi8ELc78ELc78ELc85ELb0ELb0E19rocblas_complex_numIdEPKS1_PKS3_PKPS1_EviT_T9_T10_S9_lSB_S9_lSA_T11_S9_li
    .private_segment_fixed_size: 0
    .sgpr_count:     42
    .sgpr_spill_count: 0
    .symbol:         _ZL29rocblas_internal_gemmt_kernelIiLi16ELi32ELi8ELc78ELc78ELc85ELb0ELb0E19rocblas_complex_numIdEPKS1_PKS3_PKPS1_EviT_T9_T10_S9_lSB_S9_lSA_T11_S9_li.kd
    .uniform_work_group_size: 1
    .uses_dynamic_stack: false
    .vgpr_count:     133
    .vgpr_spill_count: 0
    .wavefront_size: 32
    .workgroup_processor_mode: 1
  - .args:
      - .offset:         0
        .size:           4
        .value_kind:     by_value
      - .offset:         4
        .size:           4
        .value_kind:     by_value
      - .address_space:  global
        .offset:         8
        .size:           8
        .value_kind:     global_buffer
      - .address_space:  global
        .offset:         16
        .size:           8
        .value_kind:     global_buffer
      - .offset:         24
        .size:           4
        .value_kind:     by_value
      - .offset:         32
        .size:           8
        .value_kind:     by_value
      - .address_space:  global
        .offset:         40
        .size:           8
        .value_kind:     global_buffer
      - .offset:         48
        .size:           4
        .value_kind:     by_value
      - .offset:         56
        .size:           8
        .value_kind:     by_value
      - .address_space:  global
        .offset:         64
        .size:           8
        .value_kind:     global_buffer
      - .address_space:  global
        .offset:         72
        .size:           8
        .value_kind:     global_buffer
      - .offset:         80
        .size:           4
        .value_kind:     by_value
      - .offset:         88
        .size:           8
        .value_kind:     by_value
      - .offset:         96
        .size:           4
        .value_kind:     by_value
    .group_segment_fixed_size: 8192
    .kernarg_segment_align: 8
    .kernarg_segment_size: 100
    .language:       OpenCL C
    .language_version:
      - 2
      - 0
    .max_flat_workgroup_size: 256
    .name:           _ZL29rocblas_internal_gemmt_kernelIiLi16ELi32ELi8ELc78ELc84ELc85ELb0ELb0E19rocblas_complex_numIdEPKS1_PKS3_PKPS1_EviT_T9_T10_S9_lSB_S9_lSA_T11_S9_li
    .private_segment_fixed_size: 0
    .sgpr_count:     44
    .sgpr_spill_count: 0
    .symbol:         _ZL29rocblas_internal_gemmt_kernelIiLi16ELi32ELi8ELc78ELc84ELc85ELb0ELb0E19rocblas_complex_numIdEPKS1_PKS3_PKPS1_EviT_T9_T10_S9_lSB_S9_lSA_T11_S9_li.kd
    .uniform_work_group_size: 1
    .uses_dynamic_stack: false
    .vgpr_count:     133
    .vgpr_spill_count: 0
    .wavefront_size: 32
    .workgroup_processor_mode: 1
  - .args:
      - .offset:         0
        .size:           4
        .value_kind:     by_value
      - .offset:         4
        .size:           4
        .value_kind:     by_value
      - .address_space:  global
        .offset:         8
        .size:           8
        .value_kind:     global_buffer
      - .address_space:  global
        .offset:         16
        .size:           8
        .value_kind:     global_buffer
      - .offset:         24
        .size:           4
        .value_kind:     by_value
      - .offset:         32
        .size:           8
        .value_kind:     by_value
      - .address_space:  global
        .offset:         40
        .size:           8
        .value_kind:     global_buffer
      - .offset:         48
        .size:           4
        .value_kind:     by_value
      - .offset:         56
        .size:           8
        .value_kind:     by_value
      - .address_space:  global
        .offset:         64
        .size:           8
        .value_kind:     global_buffer
      - .address_space:  global
        .offset:         72
        .size:           8
        .value_kind:     global_buffer
      - .offset:         80
        .size:           4
        .value_kind:     by_value
      - .offset:         88
        .size:           8
        .value_kind:     by_value
      - .offset:         96
        .size:           4
        .value_kind:     by_value
    .group_segment_fixed_size: 8192
    .kernarg_segment_align: 8
    .kernarg_segment_size: 100
    .language:       OpenCL C
    .language_version:
      - 2
      - 0
    .max_flat_workgroup_size: 256
    .name:           _ZL29rocblas_internal_gemmt_kernelIiLi16ELi32ELi8ELc78ELc67ELc85ELb0ELb1E19rocblas_complex_numIdEPKS1_PKS3_PKPS1_EviT_T9_T10_S9_lSB_S9_lSA_T11_S9_li
    .private_segment_fixed_size: 0
    .sgpr_count:     44
    .sgpr_spill_count: 0
    .symbol:         _ZL29rocblas_internal_gemmt_kernelIiLi16ELi32ELi8ELc78ELc67ELc85ELb0ELb1E19rocblas_complex_numIdEPKS1_PKS3_PKPS1_EviT_T9_T10_S9_lSB_S9_lSA_T11_S9_li.kd
    .uniform_work_group_size: 1
    .uses_dynamic_stack: false
    .vgpr_count:     133
    .vgpr_spill_count: 0
    .wavefront_size: 32
    .workgroup_processor_mode: 1
  - .args:
      - .offset:         0
        .size:           4
        .value_kind:     by_value
      - .offset:         4
        .size:           4
        .value_kind:     by_value
      - .address_space:  global
        .offset:         8
        .size:           8
        .value_kind:     global_buffer
      - .address_space:  global
        .offset:         16
        .size:           8
        .value_kind:     global_buffer
      - .offset:         24
        .size:           4
        .value_kind:     by_value
      - .offset:         32
        .size:           8
        .value_kind:     by_value
      - .address_space:  global
        .offset:         40
        .size:           8
        .value_kind:     global_buffer
      - .offset:         48
        .size:           4
        .value_kind:     by_value
      - .offset:         56
        .size:           8
        .value_kind:     by_value
      - .address_space:  global
        .offset:         64
        .size:           8
        .value_kind:     global_buffer
      - .address_space:  global
        .offset:         72
        .size:           8
        .value_kind:     global_buffer
      - .offset:         80
        .size:           4
        .value_kind:     by_value
      - .offset:         88
        .size:           8
        .value_kind:     by_value
      - .offset:         96
        .size:           4
        .value_kind:     by_value
    .group_segment_fixed_size: 8192
    .kernarg_segment_align: 8
    .kernarg_segment_size: 100
    .language:       OpenCL C
    .language_version:
      - 2
      - 0
    .max_flat_workgroup_size: 256
    .name:           _ZL29rocblas_internal_gemmt_kernelIiLi16ELi32ELi8ELc84ELc78ELc85ELb0ELb0E19rocblas_complex_numIdEPKS1_PKS3_PKPS1_EviT_T9_T10_S9_lSB_S9_lSA_T11_S9_li
    .private_segment_fixed_size: 0
    .sgpr_count:     41
    .sgpr_spill_count: 0
    .symbol:         _ZL29rocblas_internal_gemmt_kernelIiLi16ELi32ELi8ELc84ELc78ELc85ELb0ELb0E19rocblas_complex_numIdEPKS1_PKS3_PKPS1_EviT_T9_T10_S9_lSB_S9_lSA_T11_S9_li.kd
    .uniform_work_group_size: 1
    .uses_dynamic_stack: false
    .vgpr_count:     133
    .vgpr_spill_count: 0
    .wavefront_size: 32
    .workgroup_processor_mode: 1
  - .args:
      - .offset:         0
        .size:           4
        .value_kind:     by_value
      - .offset:         4
        .size:           4
        .value_kind:     by_value
      - .address_space:  global
        .offset:         8
        .size:           8
        .value_kind:     global_buffer
      - .address_space:  global
        .offset:         16
        .size:           8
        .value_kind:     global_buffer
      - .offset:         24
        .size:           4
        .value_kind:     by_value
      - .offset:         32
        .size:           8
        .value_kind:     by_value
      - .address_space:  global
        .offset:         40
        .size:           8
        .value_kind:     global_buffer
      - .offset:         48
        .size:           4
        .value_kind:     by_value
      - .offset:         56
        .size:           8
        .value_kind:     by_value
      - .address_space:  global
        .offset:         64
        .size:           8
        .value_kind:     global_buffer
      - .address_space:  global
        .offset:         72
        .size:           8
        .value_kind:     global_buffer
      - .offset:         80
        .size:           4
        .value_kind:     by_value
      - .offset:         88
        .size:           8
        .value_kind:     by_value
      - .offset:         96
        .size:           4
        .value_kind:     by_value
    .group_segment_fixed_size: 8192
    .kernarg_segment_align: 8
    .kernarg_segment_size: 100
    .language:       OpenCL C
    .language_version:
      - 2
      - 0
    .max_flat_workgroup_size: 256
    .name:           _ZL29rocblas_internal_gemmt_kernelIiLi16ELi32ELi8ELc84ELc84ELc85ELb0ELb0E19rocblas_complex_numIdEPKS1_PKS3_PKPS1_EviT_T9_T10_S9_lSB_S9_lSA_T11_S9_li
    .private_segment_fixed_size: 0
    .sgpr_count:     42
    .sgpr_spill_count: 0
    .symbol:         _ZL29rocblas_internal_gemmt_kernelIiLi16ELi32ELi8ELc84ELc84ELc85ELb0ELb0E19rocblas_complex_numIdEPKS1_PKS3_PKPS1_EviT_T9_T10_S9_lSB_S9_lSA_T11_S9_li.kd
    .uniform_work_group_size: 1
    .uses_dynamic_stack: false
    .vgpr_count:     133
    .vgpr_spill_count: 0
    .wavefront_size: 32
    .workgroup_processor_mode: 1
  - .args:
      - .offset:         0
        .size:           4
        .value_kind:     by_value
      - .offset:         4
        .size:           4
        .value_kind:     by_value
      - .address_space:  global
        .offset:         8
        .size:           8
        .value_kind:     global_buffer
      - .address_space:  global
        .offset:         16
        .size:           8
        .value_kind:     global_buffer
      - .offset:         24
        .size:           4
        .value_kind:     by_value
      - .offset:         32
        .size:           8
        .value_kind:     by_value
      - .address_space:  global
        .offset:         40
        .size:           8
        .value_kind:     global_buffer
      - .offset:         48
        .size:           4
        .value_kind:     by_value
      - .offset:         56
        .size:           8
        .value_kind:     by_value
      - .address_space:  global
        .offset:         64
        .size:           8
        .value_kind:     global_buffer
      - .address_space:  global
        .offset:         72
        .size:           8
        .value_kind:     global_buffer
      - .offset:         80
        .size:           4
        .value_kind:     by_value
      - .offset:         88
        .size:           8
        .value_kind:     by_value
      - .offset:         96
        .size:           4
        .value_kind:     by_value
    .group_segment_fixed_size: 8192
    .kernarg_segment_align: 8
    .kernarg_segment_size: 100
    .language:       OpenCL C
    .language_version:
      - 2
      - 0
    .max_flat_workgroup_size: 256
    .name:           _ZL29rocblas_internal_gemmt_kernelIiLi16ELi32ELi8ELc84ELc67ELc85ELb0ELb1E19rocblas_complex_numIdEPKS1_PKS3_PKPS1_EviT_T9_T10_S9_lSB_S9_lSA_T11_S9_li
    .private_segment_fixed_size: 0
    .sgpr_count:     42
    .sgpr_spill_count: 0
    .symbol:         _ZL29rocblas_internal_gemmt_kernelIiLi16ELi32ELi8ELc84ELc67ELc85ELb0ELb1E19rocblas_complex_numIdEPKS1_PKS3_PKPS1_EviT_T9_T10_S9_lSB_S9_lSA_T11_S9_li.kd
    .uniform_work_group_size: 1
    .uses_dynamic_stack: false
    .vgpr_count:     133
    .vgpr_spill_count: 0
    .wavefront_size: 32
    .workgroup_processor_mode: 1
  - .args:
      - .offset:         0
        .size:           4
        .value_kind:     by_value
      - .offset:         4
        .size:           4
        .value_kind:     by_value
      - .address_space:  global
        .offset:         8
        .size:           8
        .value_kind:     global_buffer
      - .address_space:  global
        .offset:         16
        .size:           8
        .value_kind:     global_buffer
      - .offset:         24
        .size:           4
        .value_kind:     by_value
      - .offset:         32
        .size:           8
        .value_kind:     by_value
      - .address_space:  global
        .offset:         40
        .size:           8
        .value_kind:     global_buffer
      - .offset:         48
        .size:           4
        .value_kind:     by_value
      - .offset:         56
        .size:           8
        .value_kind:     by_value
      - .address_space:  global
        .offset:         64
        .size:           8
        .value_kind:     global_buffer
      - .address_space:  global
        .offset:         72
        .size:           8
        .value_kind:     global_buffer
      - .offset:         80
        .size:           4
        .value_kind:     by_value
      - .offset:         88
        .size:           8
        .value_kind:     by_value
      - .offset:         96
        .size:           4
        .value_kind:     by_value
    .group_segment_fixed_size: 8192
    .kernarg_segment_align: 8
    .kernarg_segment_size: 100
    .language:       OpenCL C
    .language_version:
      - 2
      - 0
    .max_flat_workgroup_size: 256
    .name:           _ZL29rocblas_internal_gemmt_kernelIiLi16ELi32ELi8ELc67ELc78ELc85ELb1ELb0E19rocblas_complex_numIdEPKS1_PKS3_PKPS1_EviT_T9_T10_S9_lSB_S9_lSA_T11_S9_li
    .private_segment_fixed_size: 0
    .sgpr_count:     41
    .sgpr_spill_count: 0
    .symbol:         _ZL29rocblas_internal_gemmt_kernelIiLi16ELi32ELi8ELc67ELc78ELc85ELb1ELb0E19rocblas_complex_numIdEPKS1_PKS3_PKPS1_EviT_T9_T10_S9_lSB_S9_lSA_T11_S9_li.kd
    .uniform_work_group_size: 1
    .uses_dynamic_stack: false
    .vgpr_count:     133
    .vgpr_spill_count: 0
    .wavefront_size: 32
    .workgroup_processor_mode: 1
  - .args:
      - .offset:         0
        .size:           4
        .value_kind:     by_value
      - .offset:         4
        .size:           4
        .value_kind:     by_value
      - .address_space:  global
        .offset:         8
        .size:           8
        .value_kind:     global_buffer
      - .address_space:  global
        .offset:         16
        .size:           8
        .value_kind:     global_buffer
      - .offset:         24
        .size:           4
        .value_kind:     by_value
      - .offset:         32
        .size:           8
        .value_kind:     by_value
      - .address_space:  global
        .offset:         40
        .size:           8
        .value_kind:     global_buffer
      - .offset:         48
        .size:           4
        .value_kind:     by_value
      - .offset:         56
        .size:           8
        .value_kind:     by_value
      - .address_space:  global
        .offset:         64
        .size:           8
        .value_kind:     global_buffer
      - .address_space:  global
        .offset:         72
        .size:           8
        .value_kind:     global_buffer
      - .offset:         80
        .size:           4
        .value_kind:     by_value
      - .offset:         88
        .size:           8
        .value_kind:     by_value
      - .offset:         96
        .size:           4
        .value_kind:     by_value
    .group_segment_fixed_size: 8192
    .kernarg_segment_align: 8
    .kernarg_segment_size: 100
    .language:       OpenCL C
    .language_version:
      - 2
      - 0
    .max_flat_workgroup_size: 256
    .name:           _ZL29rocblas_internal_gemmt_kernelIiLi16ELi32ELi8ELc67ELc84ELc85ELb1ELb0E19rocblas_complex_numIdEPKS1_PKS3_PKPS1_EviT_T9_T10_S9_lSB_S9_lSA_T11_S9_li
    .private_segment_fixed_size: 0
    .sgpr_count:     41
    .sgpr_spill_count: 0
    .symbol:         _ZL29rocblas_internal_gemmt_kernelIiLi16ELi32ELi8ELc67ELc84ELc85ELb1ELb0E19rocblas_complex_numIdEPKS1_PKS3_PKPS1_EviT_T9_T10_S9_lSB_S9_lSA_T11_S9_li.kd
    .uniform_work_group_size: 1
    .uses_dynamic_stack: false
    .vgpr_count:     133
    .vgpr_spill_count: 0
    .wavefront_size: 32
    .workgroup_processor_mode: 1
  - .args:
      - .offset:         0
        .size:           4
        .value_kind:     by_value
      - .offset:         4
        .size:           4
        .value_kind:     by_value
      - .address_space:  global
        .offset:         8
        .size:           8
        .value_kind:     global_buffer
      - .address_space:  global
        .offset:         16
        .size:           8
        .value_kind:     global_buffer
      - .offset:         24
        .size:           4
        .value_kind:     by_value
      - .offset:         32
        .size:           8
        .value_kind:     by_value
      - .address_space:  global
        .offset:         40
        .size:           8
        .value_kind:     global_buffer
      - .offset:         48
        .size:           4
        .value_kind:     by_value
      - .offset:         56
        .size:           8
        .value_kind:     by_value
      - .address_space:  global
        .offset:         64
        .size:           8
        .value_kind:     global_buffer
      - .address_space:  global
        .offset:         72
        .size:           8
        .value_kind:     global_buffer
      - .offset:         80
        .size:           4
        .value_kind:     by_value
      - .offset:         88
        .size:           8
        .value_kind:     by_value
      - .offset:         96
        .size:           4
        .value_kind:     by_value
    .group_segment_fixed_size: 8192
    .kernarg_segment_align: 8
    .kernarg_segment_size: 100
    .language:       OpenCL C
    .language_version:
      - 2
      - 0
    .max_flat_workgroup_size: 256
    .name:           _ZL29rocblas_internal_gemmt_kernelIiLi16ELi32ELi8ELc67ELc67ELc85ELb1ELb1E19rocblas_complex_numIdEPKS1_PKS3_PKPS1_EviT_T9_T10_S9_lSB_S9_lSA_T11_S9_li
    .private_segment_fixed_size: 0
    .sgpr_count:     43
    .sgpr_spill_count: 0
    .symbol:         _ZL29rocblas_internal_gemmt_kernelIiLi16ELi32ELi8ELc67ELc67ELc85ELb1ELb1E19rocblas_complex_numIdEPKS1_PKS3_PKPS1_EviT_T9_T10_S9_lSB_S9_lSA_T11_S9_li.kd
    .uniform_work_group_size: 1
    .uses_dynamic_stack: false
    .vgpr_count:     133
    .vgpr_spill_count: 0
    .wavefront_size: 32
    .workgroup_processor_mode: 1
  - .args:
      - .offset:         0
        .size:           4
        .value_kind:     by_value
      - .offset:         4
        .size:           4
        .value_kind:     by_value
      - .address_space:  global
        .offset:         8
        .size:           8
        .value_kind:     global_buffer
      - .address_space:  global
        .offset:         16
        .size:           8
        .value_kind:     global_buffer
      - .offset:         24
        .size:           4
        .value_kind:     by_value
      - .offset:         32
        .size:           8
        .value_kind:     by_value
      - .address_space:  global
        .offset:         40
        .size:           8
        .value_kind:     global_buffer
      - .offset:         48
        .size:           4
        .value_kind:     by_value
      - .offset:         56
        .size:           8
        .value_kind:     by_value
      - .address_space:  global
        .offset:         64
        .size:           8
        .value_kind:     global_buffer
      - .address_space:  global
        .offset:         72
        .size:           8
        .value_kind:     global_buffer
      - .offset:         80
        .size:           4
        .value_kind:     by_value
      - .offset:         88
        .size:           8
        .value_kind:     by_value
      - .offset:         96
        .size:           4
        .value_kind:     by_value
    .group_segment_fixed_size: 8192
    .kernarg_segment_align: 8
    .kernarg_segment_size: 100
    .language:       OpenCL C
    .language_version:
      - 2
      - 0
    .max_flat_workgroup_size: 256
    .name:           _ZL29rocblas_internal_gemmt_kernelIiLi16ELi32ELi8ELc78ELc78ELc76ELb0ELb0E19rocblas_complex_numIdEPKS1_PKS3_PKPS1_EviT_T9_T10_S9_lSB_S9_lSA_T11_S9_li
    .private_segment_fixed_size: 0
    .sgpr_count:     42
    .sgpr_spill_count: 0
    .symbol:         _ZL29rocblas_internal_gemmt_kernelIiLi16ELi32ELi8ELc78ELc78ELc76ELb0ELb0E19rocblas_complex_numIdEPKS1_PKS3_PKPS1_EviT_T9_T10_S9_lSB_S9_lSA_T11_S9_li.kd
    .uniform_work_group_size: 1
    .uses_dynamic_stack: false
    .vgpr_count:     133
    .vgpr_spill_count: 0
    .wavefront_size: 32
    .workgroup_processor_mode: 1
  - .args:
      - .offset:         0
        .size:           4
        .value_kind:     by_value
      - .offset:         4
        .size:           4
        .value_kind:     by_value
      - .address_space:  global
        .offset:         8
        .size:           8
        .value_kind:     global_buffer
      - .address_space:  global
        .offset:         16
        .size:           8
        .value_kind:     global_buffer
      - .offset:         24
        .size:           4
        .value_kind:     by_value
      - .offset:         32
        .size:           8
        .value_kind:     by_value
      - .address_space:  global
        .offset:         40
        .size:           8
        .value_kind:     global_buffer
      - .offset:         48
        .size:           4
        .value_kind:     by_value
      - .offset:         56
        .size:           8
        .value_kind:     by_value
      - .address_space:  global
        .offset:         64
        .size:           8
        .value_kind:     global_buffer
      - .address_space:  global
        .offset:         72
        .size:           8
        .value_kind:     global_buffer
      - .offset:         80
        .size:           4
        .value_kind:     by_value
      - .offset:         88
        .size:           8
        .value_kind:     by_value
      - .offset:         96
        .size:           4
        .value_kind:     by_value
    .group_segment_fixed_size: 8192
    .kernarg_segment_align: 8
    .kernarg_segment_size: 100
    .language:       OpenCL C
    .language_version:
      - 2
      - 0
    .max_flat_workgroup_size: 256
    .name:           _ZL29rocblas_internal_gemmt_kernelIiLi16ELi32ELi8ELc78ELc84ELc76ELb0ELb0E19rocblas_complex_numIdEPKS1_PKS3_PKPS1_EviT_T9_T10_S9_lSB_S9_lSA_T11_S9_li
    .private_segment_fixed_size: 0
    .sgpr_count:     44
    .sgpr_spill_count: 0
    .symbol:         _ZL29rocblas_internal_gemmt_kernelIiLi16ELi32ELi8ELc78ELc84ELc76ELb0ELb0E19rocblas_complex_numIdEPKS1_PKS3_PKPS1_EviT_T9_T10_S9_lSB_S9_lSA_T11_S9_li.kd
    .uniform_work_group_size: 1
    .uses_dynamic_stack: false
    .vgpr_count:     133
    .vgpr_spill_count: 0
    .wavefront_size: 32
    .workgroup_processor_mode: 1
  - .args:
      - .offset:         0
        .size:           4
        .value_kind:     by_value
      - .offset:         4
        .size:           4
        .value_kind:     by_value
      - .address_space:  global
        .offset:         8
        .size:           8
        .value_kind:     global_buffer
      - .address_space:  global
        .offset:         16
        .size:           8
        .value_kind:     global_buffer
      - .offset:         24
        .size:           4
        .value_kind:     by_value
      - .offset:         32
        .size:           8
        .value_kind:     by_value
      - .address_space:  global
        .offset:         40
        .size:           8
        .value_kind:     global_buffer
      - .offset:         48
        .size:           4
        .value_kind:     by_value
      - .offset:         56
        .size:           8
        .value_kind:     by_value
      - .address_space:  global
        .offset:         64
        .size:           8
        .value_kind:     global_buffer
      - .address_space:  global
        .offset:         72
        .size:           8
        .value_kind:     global_buffer
      - .offset:         80
        .size:           4
        .value_kind:     by_value
      - .offset:         88
        .size:           8
        .value_kind:     by_value
      - .offset:         96
        .size:           4
        .value_kind:     by_value
    .group_segment_fixed_size: 8192
    .kernarg_segment_align: 8
    .kernarg_segment_size: 100
    .language:       OpenCL C
    .language_version:
      - 2
      - 0
    .max_flat_workgroup_size: 256
    .name:           _ZL29rocblas_internal_gemmt_kernelIiLi16ELi32ELi8ELc78ELc67ELc76ELb0ELb1E19rocblas_complex_numIdEPKS1_PKS3_PKPS1_EviT_T9_T10_S9_lSB_S9_lSA_T11_S9_li
    .private_segment_fixed_size: 0
    .sgpr_count:     43
    .sgpr_spill_count: 0
    .symbol:         _ZL29rocblas_internal_gemmt_kernelIiLi16ELi32ELi8ELc78ELc67ELc76ELb0ELb1E19rocblas_complex_numIdEPKS1_PKS3_PKPS1_EviT_T9_T10_S9_lSB_S9_lSA_T11_S9_li.kd
    .uniform_work_group_size: 1
    .uses_dynamic_stack: false
    .vgpr_count:     133
    .vgpr_spill_count: 0
    .wavefront_size: 32
    .workgroup_processor_mode: 1
  - .args:
      - .offset:         0
        .size:           4
        .value_kind:     by_value
      - .offset:         4
        .size:           4
        .value_kind:     by_value
      - .address_space:  global
        .offset:         8
        .size:           8
        .value_kind:     global_buffer
      - .address_space:  global
        .offset:         16
        .size:           8
        .value_kind:     global_buffer
      - .offset:         24
        .size:           4
        .value_kind:     by_value
      - .offset:         32
        .size:           8
        .value_kind:     by_value
      - .address_space:  global
        .offset:         40
        .size:           8
        .value_kind:     global_buffer
      - .offset:         48
        .size:           4
        .value_kind:     by_value
      - .offset:         56
        .size:           8
        .value_kind:     by_value
      - .address_space:  global
        .offset:         64
        .size:           8
        .value_kind:     global_buffer
      - .address_space:  global
        .offset:         72
        .size:           8
        .value_kind:     global_buffer
      - .offset:         80
        .size:           4
        .value_kind:     by_value
      - .offset:         88
        .size:           8
        .value_kind:     by_value
      - .offset:         96
        .size:           4
        .value_kind:     by_value
    .group_segment_fixed_size: 8192
    .kernarg_segment_align: 8
    .kernarg_segment_size: 100
    .language:       OpenCL C
    .language_version:
      - 2
      - 0
    .max_flat_workgroup_size: 256
    .name:           _ZL29rocblas_internal_gemmt_kernelIiLi16ELi32ELi8ELc84ELc78ELc76ELb0ELb0E19rocblas_complex_numIdEPKS1_PKS3_PKPS1_EviT_T9_T10_S9_lSB_S9_lSA_T11_S9_li
    .private_segment_fixed_size: 0
    .sgpr_count:     42
    .sgpr_spill_count: 0
    .symbol:         _ZL29rocblas_internal_gemmt_kernelIiLi16ELi32ELi8ELc84ELc78ELc76ELb0ELb0E19rocblas_complex_numIdEPKS1_PKS3_PKPS1_EviT_T9_T10_S9_lSB_S9_lSA_T11_S9_li.kd
    .uniform_work_group_size: 1
    .uses_dynamic_stack: false
    .vgpr_count:     133
    .vgpr_spill_count: 0
    .wavefront_size: 32
    .workgroup_processor_mode: 1
  - .args:
      - .offset:         0
        .size:           4
        .value_kind:     by_value
      - .offset:         4
        .size:           4
        .value_kind:     by_value
      - .address_space:  global
        .offset:         8
        .size:           8
        .value_kind:     global_buffer
      - .address_space:  global
        .offset:         16
        .size:           8
        .value_kind:     global_buffer
      - .offset:         24
        .size:           4
        .value_kind:     by_value
      - .offset:         32
        .size:           8
        .value_kind:     by_value
      - .address_space:  global
        .offset:         40
        .size:           8
        .value_kind:     global_buffer
      - .offset:         48
        .size:           4
        .value_kind:     by_value
      - .offset:         56
        .size:           8
        .value_kind:     by_value
      - .address_space:  global
        .offset:         64
        .size:           8
        .value_kind:     global_buffer
      - .address_space:  global
        .offset:         72
        .size:           8
        .value_kind:     global_buffer
      - .offset:         80
        .size:           4
        .value_kind:     by_value
      - .offset:         88
        .size:           8
        .value_kind:     by_value
      - .offset:         96
        .size:           4
        .value_kind:     by_value
    .group_segment_fixed_size: 8192
    .kernarg_segment_align: 8
    .kernarg_segment_size: 100
    .language:       OpenCL C
    .language_version:
      - 2
      - 0
    .max_flat_workgroup_size: 256
    .name:           _ZL29rocblas_internal_gemmt_kernelIiLi16ELi32ELi8ELc84ELc84ELc76ELb0ELb0E19rocblas_complex_numIdEPKS1_PKS3_PKPS1_EviT_T9_T10_S9_lSB_S9_lSA_T11_S9_li
    .private_segment_fixed_size: 0
    .sgpr_count:     41
    .sgpr_spill_count: 0
    .symbol:         _ZL29rocblas_internal_gemmt_kernelIiLi16ELi32ELi8ELc84ELc84ELc76ELb0ELb0E19rocblas_complex_numIdEPKS1_PKS3_PKPS1_EviT_T9_T10_S9_lSB_S9_lSA_T11_S9_li.kd
    .uniform_work_group_size: 1
    .uses_dynamic_stack: false
    .vgpr_count:     133
    .vgpr_spill_count: 0
    .wavefront_size: 32
    .workgroup_processor_mode: 1
  - .args:
      - .offset:         0
        .size:           4
        .value_kind:     by_value
      - .offset:         4
        .size:           4
        .value_kind:     by_value
      - .address_space:  global
        .offset:         8
        .size:           8
        .value_kind:     global_buffer
      - .address_space:  global
        .offset:         16
        .size:           8
        .value_kind:     global_buffer
      - .offset:         24
        .size:           4
        .value_kind:     by_value
      - .offset:         32
        .size:           8
        .value_kind:     by_value
      - .address_space:  global
        .offset:         40
        .size:           8
        .value_kind:     global_buffer
      - .offset:         48
        .size:           4
        .value_kind:     by_value
      - .offset:         56
        .size:           8
        .value_kind:     by_value
      - .address_space:  global
        .offset:         64
        .size:           8
        .value_kind:     global_buffer
      - .address_space:  global
        .offset:         72
        .size:           8
        .value_kind:     global_buffer
      - .offset:         80
        .size:           4
        .value_kind:     by_value
      - .offset:         88
        .size:           8
        .value_kind:     by_value
      - .offset:         96
        .size:           4
        .value_kind:     by_value
    .group_segment_fixed_size: 8192
    .kernarg_segment_align: 8
    .kernarg_segment_size: 100
    .language:       OpenCL C
    .language_version:
      - 2
      - 0
    .max_flat_workgroup_size: 256
    .name:           _ZL29rocblas_internal_gemmt_kernelIiLi16ELi32ELi8ELc84ELc67ELc76ELb0ELb1E19rocblas_complex_numIdEPKS1_PKS3_PKPS1_EviT_T9_T10_S9_lSB_S9_lSA_T11_S9_li
    .private_segment_fixed_size: 0
    .sgpr_count:     42
    .sgpr_spill_count: 0
    .symbol:         _ZL29rocblas_internal_gemmt_kernelIiLi16ELi32ELi8ELc84ELc67ELc76ELb0ELb1E19rocblas_complex_numIdEPKS1_PKS3_PKPS1_EviT_T9_T10_S9_lSB_S9_lSA_T11_S9_li.kd
    .uniform_work_group_size: 1
    .uses_dynamic_stack: false
    .vgpr_count:     133
    .vgpr_spill_count: 0
    .wavefront_size: 32
    .workgroup_processor_mode: 1
  - .args:
      - .offset:         0
        .size:           4
        .value_kind:     by_value
      - .offset:         4
        .size:           4
        .value_kind:     by_value
      - .address_space:  global
        .offset:         8
        .size:           8
        .value_kind:     global_buffer
      - .address_space:  global
        .offset:         16
        .size:           8
        .value_kind:     global_buffer
      - .offset:         24
        .size:           4
        .value_kind:     by_value
      - .offset:         32
        .size:           8
        .value_kind:     by_value
      - .address_space:  global
        .offset:         40
        .size:           8
        .value_kind:     global_buffer
      - .offset:         48
        .size:           4
        .value_kind:     by_value
      - .offset:         56
        .size:           8
        .value_kind:     by_value
      - .address_space:  global
        .offset:         64
        .size:           8
        .value_kind:     global_buffer
      - .address_space:  global
        .offset:         72
        .size:           8
        .value_kind:     global_buffer
      - .offset:         80
        .size:           4
        .value_kind:     by_value
      - .offset:         88
        .size:           8
        .value_kind:     by_value
      - .offset:         96
        .size:           4
        .value_kind:     by_value
    .group_segment_fixed_size: 8192
    .kernarg_segment_align: 8
    .kernarg_segment_size: 100
    .language:       OpenCL C
    .language_version:
      - 2
      - 0
    .max_flat_workgroup_size: 256
    .name:           _ZL29rocblas_internal_gemmt_kernelIiLi16ELi32ELi8ELc67ELc78ELc76ELb1ELb0E19rocblas_complex_numIdEPKS1_PKS3_PKPS1_EviT_T9_T10_S9_lSB_S9_lSA_T11_S9_li
    .private_segment_fixed_size: 0
    .sgpr_count:     41
    .sgpr_spill_count: 0
    .symbol:         _ZL29rocblas_internal_gemmt_kernelIiLi16ELi32ELi8ELc67ELc78ELc76ELb1ELb0E19rocblas_complex_numIdEPKS1_PKS3_PKPS1_EviT_T9_T10_S9_lSB_S9_lSA_T11_S9_li.kd
    .uniform_work_group_size: 1
    .uses_dynamic_stack: false
    .vgpr_count:     133
    .vgpr_spill_count: 0
    .wavefront_size: 32
    .workgroup_processor_mode: 1
  - .args:
      - .offset:         0
        .size:           4
        .value_kind:     by_value
      - .offset:         4
        .size:           4
        .value_kind:     by_value
      - .address_space:  global
        .offset:         8
        .size:           8
        .value_kind:     global_buffer
      - .address_space:  global
        .offset:         16
        .size:           8
        .value_kind:     global_buffer
      - .offset:         24
        .size:           4
        .value_kind:     by_value
      - .offset:         32
        .size:           8
        .value_kind:     by_value
      - .address_space:  global
        .offset:         40
        .size:           8
        .value_kind:     global_buffer
      - .offset:         48
        .size:           4
        .value_kind:     by_value
      - .offset:         56
        .size:           8
        .value_kind:     by_value
      - .address_space:  global
        .offset:         64
        .size:           8
        .value_kind:     global_buffer
      - .address_space:  global
        .offset:         72
        .size:           8
        .value_kind:     global_buffer
      - .offset:         80
        .size:           4
        .value_kind:     by_value
      - .offset:         88
        .size:           8
        .value_kind:     by_value
      - .offset:         96
        .size:           4
        .value_kind:     by_value
    .group_segment_fixed_size: 8192
    .kernarg_segment_align: 8
    .kernarg_segment_size: 100
    .language:       OpenCL C
    .language_version:
      - 2
      - 0
    .max_flat_workgroup_size: 256
    .name:           _ZL29rocblas_internal_gemmt_kernelIiLi16ELi32ELi8ELc67ELc84ELc76ELb1ELb0E19rocblas_complex_numIdEPKS1_PKS3_PKPS1_EviT_T9_T10_S9_lSB_S9_lSA_T11_S9_li
    .private_segment_fixed_size: 0
    .sgpr_count:     41
    .sgpr_spill_count: 0
    .symbol:         _ZL29rocblas_internal_gemmt_kernelIiLi16ELi32ELi8ELc67ELc84ELc76ELb1ELb0E19rocblas_complex_numIdEPKS1_PKS3_PKPS1_EviT_T9_T10_S9_lSB_S9_lSA_T11_S9_li.kd
    .uniform_work_group_size: 1
    .uses_dynamic_stack: false
    .vgpr_count:     133
    .vgpr_spill_count: 0
    .wavefront_size: 32
    .workgroup_processor_mode: 1
  - .args:
      - .offset:         0
        .size:           4
        .value_kind:     by_value
      - .offset:         4
        .size:           4
        .value_kind:     by_value
      - .address_space:  global
        .offset:         8
        .size:           8
        .value_kind:     global_buffer
      - .address_space:  global
        .offset:         16
        .size:           8
        .value_kind:     global_buffer
      - .offset:         24
        .size:           4
        .value_kind:     by_value
      - .offset:         32
        .size:           8
        .value_kind:     by_value
      - .address_space:  global
        .offset:         40
        .size:           8
        .value_kind:     global_buffer
      - .offset:         48
        .size:           4
        .value_kind:     by_value
      - .offset:         56
        .size:           8
        .value_kind:     by_value
      - .address_space:  global
        .offset:         64
        .size:           8
        .value_kind:     global_buffer
      - .address_space:  global
        .offset:         72
        .size:           8
        .value_kind:     global_buffer
      - .offset:         80
        .size:           4
        .value_kind:     by_value
      - .offset:         88
        .size:           8
        .value_kind:     by_value
      - .offset:         96
        .size:           4
        .value_kind:     by_value
    .group_segment_fixed_size: 8192
    .kernarg_segment_align: 8
    .kernarg_segment_size: 100
    .language:       OpenCL C
    .language_version:
      - 2
      - 0
    .max_flat_workgroup_size: 256
    .name:           _ZL29rocblas_internal_gemmt_kernelIiLi16ELi32ELi8ELc67ELc67ELc76ELb1ELb1E19rocblas_complex_numIdEPKS1_PKS3_PKPS1_EviT_T9_T10_S9_lSB_S9_lSA_T11_S9_li
    .private_segment_fixed_size: 0
    .sgpr_count:     42
    .sgpr_spill_count: 0
    .symbol:         _ZL29rocblas_internal_gemmt_kernelIiLi16ELi32ELi8ELc67ELc67ELc76ELb1ELb1E19rocblas_complex_numIdEPKS1_PKS3_PKPS1_EviT_T9_T10_S9_lSB_S9_lSA_T11_S9_li.kd
    .uniform_work_group_size: 1
    .uses_dynamic_stack: false
    .vgpr_count:     133
    .vgpr_spill_count: 0
    .wavefront_size: 32
    .workgroup_processor_mode: 1
  - .args:
      - .offset:         0
        .size:           4
        .value_kind:     by_value
      - .offset:         4
        .size:           4
        .value_kind:     by_value
      - .offset:         8
        .size:           16
        .value_kind:     by_value
      - .address_space:  global
        .offset:         24
        .size:           8
        .value_kind:     global_buffer
      - .offset:         32
        .size:           4
        .value_kind:     by_value
      - .offset:         40
        .size:           8
        .value_kind:     by_value
      - .address_space:  global
        .offset:         48
        .size:           8
        .value_kind:     global_buffer
      - .offset:         56
        .size:           4
        .value_kind:     by_value
      - .offset:         64
        .size:           8
        .value_kind:     by_value
      - .offset:         72
        .size:           16
        .value_kind:     by_value
      - .address_space:  global
        .offset:         88
        .size:           8
        .value_kind:     global_buffer
      - .offset:         96
        .size:           4
        .value_kind:     by_value
      - .offset:         104
        .size:           8
        .value_kind:     by_value
      - .offset:         112
        .size:           4
        .value_kind:     by_value
    .group_segment_fixed_size: 8192
    .kernarg_segment_align: 8
    .kernarg_segment_size: 116
    .language:       OpenCL C
    .language_version:
      - 2
      - 0
    .max_flat_workgroup_size: 256
    .name:           _ZL29rocblas_internal_gemmt_kernelIiLi16ELi32ELi8ELc78ELc78ELc85ELb0ELb0E19rocblas_complex_numIdES1_PKPKS1_PKPS1_EviT_T9_T10_S9_lSB_S9_lSA_T11_S9_li
    .private_segment_fixed_size: 0
    .sgpr_count:     41
    .sgpr_spill_count: 0
    .symbol:         _ZL29rocblas_internal_gemmt_kernelIiLi16ELi32ELi8ELc78ELc78ELc85ELb0ELb0E19rocblas_complex_numIdES1_PKPKS1_PKPS1_EviT_T9_T10_S9_lSB_S9_lSA_T11_S9_li.kd
    .uniform_work_group_size: 1
    .uses_dynamic_stack: false
    .vgpr_count:     133
    .vgpr_spill_count: 0
    .wavefront_size: 32
    .workgroup_processor_mode: 1
  - .args:
      - .offset:         0
        .size:           4
        .value_kind:     by_value
      - .offset:         4
        .size:           4
        .value_kind:     by_value
      - .offset:         8
        .size:           16
        .value_kind:     by_value
      - .address_space:  global
        .offset:         24
        .size:           8
        .value_kind:     global_buffer
      - .offset:         32
        .size:           4
        .value_kind:     by_value
      - .offset:         40
        .size:           8
        .value_kind:     by_value
      - .address_space:  global
        .offset:         48
        .size:           8
        .value_kind:     global_buffer
      - .offset:         56
        .size:           4
        .value_kind:     by_value
      - .offset:         64
        .size:           8
        .value_kind:     by_value
      - .offset:         72
        .size:           16
        .value_kind:     by_value
      - .address_space:  global
        .offset:         88
        .size:           8
        .value_kind:     global_buffer
      - .offset:         96
        .size:           4
        .value_kind:     by_value
      - .offset:         104
        .size:           8
        .value_kind:     by_value
      - .offset:         112
        .size:           4
        .value_kind:     by_value
    .group_segment_fixed_size: 8192
    .kernarg_segment_align: 8
    .kernarg_segment_size: 116
    .language:       OpenCL C
    .language_version:
      - 2
      - 0
    .max_flat_workgroup_size: 256
    .name:           _ZL29rocblas_internal_gemmt_kernelIiLi16ELi32ELi8ELc78ELc84ELc85ELb0ELb0E19rocblas_complex_numIdES1_PKPKS1_PKPS1_EviT_T9_T10_S9_lSB_S9_lSA_T11_S9_li
    .private_segment_fixed_size: 0
    .sgpr_count:     42
    .sgpr_spill_count: 0
    .symbol:         _ZL29rocblas_internal_gemmt_kernelIiLi16ELi32ELi8ELc78ELc84ELc85ELb0ELb0E19rocblas_complex_numIdES1_PKPKS1_PKPS1_EviT_T9_T10_S9_lSB_S9_lSA_T11_S9_li.kd
    .uniform_work_group_size: 1
    .uses_dynamic_stack: false
    .vgpr_count:     133
    .vgpr_spill_count: 0
    .wavefront_size: 32
    .workgroup_processor_mode: 1
  - .args:
      - .offset:         0
        .size:           4
        .value_kind:     by_value
      - .offset:         4
        .size:           4
        .value_kind:     by_value
      - .offset:         8
        .size:           16
        .value_kind:     by_value
      - .address_space:  global
        .offset:         24
        .size:           8
        .value_kind:     global_buffer
      - .offset:         32
        .size:           4
        .value_kind:     by_value
      - .offset:         40
        .size:           8
        .value_kind:     by_value
      - .address_space:  global
        .offset:         48
        .size:           8
        .value_kind:     global_buffer
      - .offset:         56
        .size:           4
        .value_kind:     by_value
      - .offset:         64
        .size:           8
        .value_kind:     by_value
      - .offset:         72
        .size:           16
        .value_kind:     by_value
      - .address_space:  global
        .offset:         88
        .size:           8
        .value_kind:     global_buffer
      - .offset:         96
        .size:           4
        .value_kind:     by_value
      - .offset:         104
        .size:           8
        .value_kind:     by_value
      - .offset:         112
        .size:           4
        .value_kind:     by_value
    .group_segment_fixed_size: 8192
    .kernarg_segment_align: 8
    .kernarg_segment_size: 116
    .language:       OpenCL C
    .language_version:
      - 2
      - 0
    .max_flat_workgroup_size: 256
    .name:           _ZL29rocblas_internal_gemmt_kernelIiLi16ELi32ELi8ELc78ELc67ELc85ELb0ELb1E19rocblas_complex_numIdES1_PKPKS1_PKPS1_EviT_T9_T10_S9_lSB_S9_lSA_T11_S9_li
    .private_segment_fixed_size: 0
    .sgpr_count:     44
    .sgpr_spill_count: 0
    .symbol:         _ZL29rocblas_internal_gemmt_kernelIiLi16ELi32ELi8ELc78ELc67ELc85ELb0ELb1E19rocblas_complex_numIdES1_PKPKS1_PKPS1_EviT_T9_T10_S9_lSB_S9_lSA_T11_S9_li.kd
    .uniform_work_group_size: 1
    .uses_dynamic_stack: false
    .vgpr_count:     133
    .vgpr_spill_count: 0
    .wavefront_size: 32
    .workgroup_processor_mode: 1
  - .args:
      - .offset:         0
        .size:           4
        .value_kind:     by_value
      - .offset:         4
        .size:           4
        .value_kind:     by_value
      - .offset:         8
        .size:           16
        .value_kind:     by_value
      - .address_space:  global
        .offset:         24
        .size:           8
        .value_kind:     global_buffer
      - .offset:         32
        .size:           4
        .value_kind:     by_value
      - .offset:         40
        .size:           8
        .value_kind:     by_value
      - .address_space:  global
        .offset:         48
        .size:           8
        .value_kind:     global_buffer
      - .offset:         56
        .size:           4
        .value_kind:     by_value
      - .offset:         64
        .size:           8
        .value_kind:     by_value
      - .offset:         72
        .size:           16
        .value_kind:     by_value
      - .address_space:  global
        .offset:         88
        .size:           8
        .value_kind:     global_buffer
      - .offset:         96
        .size:           4
        .value_kind:     by_value
      - .offset:         104
        .size:           8
        .value_kind:     by_value
      - .offset:         112
        .size:           4
        .value_kind:     by_value
    .group_segment_fixed_size: 8192
    .kernarg_segment_align: 8
    .kernarg_segment_size: 116
    .language:       OpenCL C
    .language_version:
      - 2
      - 0
    .max_flat_workgroup_size: 256
    .name:           _ZL29rocblas_internal_gemmt_kernelIiLi16ELi32ELi8ELc84ELc78ELc85ELb0ELb0E19rocblas_complex_numIdES1_PKPKS1_PKPS1_EviT_T9_T10_S9_lSB_S9_lSA_T11_S9_li
    .private_segment_fixed_size: 0
    .sgpr_count:     41
    .sgpr_spill_count: 0
    .symbol:         _ZL29rocblas_internal_gemmt_kernelIiLi16ELi32ELi8ELc84ELc78ELc85ELb0ELb0E19rocblas_complex_numIdES1_PKPKS1_PKPS1_EviT_T9_T10_S9_lSB_S9_lSA_T11_S9_li.kd
    .uniform_work_group_size: 1
    .uses_dynamic_stack: false
    .vgpr_count:     133
    .vgpr_spill_count: 0
    .wavefront_size: 32
    .workgroup_processor_mode: 1
  - .args:
      - .offset:         0
        .size:           4
        .value_kind:     by_value
      - .offset:         4
        .size:           4
        .value_kind:     by_value
      - .offset:         8
        .size:           16
        .value_kind:     by_value
      - .address_space:  global
        .offset:         24
        .size:           8
        .value_kind:     global_buffer
      - .offset:         32
        .size:           4
        .value_kind:     by_value
      - .offset:         40
        .size:           8
        .value_kind:     by_value
      - .address_space:  global
        .offset:         48
        .size:           8
        .value_kind:     global_buffer
      - .offset:         56
        .size:           4
        .value_kind:     by_value
      - .offset:         64
        .size:           8
        .value_kind:     by_value
      - .offset:         72
        .size:           16
        .value_kind:     by_value
      - .address_space:  global
        .offset:         88
        .size:           8
        .value_kind:     global_buffer
      - .offset:         96
        .size:           4
        .value_kind:     by_value
      - .offset:         104
        .size:           8
        .value_kind:     by_value
      - .offset:         112
        .size:           4
        .value_kind:     by_value
    .group_segment_fixed_size: 8192
    .kernarg_segment_align: 8
    .kernarg_segment_size: 116
    .language:       OpenCL C
    .language_version:
      - 2
      - 0
    .max_flat_workgroup_size: 256
    .name:           _ZL29rocblas_internal_gemmt_kernelIiLi16ELi32ELi8ELc84ELc84ELc85ELb0ELb0E19rocblas_complex_numIdES1_PKPKS1_PKPS1_EviT_T9_T10_S9_lSB_S9_lSA_T11_S9_li
    .private_segment_fixed_size: 0
    .sgpr_count:     42
    .sgpr_spill_count: 0
    .symbol:         _ZL29rocblas_internal_gemmt_kernelIiLi16ELi32ELi8ELc84ELc84ELc85ELb0ELb0E19rocblas_complex_numIdES1_PKPKS1_PKPS1_EviT_T9_T10_S9_lSB_S9_lSA_T11_S9_li.kd
    .uniform_work_group_size: 1
    .uses_dynamic_stack: false
    .vgpr_count:     133
    .vgpr_spill_count: 0
    .wavefront_size: 32
    .workgroup_processor_mode: 1
  - .args:
      - .offset:         0
        .size:           4
        .value_kind:     by_value
      - .offset:         4
        .size:           4
        .value_kind:     by_value
      - .offset:         8
        .size:           16
        .value_kind:     by_value
      - .address_space:  global
        .offset:         24
        .size:           8
        .value_kind:     global_buffer
      - .offset:         32
        .size:           4
        .value_kind:     by_value
      - .offset:         40
        .size:           8
        .value_kind:     by_value
      - .address_space:  global
        .offset:         48
        .size:           8
        .value_kind:     global_buffer
      - .offset:         56
        .size:           4
        .value_kind:     by_value
      - .offset:         64
        .size:           8
        .value_kind:     by_value
      - .offset:         72
        .size:           16
        .value_kind:     by_value
      - .address_space:  global
        .offset:         88
        .size:           8
        .value_kind:     global_buffer
      - .offset:         96
        .size:           4
        .value_kind:     by_value
      - .offset:         104
        .size:           8
        .value_kind:     by_value
      - .offset:         112
        .size:           4
        .value_kind:     by_value
    .group_segment_fixed_size: 8192
    .kernarg_segment_align: 8
    .kernarg_segment_size: 116
    .language:       OpenCL C
    .language_version:
      - 2
      - 0
    .max_flat_workgroup_size: 256
    .name:           _ZL29rocblas_internal_gemmt_kernelIiLi16ELi32ELi8ELc84ELc67ELc85ELb0ELb1E19rocblas_complex_numIdES1_PKPKS1_PKPS1_EviT_T9_T10_S9_lSB_S9_lSA_T11_S9_li
    .private_segment_fixed_size: 0
    .sgpr_count:     42
    .sgpr_spill_count: 0
    .symbol:         _ZL29rocblas_internal_gemmt_kernelIiLi16ELi32ELi8ELc84ELc67ELc85ELb0ELb1E19rocblas_complex_numIdES1_PKPKS1_PKPS1_EviT_T9_T10_S9_lSB_S9_lSA_T11_S9_li.kd
    .uniform_work_group_size: 1
    .uses_dynamic_stack: false
    .vgpr_count:     133
    .vgpr_spill_count: 0
    .wavefront_size: 32
    .workgroup_processor_mode: 1
  - .args:
      - .offset:         0
        .size:           4
        .value_kind:     by_value
      - .offset:         4
        .size:           4
        .value_kind:     by_value
      - .offset:         8
        .size:           16
        .value_kind:     by_value
      - .address_space:  global
        .offset:         24
        .size:           8
        .value_kind:     global_buffer
      - .offset:         32
        .size:           4
        .value_kind:     by_value
      - .offset:         40
        .size:           8
        .value_kind:     by_value
      - .address_space:  global
        .offset:         48
        .size:           8
        .value_kind:     global_buffer
      - .offset:         56
        .size:           4
        .value_kind:     by_value
      - .offset:         64
        .size:           8
        .value_kind:     by_value
      - .offset:         72
        .size:           16
        .value_kind:     by_value
      - .address_space:  global
        .offset:         88
        .size:           8
        .value_kind:     global_buffer
      - .offset:         96
        .size:           4
        .value_kind:     by_value
      - .offset:         104
        .size:           8
        .value_kind:     by_value
      - .offset:         112
        .size:           4
        .value_kind:     by_value
    .group_segment_fixed_size: 8192
    .kernarg_segment_align: 8
    .kernarg_segment_size: 116
    .language:       OpenCL C
    .language_version:
      - 2
      - 0
    .max_flat_workgroup_size: 256
    .name:           _ZL29rocblas_internal_gemmt_kernelIiLi16ELi32ELi8ELc67ELc78ELc85ELb1ELb0E19rocblas_complex_numIdES1_PKPKS1_PKPS1_EviT_T9_T10_S9_lSB_S9_lSA_T11_S9_li
    .private_segment_fixed_size: 0
    .sgpr_count:     40
    .sgpr_spill_count: 0
    .symbol:         _ZL29rocblas_internal_gemmt_kernelIiLi16ELi32ELi8ELc67ELc78ELc85ELb1ELb0E19rocblas_complex_numIdES1_PKPKS1_PKPS1_EviT_T9_T10_S9_lSB_S9_lSA_T11_S9_li.kd
    .uniform_work_group_size: 1
    .uses_dynamic_stack: false
    .vgpr_count:     133
    .vgpr_spill_count: 0
    .wavefront_size: 32
    .workgroup_processor_mode: 1
  - .args:
      - .offset:         0
        .size:           4
        .value_kind:     by_value
      - .offset:         4
        .size:           4
        .value_kind:     by_value
      - .offset:         8
        .size:           16
        .value_kind:     by_value
      - .address_space:  global
        .offset:         24
        .size:           8
        .value_kind:     global_buffer
      - .offset:         32
        .size:           4
        .value_kind:     by_value
      - .offset:         40
        .size:           8
        .value_kind:     by_value
      - .address_space:  global
        .offset:         48
        .size:           8
        .value_kind:     global_buffer
      - .offset:         56
        .size:           4
        .value_kind:     by_value
      - .offset:         64
        .size:           8
        .value_kind:     by_value
      - .offset:         72
        .size:           16
        .value_kind:     by_value
      - .address_space:  global
        .offset:         88
        .size:           8
        .value_kind:     global_buffer
      - .offset:         96
        .size:           4
        .value_kind:     by_value
      - .offset:         104
        .size:           8
        .value_kind:     by_value
      - .offset:         112
        .size:           4
        .value_kind:     by_value
    .group_segment_fixed_size: 8192
    .kernarg_segment_align: 8
    .kernarg_segment_size: 116
    .language:       OpenCL C
    .language_version:
      - 2
      - 0
    .max_flat_workgroup_size: 256
    .name:           _ZL29rocblas_internal_gemmt_kernelIiLi16ELi32ELi8ELc67ELc84ELc85ELb1ELb0E19rocblas_complex_numIdES1_PKPKS1_PKPS1_EviT_T9_T10_S9_lSB_S9_lSA_T11_S9_li
    .private_segment_fixed_size: 0
    .sgpr_count:     41
    .sgpr_spill_count: 0
    .symbol:         _ZL29rocblas_internal_gemmt_kernelIiLi16ELi32ELi8ELc67ELc84ELc85ELb1ELb0E19rocblas_complex_numIdES1_PKPKS1_PKPS1_EviT_T9_T10_S9_lSB_S9_lSA_T11_S9_li.kd
    .uniform_work_group_size: 1
    .uses_dynamic_stack: false
    .vgpr_count:     133
    .vgpr_spill_count: 0
    .wavefront_size: 32
    .workgroup_processor_mode: 1
  - .args:
      - .offset:         0
        .size:           4
        .value_kind:     by_value
      - .offset:         4
        .size:           4
        .value_kind:     by_value
      - .offset:         8
        .size:           16
        .value_kind:     by_value
      - .address_space:  global
        .offset:         24
        .size:           8
        .value_kind:     global_buffer
      - .offset:         32
        .size:           4
        .value_kind:     by_value
      - .offset:         40
        .size:           8
        .value_kind:     by_value
      - .address_space:  global
        .offset:         48
        .size:           8
        .value_kind:     global_buffer
      - .offset:         56
        .size:           4
        .value_kind:     by_value
      - .offset:         64
        .size:           8
        .value_kind:     by_value
      - .offset:         72
        .size:           16
        .value_kind:     by_value
      - .address_space:  global
        .offset:         88
        .size:           8
        .value_kind:     global_buffer
      - .offset:         96
        .size:           4
        .value_kind:     by_value
      - .offset:         104
        .size:           8
        .value_kind:     by_value
      - .offset:         112
        .size:           4
        .value_kind:     by_value
    .group_segment_fixed_size: 8192
    .kernarg_segment_align: 8
    .kernarg_segment_size: 116
    .language:       OpenCL C
    .language_version:
      - 2
      - 0
    .max_flat_workgroup_size: 256
    .name:           _ZL29rocblas_internal_gemmt_kernelIiLi16ELi32ELi8ELc67ELc67ELc85ELb1ELb1E19rocblas_complex_numIdES1_PKPKS1_PKPS1_EviT_T9_T10_S9_lSB_S9_lSA_T11_S9_li
    .private_segment_fixed_size: 0
    .sgpr_count:     42
    .sgpr_spill_count: 0
    .symbol:         _ZL29rocblas_internal_gemmt_kernelIiLi16ELi32ELi8ELc67ELc67ELc85ELb1ELb1E19rocblas_complex_numIdES1_PKPKS1_PKPS1_EviT_T9_T10_S9_lSB_S9_lSA_T11_S9_li.kd
    .uniform_work_group_size: 1
    .uses_dynamic_stack: false
    .vgpr_count:     133
    .vgpr_spill_count: 0
    .wavefront_size: 32
    .workgroup_processor_mode: 1
  - .args:
      - .offset:         0
        .size:           4
        .value_kind:     by_value
      - .offset:         4
        .size:           4
        .value_kind:     by_value
      - .offset:         8
        .size:           16
        .value_kind:     by_value
      - .address_space:  global
        .offset:         24
        .size:           8
        .value_kind:     global_buffer
      - .offset:         32
        .size:           4
        .value_kind:     by_value
      - .offset:         40
        .size:           8
        .value_kind:     by_value
      - .address_space:  global
        .offset:         48
        .size:           8
        .value_kind:     global_buffer
      - .offset:         56
        .size:           4
        .value_kind:     by_value
      - .offset:         64
        .size:           8
        .value_kind:     by_value
      - .offset:         72
        .size:           16
        .value_kind:     by_value
      - .address_space:  global
        .offset:         88
        .size:           8
        .value_kind:     global_buffer
      - .offset:         96
        .size:           4
        .value_kind:     by_value
      - .offset:         104
        .size:           8
        .value_kind:     by_value
      - .offset:         112
        .size:           4
        .value_kind:     by_value
    .group_segment_fixed_size: 8192
    .kernarg_segment_align: 8
    .kernarg_segment_size: 116
    .language:       OpenCL C
    .language_version:
      - 2
      - 0
    .max_flat_workgroup_size: 256
    .name:           _ZL29rocblas_internal_gemmt_kernelIiLi16ELi32ELi8ELc78ELc78ELc76ELb0ELb0E19rocblas_complex_numIdES1_PKPKS1_PKPS1_EviT_T9_T10_S9_lSB_S9_lSA_T11_S9_li
    .private_segment_fixed_size: 0
    .sgpr_count:     42
    .sgpr_spill_count: 0
    .symbol:         _ZL29rocblas_internal_gemmt_kernelIiLi16ELi32ELi8ELc78ELc78ELc76ELb0ELb0E19rocblas_complex_numIdES1_PKPKS1_PKPS1_EviT_T9_T10_S9_lSB_S9_lSA_T11_S9_li.kd
    .uniform_work_group_size: 1
    .uses_dynamic_stack: false
    .vgpr_count:     133
    .vgpr_spill_count: 0
    .wavefront_size: 32
    .workgroup_processor_mode: 1
  - .args:
      - .offset:         0
        .size:           4
        .value_kind:     by_value
      - .offset:         4
        .size:           4
        .value_kind:     by_value
      - .offset:         8
        .size:           16
        .value_kind:     by_value
      - .address_space:  global
        .offset:         24
        .size:           8
        .value_kind:     global_buffer
      - .offset:         32
        .size:           4
        .value_kind:     by_value
      - .offset:         40
        .size:           8
        .value_kind:     by_value
      - .address_space:  global
        .offset:         48
        .size:           8
        .value_kind:     global_buffer
      - .offset:         56
        .size:           4
        .value_kind:     by_value
      - .offset:         64
        .size:           8
        .value_kind:     by_value
      - .offset:         72
        .size:           16
        .value_kind:     by_value
      - .address_space:  global
        .offset:         88
        .size:           8
        .value_kind:     global_buffer
      - .offset:         96
        .size:           4
        .value_kind:     by_value
      - .offset:         104
        .size:           8
        .value_kind:     by_value
      - .offset:         112
        .size:           4
        .value_kind:     by_value
    .group_segment_fixed_size: 8192
    .kernarg_segment_align: 8
    .kernarg_segment_size: 116
    .language:       OpenCL C
    .language_version:
      - 2
      - 0
    .max_flat_workgroup_size: 256
    .name:           _ZL29rocblas_internal_gemmt_kernelIiLi16ELi32ELi8ELc78ELc84ELc76ELb0ELb0E19rocblas_complex_numIdES1_PKPKS1_PKPS1_EviT_T9_T10_S9_lSB_S9_lSA_T11_S9_li
    .private_segment_fixed_size: 0
    .sgpr_count:     42
    .sgpr_spill_count: 0
    .symbol:         _ZL29rocblas_internal_gemmt_kernelIiLi16ELi32ELi8ELc78ELc84ELc76ELb0ELb0E19rocblas_complex_numIdES1_PKPKS1_PKPS1_EviT_T9_T10_S9_lSB_S9_lSA_T11_S9_li.kd
    .uniform_work_group_size: 1
    .uses_dynamic_stack: false
    .vgpr_count:     133
    .vgpr_spill_count: 0
    .wavefront_size: 32
    .workgroup_processor_mode: 1
  - .args:
      - .offset:         0
        .size:           4
        .value_kind:     by_value
      - .offset:         4
        .size:           4
        .value_kind:     by_value
      - .offset:         8
        .size:           16
        .value_kind:     by_value
      - .address_space:  global
        .offset:         24
        .size:           8
        .value_kind:     global_buffer
      - .offset:         32
        .size:           4
        .value_kind:     by_value
      - .offset:         40
        .size:           8
        .value_kind:     by_value
      - .address_space:  global
        .offset:         48
        .size:           8
        .value_kind:     global_buffer
      - .offset:         56
        .size:           4
        .value_kind:     by_value
      - .offset:         64
        .size:           8
        .value_kind:     by_value
      - .offset:         72
        .size:           16
        .value_kind:     by_value
      - .address_space:  global
        .offset:         88
        .size:           8
        .value_kind:     global_buffer
      - .offset:         96
        .size:           4
        .value_kind:     by_value
      - .offset:         104
        .size:           8
        .value_kind:     by_value
      - .offset:         112
        .size:           4
        .value_kind:     by_value
    .group_segment_fixed_size: 8192
    .kernarg_segment_align: 8
    .kernarg_segment_size: 116
    .language:       OpenCL C
    .language_version:
      - 2
      - 0
    .max_flat_workgroup_size: 256
    .name:           _ZL29rocblas_internal_gemmt_kernelIiLi16ELi32ELi8ELc78ELc67ELc76ELb0ELb1E19rocblas_complex_numIdES1_PKPKS1_PKPS1_EviT_T9_T10_S9_lSB_S9_lSA_T11_S9_li
    .private_segment_fixed_size: 0
    .sgpr_count:     44
    .sgpr_spill_count: 0
    .symbol:         _ZL29rocblas_internal_gemmt_kernelIiLi16ELi32ELi8ELc78ELc67ELc76ELb0ELb1E19rocblas_complex_numIdES1_PKPKS1_PKPS1_EviT_T9_T10_S9_lSB_S9_lSA_T11_S9_li.kd
    .uniform_work_group_size: 1
    .uses_dynamic_stack: false
    .vgpr_count:     133
    .vgpr_spill_count: 0
    .wavefront_size: 32
    .workgroup_processor_mode: 1
  - .args:
      - .offset:         0
        .size:           4
        .value_kind:     by_value
      - .offset:         4
        .size:           4
        .value_kind:     by_value
      - .offset:         8
        .size:           16
        .value_kind:     by_value
      - .address_space:  global
        .offset:         24
        .size:           8
        .value_kind:     global_buffer
      - .offset:         32
        .size:           4
        .value_kind:     by_value
      - .offset:         40
        .size:           8
        .value_kind:     by_value
      - .address_space:  global
        .offset:         48
        .size:           8
        .value_kind:     global_buffer
      - .offset:         56
        .size:           4
        .value_kind:     by_value
      - .offset:         64
        .size:           8
        .value_kind:     by_value
      - .offset:         72
        .size:           16
        .value_kind:     by_value
      - .address_space:  global
        .offset:         88
        .size:           8
        .value_kind:     global_buffer
      - .offset:         96
        .size:           4
        .value_kind:     by_value
      - .offset:         104
        .size:           8
        .value_kind:     by_value
      - .offset:         112
        .size:           4
        .value_kind:     by_value
    .group_segment_fixed_size: 8192
    .kernarg_segment_align: 8
    .kernarg_segment_size: 116
    .language:       OpenCL C
    .language_version:
      - 2
      - 0
    .max_flat_workgroup_size: 256
    .name:           _ZL29rocblas_internal_gemmt_kernelIiLi16ELi32ELi8ELc84ELc78ELc76ELb0ELb0E19rocblas_complex_numIdES1_PKPKS1_PKPS1_EviT_T9_T10_S9_lSB_S9_lSA_T11_S9_li
    .private_segment_fixed_size: 0
    .sgpr_count:     41
    .sgpr_spill_count: 0
    .symbol:         _ZL29rocblas_internal_gemmt_kernelIiLi16ELi32ELi8ELc84ELc78ELc76ELb0ELb0E19rocblas_complex_numIdES1_PKPKS1_PKPS1_EviT_T9_T10_S9_lSB_S9_lSA_T11_S9_li.kd
    .uniform_work_group_size: 1
    .uses_dynamic_stack: false
    .vgpr_count:     133
    .vgpr_spill_count: 0
    .wavefront_size: 32
    .workgroup_processor_mode: 1
  - .args:
      - .offset:         0
        .size:           4
        .value_kind:     by_value
      - .offset:         4
        .size:           4
        .value_kind:     by_value
      - .offset:         8
        .size:           16
        .value_kind:     by_value
      - .address_space:  global
        .offset:         24
        .size:           8
        .value_kind:     global_buffer
      - .offset:         32
        .size:           4
        .value_kind:     by_value
      - .offset:         40
        .size:           8
        .value_kind:     by_value
      - .address_space:  global
        .offset:         48
        .size:           8
        .value_kind:     global_buffer
      - .offset:         56
        .size:           4
        .value_kind:     by_value
      - .offset:         64
        .size:           8
        .value_kind:     by_value
      - .offset:         72
        .size:           16
        .value_kind:     by_value
      - .address_space:  global
        .offset:         88
        .size:           8
        .value_kind:     global_buffer
      - .offset:         96
        .size:           4
        .value_kind:     by_value
      - .offset:         104
        .size:           8
        .value_kind:     by_value
      - .offset:         112
        .size:           4
        .value_kind:     by_value
    .group_segment_fixed_size: 8192
    .kernarg_segment_align: 8
    .kernarg_segment_size: 116
    .language:       OpenCL C
    .language_version:
      - 2
      - 0
    .max_flat_workgroup_size: 256
    .name:           _ZL29rocblas_internal_gemmt_kernelIiLi16ELi32ELi8ELc84ELc84ELc76ELb0ELb0E19rocblas_complex_numIdES1_PKPKS1_PKPS1_EviT_T9_T10_S9_lSB_S9_lSA_T11_S9_li
    .private_segment_fixed_size: 0
    .sgpr_count:     42
    .sgpr_spill_count: 0
    .symbol:         _ZL29rocblas_internal_gemmt_kernelIiLi16ELi32ELi8ELc84ELc84ELc76ELb0ELb0E19rocblas_complex_numIdES1_PKPKS1_PKPS1_EviT_T9_T10_S9_lSB_S9_lSA_T11_S9_li.kd
    .uniform_work_group_size: 1
    .uses_dynamic_stack: false
    .vgpr_count:     133
    .vgpr_spill_count: 0
    .wavefront_size: 32
    .workgroup_processor_mode: 1
  - .args:
      - .offset:         0
        .size:           4
        .value_kind:     by_value
      - .offset:         4
        .size:           4
        .value_kind:     by_value
      - .offset:         8
        .size:           16
        .value_kind:     by_value
      - .address_space:  global
        .offset:         24
        .size:           8
        .value_kind:     global_buffer
      - .offset:         32
        .size:           4
        .value_kind:     by_value
      - .offset:         40
        .size:           8
        .value_kind:     by_value
      - .address_space:  global
        .offset:         48
        .size:           8
        .value_kind:     global_buffer
      - .offset:         56
        .size:           4
        .value_kind:     by_value
      - .offset:         64
        .size:           8
        .value_kind:     by_value
      - .offset:         72
        .size:           16
        .value_kind:     by_value
      - .address_space:  global
        .offset:         88
        .size:           8
        .value_kind:     global_buffer
      - .offset:         96
        .size:           4
        .value_kind:     by_value
      - .offset:         104
        .size:           8
        .value_kind:     by_value
      - .offset:         112
        .size:           4
        .value_kind:     by_value
    .group_segment_fixed_size: 8192
    .kernarg_segment_align: 8
    .kernarg_segment_size: 116
    .language:       OpenCL C
    .language_version:
      - 2
      - 0
    .max_flat_workgroup_size: 256
    .name:           _ZL29rocblas_internal_gemmt_kernelIiLi16ELi32ELi8ELc84ELc67ELc76ELb0ELb1E19rocblas_complex_numIdES1_PKPKS1_PKPS1_EviT_T9_T10_S9_lSB_S9_lSA_T11_S9_li
    .private_segment_fixed_size: 0
    .sgpr_count:     43
    .sgpr_spill_count: 0
    .symbol:         _ZL29rocblas_internal_gemmt_kernelIiLi16ELi32ELi8ELc84ELc67ELc76ELb0ELb1E19rocblas_complex_numIdES1_PKPKS1_PKPS1_EviT_T9_T10_S9_lSB_S9_lSA_T11_S9_li.kd
    .uniform_work_group_size: 1
    .uses_dynamic_stack: false
    .vgpr_count:     133
    .vgpr_spill_count: 0
    .wavefront_size: 32
    .workgroup_processor_mode: 1
  - .args:
      - .offset:         0
        .size:           4
        .value_kind:     by_value
      - .offset:         4
        .size:           4
        .value_kind:     by_value
      - .offset:         8
        .size:           16
        .value_kind:     by_value
      - .address_space:  global
        .offset:         24
        .size:           8
        .value_kind:     global_buffer
      - .offset:         32
        .size:           4
        .value_kind:     by_value
      - .offset:         40
        .size:           8
        .value_kind:     by_value
      - .address_space:  global
        .offset:         48
        .size:           8
        .value_kind:     global_buffer
      - .offset:         56
        .size:           4
        .value_kind:     by_value
      - .offset:         64
        .size:           8
        .value_kind:     by_value
      - .offset:         72
        .size:           16
        .value_kind:     by_value
      - .address_space:  global
        .offset:         88
        .size:           8
        .value_kind:     global_buffer
      - .offset:         96
        .size:           4
        .value_kind:     by_value
      - .offset:         104
        .size:           8
        .value_kind:     by_value
      - .offset:         112
        .size:           4
        .value_kind:     by_value
    .group_segment_fixed_size: 8192
    .kernarg_segment_align: 8
    .kernarg_segment_size: 116
    .language:       OpenCL C
    .language_version:
      - 2
      - 0
    .max_flat_workgroup_size: 256
    .name:           _ZL29rocblas_internal_gemmt_kernelIiLi16ELi32ELi8ELc67ELc78ELc76ELb1ELb0E19rocblas_complex_numIdES1_PKPKS1_PKPS1_EviT_T9_T10_S9_lSB_S9_lSA_T11_S9_li
    .private_segment_fixed_size: 0
    .sgpr_count:     40
    .sgpr_spill_count: 0
    .symbol:         _ZL29rocblas_internal_gemmt_kernelIiLi16ELi32ELi8ELc67ELc78ELc76ELb1ELb0E19rocblas_complex_numIdES1_PKPKS1_PKPS1_EviT_T9_T10_S9_lSB_S9_lSA_T11_S9_li.kd
    .uniform_work_group_size: 1
    .uses_dynamic_stack: false
    .vgpr_count:     133
    .vgpr_spill_count: 0
    .wavefront_size: 32
    .workgroup_processor_mode: 1
  - .args:
      - .offset:         0
        .size:           4
        .value_kind:     by_value
      - .offset:         4
        .size:           4
        .value_kind:     by_value
      - .offset:         8
        .size:           16
        .value_kind:     by_value
      - .address_space:  global
        .offset:         24
        .size:           8
        .value_kind:     global_buffer
      - .offset:         32
        .size:           4
        .value_kind:     by_value
      - .offset:         40
        .size:           8
        .value_kind:     by_value
      - .address_space:  global
        .offset:         48
        .size:           8
        .value_kind:     global_buffer
      - .offset:         56
        .size:           4
        .value_kind:     by_value
      - .offset:         64
        .size:           8
        .value_kind:     by_value
      - .offset:         72
        .size:           16
        .value_kind:     by_value
      - .address_space:  global
        .offset:         88
        .size:           8
        .value_kind:     global_buffer
      - .offset:         96
        .size:           4
        .value_kind:     by_value
      - .offset:         104
        .size:           8
        .value_kind:     by_value
      - .offset:         112
        .size:           4
        .value_kind:     by_value
    .group_segment_fixed_size: 8192
    .kernarg_segment_align: 8
    .kernarg_segment_size: 116
    .language:       OpenCL C
    .language_version:
      - 2
      - 0
    .max_flat_workgroup_size: 256
    .name:           _ZL29rocblas_internal_gemmt_kernelIiLi16ELi32ELi8ELc67ELc84ELc76ELb1ELb0E19rocblas_complex_numIdES1_PKPKS1_PKPS1_EviT_T9_T10_S9_lSB_S9_lSA_T11_S9_li
    .private_segment_fixed_size: 0
    .sgpr_count:     42
    .sgpr_spill_count: 0
    .symbol:         _ZL29rocblas_internal_gemmt_kernelIiLi16ELi32ELi8ELc67ELc84ELc76ELb1ELb0E19rocblas_complex_numIdES1_PKPKS1_PKPS1_EviT_T9_T10_S9_lSB_S9_lSA_T11_S9_li.kd
    .uniform_work_group_size: 1
    .uses_dynamic_stack: false
    .vgpr_count:     133
    .vgpr_spill_count: 0
    .wavefront_size: 32
    .workgroup_processor_mode: 1
  - .args:
      - .offset:         0
        .size:           4
        .value_kind:     by_value
      - .offset:         4
        .size:           4
        .value_kind:     by_value
      - .offset:         8
        .size:           16
        .value_kind:     by_value
      - .address_space:  global
        .offset:         24
        .size:           8
        .value_kind:     global_buffer
      - .offset:         32
        .size:           4
        .value_kind:     by_value
      - .offset:         40
        .size:           8
        .value_kind:     by_value
      - .address_space:  global
        .offset:         48
        .size:           8
        .value_kind:     global_buffer
      - .offset:         56
        .size:           4
        .value_kind:     by_value
      - .offset:         64
        .size:           8
        .value_kind:     by_value
      - .offset:         72
        .size:           16
        .value_kind:     by_value
      - .address_space:  global
        .offset:         88
        .size:           8
        .value_kind:     global_buffer
      - .offset:         96
        .size:           4
        .value_kind:     by_value
      - .offset:         104
        .size:           8
        .value_kind:     by_value
      - .offset:         112
        .size:           4
        .value_kind:     by_value
    .group_segment_fixed_size: 8192
    .kernarg_segment_align: 8
    .kernarg_segment_size: 116
    .language:       OpenCL C
    .language_version:
      - 2
      - 0
    .max_flat_workgroup_size: 256
    .name:           _ZL29rocblas_internal_gemmt_kernelIiLi16ELi32ELi8ELc67ELc67ELc76ELb1ELb1E19rocblas_complex_numIdES1_PKPKS1_PKPS1_EviT_T9_T10_S9_lSB_S9_lSA_T11_S9_li
    .private_segment_fixed_size: 0
    .sgpr_count:     41
    .sgpr_spill_count: 0
    .symbol:         _ZL29rocblas_internal_gemmt_kernelIiLi16ELi32ELi8ELc67ELc67ELc76ELb1ELb1E19rocblas_complex_numIdES1_PKPKS1_PKPS1_EviT_T9_T10_S9_lSB_S9_lSA_T11_S9_li.kd
    .uniform_work_group_size: 1
    .uses_dynamic_stack: false
    .vgpr_count:     133
    .vgpr_spill_count: 0
    .wavefront_size: 32
    .workgroup_processor_mode: 1
  - .args:
      - .offset:         0
        .size:           4
        .value_kind:     by_value
      - .offset:         8
        .size:           8
        .value_kind:     by_value
      - .address_space:  global
        .offset:         16
        .size:           8
        .value_kind:     global_buffer
      - .address_space:  global
        .offset:         24
        .size:           8
        .value_kind:     global_buffer
      - .offset:         32
        .size:           8
        .value_kind:     by_value
      - .offset:         40
        .size:           8
        .value_kind:     by_value
      - .address_space:  global
        .offset:         48
        .size:           8
        .value_kind:     global_buffer
      - .offset:         56
        .size:           8
        .value_kind:     by_value
      - .offset:         64
        .size:           8
        .value_kind:     by_value
      - .address_space:  global
        .offset:         72
        .size:           8
        .value_kind:     global_buffer
      - .address_space:  global
        .offset:         80
        .size:           8
        .value_kind:     global_buffer
      - .offset:         88
        .size:           8
        .value_kind:     by_value
      - .offset:         96
        .size:           8
        .value_kind:     by_value
      - .offset:         104
        .size:           4
        .value_kind:     by_value
    .group_segment_fixed_size: 2048
    .kernarg_segment_align: 8
    .kernarg_segment_size: 108
    .language:       OpenCL C
    .language_version:
      - 2
      - 0
    .max_flat_workgroup_size: 256
    .name:           _ZL29rocblas_internal_gemmt_kernelIlLi16ELi32ELi8ELc78ELc78ELc85ELb0ELb0EfPKfPKS1_PKPfEviT_T9_T10_S7_lS9_S7_lS8_T11_S7_li
    .private_segment_fixed_size: 0
    .sgpr_count:     38
    .sgpr_spill_count: 0
    .symbol:         _ZL29rocblas_internal_gemmt_kernelIlLi16ELi32ELi8ELc78ELc78ELc85ELb0ELb0EfPKfPKS1_PKPfEviT_T9_T10_S7_lS9_S7_lS8_T11_S7_li.kd
    .uniform_work_group_size: 1
    .uses_dynamic_stack: false
    .vgpr_count:     58
    .vgpr_spill_count: 0
    .wavefront_size: 32
    .workgroup_processor_mode: 1
  - .args:
      - .offset:         0
        .size:           4
        .value_kind:     by_value
      - .offset:         8
        .size:           8
        .value_kind:     by_value
      - .address_space:  global
        .offset:         16
        .size:           8
        .value_kind:     global_buffer
      - .address_space:  global
        .offset:         24
        .size:           8
        .value_kind:     global_buffer
      - .offset:         32
        .size:           8
        .value_kind:     by_value
      - .offset:         40
        .size:           8
        .value_kind:     by_value
      - .address_space:  global
        .offset:         48
        .size:           8
        .value_kind:     global_buffer
      - .offset:         56
        .size:           8
        .value_kind:     by_value
      - .offset:         64
        .size:           8
        .value_kind:     by_value
      - .address_space:  global
        .offset:         72
        .size:           8
        .value_kind:     global_buffer
      - .address_space:  global
        .offset:         80
        .size:           8
        .value_kind:     global_buffer
      - .offset:         88
        .size:           8
        .value_kind:     by_value
      - .offset:         96
        .size:           8
        .value_kind:     by_value
      - .offset:         104
        .size:           4
        .value_kind:     by_value
    .group_segment_fixed_size: 2048
    .kernarg_segment_align: 8
    .kernarg_segment_size: 108
    .language:       OpenCL C
    .language_version:
      - 2
      - 0
    .max_flat_workgroup_size: 256
    .name:           _ZL29rocblas_internal_gemmt_kernelIlLi16ELi32ELi8ELc78ELc84ELc85ELb0ELb0EfPKfPKS1_PKPfEviT_T9_T10_S7_lS9_S7_lS8_T11_S7_li
    .private_segment_fixed_size: 0
    .sgpr_count:     40
    .sgpr_spill_count: 0
    .symbol:         _ZL29rocblas_internal_gemmt_kernelIlLi16ELi32ELi8ELc78ELc84ELc85ELb0ELb0EfPKfPKS1_PKPfEviT_T9_T10_S7_lS9_S7_lS8_T11_S7_li.kd
    .uniform_work_group_size: 1
    .uses_dynamic_stack: false
    .vgpr_count:     57
    .vgpr_spill_count: 0
    .wavefront_size: 32
    .workgroup_processor_mode: 1
  - .args:
      - .offset:         0
        .size:           4
        .value_kind:     by_value
      - .offset:         8
        .size:           8
        .value_kind:     by_value
      - .address_space:  global
        .offset:         16
        .size:           8
        .value_kind:     global_buffer
      - .address_space:  global
        .offset:         24
        .size:           8
        .value_kind:     global_buffer
      - .offset:         32
        .size:           8
        .value_kind:     by_value
      - .offset:         40
        .size:           8
        .value_kind:     by_value
      - .address_space:  global
        .offset:         48
        .size:           8
        .value_kind:     global_buffer
      - .offset:         56
        .size:           8
        .value_kind:     by_value
      - .offset:         64
        .size:           8
        .value_kind:     by_value
      - .address_space:  global
        .offset:         72
        .size:           8
        .value_kind:     global_buffer
      - .address_space:  global
        .offset:         80
        .size:           8
        .value_kind:     global_buffer
      - .offset:         88
        .size:           8
        .value_kind:     by_value
      - .offset:         96
        .size:           8
        .value_kind:     by_value
      - .offset:         104
        .size:           4
        .value_kind:     by_value
    .group_segment_fixed_size: 2048
    .kernarg_segment_align: 8
    .kernarg_segment_size: 108
    .language:       OpenCL C
    .language_version:
      - 2
      - 0
    .max_flat_workgroup_size: 256
    .name:           _ZL29rocblas_internal_gemmt_kernelIlLi16ELi32ELi8ELc78ELc67ELc85ELb0ELb0EfPKfPKS1_PKPfEviT_T9_T10_S7_lS9_S7_lS8_T11_S7_li
    .private_segment_fixed_size: 0
    .sgpr_count:     40
    .sgpr_spill_count: 0
    .symbol:         _ZL29rocblas_internal_gemmt_kernelIlLi16ELi32ELi8ELc78ELc67ELc85ELb0ELb0EfPKfPKS1_PKPfEviT_T9_T10_S7_lS9_S7_lS8_T11_S7_li.kd
    .uniform_work_group_size: 1
    .uses_dynamic_stack: false
    .vgpr_count:     57
    .vgpr_spill_count: 0
    .wavefront_size: 32
    .workgroup_processor_mode: 1
  - .args:
      - .offset:         0
        .size:           4
        .value_kind:     by_value
      - .offset:         8
        .size:           8
        .value_kind:     by_value
      - .address_space:  global
        .offset:         16
        .size:           8
        .value_kind:     global_buffer
      - .address_space:  global
        .offset:         24
        .size:           8
        .value_kind:     global_buffer
      - .offset:         32
        .size:           8
        .value_kind:     by_value
      - .offset:         40
        .size:           8
        .value_kind:     by_value
      - .address_space:  global
        .offset:         48
        .size:           8
        .value_kind:     global_buffer
      - .offset:         56
        .size:           8
        .value_kind:     by_value
      - .offset:         64
        .size:           8
        .value_kind:     by_value
      - .address_space:  global
        .offset:         72
        .size:           8
        .value_kind:     global_buffer
      - .address_space:  global
        .offset:         80
        .size:           8
        .value_kind:     global_buffer
      - .offset:         88
        .size:           8
        .value_kind:     by_value
      - .offset:         96
        .size:           8
        .value_kind:     by_value
      - .offset:         104
        .size:           4
        .value_kind:     by_value
    .group_segment_fixed_size: 2048
    .kernarg_segment_align: 8
    .kernarg_segment_size: 108
    .language:       OpenCL C
    .language_version:
      - 2
      - 0
    .max_flat_workgroup_size: 256
    .name:           _ZL29rocblas_internal_gemmt_kernelIlLi16ELi32ELi8ELc84ELc78ELc85ELb0ELb0EfPKfPKS1_PKPfEviT_T9_T10_S7_lS9_S7_lS8_T11_S7_li
    .private_segment_fixed_size: 0
    .sgpr_count:     38
    .sgpr_spill_count: 0
    .symbol:         _ZL29rocblas_internal_gemmt_kernelIlLi16ELi32ELi8ELc84ELc78ELc85ELb0ELb0EfPKfPKS1_PKPfEviT_T9_T10_S7_lS9_S7_lS8_T11_S7_li.kd
    .uniform_work_group_size: 1
    .uses_dynamic_stack: false
    .vgpr_count:     58
    .vgpr_spill_count: 0
    .wavefront_size: 32
    .workgroup_processor_mode: 1
  - .args:
      - .offset:         0
        .size:           4
        .value_kind:     by_value
      - .offset:         8
        .size:           8
        .value_kind:     by_value
      - .address_space:  global
        .offset:         16
        .size:           8
        .value_kind:     global_buffer
      - .address_space:  global
        .offset:         24
        .size:           8
        .value_kind:     global_buffer
      - .offset:         32
        .size:           8
        .value_kind:     by_value
      - .offset:         40
        .size:           8
        .value_kind:     by_value
      - .address_space:  global
        .offset:         48
        .size:           8
        .value_kind:     global_buffer
      - .offset:         56
        .size:           8
        .value_kind:     by_value
      - .offset:         64
        .size:           8
        .value_kind:     by_value
      - .address_space:  global
        .offset:         72
        .size:           8
        .value_kind:     global_buffer
      - .address_space:  global
        .offset:         80
        .size:           8
        .value_kind:     global_buffer
      - .offset:         88
        .size:           8
        .value_kind:     by_value
      - .offset:         96
        .size:           8
        .value_kind:     by_value
      - .offset:         104
        .size:           4
        .value_kind:     by_value
    .group_segment_fixed_size: 2048
    .kernarg_segment_align: 8
    .kernarg_segment_size: 108
    .language:       OpenCL C
    .language_version:
      - 2
      - 0
    .max_flat_workgroup_size: 256
    .name:           _ZL29rocblas_internal_gemmt_kernelIlLi16ELi32ELi8ELc84ELc84ELc85ELb0ELb0EfPKfPKS1_PKPfEviT_T9_T10_S7_lS9_S7_lS8_T11_S7_li
    .private_segment_fixed_size: 0
    .sgpr_count:     40
    .sgpr_spill_count: 0
    .symbol:         _ZL29rocblas_internal_gemmt_kernelIlLi16ELi32ELi8ELc84ELc84ELc85ELb0ELb0EfPKfPKS1_PKPfEviT_T9_T10_S7_lS9_S7_lS8_T11_S7_li.kd
    .uniform_work_group_size: 1
    .uses_dynamic_stack: false
    .vgpr_count:     57
    .vgpr_spill_count: 0
    .wavefront_size: 32
    .workgroup_processor_mode: 1
  - .args:
      - .offset:         0
        .size:           4
        .value_kind:     by_value
      - .offset:         8
        .size:           8
        .value_kind:     by_value
      - .address_space:  global
        .offset:         16
        .size:           8
        .value_kind:     global_buffer
      - .address_space:  global
        .offset:         24
        .size:           8
        .value_kind:     global_buffer
      - .offset:         32
        .size:           8
        .value_kind:     by_value
      - .offset:         40
        .size:           8
        .value_kind:     by_value
      - .address_space:  global
        .offset:         48
        .size:           8
        .value_kind:     global_buffer
      - .offset:         56
        .size:           8
        .value_kind:     by_value
      - .offset:         64
        .size:           8
        .value_kind:     by_value
      - .address_space:  global
        .offset:         72
        .size:           8
        .value_kind:     global_buffer
      - .address_space:  global
        .offset:         80
        .size:           8
        .value_kind:     global_buffer
      - .offset:         88
        .size:           8
        .value_kind:     by_value
      - .offset:         96
        .size:           8
        .value_kind:     by_value
      - .offset:         104
        .size:           4
        .value_kind:     by_value
    .group_segment_fixed_size: 2048
    .kernarg_segment_align: 8
    .kernarg_segment_size: 108
    .language:       OpenCL C
    .language_version:
      - 2
      - 0
    .max_flat_workgroup_size: 256
    .name:           _ZL29rocblas_internal_gemmt_kernelIlLi16ELi32ELi8ELc84ELc67ELc85ELb0ELb0EfPKfPKS1_PKPfEviT_T9_T10_S7_lS9_S7_lS8_T11_S7_li
    .private_segment_fixed_size: 0
    .sgpr_count:     40
    .sgpr_spill_count: 0
    .symbol:         _ZL29rocblas_internal_gemmt_kernelIlLi16ELi32ELi8ELc84ELc67ELc85ELb0ELb0EfPKfPKS1_PKPfEviT_T9_T10_S7_lS9_S7_lS8_T11_S7_li.kd
    .uniform_work_group_size: 1
    .uses_dynamic_stack: false
    .vgpr_count:     57
    .vgpr_spill_count: 0
    .wavefront_size: 32
    .workgroup_processor_mode: 1
  - .args:
      - .offset:         0
        .size:           4
        .value_kind:     by_value
      - .offset:         8
        .size:           8
        .value_kind:     by_value
      - .address_space:  global
        .offset:         16
        .size:           8
        .value_kind:     global_buffer
      - .address_space:  global
        .offset:         24
        .size:           8
        .value_kind:     global_buffer
      - .offset:         32
        .size:           8
        .value_kind:     by_value
      - .offset:         40
        .size:           8
        .value_kind:     by_value
      - .address_space:  global
        .offset:         48
        .size:           8
        .value_kind:     global_buffer
      - .offset:         56
        .size:           8
        .value_kind:     by_value
      - .offset:         64
        .size:           8
        .value_kind:     by_value
      - .address_space:  global
        .offset:         72
        .size:           8
        .value_kind:     global_buffer
      - .address_space:  global
        .offset:         80
        .size:           8
        .value_kind:     global_buffer
      - .offset:         88
        .size:           8
        .value_kind:     by_value
      - .offset:         96
        .size:           8
        .value_kind:     by_value
      - .offset:         104
        .size:           4
        .value_kind:     by_value
    .group_segment_fixed_size: 2048
    .kernarg_segment_align: 8
    .kernarg_segment_size: 108
    .language:       OpenCL C
    .language_version:
      - 2
      - 0
    .max_flat_workgroup_size: 256
    .name:           _ZL29rocblas_internal_gemmt_kernelIlLi16ELi32ELi8ELc67ELc78ELc85ELb0ELb0EfPKfPKS1_PKPfEviT_T9_T10_S7_lS9_S7_lS8_T11_S7_li
    .private_segment_fixed_size: 0
    .sgpr_count:     38
    .sgpr_spill_count: 0
    .symbol:         _ZL29rocblas_internal_gemmt_kernelIlLi16ELi32ELi8ELc67ELc78ELc85ELb0ELb0EfPKfPKS1_PKPfEviT_T9_T10_S7_lS9_S7_lS8_T11_S7_li.kd
    .uniform_work_group_size: 1
    .uses_dynamic_stack: false
    .vgpr_count:     58
    .vgpr_spill_count: 0
    .wavefront_size: 32
    .workgroup_processor_mode: 1
  - .args:
      - .offset:         0
        .size:           4
        .value_kind:     by_value
      - .offset:         8
        .size:           8
        .value_kind:     by_value
      - .address_space:  global
        .offset:         16
        .size:           8
        .value_kind:     global_buffer
      - .address_space:  global
        .offset:         24
        .size:           8
        .value_kind:     global_buffer
      - .offset:         32
        .size:           8
        .value_kind:     by_value
      - .offset:         40
        .size:           8
        .value_kind:     by_value
      - .address_space:  global
        .offset:         48
        .size:           8
        .value_kind:     global_buffer
      - .offset:         56
        .size:           8
        .value_kind:     by_value
      - .offset:         64
        .size:           8
        .value_kind:     by_value
      - .address_space:  global
        .offset:         72
        .size:           8
        .value_kind:     global_buffer
      - .address_space:  global
        .offset:         80
        .size:           8
        .value_kind:     global_buffer
      - .offset:         88
        .size:           8
        .value_kind:     by_value
      - .offset:         96
        .size:           8
        .value_kind:     by_value
      - .offset:         104
        .size:           4
        .value_kind:     by_value
    .group_segment_fixed_size: 2048
    .kernarg_segment_align: 8
    .kernarg_segment_size: 108
    .language:       OpenCL C
    .language_version:
      - 2
      - 0
    .max_flat_workgroup_size: 256
    .name:           _ZL29rocblas_internal_gemmt_kernelIlLi16ELi32ELi8ELc67ELc84ELc85ELb0ELb0EfPKfPKS1_PKPfEviT_T9_T10_S7_lS9_S7_lS8_T11_S7_li
    .private_segment_fixed_size: 0
    .sgpr_count:     40
    .sgpr_spill_count: 0
    .symbol:         _ZL29rocblas_internal_gemmt_kernelIlLi16ELi32ELi8ELc67ELc84ELc85ELb0ELb0EfPKfPKS1_PKPfEviT_T9_T10_S7_lS9_S7_lS8_T11_S7_li.kd
    .uniform_work_group_size: 1
    .uses_dynamic_stack: false
    .vgpr_count:     57
    .vgpr_spill_count: 0
    .wavefront_size: 32
    .workgroup_processor_mode: 1
  - .args:
      - .offset:         0
        .size:           4
        .value_kind:     by_value
      - .offset:         8
        .size:           8
        .value_kind:     by_value
      - .address_space:  global
        .offset:         16
        .size:           8
        .value_kind:     global_buffer
      - .address_space:  global
        .offset:         24
        .size:           8
        .value_kind:     global_buffer
      - .offset:         32
        .size:           8
        .value_kind:     by_value
      - .offset:         40
        .size:           8
        .value_kind:     by_value
      - .address_space:  global
        .offset:         48
        .size:           8
        .value_kind:     global_buffer
      - .offset:         56
        .size:           8
        .value_kind:     by_value
      - .offset:         64
        .size:           8
        .value_kind:     by_value
      - .address_space:  global
        .offset:         72
        .size:           8
        .value_kind:     global_buffer
      - .address_space:  global
        .offset:         80
        .size:           8
        .value_kind:     global_buffer
      - .offset:         88
        .size:           8
        .value_kind:     by_value
      - .offset:         96
        .size:           8
        .value_kind:     by_value
      - .offset:         104
        .size:           4
        .value_kind:     by_value
    .group_segment_fixed_size: 2048
    .kernarg_segment_align: 8
    .kernarg_segment_size: 108
    .language:       OpenCL C
    .language_version:
      - 2
      - 0
    .max_flat_workgroup_size: 256
    .name:           _ZL29rocblas_internal_gemmt_kernelIlLi16ELi32ELi8ELc67ELc67ELc85ELb0ELb0EfPKfPKS1_PKPfEviT_T9_T10_S7_lS9_S7_lS8_T11_S7_li
    .private_segment_fixed_size: 0
    .sgpr_count:     40
    .sgpr_spill_count: 0
    .symbol:         _ZL29rocblas_internal_gemmt_kernelIlLi16ELi32ELi8ELc67ELc67ELc85ELb0ELb0EfPKfPKS1_PKPfEviT_T9_T10_S7_lS9_S7_lS8_T11_S7_li.kd
    .uniform_work_group_size: 1
    .uses_dynamic_stack: false
    .vgpr_count:     57
    .vgpr_spill_count: 0
    .wavefront_size: 32
    .workgroup_processor_mode: 1
  - .args:
      - .offset:         0
        .size:           4
        .value_kind:     by_value
      - .offset:         8
        .size:           8
        .value_kind:     by_value
      - .address_space:  global
        .offset:         16
        .size:           8
        .value_kind:     global_buffer
      - .address_space:  global
        .offset:         24
        .size:           8
        .value_kind:     global_buffer
      - .offset:         32
        .size:           8
        .value_kind:     by_value
      - .offset:         40
        .size:           8
        .value_kind:     by_value
      - .address_space:  global
        .offset:         48
        .size:           8
        .value_kind:     global_buffer
      - .offset:         56
        .size:           8
        .value_kind:     by_value
      - .offset:         64
        .size:           8
        .value_kind:     by_value
      - .address_space:  global
        .offset:         72
        .size:           8
        .value_kind:     global_buffer
      - .address_space:  global
        .offset:         80
        .size:           8
        .value_kind:     global_buffer
      - .offset:         88
        .size:           8
        .value_kind:     by_value
      - .offset:         96
        .size:           8
        .value_kind:     by_value
      - .offset:         104
        .size:           4
        .value_kind:     by_value
    .group_segment_fixed_size: 2048
    .kernarg_segment_align: 8
    .kernarg_segment_size: 108
    .language:       OpenCL C
    .language_version:
      - 2
      - 0
    .max_flat_workgroup_size: 256
    .name:           _ZL29rocblas_internal_gemmt_kernelIlLi16ELi32ELi8ELc78ELc78ELc76ELb0ELb0EfPKfPKS1_PKPfEviT_T9_T10_S7_lS9_S7_lS8_T11_S7_li
    .private_segment_fixed_size: 0
    .sgpr_count:     38
    .sgpr_spill_count: 0
    .symbol:         _ZL29rocblas_internal_gemmt_kernelIlLi16ELi32ELi8ELc78ELc78ELc76ELb0ELb0EfPKfPKS1_PKPfEviT_T9_T10_S7_lS9_S7_lS8_T11_S7_li.kd
    .uniform_work_group_size: 1
    .uses_dynamic_stack: false
    .vgpr_count:     58
    .vgpr_spill_count: 0
    .wavefront_size: 32
    .workgroup_processor_mode: 1
  - .args:
      - .offset:         0
        .size:           4
        .value_kind:     by_value
      - .offset:         8
        .size:           8
        .value_kind:     by_value
      - .address_space:  global
        .offset:         16
        .size:           8
        .value_kind:     global_buffer
      - .address_space:  global
        .offset:         24
        .size:           8
        .value_kind:     global_buffer
      - .offset:         32
        .size:           8
        .value_kind:     by_value
      - .offset:         40
        .size:           8
        .value_kind:     by_value
      - .address_space:  global
        .offset:         48
        .size:           8
        .value_kind:     global_buffer
      - .offset:         56
        .size:           8
        .value_kind:     by_value
      - .offset:         64
        .size:           8
        .value_kind:     by_value
      - .address_space:  global
        .offset:         72
        .size:           8
        .value_kind:     global_buffer
      - .address_space:  global
        .offset:         80
        .size:           8
        .value_kind:     global_buffer
      - .offset:         88
        .size:           8
        .value_kind:     by_value
      - .offset:         96
        .size:           8
        .value_kind:     by_value
      - .offset:         104
        .size:           4
        .value_kind:     by_value
    .group_segment_fixed_size: 2048
    .kernarg_segment_align: 8
    .kernarg_segment_size: 108
    .language:       OpenCL C
    .language_version:
      - 2
      - 0
    .max_flat_workgroup_size: 256
    .name:           _ZL29rocblas_internal_gemmt_kernelIlLi16ELi32ELi8ELc78ELc84ELc76ELb0ELb0EfPKfPKS1_PKPfEviT_T9_T10_S7_lS9_S7_lS8_T11_S7_li
    .private_segment_fixed_size: 0
    .sgpr_count:     40
    .sgpr_spill_count: 0
    .symbol:         _ZL29rocblas_internal_gemmt_kernelIlLi16ELi32ELi8ELc78ELc84ELc76ELb0ELb0EfPKfPKS1_PKPfEviT_T9_T10_S7_lS9_S7_lS8_T11_S7_li.kd
    .uniform_work_group_size: 1
    .uses_dynamic_stack: false
    .vgpr_count:     57
    .vgpr_spill_count: 0
    .wavefront_size: 32
    .workgroup_processor_mode: 1
  - .args:
      - .offset:         0
        .size:           4
        .value_kind:     by_value
      - .offset:         8
        .size:           8
        .value_kind:     by_value
      - .address_space:  global
        .offset:         16
        .size:           8
        .value_kind:     global_buffer
      - .address_space:  global
        .offset:         24
        .size:           8
        .value_kind:     global_buffer
      - .offset:         32
        .size:           8
        .value_kind:     by_value
      - .offset:         40
        .size:           8
        .value_kind:     by_value
      - .address_space:  global
        .offset:         48
        .size:           8
        .value_kind:     global_buffer
      - .offset:         56
        .size:           8
        .value_kind:     by_value
      - .offset:         64
        .size:           8
        .value_kind:     by_value
      - .address_space:  global
        .offset:         72
        .size:           8
        .value_kind:     global_buffer
      - .address_space:  global
        .offset:         80
        .size:           8
        .value_kind:     global_buffer
      - .offset:         88
        .size:           8
        .value_kind:     by_value
      - .offset:         96
        .size:           8
        .value_kind:     by_value
      - .offset:         104
        .size:           4
        .value_kind:     by_value
    .group_segment_fixed_size: 2048
    .kernarg_segment_align: 8
    .kernarg_segment_size: 108
    .language:       OpenCL C
    .language_version:
      - 2
      - 0
    .max_flat_workgroup_size: 256
    .name:           _ZL29rocblas_internal_gemmt_kernelIlLi16ELi32ELi8ELc78ELc67ELc76ELb0ELb0EfPKfPKS1_PKPfEviT_T9_T10_S7_lS9_S7_lS8_T11_S7_li
    .private_segment_fixed_size: 0
    .sgpr_count:     40
    .sgpr_spill_count: 0
    .symbol:         _ZL29rocblas_internal_gemmt_kernelIlLi16ELi32ELi8ELc78ELc67ELc76ELb0ELb0EfPKfPKS1_PKPfEviT_T9_T10_S7_lS9_S7_lS8_T11_S7_li.kd
    .uniform_work_group_size: 1
    .uses_dynamic_stack: false
    .vgpr_count:     57
    .vgpr_spill_count: 0
    .wavefront_size: 32
    .workgroup_processor_mode: 1
  - .args:
      - .offset:         0
        .size:           4
        .value_kind:     by_value
      - .offset:         8
        .size:           8
        .value_kind:     by_value
      - .address_space:  global
        .offset:         16
        .size:           8
        .value_kind:     global_buffer
      - .address_space:  global
        .offset:         24
        .size:           8
        .value_kind:     global_buffer
      - .offset:         32
        .size:           8
        .value_kind:     by_value
      - .offset:         40
        .size:           8
        .value_kind:     by_value
      - .address_space:  global
        .offset:         48
        .size:           8
        .value_kind:     global_buffer
      - .offset:         56
        .size:           8
        .value_kind:     by_value
      - .offset:         64
        .size:           8
        .value_kind:     by_value
      - .address_space:  global
        .offset:         72
        .size:           8
        .value_kind:     global_buffer
      - .address_space:  global
        .offset:         80
        .size:           8
        .value_kind:     global_buffer
      - .offset:         88
        .size:           8
        .value_kind:     by_value
      - .offset:         96
        .size:           8
        .value_kind:     by_value
      - .offset:         104
        .size:           4
        .value_kind:     by_value
    .group_segment_fixed_size: 2048
    .kernarg_segment_align: 8
    .kernarg_segment_size: 108
    .language:       OpenCL C
    .language_version:
      - 2
      - 0
    .max_flat_workgroup_size: 256
    .name:           _ZL29rocblas_internal_gemmt_kernelIlLi16ELi32ELi8ELc84ELc78ELc76ELb0ELb0EfPKfPKS1_PKPfEviT_T9_T10_S7_lS9_S7_lS8_T11_S7_li
    .private_segment_fixed_size: 0
    .sgpr_count:     38
    .sgpr_spill_count: 0
    .symbol:         _ZL29rocblas_internal_gemmt_kernelIlLi16ELi32ELi8ELc84ELc78ELc76ELb0ELb0EfPKfPKS1_PKPfEviT_T9_T10_S7_lS9_S7_lS8_T11_S7_li.kd
    .uniform_work_group_size: 1
    .uses_dynamic_stack: false
    .vgpr_count:     58
    .vgpr_spill_count: 0
    .wavefront_size: 32
    .workgroup_processor_mode: 1
  - .args:
      - .offset:         0
        .size:           4
        .value_kind:     by_value
      - .offset:         8
        .size:           8
        .value_kind:     by_value
      - .address_space:  global
        .offset:         16
        .size:           8
        .value_kind:     global_buffer
      - .address_space:  global
        .offset:         24
        .size:           8
        .value_kind:     global_buffer
      - .offset:         32
        .size:           8
        .value_kind:     by_value
      - .offset:         40
        .size:           8
        .value_kind:     by_value
      - .address_space:  global
        .offset:         48
        .size:           8
        .value_kind:     global_buffer
      - .offset:         56
        .size:           8
        .value_kind:     by_value
      - .offset:         64
        .size:           8
        .value_kind:     by_value
      - .address_space:  global
        .offset:         72
        .size:           8
        .value_kind:     global_buffer
      - .address_space:  global
        .offset:         80
        .size:           8
        .value_kind:     global_buffer
      - .offset:         88
        .size:           8
        .value_kind:     by_value
      - .offset:         96
        .size:           8
        .value_kind:     by_value
      - .offset:         104
        .size:           4
        .value_kind:     by_value
    .group_segment_fixed_size: 2048
    .kernarg_segment_align: 8
    .kernarg_segment_size: 108
    .language:       OpenCL C
    .language_version:
      - 2
      - 0
    .max_flat_workgroup_size: 256
    .name:           _ZL29rocblas_internal_gemmt_kernelIlLi16ELi32ELi8ELc84ELc84ELc76ELb0ELb0EfPKfPKS1_PKPfEviT_T9_T10_S7_lS9_S7_lS8_T11_S7_li
    .private_segment_fixed_size: 0
    .sgpr_count:     40
    .sgpr_spill_count: 0
    .symbol:         _ZL29rocblas_internal_gemmt_kernelIlLi16ELi32ELi8ELc84ELc84ELc76ELb0ELb0EfPKfPKS1_PKPfEviT_T9_T10_S7_lS9_S7_lS8_T11_S7_li.kd
    .uniform_work_group_size: 1
    .uses_dynamic_stack: false
    .vgpr_count:     57
    .vgpr_spill_count: 0
    .wavefront_size: 32
    .workgroup_processor_mode: 1
  - .args:
      - .offset:         0
        .size:           4
        .value_kind:     by_value
      - .offset:         8
        .size:           8
        .value_kind:     by_value
      - .address_space:  global
        .offset:         16
        .size:           8
        .value_kind:     global_buffer
      - .address_space:  global
        .offset:         24
        .size:           8
        .value_kind:     global_buffer
      - .offset:         32
        .size:           8
        .value_kind:     by_value
      - .offset:         40
        .size:           8
        .value_kind:     by_value
      - .address_space:  global
        .offset:         48
        .size:           8
        .value_kind:     global_buffer
      - .offset:         56
        .size:           8
        .value_kind:     by_value
      - .offset:         64
        .size:           8
        .value_kind:     by_value
      - .address_space:  global
        .offset:         72
        .size:           8
        .value_kind:     global_buffer
      - .address_space:  global
        .offset:         80
        .size:           8
        .value_kind:     global_buffer
      - .offset:         88
        .size:           8
        .value_kind:     by_value
      - .offset:         96
        .size:           8
        .value_kind:     by_value
      - .offset:         104
        .size:           4
        .value_kind:     by_value
    .group_segment_fixed_size: 2048
    .kernarg_segment_align: 8
    .kernarg_segment_size: 108
    .language:       OpenCL C
    .language_version:
      - 2
      - 0
    .max_flat_workgroup_size: 256
    .name:           _ZL29rocblas_internal_gemmt_kernelIlLi16ELi32ELi8ELc84ELc67ELc76ELb0ELb0EfPKfPKS1_PKPfEviT_T9_T10_S7_lS9_S7_lS8_T11_S7_li
    .private_segment_fixed_size: 0
    .sgpr_count:     40
    .sgpr_spill_count: 0
    .symbol:         _ZL29rocblas_internal_gemmt_kernelIlLi16ELi32ELi8ELc84ELc67ELc76ELb0ELb0EfPKfPKS1_PKPfEviT_T9_T10_S7_lS9_S7_lS8_T11_S7_li.kd
    .uniform_work_group_size: 1
    .uses_dynamic_stack: false
    .vgpr_count:     57
    .vgpr_spill_count: 0
    .wavefront_size: 32
    .workgroup_processor_mode: 1
  - .args:
      - .offset:         0
        .size:           4
        .value_kind:     by_value
      - .offset:         8
        .size:           8
        .value_kind:     by_value
      - .address_space:  global
        .offset:         16
        .size:           8
        .value_kind:     global_buffer
      - .address_space:  global
        .offset:         24
        .size:           8
        .value_kind:     global_buffer
      - .offset:         32
        .size:           8
        .value_kind:     by_value
      - .offset:         40
        .size:           8
        .value_kind:     by_value
      - .address_space:  global
        .offset:         48
        .size:           8
        .value_kind:     global_buffer
      - .offset:         56
        .size:           8
        .value_kind:     by_value
      - .offset:         64
        .size:           8
        .value_kind:     by_value
      - .address_space:  global
        .offset:         72
        .size:           8
        .value_kind:     global_buffer
      - .address_space:  global
        .offset:         80
        .size:           8
        .value_kind:     global_buffer
      - .offset:         88
        .size:           8
        .value_kind:     by_value
      - .offset:         96
        .size:           8
        .value_kind:     by_value
      - .offset:         104
        .size:           4
        .value_kind:     by_value
    .group_segment_fixed_size: 2048
    .kernarg_segment_align: 8
    .kernarg_segment_size: 108
    .language:       OpenCL C
    .language_version:
      - 2
      - 0
    .max_flat_workgroup_size: 256
    .name:           _ZL29rocblas_internal_gemmt_kernelIlLi16ELi32ELi8ELc67ELc78ELc76ELb0ELb0EfPKfPKS1_PKPfEviT_T9_T10_S7_lS9_S7_lS8_T11_S7_li
    .private_segment_fixed_size: 0
    .sgpr_count:     38
    .sgpr_spill_count: 0
    .symbol:         _ZL29rocblas_internal_gemmt_kernelIlLi16ELi32ELi8ELc67ELc78ELc76ELb0ELb0EfPKfPKS1_PKPfEviT_T9_T10_S7_lS9_S7_lS8_T11_S7_li.kd
    .uniform_work_group_size: 1
    .uses_dynamic_stack: false
    .vgpr_count:     58
    .vgpr_spill_count: 0
    .wavefront_size: 32
    .workgroup_processor_mode: 1
  - .args:
      - .offset:         0
        .size:           4
        .value_kind:     by_value
      - .offset:         8
        .size:           8
        .value_kind:     by_value
      - .address_space:  global
        .offset:         16
        .size:           8
        .value_kind:     global_buffer
      - .address_space:  global
        .offset:         24
        .size:           8
        .value_kind:     global_buffer
      - .offset:         32
        .size:           8
        .value_kind:     by_value
      - .offset:         40
        .size:           8
        .value_kind:     by_value
      - .address_space:  global
        .offset:         48
        .size:           8
        .value_kind:     global_buffer
      - .offset:         56
        .size:           8
        .value_kind:     by_value
      - .offset:         64
        .size:           8
        .value_kind:     by_value
      - .address_space:  global
        .offset:         72
        .size:           8
        .value_kind:     global_buffer
      - .address_space:  global
        .offset:         80
        .size:           8
        .value_kind:     global_buffer
      - .offset:         88
        .size:           8
        .value_kind:     by_value
      - .offset:         96
        .size:           8
        .value_kind:     by_value
      - .offset:         104
        .size:           4
        .value_kind:     by_value
    .group_segment_fixed_size: 2048
    .kernarg_segment_align: 8
    .kernarg_segment_size: 108
    .language:       OpenCL C
    .language_version:
      - 2
      - 0
    .max_flat_workgroup_size: 256
    .name:           _ZL29rocblas_internal_gemmt_kernelIlLi16ELi32ELi8ELc67ELc84ELc76ELb0ELb0EfPKfPKS1_PKPfEviT_T9_T10_S7_lS9_S7_lS8_T11_S7_li
    .private_segment_fixed_size: 0
    .sgpr_count:     40
    .sgpr_spill_count: 0
    .symbol:         _ZL29rocblas_internal_gemmt_kernelIlLi16ELi32ELi8ELc67ELc84ELc76ELb0ELb0EfPKfPKS1_PKPfEviT_T9_T10_S7_lS9_S7_lS8_T11_S7_li.kd
    .uniform_work_group_size: 1
    .uses_dynamic_stack: false
    .vgpr_count:     57
    .vgpr_spill_count: 0
    .wavefront_size: 32
    .workgroup_processor_mode: 1
  - .args:
      - .offset:         0
        .size:           4
        .value_kind:     by_value
      - .offset:         8
        .size:           8
        .value_kind:     by_value
      - .address_space:  global
        .offset:         16
        .size:           8
        .value_kind:     global_buffer
      - .address_space:  global
        .offset:         24
        .size:           8
        .value_kind:     global_buffer
      - .offset:         32
        .size:           8
        .value_kind:     by_value
      - .offset:         40
        .size:           8
        .value_kind:     by_value
      - .address_space:  global
        .offset:         48
        .size:           8
        .value_kind:     global_buffer
      - .offset:         56
        .size:           8
        .value_kind:     by_value
      - .offset:         64
        .size:           8
        .value_kind:     by_value
      - .address_space:  global
        .offset:         72
        .size:           8
        .value_kind:     global_buffer
      - .address_space:  global
        .offset:         80
        .size:           8
        .value_kind:     global_buffer
      - .offset:         88
        .size:           8
        .value_kind:     by_value
      - .offset:         96
        .size:           8
        .value_kind:     by_value
      - .offset:         104
        .size:           4
        .value_kind:     by_value
    .group_segment_fixed_size: 2048
    .kernarg_segment_align: 8
    .kernarg_segment_size: 108
    .language:       OpenCL C
    .language_version:
      - 2
      - 0
    .max_flat_workgroup_size: 256
    .name:           _ZL29rocblas_internal_gemmt_kernelIlLi16ELi32ELi8ELc67ELc67ELc76ELb0ELb0EfPKfPKS1_PKPfEviT_T9_T10_S7_lS9_S7_lS8_T11_S7_li
    .private_segment_fixed_size: 0
    .sgpr_count:     40
    .sgpr_spill_count: 0
    .symbol:         _ZL29rocblas_internal_gemmt_kernelIlLi16ELi32ELi8ELc67ELc67ELc76ELb0ELb0EfPKfPKS1_PKPfEviT_T9_T10_S7_lS9_S7_lS8_T11_S7_li.kd
    .uniform_work_group_size: 1
    .uses_dynamic_stack: false
    .vgpr_count:     57
    .vgpr_spill_count: 0
    .wavefront_size: 32
    .workgroup_processor_mode: 1
  - .args:
      - .offset:         0
        .size:           4
        .value_kind:     by_value
      - .offset:         8
        .size:           8
        .value_kind:     by_value
      - .offset:         16
        .size:           4
        .value_kind:     by_value
      - .address_space:  global
        .offset:         24
        .size:           8
        .value_kind:     global_buffer
      - .offset:         32
        .size:           8
        .value_kind:     by_value
      - .offset:         40
        .size:           8
        .value_kind:     by_value
      - .address_space:  global
        .offset:         48
        .size:           8
        .value_kind:     global_buffer
      - .offset:         56
        .size:           8
        .value_kind:     by_value
      - .offset:         64
        .size:           8
        .value_kind:     by_value
      - .offset:         72
        .size:           4
        .value_kind:     by_value
      - .address_space:  global
        .offset:         80
        .size:           8
        .value_kind:     global_buffer
      - .offset:         88
        .size:           8
        .value_kind:     by_value
      - .offset:         96
        .size:           8
        .value_kind:     by_value
      - .offset:         104
        .size:           4
        .value_kind:     by_value
    .group_segment_fixed_size: 2048
    .kernarg_segment_align: 8
    .kernarg_segment_size: 108
    .language:       OpenCL C
    .language_version:
      - 2
      - 0
    .max_flat_workgroup_size: 256
    .name:           _ZL29rocblas_internal_gemmt_kernelIlLi16ELi32ELi8ELc78ELc78ELc85ELb0ELb0EffPKPKfPKPfEviT_T9_T10_S7_lS9_S7_lS8_T11_S7_li
    .private_segment_fixed_size: 0
    .sgpr_count:     37
    .sgpr_spill_count: 0
    .symbol:         _ZL29rocblas_internal_gemmt_kernelIlLi16ELi32ELi8ELc78ELc78ELc85ELb0ELb0EffPKPKfPKPfEviT_T9_T10_S7_lS9_S7_lS8_T11_S7_li.kd
    .uniform_work_group_size: 1
    .uses_dynamic_stack: false
    .vgpr_count:     58
    .vgpr_spill_count: 0
    .wavefront_size: 32
    .workgroup_processor_mode: 1
  - .args:
      - .offset:         0
        .size:           4
        .value_kind:     by_value
      - .offset:         8
        .size:           8
        .value_kind:     by_value
      - .offset:         16
        .size:           4
        .value_kind:     by_value
      - .address_space:  global
        .offset:         24
        .size:           8
        .value_kind:     global_buffer
      - .offset:         32
        .size:           8
        .value_kind:     by_value
      - .offset:         40
        .size:           8
        .value_kind:     by_value
      - .address_space:  global
        .offset:         48
        .size:           8
        .value_kind:     global_buffer
      - .offset:         56
        .size:           8
        .value_kind:     by_value
      - .offset:         64
        .size:           8
        .value_kind:     by_value
      - .offset:         72
        .size:           4
        .value_kind:     by_value
      - .address_space:  global
        .offset:         80
        .size:           8
        .value_kind:     global_buffer
      - .offset:         88
        .size:           8
        .value_kind:     by_value
      - .offset:         96
        .size:           8
        .value_kind:     by_value
      - .offset:         104
        .size:           4
        .value_kind:     by_value
    .group_segment_fixed_size: 2048
    .kernarg_segment_align: 8
    .kernarg_segment_size: 108
    .language:       OpenCL C
    .language_version:
      - 2
      - 0
    .max_flat_workgroup_size: 256
    .name:           _ZL29rocblas_internal_gemmt_kernelIlLi16ELi32ELi8ELc78ELc84ELc85ELb0ELb0EffPKPKfPKPfEviT_T9_T10_S7_lS9_S7_lS8_T11_S7_li
    .private_segment_fixed_size: 0
    .sgpr_count:     39
    .sgpr_spill_count: 0
    .symbol:         _ZL29rocblas_internal_gemmt_kernelIlLi16ELi32ELi8ELc78ELc84ELc85ELb0ELb0EffPKPKfPKPfEviT_T9_T10_S7_lS9_S7_lS8_T11_S7_li.kd
    .uniform_work_group_size: 1
    .uses_dynamic_stack: false
    .vgpr_count:     57
    .vgpr_spill_count: 0
    .wavefront_size: 32
    .workgroup_processor_mode: 1
  - .args:
      - .offset:         0
        .size:           4
        .value_kind:     by_value
      - .offset:         8
        .size:           8
        .value_kind:     by_value
      - .offset:         16
        .size:           4
        .value_kind:     by_value
      - .address_space:  global
        .offset:         24
        .size:           8
        .value_kind:     global_buffer
      - .offset:         32
        .size:           8
        .value_kind:     by_value
      - .offset:         40
        .size:           8
        .value_kind:     by_value
      - .address_space:  global
        .offset:         48
        .size:           8
        .value_kind:     global_buffer
      - .offset:         56
        .size:           8
        .value_kind:     by_value
      - .offset:         64
        .size:           8
        .value_kind:     by_value
      - .offset:         72
        .size:           4
        .value_kind:     by_value
      - .address_space:  global
        .offset:         80
        .size:           8
        .value_kind:     global_buffer
      - .offset:         88
        .size:           8
        .value_kind:     by_value
      - .offset:         96
        .size:           8
        .value_kind:     by_value
      - .offset:         104
        .size:           4
        .value_kind:     by_value
    .group_segment_fixed_size: 2048
    .kernarg_segment_align: 8
    .kernarg_segment_size: 108
    .language:       OpenCL C
    .language_version:
      - 2
      - 0
    .max_flat_workgroup_size: 256
    .name:           _ZL29rocblas_internal_gemmt_kernelIlLi16ELi32ELi8ELc78ELc67ELc85ELb0ELb0EffPKPKfPKPfEviT_T9_T10_S7_lS9_S7_lS8_T11_S7_li
    .private_segment_fixed_size: 0
    .sgpr_count:     39
    .sgpr_spill_count: 0
    .symbol:         _ZL29rocblas_internal_gemmt_kernelIlLi16ELi32ELi8ELc78ELc67ELc85ELb0ELb0EffPKPKfPKPfEviT_T9_T10_S7_lS9_S7_lS8_T11_S7_li.kd
    .uniform_work_group_size: 1
    .uses_dynamic_stack: false
    .vgpr_count:     57
    .vgpr_spill_count: 0
    .wavefront_size: 32
    .workgroup_processor_mode: 1
  - .args:
      - .offset:         0
        .size:           4
        .value_kind:     by_value
      - .offset:         8
        .size:           8
        .value_kind:     by_value
      - .offset:         16
        .size:           4
        .value_kind:     by_value
      - .address_space:  global
        .offset:         24
        .size:           8
        .value_kind:     global_buffer
      - .offset:         32
        .size:           8
        .value_kind:     by_value
      - .offset:         40
        .size:           8
        .value_kind:     by_value
      - .address_space:  global
        .offset:         48
        .size:           8
        .value_kind:     global_buffer
      - .offset:         56
        .size:           8
        .value_kind:     by_value
      - .offset:         64
        .size:           8
        .value_kind:     by_value
      - .offset:         72
        .size:           4
        .value_kind:     by_value
      - .address_space:  global
        .offset:         80
        .size:           8
        .value_kind:     global_buffer
      - .offset:         88
        .size:           8
        .value_kind:     by_value
      - .offset:         96
        .size:           8
        .value_kind:     by_value
      - .offset:         104
        .size:           4
        .value_kind:     by_value
    .group_segment_fixed_size: 2048
    .kernarg_segment_align: 8
    .kernarg_segment_size: 108
    .language:       OpenCL C
    .language_version:
      - 2
      - 0
    .max_flat_workgroup_size: 256
    .name:           _ZL29rocblas_internal_gemmt_kernelIlLi16ELi32ELi8ELc84ELc78ELc85ELb0ELb0EffPKPKfPKPfEviT_T9_T10_S7_lS9_S7_lS8_T11_S7_li
    .private_segment_fixed_size: 0
    .sgpr_count:     37
    .sgpr_spill_count: 0
    .symbol:         _ZL29rocblas_internal_gemmt_kernelIlLi16ELi32ELi8ELc84ELc78ELc85ELb0ELb0EffPKPKfPKPfEviT_T9_T10_S7_lS9_S7_lS8_T11_S7_li.kd
    .uniform_work_group_size: 1
    .uses_dynamic_stack: false
    .vgpr_count:     58
    .vgpr_spill_count: 0
    .wavefront_size: 32
    .workgroup_processor_mode: 1
  - .args:
      - .offset:         0
        .size:           4
        .value_kind:     by_value
      - .offset:         8
        .size:           8
        .value_kind:     by_value
      - .offset:         16
        .size:           4
        .value_kind:     by_value
      - .address_space:  global
        .offset:         24
        .size:           8
        .value_kind:     global_buffer
      - .offset:         32
        .size:           8
        .value_kind:     by_value
      - .offset:         40
        .size:           8
        .value_kind:     by_value
      - .address_space:  global
        .offset:         48
        .size:           8
        .value_kind:     global_buffer
      - .offset:         56
        .size:           8
        .value_kind:     by_value
      - .offset:         64
        .size:           8
        .value_kind:     by_value
      - .offset:         72
        .size:           4
        .value_kind:     by_value
      - .address_space:  global
        .offset:         80
        .size:           8
        .value_kind:     global_buffer
      - .offset:         88
        .size:           8
        .value_kind:     by_value
      - .offset:         96
        .size:           8
        .value_kind:     by_value
      - .offset:         104
        .size:           4
        .value_kind:     by_value
    .group_segment_fixed_size: 2048
    .kernarg_segment_align: 8
    .kernarg_segment_size: 108
    .language:       OpenCL C
    .language_version:
      - 2
      - 0
    .max_flat_workgroup_size: 256
    .name:           _ZL29rocblas_internal_gemmt_kernelIlLi16ELi32ELi8ELc84ELc84ELc85ELb0ELb0EffPKPKfPKPfEviT_T9_T10_S7_lS9_S7_lS8_T11_S7_li
    .private_segment_fixed_size: 0
    .sgpr_count:     39
    .sgpr_spill_count: 0
    .symbol:         _ZL29rocblas_internal_gemmt_kernelIlLi16ELi32ELi8ELc84ELc84ELc85ELb0ELb0EffPKPKfPKPfEviT_T9_T10_S7_lS9_S7_lS8_T11_S7_li.kd
    .uniform_work_group_size: 1
    .uses_dynamic_stack: false
    .vgpr_count:     57
    .vgpr_spill_count: 0
    .wavefront_size: 32
    .workgroup_processor_mode: 1
  - .args:
      - .offset:         0
        .size:           4
        .value_kind:     by_value
      - .offset:         8
        .size:           8
        .value_kind:     by_value
      - .offset:         16
        .size:           4
        .value_kind:     by_value
      - .address_space:  global
        .offset:         24
        .size:           8
        .value_kind:     global_buffer
      - .offset:         32
        .size:           8
        .value_kind:     by_value
      - .offset:         40
        .size:           8
        .value_kind:     by_value
      - .address_space:  global
        .offset:         48
        .size:           8
        .value_kind:     global_buffer
      - .offset:         56
        .size:           8
        .value_kind:     by_value
      - .offset:         64
        .size:           8
        .value_kind:     by_value
      - .offset:         72
        .size:           4
        .value_kind:     by_value
      - .address_space:  global
        .offset:         80
        .size:           8
        .value_kind:     global_buffer
      - .offset:         88
        .size:           8
        .value_kind:     by_value
      - .offset:         96
        .size:           8
        .value_kind:     by_value
      - .offset:         104
        .size:           4
        .value_kind:     by_value
    .group_segment_fixed_size: 2048
    .kernarg_segment_align: 8
    .kernarg_segment_size: 108
    .language:       OpenCL C
    .language_version:
      - 2
      - 0
    .max_flat_workgroup_size: 256
    .name:           _ZL29rocblas_internal_gemmt_kernelIlLi16ELi32ELi8ELc84ELc67ELc85ELb0ELb0EffPKPKfPKPfEviT_T9_T10_S7_lS9_S7_lS8_T11_S7_li
    .private_segment_fixed_size: 0
    .sgpr_count:     39
    .sgpr_spill_count: 0
    .symbol:         _ZL29rocblas_internal_gemmt_kernelIlLi16ELi32ELi8ELc84ELc67ELc85ELb0ELb0EffPKPKfPKPfEviT_T9_T10_S7_lS9_S7_lS8_T11_S7_li.kd
    .uniform_work_group_size: 1
    .uses_dynamic_stack: false
    .vgpr_count:     57
    .vgpr_spill_count: 0
    .wavefront_size: 32
    .workgroup_processor_mode: 1
  - .args:
      - .offset:         0
        .size:           4
        .value_kind:     by_value
      - .offset:         8
        .size:           8
        .value_kind:     by_value
      - .offset:         16
        .size:           4
        .value_kind:     by_value
      - .address_space:  global
        .offset:         24
        .size:           8
        .value_kind:     global_buffer
      - .offset:         32
        .size:           8
        .value_kind:     by_value
      - .offset:         40
        .size:           8
        .value_kind:     by_value
      - .address_space:  global
        .offset:         48
        .size:           8
        .value_kind:     global_buffer
      - .offset:         56
        .size:           8
        .value_kind:     by_value
      - .offset:         64
        .size:           8
        .value_kind:     by_value
      - .offset:         72
        .size:           4
        .value_kind:     by_value
      - .address_space:  global
        .offset:         80
        .size:           8
        .value_kind:     global_buffer
      - .offset:         88
        .size:           8
        .value_kind:     by_value
      - .offset:         96
        .size:           8
        .value_kind:     by_value
      - .offset:         104
        .size:           4
        .value_kind:     by_value
    .group_segment_fixed_size: 2048
    .kernarg_segment_align: 8
    .kernarg_segment_size: 108
    .language:       OpenCL C
    .language_version:
      - 2
      - 0
    .max_flat_workgroup_size: 256
    .name:           _ZL29rocblas_internal_gemmt_kernelIlLi16ELi32ELi8ELc67ELc78ELc85ELb0ELb0EffPKPKfPKPfEviT_T9_T10_S7_lS9_S7_lS8_T11_S7_li
    .private_segment_fixed_size: 0
    .sgpr_count:     37
    .sgpr_spill_count: 0
    .symbol:         _ZL29rocblas_internal_gemmt_kernelIlLi16ELi32ELi8ELc67ELc78ELc85ELb0ELb0EffPKPKfPKPfEviT_T9_T10_S7_lS9_S7_lS8_T11_S7_li.kd
    .uniform_work_group_size: 1
    .uses_dynamic_stack: false
    .vgpr_count:     58
    .vgpr_spill_count: 0
    .wavefront_size: 32
    .workgroup_processor_mode: 1
  - .args:
      - .offset:         0
        .size:           4
        .value_kind:     by_value
      - .offset:         8
        .size:           8
        .value_kind:     by_value
      - .offset:         16
        .size:           4
        .value_kind:     by_value
      - .address_space:  global
        .offset:         24
        .size:           8
        .value_kind:     global_buffer
      - .offset:         32
        .size:           8
        .value_kind:     by_value
      - .offset:         40
        .size:           8
        .value_kind:     by_value
      - .address_space:  global
        .offset:         48
        .size:           8
        .value_kind:     global_buffer
      - .offset:         56
        .size:           8
        .value_kind:     by_value
      - .offset:         64
        .size:           8
        .value_kind:     by_value
      - .offset:         72
        .size:           4
        .value_kind:     by_value
      - .address_space:  global
        .offset:         80
        .size:           8
        .value_kind:     global_buffer
      - .offset:         88
        .size:           8
        .value_kind:     by_value
      - .offset:         96
        .size:           8
        .value_kind:     by_value
      - .offset:         104
        .size:           4
        .value_kind:     by_value
    .group_segment_fixed_size: 2048
    .kernarg_segment_align: 8
    .kernarg_segment_size: 108
    .language:       OpenCL C
    .language_version:
      - 2
      - 0
    .max_flat_workgroup_size: 256
    .name:           _ZL29rocblas_internal_gemmt_kernelIlLi16ELi32ELi8ELc67ELc84ELc85ELb0ELb0EffPKPKfPKPfEviT_T9_T10_S7_lS9_S7_lS8_T11_S7_li
    .private_segment_fixed_size: 0
    .sgpr_count:     39
    .sgpr_spill_count: 0
    .symbol:         _ZL29rocblas_internal_gemmt_kernelIlLi16ELi32ELi8ELc67ELc84ELc85ELb0ELb0EffPKPKfPKPfEviT_T9_T10_S7_lS9_S7_lS8_T11_S7_li.kd
    .uniform_work_group_size: 1
    .uses_dynamic_stack: false
    .vgpr_count:     57
    .vgpr_spill_count: 0
    .wavefront_size: 32
    .workgroup_processor_mode: 1
  - .args:
      - .offset:         0
        .size:           4
        .value_kind:     by_value
      - .offset:         8
        .size:           8
        .value_kind:     by_value
      - .offset:         16
        .size:           4
        .value_kind:     by_value
      - .address_space:  global
        .offset:         24
        .size:           8
        .value_kind:     global_buffer
      - .offset:         32
        .size:           8
        .value_kind:     by_value
      - .offset:         40
        .size:           8
        .value_kind:     by_value
      - .address_space:  global
        .offset:         48
        .size:           8
        .value_kind:     global_buffer
      - .offset:         56
        .size:           8
        .value_kind:     by_value
      - .offset:         64
        .size:           8
        .value_kind:     by_value
      - .offset:         72
        .size:           4
        .value_kind:     by_value
      - .address_space:  global
        .offset:         80
        .size:           8
        .value_kind:     global_buffer
      - .offset:         88
        .size:           8
        .value_kind:     by_value
      - .offset:         96
        .size:           8
        .value_kind:     by_value
      - .offset:         104
        .size:           4
        .value_kind:     by_value
    .group_segment_fixed_size: 2048
    .kernarg_segment_align: 8
    .kernarg_segment_size: 108
    .language:       OpenCL C
    .language_version:
      - 2
      - 0
    .max_flat_workgroup_size: 256
    .name:           _ZL29rocblas_internal_gemmt_kernelIlLi16ELi32ELi8ELc67ELc67ELc85ELb0ELb0EffPKPKfPKPfEviT_T9_T10_S7_lS9_S7_lS8_T11_S7_li
    .private_segment_fixed_size: 0
    .sgpr_count:     39
    .sgpr_spill_count: 0
    .symbol:         _ZL29rocblas_internal_gemmt_kernelIlLi16ELi32ELi8ELc67ELc67ELc85ELb0ELb0EffPKPKfPKPfEviT_T9_T10_S7_lS9_S7_lS8_T11_S7_li.kd
    .uniform_work_group_size: 1
    .uses_dynamic_stack: false
    .vgpr_count:     57
    .vgpr_spill_count: 0
    .wavefront_size: 32
    .workgroup_processor_mode: 1
  - .args:
      - .offset:         0
        .size:           4
        .value_kind:     by_value
      - .offset:         8
        .size:           8
        .value_kind:     by_value
      - .offset:         16
        .size:           4
        .value_kind:     by_value
      - .address_space:  global
        .offset:         24
        .size:           8
        .value_kind:     global_buffer
      - .offset:         32
        .size:           8
        .value_kind:     by_value
      - .offset:         40
        .size:           8
        .value_kind:     by_value
      - .address_space:  global
        .offset:         48
        .size:           8
        .value_kind:     global_buffer
      - .offset:         56
        .size:           8
        .value_kind:     by_value
      - .offset:         64
        .size:           8
        .value_kind:     by_value
      - .offset:         72
        .size:           4
        .value_kind:     by_value
      - .address_space:  global
        .offset:         80
        .size:           8
        .value_kind:     global_buffer
      - .offset:         88
        .size:           8
        .value_kind:     by_value
      - .offset:         96
        .size:           8
        .value_kind:     by_value
      - .offset:         104
        .size:           4
        .value_kind:     by_value
    .group_segment_fixed_size: 2048
    .kernarg_segment_align: 8
    .kernarg_segment_size: 108
    .language:       OpenCL C
    .language_version:
      - 2
      - 0
    .max_flat_workgroup_size: 256
    .name:           _ZL29rocblas_internal_gemmt_kernelIlLi16ELi32ELi8ELc78ELc78ELc76ELb0ELb0EffPKPKfPKPfEviT_T9_T10_S7_lS9_S7_lS8_T11_S7_li
    .private_segment_fixed_size: 0
    .sgpr_count:     37
    .sgpr_spill_count: 0
    .symbol:         _ZL29rocblas_internal_gemmt_kernelIlLi16ELi32ELi8ELc78ELc78ELc76ELb0ELb0EffPKPKfPKPfEviT_T9_T10_S7_lS9_S7_lS8_T11_S7_li.kd
    .uniform_work_group_size: 1
    .uses_dynamic_stack: false
    .vgpr_count:     58
    .vgpr_spill_count: 0
    .wavefront_size: 32
    .workgroup_processor_mode: 1
  - .args:
      - .offset:         0
        .size:           4
        .value_kind:     by_value
      - .offset:         8
        .size:           8
        .value_kind:     by_value
      - .offset:         16
        .size:           4
        .value_kind:     by_value
      - .address_space:  global
        .offset:         24
        .size:           8
        .value_kind:     global_buffer
      - .offset:         32
        .size:           8
        .value_kind:     by_value
      - .offset:         40
        .size:           8
        .value_kind:     by_value
      - .address_space:  global
        .offset:         48
        .size:           8
        .value_kind:     global_buffer
      - .offset:         56
        .size:           8
        .value_kind:     by_value
      - .offset:         64
        .size:           8
        .value_kind:     by_value
      - .offset:         72
        .size:           4
        .value_kind:     by_value
      - .address_space:  global
        .offset:         80
        .size:           8
        .value_kind:     global_buffer
      - .offset:         88
        .size:           8
        .value_kind:     by_value
      - .offset:         96
        .size:           8
        .value_kind:     by_value
      - .offset:         104
        .size:           4
        .value_kind:     by_value
    .group_segment_fixed_size: 2048
    .kernarg_segment_align: 8
    .kernarg_segment_size: 108
    .language:       OpenCL C
    .language_version:
      - 2
      - 0
    .max_flat_workgroup_size: 256
    .name:           _ZL29rocblas_internal_gemmt_kernelIlLi16ELi32ELi8ELc78ELc84ELc76ELb0ELb0EffPKPKfPKPfEviT_T9_T10_S7_lS9_S7_lS8_T11_S7_li
    .private_segment_fixed_size: 0
    .sgpr_count:     39
    .sgpr_spill_count: 0
    .symbol:         _ZL29rocblas_internal_gemmt_kernelIlLi16ELi32ELi8ELc78ELc84ELc76ELb0ELb0EffPKPKfPKPfEviT_T9_T10_S7_lS9_S7_lS8_T11_S7_li.kd
    .uniform_work_group_size: 1
    .uses_dynamic_stack: false
    .vgpr_count:     57
    .vgpr_spill_count: 0
    .wavefront_size: 32
    .workgroup_processor_mode: 1
  - .args:
      - .offset:         0
        .size:           4
        .value_kind:     by_value
      - .offset:         8
        .size:           8
        .value_kind:     by_value
      - .offset:         16
        .size:           4
        .value_kind:     by_value
      - .address_space:  global
        .offset:         24
        .size:           8
        .value_kind:     global_buffer
      - .offset:         32
        .size:           8
        .value_kind:     by_value
      - .offset:         40
        .size:           8
        .value_kind:     by_value
      - .address_space:  global
        .offset:         48
        .size:           8
        .value_kind:     global_buffer
      - .offset:         56
        .size:           8
        .value_kind:     by_value
      - .offset:         64
        .size:           8
        .value_kind:     by_value
      - .offset:         72
        .size:           4
        .value_kind:     by_value
      - .address_space:  global
        .offset:         80
        .size:           8
        .value_kind:     global_buffer
      - .offset:         88
        .size:           8
        .value_kind:     by_value
      - .offset:         96
        .size:           8
        .value_kind:     by_value
      - .offset:         104
        .size:           4
        .value_kind:     by_value
    .group_segment_fixed_size: 2048
    .kernarg_segment_align: 8
    .kernarg_segment_size: 108
    .language:       OpenCL C
    .language_version:
      - 2
      - 0
    .max_flat_workgroup_size: 256
    .name:           _ZL29rocblas_internal_gemmt_kernelIlLi16ELi32ELi8ELc78ELc67ELc76ELb0ELb0EffPKPKfPKPfEviT_T9_T10_S7_lS9_S7_lS8_T11_S7_li
    .private_segment_fixed_size: 0
    .sgpr_count:     39
    .sgpr_spill_count: 0
    .symbol:         _ZL29rocblas_internal_gemmt_kernelIlLi16ELi32ELi8ELc78ELc67ELc76ELb0ELb0EffPKPKfPKPfEviT_T9_T10_S7_lS9_S7_lS8_T11_S7_li.kd
    .uniform_work_group_size: 1
    .uses_dynamic_stack: false
    .vgpr_count:     57
    .vgpr_spill_count: 0
    .wavefront_size: 32
    .workgroup_processor_mode: 1
  - .args:
      - .offset:         0
        .size:           4
        .value_kind:     by_value
      - .offset:         8
        .size:           8
        .value_kind:     by_value
      - .offset:         16
        .size:           4
        .value_kind:     by_value
      - .address_space:  global
        .offset:         24
        .size:           8
        .value_kind:     global_buffer
      - .offset:         32
        .size:           8
        .value_kind:     by_value
      - .offset:         40
        .size:           8
        .value_kind:     by_value
      - .address_space:  global
        .offset:         48
        .size:           8
        .value_kind:     global_buffer
      - .offset:         56
        .size:           8
        .value_kind:     by_value
      - .offset:         64
        .size:           8
        .value_kind:     by_value
      - .offset:         72
        .size:           4
        .value_kind:     by_value
      - .address_space:  global
        .offset:         80
        .size:           8
        .value_kind:     global_buffer
      - .offset:         88
        .size:           8
        .value_kind:     by_value
      - .offset:         96
        .size:           8
        .value_kind:     by_value
      - .offset:         104
        .size:           4
        .value_kind:     by_value
    .group_segment_fixed_size: 2048
    .kernarg_segment_align: 8
    .kernarg_segment_size: 108
    .language:       OpenCL C
    .language_version:
      - 2
      - 0
    .max_flat_workgroup_size: 256
    .name:           _ZL29rocblas_internal_gemmt_kernelIlLi16ELi32ELi8ELc84ELc78ELc76ELb0ELb0EffPKPKfPKPfEviT_T9_T10_S7_lS9_S7_lS8_T11_S7_li
    .private_segment_fixed_size: 0
    .sgpr_count:     37
    .sgpr_spill_count: 0
    .symbol:         _ZL29rocblas_internal_gemmt_kernelIlLi16ELi32ELi8ELc84ELc78ELc76ELb0ELb0EffPKPKfPKPfEviT_T9_T10_S7_lS9_S7_lS8_T11_S7_li.kd
    .uniform_work_group_size: 1
    .uses_dynamic_stack: false
    .vgpr_count:     58
    .vgpr_spill_count: 0
    .wavefront_size: 32
    .workgroup_processor_mode: 1
  - .args:
      - .offset:         0
        .size:           4
        .value_kind:     by_value
      - .offset:         8
        .size:           8
        .value_kind:     by_value
      - .offset:         16
        .size:           4
        .value_kind:     by_value
      - .address_space:  global
        .offset:         24
        .size:           8
        .value_kind:     global_buffer
      - .offset:         32
        .size:           8
        .value_kind:     by_value
      - .offset:         40
        .size:           8
        .value_kind:     by_value
      - .address_space:  global
        .offset:         48
        .size:           8
        .value_kind:     global_buffer
      - .offset:         56
        .size:           8
        .value_kind:     by_value
      - .offset:         64
        .size:           8
        .value_kind:     by_value
      - .offset:         72
        .size:           4
        .value_kind:     by_value
      - .address_space:  global
        .offset:         80
        .size:           8
        .value_kind:     global_buffer
      - .offset:         88
        .size:           8
        .value_kind:     by_value
      - .offset:         96
        .size:           8
        .value_kind:     by_value
      - .offset:         104
        .size:           4
        .value_kind:     by_value
    .group_segment_fixed_size: 2048
    .kernarg_segment_align: 8
    .kernarg_segment_size: 108
    .language:       OpenCL C
    .language_version:
      - 2
      - 0
    .max_flat_workgroup_size: 256
    .name:           _ZL29rocblas_internal_gemmt_kernelIlLi16ELi32ELi8ELc84ELc84ELc76ELb0ELb0EffPKPKfPKPfEviT_T9_T10_S7_lS9_S7_lS8_T11_S7_li
    .private_segment_fixed_size: 0
    .sgpr_count:     39
    .sgpr_spill_count: 0
    .symbol:         _ZL29rocblas_internal_gemmt_kernelIlLi16ELi32ELi8ELc84ELc84ELc76ELb0ELb0EffPKPKfPKPfEviT_T9_T10_S7_lS9_S7_lS8_T11_S7_li.kd
    .uniform_work_group_size: 1
    .uses_dynamic_stack: false
    .vgpr_count:     57
    .vgpr_spill_count: 0
    .wavefront_size: 32
    .workgroup_processor_mode: 1
  - .args:
      - .offset:         0
        .size:           4
        .value_kind:     by_value
      - .offset:         8
        .size:           8
        .value_kind:     by_value
      - .offset:         16
        .size:           4
        .value_kind:     by_value
      - .address_space:  global
        .offset:         24
        .size:           8
        .value_kind:     global_buffer
      - .offset:         32
        .size:           8
        .value_kind:     by_value
      - .offset:         40
        .size:           8
        .value_kind:     by_value
      - .address_space:  global
        .offset:         48
        .size:           8
        .value_kind:     global_buffer
      - .offset:         56
        .size:           8
        .value_kind:     by_value
      - .offset:         64
        .size:           8
        .value_kind:     by_value
      - .offset:         72
        .size:           4
        .value_kind:     by_value
      - .address_space:  global
        .offset:         80
        .size:           8
        .value_kind:     global_buffer
      - .offset:         88
        .size:           8
        .value_kind:     by_value
      - .offset:         96
        .size:           8
        .value_kind:     by_value
      - .offset:         104
        .size:           4
        .value_kind:     by_value
    .group_segment_fixed_size: 2048
    .kernarg_segment_align: 8
    .kernarg_segment_size: 108
    .language:       OpenCL C
    .language_version:
      - 2
      - 0
    .max_flat_workgroup_size: 256
    .name:           _ZL29rocblas_internal_gemmt_kernelIlLi16ELi32ELi8ELc84ELc67ELc76ELb0ELb0EffPKPKfPKPfEviT_T9_T10_S7_lS9_S7_lS8_T11_S7_li
    .private_segment_fixed_size: 0
    .sgpr_count:     39
    .sgpr_spill_count: 0
    .symbol:         _ZL29rocblas_internal_gemmt_kernelIlLi16ELi32ELi8ELc84ELc67ELc76ELb0ELb0EffPKPKfPKPfEviT_T9_T10_S7_lS9_S7_lS8_T11_S7_li.kd
    .uniform_work_group_size: 1
    .uses_dynamic_stack: false
    .vgpr_count:     57
    .vgpr_spill_count: 0
    .wavefront_size: 32
    .workgroup_processor_mode: 1
  - .args:
      - .offset:         0
        .size:           4
        .value_kind:     by_value
      - .offset:         8
        .size:           8
        .value_kind:     by_value
      - .offset:         16
        .size:           4
        .value_kind:     by_value
      - .address_space:  global
        .offset:         24
        .size:           8
        .value_kind:     global_buffer
      - .offset:         32
        .size:           8
        .value_kind:     by_value
      - .offset:         40
        .size:           8
        .value_kind:     by_value
      - .address_space:  global
        .offset:         48
        .size:           8
        .value_kind:     global_buffer
      - .offset:         56
        .size:           8
        .value_kind:     by_value
      - .offset:         64
        .size:           8
        .value_kind:     by_value
      - .offset:         72
        .size:           4
        .value_kind:     by_value
      - .address_space:  global
        .offset:         80
        .size:           8
        .value_kind:     global_buffer
      - .offset:         88
        .size:           8
        .value_kind:     by_value
      - .offset:         96
        .size:           8
        .value_kind:     by_value
      - .offset:         104
        .size:           4
        .value_kind:     by_value
    .group_segment_fixed_size: 2048
    .kernarg_segment_align: 8
    .kernarg_segment_size: 108
    .language:       OpenCL C
    .language_version:
      - 2
      - 0
    .max_flat_workgroup_size: 256
    .name:           _ZL29rocblas_internal_gemmt_kernelIlLi16ELi32ELi8ELc67ELc78ELc76ELb0ELb0EffPKPKfPKPfEviT_T9_T10_S7_lS9_S7_lS8_T11_S7_li
    .private_segment_fixed_size: 0
    .sgpr_count:     37
    .sgpr_spill_count: 0
    .symbol:         _ZL29rocblas_internal_gemmt_kernelIlLi16ELi32ELi8ELc67ELc78ELc76ELb0ELb0EffPKPKfPKPfEviT_T9_T10_S7_lS9_S7_lS8_T11_S7_li.kd
    .uniform_work_group_size: 1
    .uses_dynamic_stack: false
    .vgpr_count:     58
    .vgpr_spill_count: 0
    .wavefront_size: 32
    .workgroup_processor_mode: 1
  - .args:
      - .offset:         0
        .size:           4
        .value_kind:     by_value
      - .offset:         8
        .size:           8
        .value_kind:     by_value
      - .offset:         16
        .size:           4
        .value_kind:     by_value
      - .address_space:  global
        .offset:         24
        .size:           8
        .value_kind:     global_buffer
      - .offset:         32
        .size:           8
        .value_kind:     by_value
      - .offset:         40
        .size:           8
        .value_kind:     by_value
      - .address_space:  global
        .offset:         48
        .size:           8
        .value_kind:     global_buffer
      - .offset:         56
        .size:           8
        .value_kind:     by_value
      - .offset:         64
        .size:           8
        .value_kind:     by_value
      - .offset:         72
        .size:           4
        .value_kind:     by_value
      - .address_space:  global
        .offset:         80
        .size:           8
        .value_kind:     global_buffer
      - .offset:         88
        .size:           8
        .value_kind:     by_value
      - .offset:         96
        .size:           8
        .value_kind:     by_value
      - .offset:         104
        .size:           4
        .value_kind:     by_value
    .group_segment_fixed_size: 2048
    .kernarg_segment_align: 8
    .kernarg_segment_size: 108
    .language:       OpenCL C
    .language_version:
      - 2
      - 0
    .max_flat_workgroup_size: 256
    .name:           _ZL29rocblas_internal_gemmt_kernelIlLi16ELi32ELi8ELc67ELc84ELc76ELb0ELb0EffPKPKfPKPfEviT_T9_T10_S7_lS9_S7_lS8_T11_S7_li
    .private_segment_fixed_size: 0
    .sgpr_count:     39
    .sgpr_spill_count: 0
    .symbol:         _ZL29rocblas_internal_gemmt_kernelIlLi16ELi32ELi8ELc67ELc84ELc76ELb0ELb0EffPKPKfPKPfEviT_T9_T10_S7_lS9_S7_lS8_T11_S7_li.kd
    .uniform_work_group_size: 1
    .uses_dynamic_stack: false
    .vgpr_count:     57
    .vgpr_spill_count: 0
    .wavefront_size: 32
    .workgroup_processor_mode: 1
  - .args:
      - .offset:         0
        .size:           4
        .value_kind:     by_value
      - .offset:         8
        .size:           8
        .value_kind:     by_value
      - .offset:         16
        .size:           4
        .value_kind:     by_value
      - .address_space:  global
        .offset:         24
        .size:           8
        .value_kind:     global_buffer
      - .offset:         32
        .size:           8
        .value_kind:     by_value
      - .offset:         40
        .size:           8
        .value_kind:     by_value
      - .address_space:  global
        .offset:         48
        .size:           8
        .value_kind:     global_buffer
      - .offset:         56
        .size:           8
        .value_kind:     by_value
      - .offset:         64
        .size:           8
        .value_kind:     by_value
      - .offset:         72
        .size:           4
        .value_kind:     by_value
      - .address_space:  global
        .offset:         80
        .size:           8
        .value_kind:     global_buffer
      - .offset:         88
        .size:           8
        .value_kind:     by_value
      - .offset:         96
        .size:           8
        .value_kind:     by_value
      - .offset:         104
        .size:           4
        .value_kind:     by_value
    .group_segment_fixed_size: 2048
    .kernarg_segment_align: 8
    .kernarg_segment_size: 108
    .language:       OpenCL C
    .language_version:
      - 2
      - 0
    .max_flat_workgroup_size: 256
    .name:           _ZL29rocblas_internal_gemmt_kernelIlLi16ELi32ELi8ELc67ELc67ELc76ELb0ELb0EffPKPKfPKPfEviT_T9_T10_S7_lS9_S7_lS8_T11_S7_li
    .private_segment_fixed_size: 0
    .sgpr_count:     39
    .sgpr_spill_count: 0
    .symbol:         _ZL29rocblas_internal_gemmt_kernelIlLi16ELi32ELi8ELc67ELc67ELc76ELb0ELb0EffPKPKfPKPfEviT_T9_T10_S7_lS9_S7_lS8_T11_S7_li.kd
    .uniform_work_group_size: 1
    .uses_dynamic_stack: false
    .vgpr_count:     57
    .vgpr_spill_count: 0
    .wavefront_size: 32
    .workgroup_processor_mode: 1
  - .args:
      - .offset:         0
        .size:           4
        .value_kind:     by_value
      - .offset:         8
        .size:           8
        .value_kind:     by_value
      - .address_space:  global
        .offset:         16
        .size:           8
        .value_kind:     global_buffer
      - .address_space:  global
        .offset:         24
        .size:           8
        .value_kind:     global_buffer
      - .offset:         32
        .size:           8
        .value_kind:     by_value
      - .offset:         40
        .size:           8
        .value_kind:     by_value
      - .address_space:  global
        .offset:         48
        .size:           8
        .value_kind:     global_buffer
      - .offset:         56
        .size:           8
        .value_kind:     by_value
      - .offset:         64
        .size:           8
        .value_kind:     by_value
      - .address_space:  global
        .offset:         72
        .size:           8
        .value_kind:     global_buffer
      - .address_space:  global
        .offset:         80
        .size:           8
        .value_kind:     global_buffer
      - .offset:         88
        .size:           8
        .value_kind:     by_value
      - .offset:         96
        .size:           8
        .value_kind:     by_value
      - .offset:         104
        .size:           4
        .value_kind:     by_value
    .group_segment_fixed_size: 4096
    .kernarg_segment_align: 8
    .kernarg_segment_size: 108
    .language:       OpenCL C
    .language_version:
      - 2
      - 0
    .max_flat_workgroup_size: 256
    .name:           _ZL29rocblas_internal_gemmt_kernelIlLi16ELi32ELi8ELc78ELc78ELc85ELb0ELb0EdPKdPKS1_PKPdEviT_T9_T10_S7_lS9_S7_lS8_T11_S7_li
    .private_segment_fixed_size: 0
    .sgpr_count:     41
    .sgpr_spill_count: 0
    .symbol:         _ZL29rocblas_internal_gemmt_kernelIlLi16ELi32ELi8ELc78ELc78ELc85ELb0ELb0EdPKdPKS1_PKPdEviT_T9_T10_S7_lS9_S7_lS8_T11_S7_li.kd
    .uniform_work_group_size: 1
    .uses_dynamic_stack: false
    .vgpr_count:     54
    .vgpr_spill_count: 0
    .wavefront_size: 32
    .workgroup_processor_mode: 1
  - .args:
      - .offset:         0
        .size:           4
        .value_kind:     by_value
      - .offset:         8
        .size:           8
        .value_kind:     by_value
      - .address_space:  global
        .offset:         16
        .size:           8
        .value_kind:     global_buffer
      - .address_space:  global
        .offset:         24
        .size:           8
        .value_kind:     global_buffer
      - .offset:         32
        .size:           8
        .value_kind:     by_value
      - .offset:         40
        .size:           8
        .value_kind:     by_value
      - .address_space:  global
        .offset:         48
        .size:           8
        .value_kind:     global_buffer
      - .offset:         56
        .size:           8
        .value_kind:     by_value
      - .offset:         64
        .size:           8
        .value_kind:     by_value
      - .address_space:  global
        .offset:         72
        .size:           8
        .value_kind:     global_buffer
      - .address_space:  global
        .offset:         80
        .size:           8
        .value_kind:     global_buffer
      - .offset:         88
        .size:           8
        .value_kind:     by_value
      - .offset:         96
        .size:           8
        .value_kind:     by_value
      - .offset:         104
        .size:           4
        .value_kind:     by_value
    .group_segment_fixed_size: 4096
    .kernarg_segment_align: 8
    .kernarg_segment_size: 108
    .language:       OpenCL C
    .language_version:
      - 2
      - 0
    .max_flat_workgroup_size: 256
    .name:           _ZL29rocblas_internal_gemmt_kernelIlLi16ELi32ELi8ELc78ELc84ELc85ELb0ELb0EdPKdPKS1_PKPdEviT_T9_T10_S7_lS9_S7_lS8_T11_S7_li
    .private_segment_fixed_size: 0
    .sgpr_count:     41
    .sgpr_spill_count: 0
    .symbol:         _ZL29rocblas_internal_gemmt_kernelIlLi16ELi32ELi8ELc78ELc84ELc85ELb0ELb0EdPKdPKS1_PKPdEviT_T9_T10_S7_lS9_S7_lS8_T11_S7_li.kd
    .uniform_work_group_size: 1
    .uses_dynamic_stack: false
    .vgpr_count:     53
    .vgpr_spill_count: 0
    .wavefront_size: 32
    .workgroup_processor_mode: 1
  - .args:
      - .offset:         0
        .size:           4
        .value_kind:     by_value
      - .offset:         8
        .size:           8
        .value_kind:     by_value
      - .address_space:  global
        .offset:         16
        .size:           8
        .value_kind:     global_buffer
      - .address_space:  global
        .offset:         24
        .size:           8
        .value_kind:     global_buffer
      - .offset:         32
        .size:           8
        .value_kind:     by_value
      - .offset:         40
        .size:           8
        .value_kind:     by_value
      - .address_space:  global
        .offset:         48
        .size:           8
        .value_kind:     global_buffer
      - .offset:         56
        .size:           8
        .value_kind:     by_value
      - .offset:         64
        .size:           8
        .value_kind:     by_value
      - .address_space:  global
        .offset:         72
        .size:           8
        .value_kind:     global_buffer
      - .address_space:  global
        .offset:         80
        .size:           8
        .value_kind:     global_buffer
      - .offset:         88
        .size:           8
        .value_kind:     by_value
      - .offset:         96
        .size:           8
        .value_kind:     by_value
      - .offset:         104
        .size:           4
        .value_kind:     by_value
    .group_segment_fixed_size: 4096
    .kernarg_segment_align: 8
    .kernarg_segment_size: 108
    .language:       OpenCL C
    .language_version:
      - 2
      - 0
    .max_flat_workgroup_size: 256
    .name:           _ZL29rocblas_internal_gemmt_kernelIlLi16ELi32ELi8ELc78ELc67ELc85ELb0ELb0EdPKdPKS1_PKPdEviT_T9_T10_S7_lS9_S7_lS8_T11_S7_li
    .private_segment_fixed_size: 0
    .sgpr_count:     41
    .sgpr_spill_count: 0
    .symbol:         _ZL29rocblas_internal_gemmt_kernelIlLi16ELi32ELi8ELc78ELc67ELc85ELb0ELb0EdPKdPKS1_PKPdEviT_T9_T10_S7_lS9_S7_lS8_T11_S7_li.kd
    .uniform_work_group_size: 1
    .uses_dynamic_stack: false
    .vgpr_count:     53
    .vgpr_spill_count: 0
    .wavefront_size: 32
    .workgroup_processor_mode: 1
  - .args:
      - .offset:         0
        .size:           4
        .value_kind:     by_value
      - .offset:         8
        .size:           8
        .value_kind:     by_value
      - .address_space:  global
        .offset:         16
        .size:           8
        .value_kind:     global_buffer
      - .address_space:  global
        .offset:         24
        .size:           8
        .value_kind:     global_buffer
      - .offset:         32
        .size:           8
        .value_kind:     by_value
      - .offset:         40
        .size:           8
        .value_kind:     by_value
      - .address_space:  global
        .offset:         48
        .size:           8
        .value_kind:     global_buffer
      - .offset:         56
        .size:           8
        .value_kind:     by_value
      - .offset:         64
        .size:           8
        .value_kind:     by_value
      - .address_space:  global
        .offset:         72
        .size:           8
        .value_kind:     global_buffer
      - .address_space:  global
        .offset:         80
        .size:           8
        .value_kind:     global_buffer
      - .offset:         88
        .size:           8
        .value_kind:     by_value
      - .offset:         96
        .size:           8
        .value_kind:     by_value
      - .offset:         104
        .size:           4
        .value_kind:     by_value
    .group_segment_fixed_size: 4096
    .kernarg_segment_align: 8
    .kernarg_segment_size: 108
    .language:       OpenCL C
    .language_version:
      - 2
      - 0
    .max_flat_workgroup_size: 256
    .name:           _ZL29rocblas_internal_gemmt_kernelIlLi16ELi32ELi8ELc84ELc78ELc85ELb0ELb0EdPKdPKS1_PKPdEviT_T9_T10_S7_lS9_S7_lS8_T11_S7_li
    .private_segment_fixed_size: 0
    .sgpr_count:     39
    .sgpr_spill_count: 0
    .symbol:         _ZL29rocblas_internal_gemmt_kernelIlLi16ELi32ELi8ELc84ELc78ELc85ELb0ELb0EdPKdPKS1_PKPdEviT_T9_T10_S7_lS9_S7_lS8_T11_S7_li.kd
    .uniform_work_group_size: 1
    .uses_dynamic_stack: false
    .vgpr_count:     54
    .vgpr_spill_count: 0
    .wavefront_size: 32
    .workgroup_processor_mode: 1
  - .args:
      - .offset:         0
        .size:           4
        .value_kind:     by_value
      - .offset:         8
        .size:           8
        .value_kind:     by_value
      - .address_space:  global
        .offset:         16
        .size:           8
        .value_kind:     global_buffer
      - .address_space:  global
        .offset:         24
        .size:           8
        .value_kind:     global_buffer
      - .offset:         32
        .size:           8
        .value_kind:     by_value
      - .offset:         40
        .size:           8
        .value_kind:     by_value
      - .address_space:  global
        .offset:         48
        .size:           8
        .value_kind:     global_buffer
      - .offset:         56
        .size:           8
        .value_kind:     by_value
      - .offset:         64
        .size:           8
        .value_kind:     by_value
      - .address_space:  global
        .offset:         72
        .size:           8
        .value_kind:     global_buffer
      - .address_space:  global
        .offset:         80
        .size:           8
        .value_kind:     global_buffer
      - .offset:         88
        .size:           8
        .value_kind:     by_value
      - .offset:         96
        .size:           8
        .value_kind:     by_value
      - .offset:         104
        .size:           4
        .value_kind:     by_value
    .group_segment_fixed_size: 4096
    .kernarg_segment_align: 8
    .kernarg_segment_size: 108
    .language:       OpenCL C
    .language_version:
      - 2
      - 0
    .max_flat_workgroup_size: 256
    .name:           _ZL29rocblas_internal_gemmt_kernelIlLi16ELi32ELi8ELc84ELc84ELc85ELb0ELb0EdPKdPKS1_PKPdEviT_T9_T10_S7_lS9_S7_lS8_T11_S7_li
    .private_segment_fixed_size: 0
    .sgpr_count:     41
    .sgpr_spill_count: 0
    .symbol:         _ZL29rocblas_internal_gemmt_kernelIlLi16ELi32ELi8ELc84ELc84ELc85ELb0ELb0EdPKdPKS1_PKPdEviT_T9_T10_S7_lS9_S7_lS8_T11_S7_li.kd
    .uniform_work_group_size: 1
    .uses_dynamic_stack: false
    .vgpr_count:     53
    .vgpr_spill_count: 0
    .wavefront_size: 32
    .workgroup_processor_mode: 1
  - .args:
      - .offset:         0
        .size:           4
        .value_kind:     by_value
      - .offset:         8
        .size:           8
        .value_kind:     by_value
      - .address_space:  global
        .offset:         16
        .size:           8
        .value_kind:     global_buffer
      - .address_space:  global
        .offset:         24
        .size:           8
        .value_kind:     global_buffer
      - .offset:         32
        .size:           8
        .value_kind:     by_value
      - .offset:         40
        .size:           8
        .value_kind:     by_value
      - .address_space:  global
        .offset:         48
        .size:           8
        .value_kind:     global_buffer
      - .offset:         56
        .size:           8
        .value_kind:     by_value
      - .offset:         64
        .size:           8
        .value_kind:     by_value
      - .address_space:  global
        .offset:         72
        .size:           8
        .value_kind:     global_buffer
      - .address_space:  global
        .offset:         80
        .size:           8
        .value_kind:     global_buffer
      - .offset:         88
        .size:           8
        .value_kind:     by_value
      - .offset:         96
        .size:           8
        .value_kind:     by_value
      - .offset:         104
        .size:           4
        .value_kind:     by_value
    .group_segment_fixed_size: 4096
    .kernarg_segment_align: 8
    .kernarg_segment_size: 108
    .language:       OpenCL C
    .language_version:
      - 2
      - 0
    .max_flat_workgroup_size: 256
    .name:           _ZL29rocblas_internal_gemmt_kernelIlLi16ELi32ELi8ELc84ELc67ELc85ELb0ELb0EdPKdPKS1_PKPdEviT_T9_T10_S7_lS9_S7_lS8_T11_S7_li
    .private_segment_fixed_size: 0
    .sgpr_count:     41
    .sgpr_spill_count: 0
    .symbol:         _ZL29rocblas_internal_gemmt_kernelIlLi16ELi32ELi8ELc84ELc67ELc85ELb0ELb0EdPKdPKS1_PKPdEviT_T9_T10_S7_lS9_S7_lS8_T11_S7_li.kd
    .uniform_work_group_size: 1
    .uses_dynamic_stack: false
    .vgpr_count:     53
    .vgpr_spill_count: 0
    .wavefront_size: 32
    .workgroup_processor_mode: 1
  - .args:
      - .offset:         0
        .size:           4
        .value_kind:     by_value
      - .offset:         8
        .size:           8
        .value_kind:     by_value
      - .address_space:  global
        .offset:         16
        .size:           8
        .value_kind:     global_buffer
      - .address_space:  global
        .offset:         24
        .size:           8
        .value_kind:     global_buffer
      - .offset:         32
        .size:           8
        .value_kind:     by_value
      - .offset:         40
        .size:           8
        .value_kind:     by_value
      - .address_space:  global
        .offset:         48
        .size:           8
        .value_kind:     global_buffer
      - .offset:         56
        .size:           8
        .value_kind:     by_value
      - .offset:         64
        .size:           8
        .value_kind:     by_value
      - .address_space:  global
        .offset:         72
        .size:           8
        .value_kind:     global_buffer
      - .address_space:  global
        .offset:         80
        .size:           8
        .value_kind:     global_buffer
      - .offset:         88
        .size:           8
        .value_kind:     by_value
      - .offset:         96
        .size:           8
        .value_kind:     by_value
      - .offset:         104
        .size:           4
        .value_kind:     by_value
    .group_segment_fixed_size: 4096
    .kernarg_segment_align: 8
    .kernarg_segment_size: 108
    .language:       OpenCL C
    .language_version:
      - 2
      - 0
    .max_flat_workgroup_size: 256
    .name:           _ZL29rocblas_internal_gemmt_kernelIlLi16ELi32ELi8ELc67ELc78ELc85ELb0ELb0EdPKdPKS1_PKPdEviT_T9_T10_S7_lS9_S7_lS8_T11_S7_li
    .private_segment_fixed_size: 0
    .sgpr_count:     39
    .sgpr_spill_count: 0
    .symbol:         _ZL29rocblas_internal_gemmt_kernelIlLi16ELi32ELi8ELc67ELc78ELc85ELb0ELb0EdPKdPKS1_PKPdEviT_T9_T10_S7_lS9_S7_lS8_T11_S7_li.kd
    .uniform_work_group_size: 1
    .uses_dynamic_stack: false
    .vgpr_count:     54
    .vgpr_spill_count: 0
    .wavefront_size: 32
    .workgroup_processor_mode: 1
  - .args:
      - .offset:         0
        .size:           4
        .value_kind:     by_value
      - .offset:         8
        .size:           8
        .value_kind:     by_value
      - .address_space:  global
        .offset:         16
        .size:           8
        .value_kind:     global_buffer
      - .address_space:  global
        .offset:         24
        .size:           8
        .value_kind:     global_buffer
      - .offset:         32
        .size:           8
        .value_kind:     by_value
      - .offset:         40
        .size:           8
        .value_kind:     by_value
      - .address_space:  global
        .offset:         48
        .size:           8
        .value_kind:     global_buffer
      - .offset:         56
        .size:           8
        .value_kind:     by_value
      - .offset:         64
        .size:           8
        .value_kind:     by_value
      - .address_space:  global
        .offset:         72
        .size:           8
        .value_kind:     global_buffer
      - .address_space:  global
        .offset:         80
        .size:           8
        .value_kind:     global_buffer
      - .offset:         88
        .size:           8
        .value_kind:     by_value
      - .offset:         96
        .size:           8
        .value_kind:     by_value
      - .offset:         104
        .size:           4
        .value_kind:     by_value
    .group_segment_fixed_size: 4096
    .kernarg_segment_align: 8
    .kernarg_segment_size: 108
    .language:       OpenCL C
    .language_version:
      - 2
      - 0
    .max_flat_workgroup_size: 256
    .name:           _ZL29rocblas_internal_gemmt_kernelIlLi16ELi32ELi8ELc67ELc84ELc85ELb0ELb0EdPKdPKS1_PKPdEviT_T9_T10_S7_lS9_S7_lS8_T11_S7_li
    .private_segment_fixed_size: 0
    .sgpr_count:     41
    .sgpr_spill_count: 0
    .symbol:         _ZL29rocblas_internal_gemmt_kernelIlLi16ELi32ELi8ELc67ELc84ELc85ELb0ELb0EdPKdPKS1_PKPdEviT_T9_T10_S7_lS9_S7_lS8_T11_S7_li.kd
    .uniform_work_group_size: 1
    .uses_dynamic_stack: false
    .vgpr_count:     53
    .vgpr_spill_count: 0
    .wavefront_size: 32
    .workgroup_processor_mode: 1
  - .args:
      - .offset:         0
        .size:           4
        .value_kind:     by_value
      - .offset:         8
        .size:           8
        .value_kind:     by_value
      - .address_space:  global
        .offset:         16
        .size:           8
        .value_kind:     global_buffer
      - .address_space:  global
        .offset:         24
        .size:           8
        .value_kind:     global_buffer
      - .offset:         32
        .size:           8
        .value_kind:     by_value
      - .offset:         40
        .size:           8
        .value_kind:     by_value
      - .address_space:  global
        .offset:         48
        .size:           8
        .value_kind:     global_buffer
      - .offset:         56
        .size:           8
        .value_kind:     by_value
      - .offset:         64
        .size:           8
        .value_kind:     by_value
      - .address_space:  global
        .offset:         72
        .size:           8
        .value_kind:     global_buffer
      - .address_space:  global
        .offset:         80
        .size:           8
        .value_kind:     global_buffer
      - .offset:         88
        .size:           8
        .value_kind:     by_value
      - .offset:         96
        .size:           8
        .value_kind:     by_value
      - .offset:         104
        .size:           4
        .value_kind:     by_value
    .group_segment_fixed_size: 4096
    .kernarg_segment_align: 8
    .kernarg_segment_size: 108
    .language:       OpenCL C
    .language_version:
      - 2
      - 0
    .max_flat_workgroup_size: 256
    .name:           _ZL29rocblas_internal_gemmt_kernelIlLi16ELi32ELi8ELc67ELc67ELc85ELb0ELb0EdPKdPKS1_PKPdEviT_T9_T10_S7_lS9_S7_lS8_T11_S7_li
    .private_segment_fixed_size: 0
    .sgpr_count:     41
    .sgpr_spill_count: 0
    .symbol:         _ZL29rocblas_internal_gemmt_kernelIlLi16ELi32ELi8ELc67ELc67ELc85ELb0ELb0EdPKdPKS1_PKPdEviT_T9_T10_S7_lS9_S7_lS8_T11_S7_li.kd
    .uniform_work_group_size: 1
    .uses_dynamic_stack: false
    .vgpr_count:     53
    .vgpr_spill_count: 0
    .wavefront_size: 32
    .workgroup_processor_mode: 1
  - .args:
      - .offset:         0
        .size:           4
        .value_kind:     by_value
      - .offset:         8
        .size:           8
        .value_kind:     by_value
      - .address_space:  global
        .offset:         16
        .size:           8
        .value_kind:     global_buffer
      - .address_space:  global
        .offset:         24
        .size:           8
        .value_kind:     global_buffer
      - .offset:         32
        .size:           8
        .value_kind:     by_value
      - .offset:         40
        .size:           8
        .value_kind:     by_value
      - .address_space:  global
        .offset:         48
        .size:           8
        .value_kind:     global_buffer
      - .offset:         56
        .size:           8
        .value_kind:     by_value
      - .offset:         64
        .size:           8
        .value_kind:     by_value
      - .address_space:  global
        .offset:         72
        .size:           8
        .value_kind:     global_buffer
      - .address_space:  global
        .offset:         80
        .size:           8
        .value_kind:     global_buffer
      - .offset:         88
        .size:           8
        .value_kind:     by_value
      - .offset:         96
        .size:           8
        .value_kind:     by_value
      - .offset:         104
        .size:           4
        .value_kind:     by_value
    .group_segment_fixed_size: 4096
    .kernarg_segment_align: 8
    .kernarg_segment_size: 108
    .language:       OpenCL C
    .language_version:
      - 2
      - 0
    .max_flat_workgroup_size: 256
    .name:           _ZL29rocblas_internal_gemmt_kernelIlLi16ELi32ELi8ELc78ELc78ELc76ELb0ELb0EdPKdPKS1_PKPdEviT_T9_T10_S7_lS9_S7_lS8_T11_S7_li
    .private_segment_fixed_size: 0
    .sgpr_count:     41
    .sgpr_spill_count: 0
    .symbol:         _ZL29rocblas_internal_gemmt_kernelIlLi16ELi32ELi8ELc78ELc78ELc76ELb0ELb0EdPKdPKS1_PKPdEviT_T9_T10_S7_lS9_S7_lS8_T11_S7_li.kd
    .uniform_work_group_size: 1
    .uses_dynamic_stack: false
    .vgpr_count:     54
    .vgpr_spill_count: 0
    .wavefront_size: 32
    .workgroup_processor_mode: 1
  - .args:
      - .offset:         0
        .size:           4
        .value_kind:     by_value
      - .offset:         8
        .size:           8
        .value_kind:     by_value
      - .address_space:  global
        .offset:         16
        .size:           8
        .value_kind:     global_buffer
      - .address_space:  global
        .offset:         24
        .size:           8
        .value_kind:     global_buffer
      - .offset:         32
        .size:           8
        .value_kind:     by_value
      - .offset:         40
        .size:           8
        .value_kind:     by_value
      - .address_space:  global
        .offset:         48
        .size:           8
        .value_kind:     global_buffer
      - .offset:         56
        .size:           8
        .value_kind:     by_value
      - .offset:         64
        .size:           8
        .value_kind:     by_value
      - .address_space:  global
        .offset:         72
        .size:           8
        .value_kind:     global_buffer
      - .address_space:  global
        .offset:         80
        .size:           8
        .value_kind:     global_buffer
      - .offset:         88
        .size:           8
        .value_kind:     by_value
      - .offset:         96
        .size:           8
        .value_kind:     by_value
      - .offset:         104
        .size:           4
        .value_kind:     by_value
    .group_segment_fixed_size: 4096
    .kernarg_segment_align: 8
    .kernarg_segment_size: 108
    .language:       OpenCL C
    .language_version:
      - 2
      - 0
    .max_flat_workgroup_size: 256
    .name:           _ZL29rocblas_internal_gemmt_kernelIlLi16ELi32ELi8ELc78ELc84ELc76ELb0ELb0EdPKdPKS1_PKPdEviT_T9_T10_S7_lS9_S7_lS8_T11_S7_li
    .private_segment_fixed_size: 0
    .sgpr_count:     41
    .sgpr_spill_count: 0
    .symbol:         _ZL29rocblas_internal_gemmt_kernelIlLi16ELi32ELi8ELc78ELc84ELc76ELb0ELb0EdPKdPKS1_PKPdEviT_T9_T10_S7_lS9_S7_lS8_T11_S7_li.kd
    .uniform_work_group_size: 1
    .uses_dynamic_stack: false
    .vgpr_count:     53
    .vgpr_spill_count: 0
    .wavefront_size: 32
    .workgroup_processor_mode: 1
  - .args:
      - .offset:         0
        .size:           4
        .value_kind:     by_value
      - .offset:         8
        .size:           8
        .value_kind:     by_value
      - .address_space:  global
        .offset:         16
        .size:           8
        .value_kind:     global_buffer
      - .address_space:  global
        .offset:         24
        .size:           8
        .value_kind:     global_buffer
      - .offset:         32
        .size:           8
        .value_kind:     by_value
      - .offset:         40
        .size:           8
        .value_kind:     by_value
      - .address_space:  global
        .offset:         48
        .size:           8
        .value_kind:     global_buffer
      - .offset:         56
        .size:           8
        .value_kind:     by_value
      - .offset:         64
        .size:           8
        .value_kind:     by_value
      - .address_space:  global
        .offset:         72
        .size:           8
        .value_kind:     global_buffer
      - .address_space:  global
        .offset:         80
        .size:           8
        .value_kind:     global_buffer
      - .offset:         88
        .size:           8
        .value_kind:     by_value
      - .offset:         96
        .size:           8
        .value_kind:     by_value
      - .offset:         104
        .size:           4
        .value_kind:     by_value
    .group_segment_fixed_size: 4096
    .kernarg_segment_align: 8
    .kernarg_segment_size: 108
    .language:       OpenCL C
    .language_version:
      - 2
      - 0
    .max_flat_workgroup_size: 256
    .name:           _ZL29rocblas_internal_gemmt_kernelIlLi16ELi32ELi8ELc78ELc67ELc76ELb0ELb0EdPKdPKS1_PKPdEviT_T9_T10_S7_lS9_S7_lS8_T11_S7_li
    .private_segment_fixed_size: 0
    .sgpr_count:     41
    .sgpr_spill_count: 0
    .symbol:         _ZL29rocblas_internal_gemmt_kernelIlLi16ELi32ELi8ELc78ELc67ELc76ELb0ELb0EdPKdPKS1_PKPdEviT_T9_T10_S7_lS9_S7_lS8_T11_S7_li.kd
    .uniform_work_group_size: 1
    .uses_dynamic_stack: false
    .vgpr_count:     53
    .vgpr_spill_count: 0
    .wavefront_size: 32
    .workgroup_processor_mode: 1
  - .args:
      - .offset:         0
        .size:           4
        .value_kind:     by_value
      - .offset:         8
        .size:           8
        .value_kind:     by_value
      - .address_space:  global
        .offset:         16
        .size:           8
        .value_kind:     global_buffer
      - .address_space:  global
        .offset:         24
        .size:           8
        .value_kind:     global_buffer
      - .offset:         32
        .size:           8
        .value_kind:     by_value
      - .offset:         40
        .size:           8
        .value_kind:     by_value
      - .address_space:  global
        .offset:         48
        .size:           8
        .value_kind:     global_buffer
      - .offset:         56
        .size:           8
        .value_kind:     by_value
      - .offset:         64
        .size:           8
        .value_kind:     by_value
      - .address_space:  global
        .offset:         72
        .size:           8
        .value_kind:     global_buffer
      - .address_space:  global
        .offset:         80
        .size:           8
        .value_kind:     global_buffer
      - .offset:         88
        .size:           8
        .value_kind:     by_value
      - .offset:         96
        .size:           8
        .value_kind:     by_value
      - .offset:         104
        .size:           4
        .value_kind:     by_value
    .group_segment_fixed_size: 4096
    .kernarg_segment_align: 8
    .kernarg_segment_size: 108
    .language:       OpenCL C
    .language_version:
      - 2
      - 0
    .max_flat_workgroup_size: 256
    .name:           _ZL29rocblas_internal_gemmt_kernelIlLi16ELi32ELi8ELc84ELc78ELc76ELb0ELb0EdPKdPKS1_PKPdEviT_T9_T10_S7_lS9_S7_lS8_T11_S7_li
    .private_segment_fixed_size: 0
    .sgpr_count:     39
    .sgpr_spill_count: 0
    .symbol:         _ZL29rocblas_internal_gemmt_kernelIlLi16ELi32ELi8ELc84ELc78ELc76ELb0ELb0EdPKdPKS1_PKPdEviT_T9_T10_S7_lS9_S7_lS8_T11_S7_li.kd
    .uniform_work_group_size: 1
    .uses_dynamic_stack: false
    .vgpr_count:     54
    .vgpr_spill_count: 0
    .wavefront_size: 32
    .workgroup_processor_mode: 1
  - .args:
      - .offset:         0
        .size:           4
        .value_kind:     by_value
      - .offset:         8
        .size:           8
        .value_kind:     by_value
      - .address_space:  global
        .offset:         16
        .size:           8
        .value_kind:     global_buffer
      - .address_space:  global
        .offset:         24
        .size:           8
        .value_kind:     global_buffer
      - .offset:         32
        .size:           8
        .value_kind:     by_value
      - .offset:         40
        .size:           8
        .value_kind:     by_value
      - .address_space:  global
        .offset:         48
        .size:           8
        .value_kind:     global_buffer
      - .offset:         56
        .size:           8
        .value_kind:     by_value
      - .offset:         64
        .size:           8
        .value_kind:     by_value
      - .address_space:  global
        .offset:         72
        .size:           8
        .value_kind:     global_buffer
      - .address_space:  global
        .offset:         80
        .size:           8
        .value_kind:     global_buffer
      - .offset:         88
        .size:           8
        .value_kind:     by_value
      - .offset:         96
        .size:           8
        .value_kind:     by_value
      - .offset:         104
        .size:           4
        .value_kind:     by_value
    .group_segment_fixed_size: 4096
    .kernarg_segment_align: 8
    .kernarg_segment_size: 108
    .language:       OpenCL C
    .language_version:
      - 2
      - 0
    .max_flat_workgroup_size: 256
    .name:           _ZL29rocblas_internal_gemmt_kernelIlLi16ELi32ELi8ELc84ELc84ELc76ELb0ELb0EdPKdPKS1_PKPdEviT_T9_T10_S7_lS9_S7_lS8_T11_S7_li
    .private_segment_fixed_size: 0
    .sgpr_count:     41
    .sgpr_spill_count: 0
    .symbol:         _ZL29rocblas_internal_gemmt_kernelIlLi16ELi32ELi8ELc84ELc84ELc76ELb0ELb0EdPKdPKS1_PKPdEviT_T9_T10_S7_lS9_S7_lS8_T11_S7_li.kd
    .uniform_work_group_size: 1
    .uses_dynamic_stack: false
    .vgpr_count:     53
    .vgpr_spill_count: 0
    .wavefront_size: 32
    .workgroup_processor_mode: 1
  - .args:
      - .offset:         0
        .size:           4
        .value_kind:     by_value
      - .offset:         8
        .size:           8
        .value_kind:     by_value
      - .address_space:  global
        .offset:         16
        .size:           8
        .value_kind:     global_buffer
      - .address_space:  global
        .offset:         24
        .size:           8
        .value_kind:     global_buffer
      - .offset:         32
        .size:           8
        .value_kind:     by_value
      - .offset:         40
        .size:           8
        .value_kind:     by_value
      - .address_space:  global
        .offset:         48
        .size:           8
        .value_kind:     global_buffer
      - .offset:         56
        .size:           8
        .value_kind:     by_value
      - .offset:         64
        .size:           8
        .value_kind:     by_value
      - .address_space:  global
        .offset:         72
        .size:           8
        .value_kind:     global_buffer
      - .address_space:  global
        .offset:         80
        .size:           8
        .value_kind:     global_buffer
      - .offset:         88
        .size:           8
        .value_kind:     by_value
      - .offset:         96
        .size:           8
        .value_kind:     by_value
      - .offset:         104
        .size:           4
        .value_kind:     by_value
    .group_segment_fixed_size: 4096
    .kernarg_segment_align: 8
    .kernarg_segment_size: 108
    .language:       OpenCL C
    .language_version:
      - 2
      - 0
    .max_flat_workgroup_size: 256
    .name:           _ZL29rocblas_internal_gemmt_kernelIlLi16ELi32ELi8ELc84ELc67ELc76ELb0ELb0EdPKdPKS1_PKPdEviT_T9_T10_S7_lS9_S7_lS8_T11_S7_li
    .private_segment_fixed_size: 0
    .sgpr_count:     41
    .sgpr_spill_count: 0
    .symbol:         _ZL29rocblas_internal_gemmt_kernelIlLi16ELi32ELi8ELc84ELc67ELc76ELb0ELb0EdPKdPKS1_PKPdEviT_T9_T10_S7_lS9_S7_lS8_T11_S7_li.kd
    .uniform_work_group_size: 1
    .uses_dynamic_stack: false
    .vgpr_count:     53
    .vgpr_spill_count: 0
    .wavefront_size: 32
    .workgroup_processor_mode: 1
  - .args:
      - .offset:         0
        .size:           4
        .value_kind:     by_value
      - .offset:         8
        .size:           8
        .value_kind:     by_value
      - .address_space:  global
        .offset:         16
        .size:           8
        .value_kind:     global_buffer
      - .address_space:  global
        .offset:         24
        .size:           8
        .value_kind:     global_buffer
      - .offset:         32
        .size:           8
        .value_kind:     by_value
      - .offset:         40
        .size:           8
        .value_kind:     by_value
      - .address_space:  global
        .offset:         48
        .size:           8
        .value_kind:     global_buffer
      - .offset:         56
        .size:           8
        .value_kind:     by_value
      - .offset:         64
        .size:           8
        .value_kind:     by_value
      - .address_space:  global
        .offset:         72
        .size:           8
        .value_kind:     global_buffer
      - .address_space:  global
        .offset:         80
        .size:           8
        .value_kind:     global_buffer
      - .offset:         88
        .size:           8
        .value_kind:     by_value
      - .offset:         96
        .size:           8
        .value_kind:     by_value
      - .offset:         104
        .size:           4
        .value_kind:     by_value
    .group_segment_fixed_size: 4096
    .kernarg_segment_align: 8
    .kernarg_segment_size: 108
    .language:       OpenCL C
    .language_version:
      - 2
      - 0
    .max_flat_workgroup_size: 256
    .name:           _ZL29rocblas_internal_gemmt_kernelIlLi16ELi32ELi8ELc67ELc78ELc76ELb0ELb0EdPKdPKS1_PKPdEviT_T9_T10_S7_lS9_S7_lS8_T11_S7_li
    .private_segment_fixed_size: 0
    .sgpr_count:     39
    .sgpr_spill_count: 0
    .symbol:         _ZL29rocblas_internal_gemmt_kernelIlLi16ELi32ELi8ELc67ELc78ELc76ELb0ELb0EdPKdPKS1_PKPdEviT_T9_T10_S7_lS9_S7_lS8_T11_S7_li.kd
    .uniform_work_group_size: 1
    .uses_dynamic_stack: false
    .vgpr_count:     54
    .vgpr_spill_count: 0
    .wavefront_size: 32
    .workgroup_processor_mode: 1
  - .args:
      - .offset:         0
        .size:           4
        .value_kind:     by_value
      - .offset:         8
        .size:           8
        .value_kind:     by_value
      - .address_space:  global
        .offset:         16
        .size:           8
        .value_kind:     global_buffer
      - .address_space:  global
        .offset:         24
        .size:           8
        .value_kind:     global_buffer
      - .offset:         32
        .size:           8
        .value_kind:     by_value
      - .offset:         40
        .size:           8
        .value_kind:     by_value
      - .address_space:  global
        .offset:         48
        .size:           8
        .value_kind:     global_buffer
      - .offset:         56
        .size:           8
        .value_kind:     by_value
      - .offset:         64
        .size:           8
        .value_kind:     by_value
      - .address_space:  global
        .offset:         72
        .size:           8
        .value_kind:     global_buffer
      - .address_space:  global
        .offset:         80
        .size:           8
        .value_kind:     global_buffer
      - .offset:         88
        .size:           8
        .value_kind:     by_value
      - .offset:         96
        .size:           8
        .value_kind:     by_value
      - .offset:         104
        .size:           4
        .value_kind:     by_value
    .group_segment_fixed_size: 4096
    .kernarg_segment_align: 8
    .kernarg_segment_size: 108
    .language:       OpenCL C
    .language_version:
      - 2
      - 0
    .max_flat_workgroup_size: 256
    .name:           _ZL29rocblas_internal_gemmt_kernelIlLi16ELi32ELi8ELc67ELc84ELc76ELb0ELb0EdPKdPKS1_PKPdEviT_T9_T10_S7_lS9_S7_lS8_T11_S7_li
    .private_segment_fixed_size: 0
    .sgpr_count:     41
    .sgpr_spill_count: 0
    .symbol:         _ZL29rocblas_internal_gemmt_kernelIlLi16ELi32ELi8ELc67ELc84ELc76ELb0ELb0EdPKdPKS1_PKPdEviT_T9_T10_S7_lS9_S7_lS8_T11_S7_li.kd
    .uniform_work_group_size: 1
    .uses_dynamic_stack: false
    .vgpr_count:     53
    .vgpr_spill_count: 0
    .wavefront_size: 32
    .workgroup_processor_mode: 1
  - .args:
      - .offset:         0
        .size:           4
        .value_kind:     by_value
      - .offset:         8
        .size:           8
        .value_kind:     by_value
      - .address_space:  global
        .offset:         16
        .size:           8
        .value_kind:     global_buffer
      - .address_space:  global
        .offset:         24
        .size:           8
        .value_kind:     global_buffer
      - .offset:         32
        .size:           8
        .value_kind:     by_value
      - .offset:         40
        .size:           8
        .value_kind:     by_value
      - .address_space:  global
        .offset:         48
        .size:           8
        .value_kind:     global_buffer
      - .offset:         56
        .size:           8
        .value_kind:     by_value
      - .offset:         64
        .size:           8
        .value_kind:     by_value
      - .address_space:  global
        .offset:         72
        .size:           8
        .value_kind:     global_buffer
      - .address_space:  global
        .offset:         80
        .size:           8
        .value_kind:     global_buffer
      - .offset:         88
        .size:           8
        .value_kind:     by_value
      - .offset:         96
        .size:           8
        .value_kind:     by_value
      - .offset:         104
        .size:           4
        .value_kind:     by_value
    .group_segment_fixed_size: 4096
    .kernarg_segment_align: 8
    .kernarg_segment_size: 108
    .language:       OpenCL C
    .language_version:
      - 2
      - 0
    .max_flat_workgroup_size: 256
    .name:           _ZL29rocblas_internal_gemmt_kernelIlLi16ELi32ELi8ELc67ELc67ELc76ELb0ELb0EdPKdPKS1_PKPdEviT_T9_T10_S7_lS9_S7_lS8_T11_S7_li
    .private_segment_fixed_size: 0
    .sgpr_count:     41
    .sgpr_spill_count: 0
    .symbol:         _ZL29rocblas_internal_gemmt_kernelIlLi16ELi32ELi8ELc67ELc67ELc76ELb0ELb0EdPKdPKS1_PKPdEviT_T9_T10_S7_lS9_S7_lS8_T11_S7_li.kd
    .uniform_work_group_size: 1
    .uses_dynamic_stack: false
    .vgpr_count:     53
    .vgpr_spill_count: 0
    .wavefront_size: 32
    .workgroup_processor_mode: 1
  - .args:
      - .offset:         0
        .size:           4
        .value_kind:     by_value
      - .offset:         8
        .size:           8
        .value_kind:     by_value
      - .offset:         16
        .size:           8
        .value_kind:     by_value
      - .address_space:  global
        .offset:         24
        .size:           8
        .value_kind:     global_buffer
      - .offset:         32
        .size:           8
        .value_kind:     by_value
      - .offset:         40
        .size:           8
        .value_kind:     by_value
      - .address_space:  global
        .offset:         48
        .size:           8
        .value_kind:     global_buffer
      - .offset:         56
        .size:           8
        .value_kind:     by_value
      - .offset:         64
        .size:           8
        .value_kind:     by_value
      - .offset:         72
        .size:           8
        .value_kind:     by_value
      - .address_space:  global
        .offset:         80
        .size:           8
        .value_kind:     global_buffer
      - .offset:         88
        .size:           8
        .value_kind:     by_value
      - .offset:         96
        .size:           8
        .value_kind:     by_value
      - .offset:         104
        .size:           4
        .value_kind:     by_value
    .group_segment_fixed_size: 4096
    .kernarg_segment_align: 8
    .kernarg_segment_size: 108
    .language:       OpenCL C
    .language_version:
      - 2
      - 0
    .max_flat_workgroup_size: 256
    .name:           _ZL29rocblas_internal_gemmt_kernelIlLi16ELi32ELi8ELc78ELc78ELc85ELb0ELb0EddPKPKdPKPdEviT_T9_T10_S7_lS9_S7_lS8_T11_S7_li
    .private_segment_fixed_size: 0
    .sgpr_count:     41
    .sgpr_spill_count: 0
    .symbol:         _ZL29rocblas_internal_gemmt_kernelIlLi16ELi32ELi8ELc78ELc78ELc85ELb0ELb0EddPKPKdPKPdEviT_T9_T10_S7_lS9_S7_lS8_T11_S7_li.kd
    .uniform_work_group_size: 1
    .uses_dynamic_stack: false
    .vgpr_count:     54
    .vgpr_spill_count: 0
    .wavefront_size: 32
    .workgroup_processor_mode: 1
  - .args:
      - .offset:         0
        .size:           4
        .value_kind:     by_value
      - .offset:         8
        .size:           8
        .value_kind:     by_value
      - .offset:         16
        .size:           8
        .value_kind:     by_value
      - .address_space:  global
        .offset:         24
        .size:           8
        .value_kind:     global_buffer
      - .offset:         32
        .size:           8
        .value_kind:     by_value
      - .offset:         40
        .size:           8
        .value_kind:     by_value
      - .address_space:  global
        .offset:         48
        .size:           8
        .value_kind:     global_buffer
      - .offset:         56
        .size:           8
        .value_kind:     by_value
      - .offset:         64
        .size:           8
        .value_kind:     by_value
      - .offset:         72
        .size:           8
        .value_kind:     by_value
      - .address_space:  global
        .offset:         80
        .size:           8
        .value_kind:     global_buffer
      - .offset:         88
        .size:           8
        .value_kind:     by_value
      - .offset:         96
        .size:           8
        .value_kind:     by_value
      - .offset:         104
        .size:           4
        .value_kind:     by_value
    .group_segment_fixed_size: 4096
    .kernarg_segment_align: 8
    .kernarg_segment_size: 108
    .language:       OpenCL C
    .language_version:
      - 2
      - 0
    .max_flat_workgroup_size: 256
    .name:           _ZL29rocblas_internal_gemmt_kernelIlLi16ELi32ELi8ELc78ELc84ELc85ELb0ELb0EddPKPKdPKPdEviT_T9_T10_S7_lS9_S7_lS8_T11_S7_li
    .private_segment_fixed_size: 0
    .sgpr_count:     41
    .sgpr_spill_count: 0
    .symbol:         _ZL29rocblas_internal_gemmt_kernelIlLi16ELi32ELi8ELc78ELc84ELc85ELb0ELb0EddPKPKdPKPdEviT_T9_T10_S7_lS9_S7_lS8_T11_S7_li.kd
    .uniform_work_group_size: 1
    .uses_dynamic_stack: false
    .vgpr_count:     53
    .vgpr_spill_count: 0
    .wavefront_size: 32
    .workgroup_processor_mode: 1
  - .args:
      - .offset:         0
        .size:           4
        .value_kind:     by_value
      - .offset:         8
        .size:           8
        .value_kind:     by_value
      - .offset:         16
        .size:           8
        .value_kind:     by_value
      - .address_space:  global
        .offset:         24
        .size:           8
        .value_kind:     global_buffer
      - .offset:         32
        .size:           8
        .value_kind:     by_value
      - .offset:         40
        .size:           8
        .value_kind:     by_value
      - .address_space:  global
        .offset:         48
        .size:           8
        .value_kind:     global_buffer
      - .offset:         56
        .size:           8
        .value_kind:     by_value
      - .offset:         64
        .size:           8
        .value_kind:     by_value
      - .offset:         72
        .size:           8
        .value_kind:     by_value
      - .address_space:  global
        .offset:         80
        .size:           8
        .value_kind:     global_buffer
      - .offset:         88
        .size:           8
        .value_kind:     by_value
      - .offset:         96
        .size:           8
        .value_kind:     by_value
      - .offset:         104
        .size:           4
        .value_kind:     by_value
    .group_segment_fixed_size: 4096
    .kernarg_segment_align: 8
    .kernarg_segment_size: 108
    .language:       OpenCL C
    .language_version:
      - 2
      - 0
    .max_flat_workgroup_size: 256
    .name:           _ZL29rocblas_internal_gemmt_kernelIlLi16ELi32ELi8ELc78ELc67ELc85ELb0ELb0EddPKPKdPKPdEviT_T9_T10_S7_lS9_S7_lS8_T11_S7_li
    .private_segment_fixed_size: 0
    .sgpr_count:     41
    .sgpr_spill_count: 0
    .symbol:         _ZL29rocblas_internal_gemmt_kernelIlLi16ELi32ELi8ELc78ELc67ELc85ELb0ELb0EddPKPKdPKPdEviT_T9_T10_S7_lS9_S7_lS8_T11_S7_li.kd
    .uniform_work_group_size: 1
    .uses_dynamic_stack: false
    .vgpr_count:     53
    .vgpr_spill_count: 0
    .wavefront_size: 32
    .workgroup_processor_mode: 1
  - .args:
      - .offset:         0
        .size:           4
        .value_kind:     by_value
      - .offset:         8
        .size:           8
        .value_kind:     by_value
      - .offset:         16
        .size:           8
        .value_kind:     by_value
      - .address_space:  global
        .offset:         24
        .size:           8
        .value_kind:     global_buffer
      - .offset:         32
        .size:           8
        .value_kind:     by_value
      - .offset:         40
        .size:           8
        .value_kind:     by_value
      - .address_space:  global
        .offset:         48
        .size:           8
        .value_kind:     global_buffer
      - .offset:         56
        .size:           8
        .value_kind:     by_value
      - .offset:         64
        .size:           8
        .value_kind:     by_value
      - .offset:         72
        .size:           8
        .value_kind:     by_value
      - .address_space:  global
        .offset:         80
        .size:           8
        .value_kind:     global_buffer
      - .offset:         88
        .size:           8
        .value_kind:     by_value
      - .offset:         96
        .size:           8
        .value_kind:     by_value
      - .offset:         104
        .size:           4
        .value_kind:     by_value
    .group_segment_fixed_size: 4096
    .kernarg_segment_align: 8
    .kernarg_segment_size: 108
    .language:       OpenCL C
    .language_version:
      - 2
      - 0
    .max_flat_workgroup_size: 256
    .name:           _ZL29rocblas_internal_gemmt_kernelIlLi16ELi32ELi8ELc84ELc78ELc85ELb0ELb0EddPKPKdPKPdEviT_T9_T10_S7_lS9_S7_lS8_T11_S7_li
    .private_segment_fixed_size: 0
    .sgpr_count:     39
    .sgpr_spill_count: 0
    .symbol:         _ZL29rocblas_internal_gemmt_kernelIlLi16ELi32ELi8ELc84ELc78ELc85ELb0ELb0EddPKPKdPKPdEviT_T9_T10_S7_lS9_S7_lS8_T11_S7_li.kd
    .uniform_work_group_size: 1
    .uses_dynamic_stack: false
    .vgpr_count:     54
    .vgpr_spill_count: 0
    .wavefront_size: 32
    .workgroup_processor_mode: 1
  - .args:
      - .offset:         0
        .size:           4
        .value_kind:     by_value
      - .offset:         8
        .size:           8
        .value_kind:     by_value
      - .offset:         16
        .size:           8
        .value_kind:     by_value
      - .address_space:  global
        .offset:         24
        .size:           8
        .value_kind:     global_buffer
      - .offset:         32
        .size:           8
        .value_kind:     by_value
      - .offset:         40
        .size:           8
        .value_kind:     by_value
      - .address_space:  global
        .offset:         48
        .size:           8
        .value_kind:     global_buffer
      - .offset:         56
        .size:           8
        .value_kind:     by_value
      - .offset:         64
        .size:           8
        .value_kind:     by_value
      - .offset:         72
        .size:           8
        .value_kind:     by_value
      - .address_space:  global
        .offset:         80
        .size:           8
        .value_kind:     global_buffer
      - .offset:         88
        .size:           8
        .value_kind:     by_value
      - .offset:         96
        .size:           8
        .value_kind:     by_value
      - .offset:         104
        .size:           4
        .value_kind:     by_value
    .group_segment_fixed_size: 4096
    .kernarg_segment_align: 8
    .kernarg_segment_size: 108
    .language:       OpenCL C
    .language_version:
      - 2
      - 0
    .max_flat_workgroup_size: 256
    .name:           _ZL29rocblas_internal_gemmt_kernelIlLi16ELi32ELi8ELc84ELc84ELc85ELb0ELb0EddPKPKdPKPdEviT_T9_T10_S7_lS9_S7_lS8_T11_S7_li
    .private_segment_fixed_size: 0
    .sgpr_count:     41
    .sgpr_spill_count: 0
    .symbol:         _ZL29rocblas_internal_gemmt_kernelIlLi16ELi32ELi8ELc84ELc84ELc85ELb0ELb0EddPKPKdPKPdEviT_T9_T10_S7_lS9_S7_lS8_T11_S7_li.kd
    .uniform_work_group_size: 1
    .uses_dynamic_stack: false
    .vgpr_count:     53
    .vgpr_spill_count: 0
    .wavefront_size: 32
    .workgroup_processor_mode: 1
  - .args:
      - .offset:         0
        .size:           4
        .value_kind:     by_value
      - .offset:         8
        .size:           8
        .value_kind:     by_value
      - .offset:         16
        .size:           8
        .value_kind:     by_value
      - .address_space:  global
        .offset:         24
        .size:           8
        .value_kind:     global_buffer
      - .offset:         32
        .size:           8
        .value_kind:     by_value
      - .offset:         40
        .size:           8
        .value_kind:     by_value
      - .address_space:  global
        .offset:         48
        .size:           8
        .value_kind:     global_buffer
      - .offset:         56
        .size:           8
        .value_kind:     by_value
      - .offset:         64
        .size:           8
        .value_kind:     by_value
      - .offset:         72
        .size:           8
        .value_kind:     by_value
      - .address_space:  global
        .offset:         80
        .size:           8
        .value_kind:     global_buffer
      - .offset:         88
        .size:           8
        .value_kind:     by_value
      - .offset:         96
        .size:           8
        .value_kind:     by_value
      - .offset:         104
        .size:           4
        .value_kind:     by_value
    .group_segment_fixed_size: 4096
    .kernarg_segment_align: 8
    .kernarg_segment_size: 108
    .language:       OpenCL C
    .language_version:
      - 2
      - 0
    .max_flat_workgroup_size: 256
    .name:           _ZL29rocblas_internal_gemmt_kernelIlLi16ELi32ELi8ELc84ELc67ELc85ELb0ELb0EddPKPKdPKPdEviT_T9_T10_S7_lS9_S7_lS8_T11_S7_li
    .private_segment_fixed_size: 0
    .sgpr_count:     41
    .sgpr_spill_count: 0
    .symbol:         _ZL29rocblas_internal_gemmt_kernelIlLi16ELi32ELi8ELc84ELc67ELc85ELb0ELb0EddPKPKdPKPdEviT_T9_T10_S7_lS9_S7_lS8_T11_S7_li.kd
    .uniform_work_group_size: 1
    .uses_dynamic_stack: false
    .vgpr_count:     53
    .vgpr_spill_count: 0
    .wavefront_size: 32
    .workgroup_processor_mode: 1
  - .args:
      - .offset:         0
        .size:           4
        .value_kind:     by_value
      - .offset:         8
        .size:           8
        .value_kind:     by_value
      - .offset:         16
        .size:           8
        .value_kind:     by_value
      - .address_space:  global
        .offset:         24
        .size:           8
        .value_kind:     global_buffer
      - .offset:         32
        .size:           8
        .value_kind:     by_value
      - .offset:         40
        .size:           8
        .value_kind:     by_value
      - .address_space:  global
        .offset:         48
        .size:           8
        .value_kind:     global_buffer
      - .offset:         56
        .size:           8
        .value_kind:     by_value
      - .offset:         64
        .size:           8
        .value_kind:     by_value
      - .offset:         72
        .size:           8
        .value_kind:     by_value
      - .address_space:  global
        .offset:         80
        .size:           8
        .value_kind:     global_buffer
      - .offset:         88
        .size:           8
        .value_kind:     by_value
      - .offset:         96
        .size:           8
        .value_kind:     by_value
      - .offset:         104
        .size:           4
        .value_kind:     by_value
    .group_segment_fixed_size: 4096
    .kernarg_segment_align: 8
    .kernarg_segment_size: 108
    .language:       OpenCL C
    .language_version:
      - 2
      - 0
    .max_flat_workgroup_size: 256
    .name:           _ZL29rocblas_internal_gemmt_kernelIlLi16ELi32ELi8ELc67ELc78ELc85ELb0ELb0EddPKPKdPKPdEviT_T9_T10_S7_lS9_S7_lS8_T11_S7_li
    .private_segment_fixed_size: 0
    .sgpr_count:     39
    .sgpr_spill_count: 0
    .symbol:         _ZL29rocblas_internal_gemmt_kernelIlLi16ELi32ELi8ELc67ELc78ELc85ELb0ELb0EddPKPKdPKPdEviT_T9_T10_S7_lS9_S7_lS8_T11_S7_li.kd
    .uniform_work_group_size: 1
    .uses_dynamic_stack: false
    .vgpr_count:     54
    .vgpr_spill_count: 0
    .wavefront_size: 32
    .workgroup_processor_mode: 1
  - .args:
      - .offset:         0
        .size:           4
        .value_kind:     by_value
      - .offset:         8
        .size:           8
        .value_kind:     by_value
      - .offset:         16
        .size:           8
        .value_kind:     by_value
      - .address_space:  global
        .offset:         24
        .size:           8
        .value_kind:     global_buffer
      - .offset:         32
        .size:           8
        .value_kind:     by_value
      - .offset:         40
        .size:           8
        .value_kind:     by_value
      - .address_space:  global
        .offset:         48
        .size:           8
        .value_kind:     global_buffer
      - .offset:         56
        .size:           8
        .value_kind:     by_value
      - .offset:         64
        .size:           8
        .value_kind:     by_value
      - .offset:         72
        .size:           8
        .value_kind:     by_value
      - .address_space:  global
        .offset:         80
        .size:           8
        .value_kind:     global_buffer
      - .offset:         88
        .size:           8
        .value_kind:     by_value
      - .offset:         96
        .size:           8
        .value_kind:     by_value
      - .offset:         104
        .size:           4
        .value_kind:     by_value
    .group_segment_fixed_size: 4096
    .kernarg_segment_align: 8
    .kernarg_segment_size: 108
    .language:       OpenCL C
    .language_version:
      - 2
      - 0
    .max_flat_workgroup_size: 256
    .name:           _ZL29rocblas_internal_gemmt_kernelIlLi16ELi32ELi8ELc67ELc84ELc85ELb0ELb0EddPKPKdPKPdEviT_T9_T10_S7_lS9_S7_lS8_T11_S7_li
    .private_segment_fixed_size: 0
    .sgpr_count:     41
    .sgpr_spill_count: 0
    .symbol:         _ZL29rocblas_internal_gemmt_kernelIlLi16ELi32ELi8ELc67ELc84ELc85ELb0ELb0EddPKPKdPKPdEviT_T9_T10_S7_lS9_S7_lS8_T11_S7_li.kd
    .uniform_work_group_size: 1
    .uses_dynamic_stack: false
    .vgpr_count:     53
    .vgpr_spill_count: 0
    .wavefront_size: 32
    .workgroup_processor_mode: 1
  - .args:
      - .offset:         0
        .size:           4
        .value_kind:     by_value
      - .offset:         8
        .size:           8
        .value_kind:     by_value
      - .offset:         16
        .size:           8
        .value_kind:     by_value
      - .address_space:  global
        .offset:         24
        .size:           8
        .value_kind:     global_buffer
      - .offset:         32
        .size:           8
        .value_kind:     by_value
      - .offset:         40
        .size:           8
        .value_kind:     by_value
      - .address_space:  global
        .offset:         48
        .size:           8
        .value_kind:     global_buffer
      - .offset:         56
        .size:           8
        .value_kind:     by_value
      - .offset:         64
        .size:           8
        .value_kind:     by_value
      - .offset:         72
        .size:           8
        .value_kind:     by_value
      - .address_space:  global
        .offset:         80
        .size:           8
        .value_kind:     global_buffer
      - .offset:         88
        .size:           8
        .value_kind:     by_value
      - .offset:         96
        .size:           8
        .value_kind:     by_value
      - .offset:         104
        .size:           4
        .value_kind:     by_value
    .group_segment_fixed_size: 4096
    .kernarg_segment_align: 8
    .kernarg_segment_size: 108
    .language:       OpenCL C
    .language_version:
      - 2
      - 0
    .max_flat_workgroup_size: 256
    .name:           _ZL29rocblas_internal_gemmt_kernelIlLi16ELi32ELi8ELc67ELc67ELc85ELb0ELb0EddPKPKdPKPdEviT_T9_T10_S7_lS9_S7_lS8_T11_S7_li
    .private_segment_fixed_size: 0
    .sgpr_count:     41
    .sgpr_spill_count: 0
    .symbol:         _ZL29rocblas_internal_gemmt_kernelIlLi16ELi32ELi8ELc67ELc67ELc85ELb0ELb0EddPKPKdPKPdEviT_T9_T10_S7_lS9_S7_lS8_T11_S7_li.kd
    .uniform_work_group_size: 1
    .uses_dynamic_stack: false
    .vgpr_count:     53
    .vgpr_spill_count: 0
    .wavefront_size: 32
    .workgroup_processor_mode: 1
  - .args:
      - .offset:         0
        .size:           4
        .value_kind:     by_value
      - .offset:         8
        .size:           8
        .value_kind:     by_value
      - .offset:         16
        .size:           8
        .value_kind:     by_value
      - .address_space:  global
        .offset:         24
        .size:           8
        .value_kind:     global_buffer
      - .offset:         32
        .size:           8
        .value_kind:     by_value
      - .offset:         40
        .size:           8
        .value_kind:     by_value
      - .address_space:  global
        .offset:         48
        .size:           8
        .value_kind:     global_buffer
      - .offset:         56
        .size:           8
        .value_kind:     by_value
      - .offset:         64
        .size:           8
        .value_kind:     by_value
      - .offset:         72
        .size:           8
        .value_kind:     by_value
      - .address_space:  global
        .offset:         80
        .size:           8
        .value_kind:     global_buffer
      - .offset:         88
        .size:           8
        .value_kind:     by_value
      - .offset:         96
        .size:           8
        .value_kind:     by_value
      - .offset:         104
        .size:           4
        .value_kind:     by_value
    .group_segment_fixed_size: 4096
    .kernarg_segment_align: 8
    .kernarg_segment_size: 108
    .language:       OpenCL C
    .language_version:
      - 2
      - 0
    .max_flat_workgroup_size: 256
    .name:           _ZL29rocblas_internal_gemmt_kernelIlLi16ELi32ELi8ELc78ELc78ELc76ELb0ELb0EddPKPKdPKPdEviT_T9_T10_S7_lS9_S7_lS8_T11_S7_li
    .private_segment_fixed_size: 0
    .sgpr_count:     41
    .sgpr_spill_count: 0
    .symbol:         _ZL29rocblas_internal_gemmt_kernelIlLi16ELi32ELi8ELc78ELc78ELc76ELb0ELb0EddPKPKdPKPdEviT_T9_T10_S7_lS9_S7_lS8_T11_S7_li.kd
    .uniform_work_group_size: 1
    .uses_dynamic_stack: false
    .vgpr_count:     54
    .vgpr_spill_count: 0
    .wavefront_size: 32
    .workgroup_processor_mode: 1
  - .args:
      - .offset:         0
        .size:           4
        .value_kind:     by_value
      - .offset:         8
        .size:           8
        .value_kind:     by_value
      - .offset:         16
        .size:           8
        .value_kind:     by_value
      - .address_space:  global
        .offset:         24
        .size:           8
        .value_kind:     global_buffer
      - .offset:         32
        .size:           8
        .value_kind:     by_value
      - .offset:         40
        .size:           8
        .value_kind:     by_value
      - .address_space:  global
        .offset:         48
        .size:           8
        .value_kind:     global_buffer
      - .offset:         56
        .size:           8
        .value_kind:     by_value
      - .offset:         64
        .size:           8
        .value_kind:     by_value
      - .offset:         72
        .size:           8
        .value_kind:     by_value
      - .address_space:  global
        .offset:         80
        .size:           8
        .value_kind:     global_buffer
      - .offset:         88
        .size:           8
        .value_kind:     by_value
      - .offset:         96
        .size:           8
        .value_kind:     by_value
      - .offset:         104
        .size:           4
        .value_kind:     by_value
    .group_segment_fixed_size: 4096
    .kernarg_segment_align: 8
    .kernarg_segment_size: 108
    .language:       OpenCL C
    .language_version:
      - 2
      - 0
    .max_flat_workgroup_size: 256
    .name:           _ZL29rocblas_internal_gemmt_kernelIlLi16ELi32ELi8ELc78ELc84ELc76ELb0ELb0EddPKPKdPKPdEviT_T9_T10_S7_lS9_S7_lS8_T11_S7_li
    .private_segment_fixed_size: 0
    .sgpr_count:     41
    .sgpr_spill_count: 0
    .symbol:         _ZL29rocblas_internal_gemmt_kernelIlLi16ELi32ELi8ELc78ELc84ELc76ELb0ELb0EddPKPKdPKPdEviT_T9_T10_S7_lS9_S7_lS8_T11_S7_li.kd
    .uniform_work_group_size: 1
    .uses_dynamic_stack: false
    .vgpr_count:     53
    .vgpr_spill_count: 0
    .wavefront_size: 32
    .workgroup_processor_mode: 1
  - .args:
      - .offset:         0
        .size:           4
        .value_kind:     by_value
      - .offset:         8
        .size:           8
        .value_kind:     by_value
      - .offset:         16
        .size:           8
        .value_kind:     by_value
      - .address_space:  global
        .offset:         24
        .size:           8
        .value_kind:     global_buffer
      - .offset:         32
        .size:           8
        .value_kind:     by_value
      - .offset:         40
        .size:           8
        .value_kind:     by_value
      - .address_space:  global
        .offset:         48
        .size:           8
        .value_kind:     global_buffer
      - .offset:         56
        .size:           8
        .value_kind:     by_value
      - .offset:         64
        .size:           8
        .value_kind:     by_value
      - .offset:         72
        .size:           8
        .value_kind:     by_value
      - .address_space:  global
        .offset:         80
        .size:           8
        .value_kind:     global_buffer
      - .offset:         88
        .size:           8
        .value_kind:     by_value
      - .offset:         96
        .size:           8
        .value_kind:     by_value
      - .offset:         104
        .size:           4
        .value_kind:     by_value
    .group_segment_fixed_size: 4096
    .kernarg_segment_align: 8
    .kernarg_segment_size: 108
    .language:       OpenCL C
    .language_version:
      - 2
      - 0
    .max_flat_workgroup_size: 256
    .name:           _ZL29rocblas_internal_gemmt_kernelIlLi16ELi32ELi8ELc78ELc67ELc76ELb0ELb0EddPKPKdPKPdEviT_T9_T10_S7_lS9_S7_lS8_T11_S7_li
    .private_segment_fixed_size: 0
    .sgpr_count:     41
    .sgpr_spill_count: 0
    .symbol:         _ZL29rocblas_internal_gemmt_kernelIlLi16ELi32ELi8ELc78ELc67ELc76ELb0ELb0EddPKPKdPKPdEviT_T9_T10_S7_lS9_S7_lS8_T11_S7_li.kd
    .uniform_work_group_size: 1
    .uses_dynamic_stack: false
    .vgpr_count:     53
    .vgpr_spill_count: 0
    .wavefront_size: 32
    .workgroup_processor_mode: 1
  - .args:
      - .offset:         0
        .size:           4
        .value_kind:     by_value
      - .offset:         8
        .size:           8
        .value_kind:     by_value
      - .offset:         16
        .size:           8
        .value_kind:     by_value
      - .address_space:  global
        .offset:         24
        .size:           8
        .value_kind:     global_buffer
      - .offset:         32
        .size:           8
        .value_kind:     by_value
      - .offset:         40
        .size:           8
        .value_kind:     by_value
      - .address_space:  global
        .offset:         48
        .size:           8
        .value_kind:     global_buffer
      - .offset:         56
        .size:           8
        .value_kind:     by_value
      - .offset:         64
        .size:           8
        .value_kind:     by_value
      - .offset:         72
        .size:           8
        .value_kind:     by_value
      - .address_space:  global
        .offset:         80
        .size:           8
        .value_kind:     global_buffer
      - .offset:         88
        .size:           8
        .value_kind:     by_value
      - .offset:         96
        .size:           8
        .value_kind:     by_value
      - .offset:         104
        .size:           4
        .value_kind:     by_value
    .group_segment_fixed_size: 4096
    .kernarg_segment_align: 8
    .kernarg_segment_size: 108
    .language:       OpenCL C
    .language_version:
      - 2
      - 0
    .max_flat_workgroup_size: 256
    .name:           _ZL29rocblas_internal_gemmt_kernelIlLi16ELi32ELi8ELc84ELc78ELc76ELb0ELb0EddPKPKdPKPdEviT_T9_T10_S7_lS9_S7_lS8_T11_S7_li
    .private_segment_fixed_size: 0
    .sgpr_count:     39
    .sgpr_spill_count: 0
    .symbol:         _ZL29rocblas_internal_gemmt_kernelIlLi16ELi32ELi8ELc84ELc78ELc76ELb0ELb0EddPKPKdPKPdEviT_T9_T10_S7_lS9_S7_lS8_T11_S7_li.kd
    .uniform_work_group_size: 1
    .uses_dynamic_stack: false
    .vgpr_count:     54
    .vgpr_spill_count: 0
    .wavefront_size: 32
    .workgroup_processor_mode: 1
  - .args:
      - .offset:         0
        .size:           4
        .value_kind:     by_value
      - .offset:         8
        .size:           8
        .value_kind:     by_value
      - .offset:         16
        .size:           8
        .value_kind:     by_value
      - .address_space:  global
        .offset:         24
        .size:           8
        .value_kind:     global_buffer
      - .offset:         32
        .size:           8
        .value_kind:     by_value
      - .offset:         40
        .size:           8
        .value_kind:     by_value
      - .address_space:  global
        .offset:         48
        .size:           8
        .value_kind:     global_buffer
      - .offset:         56
        .size:           8
        .value_kind:     by_value
      - .offset:         64
        .size:           8
        .value_kind:     by_value
      - .offset:         72
        .size:           8
        .value_kind:     by_value
      - .address_space:  global
        .offset:         80
        .size:           8
        .value_kind:     global_buffer
      - .offset:         88
        .size:           8
        .value_kind:     by_value
      - .offset:         96
        .size:           8
        .value_kind:     by_value
      - .offset:         104
        .size:           4
        .value_kind:     by_value
    .group_segment_fixed_size: 4096
    .kernarg_segment_align: 8
    .kernarg_segment_size: 108
    .language:       OpenCL C
    .language_version:
      - 2
      - 0
    .max_flat_workgroup_size: 256
    .name:           _ZL29rocblas_internal_gemmt_kernelIlLi16ELi32ELi8ELc84ELc84ELc76ELb0ELb0EddPKPKdPKPdEviT_T9_T10_S7_lS9_S7_lS8_T11_S7_li
    .private_segment_fixed_size: 0
    .sgpr_count:     41
    .sgpr_spill_count: 0
    .symbol:         _ZL29rocblas_internal_gemmt_kernelIlLi16ELi32ELi8ELc84ELc84ELc76ELb0ELb0EddPKPKdPKPdEviT_T9_T10_S7_lS9_S7_lS8_T11_S7_li.kd
    .uniform_work_group_size: 1
    .uses_dynamic_stack: false
    .vgpr_count:     53
    .vgpr_spill_count: 0
    .wavefront_size: 32
    .workgroup_processor_mode: 1
  - .args:
      - .offset:         0
        .size:           4
        .value_kind:     by_value
      - .offset:         8
        .size:           8
        .value_kind:     by_value
      - .offset:         16
        .size:           8
        .value_kind:     by_value
      - .address_space:  global
        .offset:         24
        .size:           8
        .value_kind:     global_buffer
      - .offset:         32
        .size:           8
        .value_kind:     by_value
      - .offset:         40
        .size:           8
        .value_kind:     by_value
      - .address_space:  global
        .offset:         48
        .size:           8
        .value_kind:     global_buffer
      - .offset:         56
        .size:           8
        .value_kind:     by_value
      - .offset:         64
        .size:           8
        .value_kind:     by_value
      - .offset:         72
        .size:           8
        .value_kind:     by_value
      - .address_space:  global
        .offset:         80
        .size:           8
        .value_kind:     global_buffer
      - .offset:         88
        .size:           8
        .value_kind:     by_value
      - .offset:         96
        .size:           8
        .value_kind:     by_value
      - .offset:         104
        .size:           4
        .value_kind:     by_value
    .group_segment_fixed_size: 4096
    .kernarg_segment_align: 8
    .kernarg_segment_size: 108
    .language:       OpenCL C
    .language_version:
      - 2
      - 0
    .max_flat_workgroup_size: 256
    .name:           _ZL29rocblas_internal_gemmt_kernelIlLi16ELi32ELi8ELc84ELc67ELc76ELb0ELb0EddPKPKdPKPdEviT_T9_T10_S7_lS9_S7_lS8_T11_S7_li
    .private_segment_fixed_size: 0
    .sgpr_count:     41
    .sgpr_spill_count: 0
    .symbol:         _ZL29rocblas_internal_gemmt_kernelIlLi16ELi32ELi8ELc84ELc67ELc76ELb0ELb0EddPKPKdPKPdEviT_T9_T10_S7_lS9_S7_lS8_T11_S7_li.kd
    .uniform_work_group_size: 1
    .uses_dynamic_stack: false
    .vgpr_count:     53
    .vgpr_spill_count: 0
    .wavefront_size: 32
    .workgroup_processor_mode: 1
  - .args:
      - .offset:         0
        .size:           4
        .value_kind:     by_value
      - .offset:         8
        .size:           8
        .value_kind:     by_value
      - .offset:         16
        .size:           8
        .value_kind:     by_value
      - .address_space:  global
        .offset:         24
        .size:           8
        .value_kind:     global_buffer
      - .offset:         32
        .size:           8
        .value_kind:     by_value
      - .offset:         40
        .size:           8
        .value_kind:     by_value
      - .address_space:  global
        .offset:         48
        .size:           8
        .value_kind:     global_buffer
      - .offset:         56
        .size:           8
        .value_kind:     by_value
      - .offset:         64
        .size:           8
        .value_kind:     by_value
      - .offset:         72
        .size:           8
        .value_kind:     by_value
      - .address_space:  global
        .offset:         80
        .size:           8
        .value_kind:     global_buffer
      - .offset:         88
        .size:           8
        .value_kind:     by_value
      - .offset:         96
        .size:           8
        .value_kind:     by_value
      - .offset:         104
        .size:           4
        .value_kind:     by_value
    .group_segment_fixed_size: 4096
    .kernarg_segment_align: 8
    .kernarg_segment_size: 108
    .language:       OpenCL C
    .language_version:
      - 2
      - 0
    .max_flat_workgroup_size: 256
    .name:           _ZL29rocblas_internal_gemmt_kernelIlLi16ELi32ELi8ELc67ELc78ELc76ELb0ELb0EddPKPKdPKPdEviT_T9_T10_S7_lS9_S7_lS8_T11_S7_li
    .private_segment_fixed_size: 0
    .sgpr_count:     39
    .sgpr_spill_count: 0
    .symbol:         _ZL29rocblas_internal_gemmt_kernelIlLi16ELi32ELi8ELc67ELc78ELc76ELb0ELb0EddPKPKdPKPdEviT_T9_T10_S7_lS9_S7_lS8_T11_S7_li.kd
    .uniform_work_group_size: 1
    .uses_dynamic_stack: false
    .vgpr_count:     54
    .vgpr_spill_count: 0
    .wavefront_size: 32
    .workgroup_processor_mode: 1
  - .args:
      - .offset:         0
        .size:           4
        .value_kind:     by_value
      - .offset:         8
        .size:           8
        .value_kind:     by_value
      - .offset:         16
        .size:           8
        .value_kind:     by_value
      - .address_space:  global
        .offset:         24
        .size:           8
        .value_kind:     global_buffer
      - .offset:         32
        .size:           8
        .value_kind:     by_value
      - .offset:         40
        .size:           8
        .value_kind:     by_value
      - .address_space:  global
        .offset:         48
        .size:           8
        .value_kind:     global_buffer
      - .offset:         56
        .size:           8
        .value_kind:     by_value
      - .offset:         64
        .size:           8
        .value_kind:     by_value
      - .offset:         72
        .size:           8
        .value_kind:     by_value
      - .address_space:  global
        .offset:         80
        .size:           8
        .value_kind:     global_buffer
      - .offset:         88
        .size:           8
        .value_kind:     by_value
      - .offset:         96
        .size:           8
        .value_kind:     by_value
      - .offset:         104
        .size:           4
        .value_kind:     by_value
    .group_segment_fixed_size: 4096
    .kernarg_segment_align: 8
    .kernarg_segment_size: 108
    .language:       OpenCL C
    .language_version:
      - 2
      - 0
    .max_flat_workgroup_size: 256
    .name:           _ZL29rocblas_internal_gemmt_kernelIlLi16ELi32ELi8ELc67ELc84ELc76ELb0ELb0EddPKPKdPKPdEviT_T9_T10_S7_lS9_S7_lS8_T11_S7_li
    .private_segment_fixed_size: 0
    .sgpr_count:     41
    .sgpr_spill_count: 0
    .symbol:         _ZL29rocblas_internal_gemmt_kernelIlLi16ELi32ELi8ELc67ELc84ELc76ELb0ELb0EddPKPKdPKPdEviT_T9_T10_S7_lS9_S7_lS8_T11_S7_li.kd
    .uniform_work_group_size: 1
    .uses_dynamic_stack: false
    .vgpr_count:     53
    .vgpr_spill_count: 0
    .wavefront_size: 32
    .workgroup_processor_mode: 1
  - .args:
      - .offset:         0
        .size:           4
        .value_kind:     by_value
      - .offset:         8
        .size:           8
        .value_kind:     by_value
      - .offset:         16
        .size:           8
        .value_kind:     by_value
      - .address_space:  global
        .offset:         24
        .size:           8
        .value_kind:     global_buffer
      - .offset:         32
        .size:           8
        .value_kind:     by_value
      - .offset:         40
        .size:           8
        .value_kind:     by_value
      - .address_space:  global
        .offset:         48
        .size:           8
        .value_kind:     global_buffer
      - .offset:         56
        .size:           8
        .value_kind:     by_value
      - .offset:         64
        .size:           8
        .value_kind:     by_value
      - .offset:         72
        .size:           8
        .value_kind:     by_value
      - .address_space:  global
        .offset:         80
        .size:           8
        .value_kind:     global_buffer
      - .offset:         88
        .size:           8
        .value_kind:     by_value
      - .offset:         96
        .size:           8
        .value_kind:     by_value
      - .offset:         104
        .size:           4
        .value_kind:     by_value
    .group_segment_fixed_size: 4096
    .kernarg_segment_align: 8
    .kernarg_segment_size: 108
    .language:       OpenCL C
    .language_version:
      - 2
      - 0
    .max_flat_workgroup_size: 256
    .name:           _ZL29rocblas_internal_gemmt_kernelIlLi16ELi32ELi8ELc67ELc67ELc76ELb0ELb0EddPKPKdPKPdEviT_T9_T10_S7_lS9_S7_lS8_T11_S7_li
    .private_segment_fixed_size: 0
    .sgpr_count:     41
    .sgpr_spill_count: 0
    .symbol:         _ZL29rocblas_internal_gemmt_kernelIlLi16ELi32ELi8ELc67ELc67ELc76ELb0ELb0EddPKPKdPKPdEviT_T9_T10_S7_lS9_S7_lS8_T11_S7_li.kd
    .uniform_work_group_size: 1
    .uses_dynamic_stack: false
    .vgpr_count:     53
    .vgpr_spill_count: 0
    .wavefront_size: 32
    .workgroup_processor_mode: 1
  - .args:
      - .offset:         0
        .size:           4
        .value_kind:     by_value
      - .offset:         8
        .size:           8
        .value_kind:     by_value
      - .address_space:  global
        .offset:         16
        .size:           8
        .value_kind:     global_buffer
      - .address_space:  global
        .offset:         24
        .size:           8
        .value_kind:     global_buffer
      - .offset:         32
        .size:           8
        .value_kind:     by_value
      - .offset:         40
        .size:           8
        .value_kind:     by_value
      - .address_space:  global
        .offset:         48
        .size:           8
        .value_kind:     global_buffer
      - .offset:         56
        .size:           8
        .value_kind:     by_value
      - .offset:         64
        .size:           8
        .value_kind:     by_value
      - .address_space:  global
        .offset:         72
        .size:           8
        .value_kind:     global_buffer
      - .address_space:  global
        .offset:         80
        .size:           8
        .value_kind:     global_buffer
      - .offset:         88
        .size:           8
        .value_kind:     by_value
      - .offset:         96
        .size:           8
        .value_kind:     by_value
      - .offset:         104
        .size:           4
        .value_kind:     by_value
    .group_segment_fixed_size: 4096
    .kernarg_segment_align: 8
    .kernarg_segment_size: 108
    .language:       OpenCL C
    .language_version:
      - 2
      - 0
    .max_flat_workgroup_size: 256
    .name:           _ZL29rocblas_internal_gemmt_kernelIlLi16ELi32ELi8ELc78ELc78ELc85ELb0ELb0E19rocblas_complex_numIfEPKS1_PKS3_PKPS1_EviT_T9_T10_S9_lSB_S9_lSA_T11_S9_li
    .private_segment_fixed_size: 0
    .sgpr_count:     41
    .sgpr_spill_count: 0
    .symbol:         _ZL29rocblas_internal_gemmt_kernelIlLi16ELi32ELi8ELc78ELc78ELc85ELb0ELb0E19rocblas_complex_numIfEPKS1_PKS3_PKPS1_EviT_T9_T10_S9_lSB_S9_lSA_T11_S9_li.kd
    .uniform_work_group_size: 1
    .uses_dynamic_stack: false
    .vgpr_count:     73
    .vgpr_spill_count: 0
    .wavefront_size: 32
    .workgroup_processor_mode: 1
  - .args:
      - .offset:         0
        .size:           4
        .value_kind:     by_value
      - .offset:         8
        .size:           8
        .value_kind:     by_value
      - .address_space:  global
        .offset:         16
        .size:           8
        .value_kind:     global_buffer
      - .address_space:  global
        .offset:         24
        .size:           8
        .value_kind:     global_buffer
      - .offset:         32
        .size:           8
        .value_kind:     by_value
      - .offset:         40
        .size:           8
        .value_kind:     by_value
      - .address_space:  global
        .offset:         48
        .size:           8
        .value_kind:     global_buffer
      - .offset:         56
        .size:           8
        .value_kind:     by_value
      - .offset:         64
        .size:           8
        .value_kind:     by_value
      - .address_space:  global
        .offset:         72
        .size:           8
        .value_kind:     global_buffer
      - .address_space:  global
        .offset:         80
        .size:           8
        .value_kind:     global_buffer
      - .offset:         88
        .size:           8
        .value_kind:     by_value
      - .offset:         96
        .size:           8
        .value_kind:     by_value
      - .offset:         104
        .size:           4
        .value_kind:     by_value
    .group_segment_fixed_size: 4096
    .kernarg_segment_align: 8
    .kernarg_segment_size: 108
    .language:       OpenCL C
    .language_version:
      - 2
      - 0
    .max_flat_workgroup_size: 256
    .name:           _ZL29rocblas_internal_gemmt_kernelIlLi16ELi32ELi8ELc78ELc84ELc85ELb0ELb0E19rocblas_complex_numIfEPKS1_PKS3_PKPS1_EviT_T9_T10_S9_lSB_S9_lSA_T11_S9_li
    .private_segment_fixed_size: 0
    .sgpr_count:     43
    .sgpr_spill_count: 0
    .symbol:         _ZL29rocblas_internal_gemmt_kernelIlLi16ELi32ELi8ELc78ELc84ELc85ELb0ELb0E19rocblas_complex_numIfEPKS1_PKS3_PKPS1_EviT_T9_T10_S9_lSB_S9_lSA_T11_S9_li.kd
    .uniform_work_group_size: 1
    .uses_dynamic_stack: false
    .vgpr_count:     72
    .vgpr_spill_count: 0
    .wavefront_size: 32
    .workgroup_processor_mode: 1
  - .args:
      - .offset:         0
        .size:           4
        .value_kind:     by_value
      - .offset:         8
        .size:           8
        .value_kind:     by_value
      - .address_space:  global
        .offset:         16
        .size:           8
        .value_kind:     global_buffer
      - .address_space:  global
        .offset:         24
        .size:           8
        .value_kind:     global_buffer
      - .offset:         32
        .size:           8
        .value_kind:     by_value
      - .offset:         40
        .size:           8
        .value_kind:     by_value
      - .address_space:  global
        .offset:         48
        .size:           8
        .value_kind:     global_buffer
      - .offset:         56
        .size:           8
        .value_kind:     by_value
      - .offset:         64
        .size:           8
        .value_kind:     by_value
      - .address_space:  global
        .offset:         72
        .size:           8
        .value_kind:     global_buffer
      - .address_space:  global
        .offset:         80
        .size:           8
        .value_kind:     global_buffer
      - .offset:         88
        .size:           8
        .value_kind:     by_value
      - .offset:         96
        .size:           8
        .value_kind:     by_value
      - .offset:         104
        .size:           4
        .value_kind:     by_value
    .group_segment_fixed_size: 4096
    .kernarg_segment_align: 8
    .kernarg_segment_size: 108
    .language:       OpenCL C
    .language_version:
      - 2
      - 0
    .max_flat_workgroup_size: 256
    .name:           _ZL29rocblas_internal_gemmt_kernelIlLi16ELi32ELi8ELc78ELc67ELc85ELb0ELb1E19rocblas_complex_numIfEPKS1_PKS3_PKPS1_EviT_T9_T10_S9_lSB_S9_lSA_T11_S9_li
    .private_segment_fixed_size: 0
    .sgpr_count:     43
    .sgpr_spill_count: 0
    .symbol:         _ZL29rocblas_internal_gemmt_kernelIlLi16ELi32ELi8ELc78ELc67ELc85ELb0ELb1E19rocblas_complex_numIfEPKS1_PKS3_PKPS1_EviT_T9_T10_S9_lSB_S9_lSA_T11_S9_li.kd
    .uniform_work_group_size: 1
    .uses_dynamic_stack: false
    .vgpr_count:     72
    .vgpr_spill_count: 0
    .wavefront_size: 32
    .workgroup_processor_mode: 1
  - .args:
      - .offset:         0
        .size:           4
        .value_kind:     by_value
      - .offset:         8
        .size:           8
        .value_kind:     by_value
      - .address_space:  global
        .offset:         16
        .size:           8
        .value_kind:     global_buffer
      - .address_space:  global
        .offset:         24
        .size:           8
        .value_kind:     global_buffer
      - .offset:         32
        .size:           8
        .value_kind:     by_value
      - .offset:         40
        .size:           8
        .value_kind:     by_value
      - .address_space:  global
        .offset:         48
        .size:           8
        .value_kind:     global_buffer
      - .offset:         56
        .size:           8
        .value_kind:     by_value
      - .offset:         64
        .size:           8
        .value_kind:     by_value
      - .address_space:  global
        .offset:         72
        .size:           8
        .value_kind:     global_buffer
      - .address_space:  global
        .offset:         80
        .size:           8
        .value_kind:     global_buffer
      - .offset:         88
        .size:           8
        .value_kind:     by_value
      - .offset:         96
        .size:           8
        .value_kind:     by_value
      - .offset:         104
        .size:           4
        .value_kind:     by_value
    .group_segment_fixed_size: 4096
    .kernarg_segment_align: 8
    .kernarg_segment_size: 108
    .language:       OpenCL C
    .language_version:
      - 2
      - 0
    .max_flat_workgroup_size: 256
    .name:           _ZL29rocblas_internal_gemmt_kernelIlLi16ELi32ELi8ELc84ELc78ELc85ELb0ELb0E19rocblas_complex_numIfEPKS1_PKS3_PKPS1_EviT_T9_T10_S9_lSB_S9_lSA_T11_S9_li
    .private_segment_fixed_size: 0
    .sgpr_count:     39
    .sgpr_spill_count: 0
    .symbol:         _ZL29rocblas_internal_gemmt_kernelIlLi16ELi32ELi8ELc84ELc78ELc85ELb0ELb0E19rocblas_complex_numIfEPKS1_PKS3_PKPS1_EviT_T9_T10_S9_lSB_S9_lSA_T11_S9_li.kd
    .uniform_work_group_size: 1
    .uses_dynamic_stack: false
    .vgpr_count:     73
    .vgpr_spill_count: 0
    .wavefront_size: 32
    .workgroup_processor_mode: 1
  - .args:
      - .offset:         0
        .size:           4
        .value_kind:     by_value
      - .offset:         8
        .size:           8
        .value_kind:     by_value
      - .address_space:  global
        .offset:         16
        .size:           8
        .value_kind:     global_buffer
      - .address_space:  global
        .offset:         24
        .size:           8
        .value_kind:     global_buffer
      - .offset:         32
        .size:           8
        .value_kind:     by_value
      - .offset:         40
        .size:           8
        .value_kind:     by_value
      - .address_space:  global
        .offset:         48
        .size:           8
        .value_kind:     global_buffer
      - .offset:         56
        .size:           8
        .value_kind:     by_value
      - .offset:         64
        .size:           8
        .value_kind:     by_value
      - .address_space:  global
        .offset:         72
        .size:           8
        .value_kind:     global_buffer
      - .address_space:  global
        .offset:         80
        .size:           8
        .value_kind:     global_buffer
      - .offset:         88
        .size:           8
        .value_kind:     by_value
      - .offset:         96
        .size:           8
        .value_kind:     by_value
      - .offset:         104
        .size:           4
        .value_kind:     by_value
    .group_segment_fixed_size: 4096
    .kernarg_segment_align: 8
    .kernarg_segment_size: 108
    .language:       OpenCL C
    .language_version:
      - 2
      - 0
    .max_flat_workgroup_size: 256
    .name:           _ZL29rocblas_internal_gemmt_kernelIlLi16ELi32ELi8ELc84ELc84ELc85ELb0ELb0E19rocblas_complex_numIfEPKS1_PKS3_PKPS1_EviT_T9_T10_S9_lSB_S9_lSA_T11_S9_li
    .private_segment_fixed_size: 0
    .sgpr_count:     41
    .sgpr_spill_count: 0
    .symbol:         _ZL29rocblas_internal_gemmt_kernelIlLi16ELi32ELi8ELc84ELc84ELc85ELb0ELb0E19rocblas_complex_numIfEPKS1_PKS3_PKPS1_EviT_T9_T10_S9_lSB_S9_lSA_T11_S9_li.kd
    .uniform_work_group_size: 1
    .uses_dynamic_stack: false
    .vgpr_count:     72
    .vgpr_spill_count: 0
    .wavefront_size: 32
    .workgroup_processor_mode: 1
  - .args:
      - .offset:         0
        .size:           4
        .value_kind:     by_value
      - .offset:         8
        .size:           8
        .value_kind:     by_value
      - .address_space:  global
        .offset:         16
        .size:           8
        .value_kind:     global_buffer
      - .address_space:  global
        .offset:         24
        .size:           8
        .value_kind:     global_buffer
      - .offset:         32
        .size:           8
        .value_kind:     by_value
      - .offset:         40
        .size:           8
        .value_kind:     by_value
      - .address_space:  global
        .offset:         48
        .size:           8
        .value_kind:     global_buffer
      - .offset:         56
        .size:           8
        .value_kind:     by_value
      - .offset:         64
        .size:           8
        .value_kind:     by_value
      - .address_space:  global
        .offset:         72
        .size:           8
        .value_kind:     global_buffer
      - .address_space:  global
        .offset:         80
        .size:           8
        .value_kind:     global_buffer
      - .offset:         88
        .size:           8
        .value_kind:     by_value
      - .offset:         96
        .size:           8
        .value_kind:     by_value
      - .offset:         104
        .size:           4
        .value_kind:     by_value
    .group_segment_fixed_size: 4096
    .kernarg_segment_align: 8
    .kernarg_segment_size: 108
    .language:       OpenCL C
    .language_version:
      - 2
      - 0
    .max_flat_workgroup_size: 256
    .name:           _ZL29rocblas_internal_gemmt_kernelIlLi16ELi32ELi8ELc84ELc67ELc85ELb0ELb1E19rocblas_complex_numIfEPKS1_PKS3_PKPS1_EviT_T9_T10_S9_lSB_S9_lSA_T11_S9_li
    .private_segment_fixed_size: 0
    .sgpr_count:     41
    .sgpr_spill_count: 0
    .symbol:         _ZL29rocblas_internal_gemmt_kernelIlLi16ELi32ELi8ELc84ELc67ELc85ELb0ELb1E19rocblas_complex_numIfEPKS1_PKS3_PKPS1_EviT_T9_T10_S9_lSB_S9_lSA_T11_S9_li.kd
    .uniform_work_group_size: 1
    .uses_dynamic_stack: false
    .vgpr_count:     72
    .vgpr_spill_count: 0
    .wavefront_size: 32
    .workgroup_processor_mode: 1
  - .args:
      - .offset:         0
        .size:           4
        .value_kind:     by_value
      - .offset:         8
        .size:           8
        .value_kind:     by_value
      - .address_space:  global
        .offset:         16
        .size:           8
        .value_kind:     global_buffer
      - .address_space:  global
        .offset:         24
        .size:           8
        .value_kind:     global_buffer
      - .offset:         32
        .size:           8
        .value_kind:     by_value
      - .offset:         40
        .size:           8
        .value_kind:     by_value
      - .address_space:  global
        .offset:         48
        .size:           8
        .value_kind:     global_buffer
      - .offset:         56
        .size:           8
        .value_kind:     by_value
      - .offset:         64
        .size:           8
        .value_kind:     by_value
      - .address_space:  global
        .offset:         72
        .size:           8
        .value_kind:     global_buffer
      - .address_space:  global
        .offset:         80
        .size:           8
        .value_kind:     global_buffer
      - .offset:         88
        .size:           8
        .value_kind:     by_value
      - .offset:         96
        .size:           8
        .value_kind:     by_value
      - .offset:         104
        .size:           4
        .value_kind:     by_value
    .group_segment_fixed_size: 4096
    .kernarg_segment_align: 8
    .kernarg_segment_size: 108
    .language:       OpenCL C
    .language_version:
      - 2
      - 0
    .max_flat_workgroup_size: 256
    .name:           _ZL29rocblas_internal_gemmt_kernelIlLi16ELi32ELi8ELc67ELc78ELc85ELb1ELb0E19rocblas_complex_numIfEPKS1_PKS3_PKPS1_EviT_T9_T10_S9_lSB_S9_lSA_T11_S9_li
    .private_segment_fixed_size: 0
    .sgpr_count:     39
    .sgpr_spill_count: 0
    .symbol:         _ZL29rocblas_internal_gemmt_kernelIlLi16ELi32ELi8ELc67ELc78ELc85ELb1ELb0E19rocblas_complex_numIfEPKS1_PKS3_PKPS1_EviT_T9_T10_S9_lSB_S9_lSA_T11_S9_li.kd
    .uniform_work_group_size: 1
    .uses_dynamic_stack: false
    .vgpr_count:     73
    .vgpr_spill_count: 0
    .wavefront_size: 32
    .workgroup_processor_mode: 1
  - .args:
      - .offset:         0
        .size:           4
        .value_kind:     by_value
      - .offset:         8
        .size:           8
        .value_kind:     by_value
      - .address_space:  global
        .offset:         16
        .size:           8
        .value_kind:     global_buffer
      - .address_space:  global
        .offset:         24
        .size:           8
        .value_kind:     global_buffer
      - .offset:         32
        .size:           8
        .value_kind:     by_value
      - .offset:         40
        .size:           8
        .value_kind:     by_value
      - .address_space:  global
        .offset:         48
        .size:           8
        .value_kind:     global_buffer
      - .offset:         56
        .size:           8
        .value_kind:     by_value
      - .offset:         64
        .size:           8
        .value_kind:     by_value
      - .address_space:  global
        .offset:         72
        .size:           8
        .value_kind:     global_buffer
      - .address_space:  global
        .offset:         80
        .size:           8
        .value_kind:     global_buffer
      - .offset:         88
        .size:           8
        .value_kind:     by_value
      - .offset:         96
        .size:           8
        .value_kind:     by_value
      - .offset:         104
        .size:           4
        .value_kind:     by_value
    .group_segment_fixed_size: 4096
    .kernarg_segment_align: 8
    .kernarg_segment_size: 108
    .language:       OpenCL C
    .language_version:
      - 2
      - 0
    .max_flat_workgroup_size: 256
    .name:           _ZL29rocblas_internal_gemmt_kernelIlLi16ELi32ELi8ELc67ELc84ELc85ELb1ELb0E19rocblas_complex_numIfEPKS1_PKS3_PKPS1_EviT_T9_T10_S9_lSB_S9_lSA_T11_S9_li
    .private_segment_fixed_size: 0
    .sgpr_count:     41
    .sgpr_spill_count: 0
    .symbol:         _ZL29rocblas_internal_gemmt_kernelIlLi16ELi32ELi8ELc67ELc84ELc85ELb1ELb0E19rocblas_complex_numIfEPKS1_PKS3_PKPS1_EviT_T9_T10_S9_lSB_S9_lSA_T11_S9_li.kd
    .uniform_work_group_size: 1
    .uses_dynamic_stack: false
    .vgpr_count:     72
    .vgpr_spill_count: 0
    .wavefront_size: 32
    .workgroup_processor_mode: 1
  - .args:
      - .offset:         0
        .size:           4
        .value_kind:     by_value
      - .offset:         8
        .size:           8
        .value_kind:     by_value
      - .address_space:  global
        .offset:         16
        .size:           8
        .value_kind:     global_buffer
      - .address_space:  global
        .offset:         24
        .size:           8
        .value_kind:     global_buffer
      - .offset:         32
        .size:           8
        .value_kind:     by_value
      - .offset:         40
        .size:           8
        .value_kind:     by_value
      - .address_space:  global
        .offset:         48
        .size:           8
        .value_kind:     global_buffer
      - .offset:         56
        .size:           8
        .value_kind:     by_value
      - .offset:         64
        .size:           8
        .value_kind:     by_value
      - .address_space:  global
        .offset:         72
        .size:           8
        .value_kind:     global_buffer
      - .address_space:  global
        .offset:         80
        .size:           8
        .value_kind:     global_buffer
      - .offset:         88
        .size:           8
        .value_kind:     by_value
      - .offset:         96
        .size:           8
        .value_kind:     by_value
      - .offset:         104
        .size:           4
        .value_kind:     by_value
    .group_segment_fixed_size: 4096
    .kernarg_segment_align: 8
    .kernarg_segment_size: 108
    .language:       OpenCL C
    .language_version:
      - 2
      - 0
    .max_flat_workgroup_size: 256
    .name:           _ZL29rocblas_internal_gemmt_kernelIlLi16ELi32ELi8ELc67ELc67ELc85ELb1ELb1E19rocblas_complex_numIfEPKS1_PKS3_PKPS1_EviT_T9_T10_S9_lSB_S9_lSA_T11_S9_li
    .private_segment_fixed_size: 0
    .sgpr_count:     41
    .sgpr_spill_count: 0
    .symbol:         _ZL29rocblas_internal_gemmt_kernelIlLi16ELi32ELi8ELc67ELc67ELc85ELb1ELb1E19rocblas_complex_numIfEPKS1_PKS3_PKPS1_EviT_T9_T10_S9_lSB_S9_lSA_T11_S9_li.kd
    .uniform_work_group_size: 1
    .uses_dynamic_stack: false
    .vgpr_count:     72
    .vgpr_spill_count: 0
    .wavefront_size: 32
    .workgroup_processor_mode: 1
  - .args:
      - .offset:         0
        .size:           4
        .value_kind:     by_value
      - .offset:         8
        .size:           8
        .value_kind:     by_value
      - .address_space:  global
        .offset:         16
        .size:           8
        .value_kind:     global_buffer
      - .address_space:  global
        .offset:         24
        .size:           8
        .value_kind:     global_buffer
      - .offset:         32
        .size:           8
        .value_kind:     by_value
      - .offset:         40
        .size:           8
        .value_kind:     by_value
      - .address_space:  global
        .offset:         48
        .size:           8
        .value_kind:     global_buffer
      - .offset:         56
        .size:           8
        .value_kind:     by_value
      - .offset:         64
        .size:           8
        .value_kind:     by_value
      - .address_space:  global
        .offset:         72
        .size:           8
        .value_kind:     global_buffer
      - .address_space:  global
        .offset:         80
        .size:           8
        .value_kind:     global_buffer
      - .offset:         88
        .size:           8
        .value_kind:     by_value
      - .offset:         96
        .size:           8
        .value_kind:     by_value
      - .offset:         104
        .size:           4
        .value_kind:     by_value
    .group_segment_fixed_size: 4096
    .kernarg_segment_align: 8
    .kernarg_segment_size: 108
    .language:       OpenCL C
    .language_version:
      - 2
      - 0
    .max_flat_workgroup_size: 256
    .name:           _ZL29rocblas_internal_gemmt_kernelIlLi16ELi32ELi8ELc78ELc78ELc76ELb0ELb0E19rocblas_complex_numIfEPKS1_PKS3_PKPS1_EviT_T9_T10_S9_lSB_S9_lSA_T11_S9_li
    .private_segment_fixed_size: 0
    .sgpr_count:     41
    .sgpr_spill_count: 0
    .symbol:         _ZL29rocblas_internal_gemmt_kernelIlLi16ELi32ELi8ELc78ELc78ELc76ELb0ELb0E19rocblas_complex_numIfEPKS1_PKS3_PKPS1_EviT_T9_T10_S9_lSB_S9_lSA_T11_S9_li.kd
    .uniform_work_group_size: 1
    .uses_dynamic_stack: false
    .vgpr_count:     73
    .vgpr_spill_count: 0
    .wavefront_size: 32
    .workgroup_processor_mode: 1
  - .args:
      - .offset:         0
        .size:           4
        .value_kind:     by_value
      - .offset:         8
        .size:           8
        .value_kind:     by_value
      - .address_space:  global
        .offset:         16
        .size:           8
        .value_kind:     global_buffer
      - .address_space:  global
        .offset:         24
        .size:           8
        .value_kind:     global_buffer
      - .offset:         32
        .size:           8
        .value_kind:     by_value
      - .offset:         40
        .size:           8
        .value_kind:     by_value
      - .address_space:  global
        .offset:         48
        .size:           8
        .value_kind:     global_buffer
      - .offset:         56
        .size:           8
        .value_kind:     by_value
      - .offset:         64
        .size:           8
        .value_kind:     by_value
      - .address_space:  global
        .offset:         72
        .size:           8
        .value_kind:     global_buffer
      - .address_space:  global
        .offset:         80
        .size:           8
        .value_kind:     global_buffer
      - .offset:         88
        .size:           8
        .value_kind:     by_value
      - .offset:         96
        .size:           8
        .value_kind:     by_value
      - .offset:         104
        .size:           4
        .value_kind:     by_value
    .group_segment_fixed_size: 4096
    .kernarg_segment_align: 8
    .kernarg_segment_size: 108
    .language:       OpenCL C
    .language_version:
      - 2
      - 0
    .max_flat_workgroup_size: 256
    .name:           _ZL29rocblas_internal_gemmt_kernelIlLi16ELi32ELi8ELc78ELc84ELc76ELb0ELb0E19rocblas_complex_numIfEPKS1_PKS3_PKPS1_EviT_T9_T10_S9_lSB_S9_lSA_T11_S9_li
    .private_segment_fixed_size: 0
    .sgpr_count:     43
    .sgpr_spill_count: 0
    .symbol:         _ZL29rocblas_internal_gemmt_kernelIlLi16ELi32ELi8ELc78ELc84ELc76ELb0ELb0E19rocblas_complex_numIfEPKS1_PKS3_PKPS1_EviT_T9_T10_S9_lSB_S9_lSA_T11_S9_li.kd
    .uniform_work_group_size: 1
    .uses_dynamic_stack: false
    .vgpr_count:     72
    .vgpr_spill_count: 0
    .wavefront_size: 32
    .workgroup_processor_mode: 1
  - .args:
      - .offset:         0
        .size:           4
        .value_kind:     by_value
      - .offset:         8
        .size:           8
        .value_kind:     by_value
      - .address_space:  global
        .offset:         16
        .size:           8
        .value_kind:     global_buffer
      - .address_space:  global
        .offset:         24
        .size:           8
        .value_kind:     global_buffer
      - .offset:         32
        .size:           8
        .value_kind:     by_value
      - .offset:         40
        .size:           8
        .value_kind:     by_value
      - .address_space:  global
        .offset:         48
        .size:           8
        .value_kind:     global_buffer
      - .offset:         56
        .size:           8
        .value_kind:     by_value
      - .offset:         64
        .size:           8
        .value_kind:     by_value
      - .address_space:  global
        .offset:         72
        .size:           8
        .value_kind:     global_buffer
      - .address_space:  global
        .offset:         80
        .size:           8
        .value_kind:     global_buffer
      - .offset:         88
        .size:           8
        .value_kind:     by_value
      - .offset:         96
        .size:           8
        .value_kind:     by_value
      - .offset:         104
        .size:           4
        .value_kind:     by_value
    .group_segment_fixed_size: 4096
    .kernarg_segment_align: 8
    .kernarg_segment_size: 108
    .language:       OpenCL C
    .language_version:
      - 2
      - 0
    .max_flat_workgroup_size: 256
    .name:           _ZL29rocblas_internal_gemmt_kernelIlLi16ELi32ELi8ELc78ELc67ELc76ELb0ELb1E19rocblas_complex_numIfEPKS1_PKS3_PKPS1_EviT_T9_T10_S9_lSB_S9_lSA_T11_S9_li
    .private_segment_fixed_size: 0
    .sgpr_count:     43
    .sgpr_spill_count: 0
    .symbol:         _ZL29rocblas_internal_gemmt_kernelIlLi16ELi32ELi8ELc78ELc67ELc76ELb0ELb1E19rocblas_complex_numIfEPKS1_PKS3_PKPS1_EviT_T9_T10_S9_lSB_S9_lSA_T11_S9_li.kd
    .uniform_work_group_size: 1
    .uses_dynamic_stack: false
    .vgpr_count:     72
    .vgpr_spill_count: 0
    .wavefront_size: 32
    .workgroup_processor_mode: 1
  - .args:
      - .offset:         0
        .size:           4
        .value_kind:     by_value
      - .offset:         8
        .size:           8
        .value_kind:     by_value
      - .address_space:  global
        .offset:         16
        .size:           8
        .value_kind:     global_buffer
      - .address_space:  global
        .offset:         24
        .size:           8
        .value_kind:     global_buffer
      - .offset:         32
        .size:           8
        .value_kind:     by_value
      - .offset:         40
        .size:           8
        .value_kind:     by_value
      - .address_space:  global
        .offset:         48
        .size:           8
        .value_kind:     global_buffer
      - .offset:         56
        .size:           8
        .value_kind:     by_value
      - .offset:         64
        .size:           8
        .value_kind:     by_value
      - .address_space:  global
        .offset:         72
        .size:           8
        .value_kind:     global_buffer
      - .address_space:  global
        .offset:         80
        .size:           8
        .value_kind:     global_buffer
      - .offset:         88
        .size:           8
        .value_kind:     by_value
      - .offset:         96
        .size:           8
        .value_kind:     by_value
      - .offset:         104
        .size:           4
        .value_kind:     by_value
    .group_segment_fixed_size: 4096
    .kernarg_segment_align: 8
    .kernarg_segment_size: 108
    .language:       OpenCL C
    .language_version:
      - 2
      - 0
    .max_flat_workgroup_size: 256
    .name:           _ZL29rocblas_internal_gemmt_kernelIlLi16ELi32ELi8ELc84ELc78ELc76ELb0ELb0E19rocblas_complex_numIfEPKS1_PKS3_PKPS1_EviT_T9_T10_S9_lSB_S9_lSA_T11_S9_li
    .private_segment_fixed_size: 0
    .sgpr_count:     39
    .sgpr_spill_count: 0
    .symbol:         _ZL29rocblas_internal_gemmt_kernelIlLi16ELi32ELi8ELc84ELc78ELc76ELb0ELb0E19rocblas_complex_numIfEPKS1_PKS3_PKPS1_EviT_T9_T10_S9_lSB_S9_lSA_T11_S9_li.kd
    .uniform_work_group_size: 1
    .uses_dynamic_stack: false
    .vgpr_count:     73
    .vgpr_spill_count: 0
    .wavefront_size: 32
    .workgroup_processor_mode: 1
  - .args:
      - .offset:         0
        .size:           4
        .value_kind:     by_value
      - .offset:         8
        .size:           8
        .value_kind:     by_value
      - .address_space:  global
        .offset:         16
        .size:           8
        .value_kind:     global_buffer
      - .address_space:  global
        .offset:         24
        .size:           8
        .value_kind:     global_buffer
      - .offset:         32
        .size:           8
        .value_kind:     by_value
      - .offset:         40
        .size:           8
        .value_kind:     by_value
      - .address_space:  global
        .offset:         48
        .size:           8
        .value_kind:     global_buffer
      - .offset:         56
        .size:           8
        .value_kind:     by_value
      - .offset:         64
        .size:           8
        .value_kind:     by_value
      - .address_space:  global
        .offset:         72
        .size:           8
        .value_kind:     global_buffer
      - .address_space:  global
        .offset:         80
        .size:           8
        .value_kind:     global_buffer
      - .offset:         88
        .size:           8
        .value_kind:     by_value
      - .offset:         96
        .size:           8
        .value_kind:     by_value
      - .offset:         104
        .size:           4
        .value_kind:     by_value
    .group_segment_fixed_size: 4096
    .kernarg_segment_align: 8
    .kernarg_segment_size: 108
    .language:       OpenCL C
    .language_version:
      - 2
      - 0
    .max_flat_workgroup_size: 256
    .name:           _ZL29rocblas_internal_gemmt_kernelIlLi16ELi32ELi8ELc84ELc84ELc76ELb0ELb0E19rocblas_complex_numIfEPKS1_PKS3_PKPS1_EviT_T9_T10_S9_lSB_S9_lSA_T11_S9_li
    .private_segment_fixed_size: 0
    .sgpr_count:     41
    .sgpr_spill_count: 0
    .symbol:         _ZL29rocblas_internal_gemmt_kernelIlLi16ELi32ELi8ELc84ELc84ELc76ELb0ELb0E19rocblas_complex_numIfEPKS1_PKS3_PKPS1_EviT_T9_T10_S9_lSB_S9_lSA_T11_S9_li.kd
    .uniform_work_group_size: 1
    .uses_dynamic_stack: false
    .vgpr_count:     72
    .vgpr_spill_count: 0
    .wavefront_size: 32
    .workgroup_processor_mode: 1
  - .args:
      - .offset:         0
        .size:           4
        .value_kind:     by_value
      - .offset:         8
        .size:           8
        .value_kind:     by_value
      - .address_space:  global
        .offset:         16
        .size:           8
        .value_kind:     global_buffer
      - .address_space:  global
        .offset:         24
        .size:           8
        .value_kind:     global_buffer
      - .offset:         32
        .size:           8
        .value_kind:     by_value
      - .offset:         40
        .size:           8
        .value_kind:     by_value
      - .address_space:  global
        .offset:         48
        .size:           8
        .value_kind:     global_buffer
      - .offset:         56
        .size:           8
        .value_kind:     by_value
      - .offset:         64
        .size:           8
        .value_kind:     by_value
      - .address_space:  global
        .offset:         72
        .size:           8
        .value_kind:     global_buffer
      - .address_space:  global
        .offset:         80
        .size:           8
        .value_kind:     global_buffer
      - .offset:         88
        .size:           8
        .value_kind:     by_value
      - .offset:         96
        .size:           8
        .value_kind:     by_value
      - .offset:         104
        .size:           4
        .value_kind:     by_value
    .group_segment_fixed_size: 4096
    .kernarg_segment_align: 8
    .kernarg_segment_size: 108
    .language:       OpenCL C
    .language_version:
      - 2
      - 0
    .max_flat_workgroup_size: 256
    .name:           _ZL29rocblas_internal_gemmt_kernelIlLi16ELi32ELi8ELc84ELc67ELc76ELb0ELb1E19rocblas_complex_numIfEPKS1_PKS3_PKPS1_EviT_T9_T10_S9_lSB_S9_lSA_T11_S9_li
    .private_segment_fixed_size: 0
    .sgpr_count:     41
    .sgpr_spill_count: 0
    .symbol:         _ZL29rocblas_internal_gemmt_kernelIlLi16ELi32ELi8ELc84ELc67ELc76ELb0ELb1E19rocblas_complex_numIfEPKS1_PKS3_PKPS1_EviT_T9_T10_S9_lSB_S9_lSA_T11_S9_li.kd
    .uniform_work_group_size: 1
    .uses_dynamic_stack: false
    .vgpr_count:     72
    .vgpr_spill_count: 0
    .wavefront_size: 32
    .workgroup_processor_mode: 1
  - .args:
      - .offset:         0
        .size:           4
        .value_kind:     by_value
      - .offset:         8
        .size:           8
        .value_kind:     by_value
      - .address_space:  global
        .offset:         16
        .size:           8
        .value_kind:     global_buffer
      - .address_space:  global
        .offset:         24
        .size:           8
        .value_kind:     global_buffer
      - .offset:         32
        .size:           8
        .value_kind:     by_value
      - .offset:         40
        .size:           8
        .value_kind:     by_value
      - .address_space:  global
        .offset:         48
        .size:           8
        .value_kind:     global_buffer
      - .offset:         56
        .size:           8
        .value_kind:     by_value
      - .offset:         64
        .size:           8
        .value_kind:     by_value
      - .address_space:  global
        .offset:         72
        .size:           8
        .value_kind:     global_buffer
      - .address_space:  global
        .offset:         80
        .size:           8
        .value_kind:     global_buffer
      - .offset:         88
        .size:           8
        .value_kind:     by_value
      - .offset:         96
        .size:           8
        .value_kind:     by_value
      - .offset:         104
        .size:           4
        .value_kind:     by_value
    .group_segment_fixed_size: 4096
    .kernarg_segment_align: 8
    .kernarg_segment_size: 108
    .language:       OpenCL C
    .language_version:
      - 2
      - 0
    .max_flat_workgroup_size: 256
    .name:           _ZL29rocblas_internal_gemmt_kernelIlLi16ELi32ELi8ELc67ELc78ELc76ELb1ELb0E19rocblas_complex_numIfEPKS1_PKS3_PKPS1_EviT_T9_T10_S9_lSB_S9_lSA_T11_S9_li
    .private_segment_fixed_size: 0
    .sgpr_count:     39
    .sgpr_spill_count: 0
    .symbol:         _ZL29rocblas_internal_gemmt_kernelIlLi16ELi32ELi8ELc67ELc78ELc76ELb1ELb0E19rocblas_complex_numIfEPKS1_PKS3_PKPS1_EviT_T9_T10_S9_lSB_S9_lSA_T11_S9_li.kd
    .uniform_work_group_size: 1
    .uses_dynamic_stack: false
    .vgpr_count:     73
    .vgpr_spill_count: 0
    .wavefront_size: 32
    .workgroup_processor_mode: 1
  - .args:
      - .offset:         0
        .size:           4
        .value_kind:     by_value
      - .offset:         8
        .size:           8
        .value_kind:     by_value
      - .address_space:  global
        .offset:         16
        .size:           8
        .value_kind:     global_buffer
      - .address_space:  global
        .offset:         24
        .size:           8
        .value_kind:     global_buffer
      - .offset:         32
        .size:           8
        .value_kind:     by_value
      - .offset:         40
        .size:           8
        .value_kind:     by_value
      - .address_space:  global
        .offset:         48
        .size:           8
        .value_kind:     global_buffer
      - .offset:         56
        .size:           8
        .value_kind:     by_value
      - .offset:         64
        .size:           8
        .value_kind:     by_value
      - .address_space:  global
        .offset:         72
        .size:           8
        .value_kind:     global_buffer
      - .address_space:  global
        .offset:         80
        .size:           8
        .value_kind:     global_buffer
      - .offset:         88
        .size:           8
        .value_kind:     by_value
      - .offset:         96
        .size:           8
        .value_kind:     by_value
      - .offset:         104
        .size:           4
        .value_kind:     by_value
    .group_segment_fixed_size: 4096
    .kernarg_segment_align: 8
    .kernarg_segment_size: 108
    .language:       OpenCL C
    .language_version:
      - 2
      - 0
    .max_flat_workgroup_size: 256
    .name:           _ZL29rocblas_internal_gemmt_kernelIlLi16ELi32ELi8ELc67ELc84ELc76ELb1ELb0E19rocblas_complex_numIfEPKS1_PKS3_PKPS1_EviT_T9_T10_S9_lSB_S9_lSA_T11_S9_li
    .private_segment_fixed_size: 0
    .sgpr_count:     41
    .sgpr_spill_count: 0
    .symbol:         _ZL29rocblas_internal_gemmt_kernelIlLi16ELi32ELi8ELc67ELc84ELc76ELb1ELb0E19rocblas_complex_numIfEPKS1_PKS3_PKPS1_EviT_T9_T10_S9_lSB_S9_lSA_T11_S9_li.kd
    .uniform_work_group_size: 1
    .uses_dynamic_stack: false
    .vgpr_count:     72
    .vgpr_spill_count: 0
    .wavefront_size: 32
    .workgroup_processor_mode: 1
  - .args:
      - .offset:         0
        .size:           4
        .value_kind:     by_value
      - .offset:         8
        .size:           8
        .value_kind:     by_value
      - .address_space:  global
        .offset:         16
        .size:           8
        .value_kind:     global_buffer
      - .address_space:  global
        .offset:         24
        .size:           8
        .value_kind:     global_buffer
      - .offset:         32
        .size:           8
        .value_kind:     by_value
      - .offset:         40
        .size:           8
        .value_kind:     by_value
      - .address_space:  global
        .offset:         48
        .size:           8
        .value_kind:     global_buffer
      - .offset:         56
        .size:           8
        .value_kind:     by_value
      - .offset:         64
        .size:           8
        .value_kind:     by_value
      - .address_space:  global
        .offset:         72
        .size:           8
        .value_kind:     global_buffer
      - .address_space:  global
        .offset:         80
        .size:           8
        .value_kind:     global_buffer
      - .offset:         88
        .size:           8
        .value_kind:     by_value
      - .offset:         96
        .size:           8
        .value_kind:     by_value
      - .offset:         104
        .size:           4
        .value_kind:     by_value
    .group_segment_fixed_size: 4096
    .kernarg_segment_align: 8
    .kernarg_segment_size: 108
    .language:       OpenCL C
    .language_version:
      - 2
      - 0
    .max_flat_workgroup_size: 256
    .name:           _ZL29rocblas_internal_gemmt_kernelIlLi16ELi32ELi8ELc67ELc67ELc76ELb1ELb1E19rocblas_complex_numIfEPKS1_PKS3_PKPS1_EviT_T9_T10_S9_lSB_S9_lSA_T11_S9_li
    .private_segment_fixed_size: 0
    .sgpr_count:     41
    .sgpr_spill_count: 0
    .symbol:         _ZL29rocblas_internal_gemmt_kernelIlLi16ELi32ELi8ELc67ELc67ELc76ELb1ELb1E19rocblas_complex_numIfEPKS1_PKS3_PKPS1_EviT_T9_T10_S9_lSB_S9_lSA_T11_S9_li.kd
    .uniform_work_group_size: 1
    .uses_dynamic_stack: false
    .vgpr_count:     72
    .vgpr_spill_count: 0
    .wavefront_size: 32
    .workgroup_processor_mode: 1
  - .args:
      - .offset:         0
        .size:           4
        .value_kind:     by_value
      - .offset:         8
        .size:           8
        .value_kind:     by_value
      - .offset:         16
        .size:           8
        .value_kind:     by_value
      - .address_space:  global
        .offset:         24
        .size:           8
        .value_kind:     global_buffer
      - .offset:         32
        .size:           8
        .value_kind:     by_value
      - .offset:         40
        .size:           8
        .value_kind:     by_value
      - .address_space:  global
        .offset:         48
        .size:           8
        .value_kind:     global_buffer
      - .offset:         56
        .size:           8
        .value_kind:     by_value
      - .offset:         64
        .size:           8
        .value_kind:     by_value
      - .offset:         72
        .size:           8
        .value_kind:     by_value
      - .address_space:  global
        .offset:         80
        .size:           8
        .value_kind:     global_buffer
      - .offset:         88
        .size:           8
        .value_kind:     by_value
      - .offset:         96
        .size:           8
        .value_kind:     by_value
      - .offset:         104
        .size:           4
        .value_kind:     by_value
    .group_segment_fixed_size: 4096
    .kernarg_segment_align: 8
    .kernarg_segment_size: 108
    .language:       OpenCL C
    .language_version:
      - 2
      - 0
    .max_flat_workgroup_size: 256
    .name:           _ZL29rocblas_internal_gemmt_kernelIlLi16ELi32ELi8ELc78ELc78ELc85ELb0ELb0E19rocblas_complex_numIfES1_PKPKS1_PKPS1_EviT_T9_T10_S9_lSB_S9_lSA_T11_S9_li
    .private_segment_fixed_size: 0
    .sgpr_count:     41
    .sgpr_spill_count: 0
    .symbol:         _ZL29rocblas_internal_gemmt_kernelIlLi16ELi32ELi8ELc78ELc78ELc85ELb0ELb0E19rocblas_complex_numIfES1_PKPKS1_PKPS1_EviT_T9_T10_S9_lSB_S9_lSA_T11_S9_li.kd
    .uniform_work_group_size: 1
    .uses_dynamic_stack: false
    .vgpr_count:     73
    .vgpr_spill_count: 0
    .wavefront_size: 32
    .workgroup_processor_mode: 1
  - .args:
      - .offset:         0
        .size:           4
        .value_kind:     by_value
      - .offset:         8
        .size:           8
        .value_kind:     by_value
      - .offset:         16
        .size:           8
        .value_kind:     by_value
      - .address_space:  global
        .offset:         24
        .size:           8
        .value_kind:     global_buffer
      - .offset:         32
        .size:           8
        .value_kind:     by_value
      - .offset:         40
        .size:           8
        .value_kind:     by_value
      - .address_space:  global
        .offset:         48
        .size:           8
        .value_kind:     global_buffer
      - .offset:         56
        .size:           8
        .value_kind:     by_value
      - .offset:         64
        .size:           8
        .value_kind:     by_value
      - .offset:         72
        .size:           8
        .value_kind:     by_value
      - .address_space:  global
        .offset:         80
        .size:           8
        .value_kind:     global_buffer
      - .offset:         88
        .size:           8
        .value_kind:     by_value
      - .offset:         96
        .size:           8
        .value_kind:     by_value
      - .offset:         104
        .size:           4
        .value_kind:     by_value
    .group_segment_fixed_size: 4096
    .kernarg_segment_align: 8
    .kernarg_segment_size: 108
    .language:       OpenCL C
    .language_version:
      - 2
      - 0
    .max_flat_workgroup_size: 256
    .name:           _ZL29rocblas_internal_gemmt_kernelIlLi16ELi32ELi8ELc78ELc84ELc85ELb0ELb0E19rocblas_complex_numIfES1_PKPKS1_PKPS1_EviT_T9_T10_S9_lSB_S9_lSA_T11_S9_li
    .private_segment_fixed_size: 0
    .sgpr_count:     43
    .sgpr_spill_count: 0
    .symbol:         _ZL29rocblas_internal_gemmt_kernelIlLi16ELi32ELi8ELc78ELc84ELc85ELb0ELb0E19rocblas_complex_numIfES1_PKPKS1_PKPS1_EviT_T9_T10_S9_lSB_S9_lSA_T11_S9_li.kd
    .uniform_work_group_size: 1
    .uses_dynamic_stack: false
    .vgpr_count:     72
    .vgpr_spill_count: 0
    .wavefront_size: 32
    .workgroup_processor_mode: 1
  - .args:
      - .offset:         0
        .size:           4
        .value_kind:     by_value
      - .offset:         8
        .size:           8
        .value_kind:     by_value
      - .offset:         16
        .size:           8
        .value_kind:     by_value
      - .address_space:  global
        .offset:         24
        .size:           8
        .value_kind:     global_buffer
      - .offset:         32
        .size:           8
        .value_kind:     by_value
      - .offset:         40
        .size:           8
        .value_kind:     by_value
      - .address_space:  global
        .offset:         48
        .size:           8
        .value_kind:     global_buffer
      - .offset:         56
        .size:           8
        .value_kind:     by_value
      - .offset:         64
        .size:           8
        .value_kind:     by_value
      - .offset:         72
        .size:           8
        .value_kind:     by_value
      - .address_space:  global
        .offset:         80
        .size:           8
        .value_kind:     global_buffer
      - .offset:         88
        .size:           8
        .value_kind:     by_value
      - .offset:         96
        .size:           8
        .value_kind:     by_value
      - .offset:         104
        .size:           4
        .value_kind:     by_value
    .group_segment_fixed_size: 4096
    .kernarg_segment_align: 8
    .kernarg_segment_size: 108
    .language:       OpenCL C
    .language_version:
      - 2
      - 0
    .max_flat_workgroup_size: 256
    .name:           _ZL29rocblas_internal_gemmt_kernelIlLi16ELi32ELi8ELc78ELc67ELc85ELb0ELb1E19rocblas_complex_numIfES1_PKPKS1_PKPS1_EviT_T9_T10_S9_lSB_S9_lSA_T11_S9_li
    .private_segment_fixed_size: 0
    .sgpr_count:     43
    .sgpr_spill_count: 0
    .symbol:         _ZL29rocblas_internal_gemmt_kernelIlLi16ELi32ELi8ELc78ELc67ELc85ELb0ELb1E19rocblas_complex_numIfES1_PKPKS1_PKPS1_EviT_T9_T10_S9_lSB_S9_lSA_T11_S9_li.kd
    .uniform_work_group_size: 1
    .uses_dynamic_stack: false
    .vgpr_count:     72
    .vgpr_spill_count: 0
    .wavefront_size: 32
    .workgroup_processor_mode: 1
  - .args:
      - .offset:         0
        .size:           4
        .value_kind:     by_value
      - .offset:         8
        .size:           8
        .value_kind:     by_value
      - .offset:         16
        .size:           8
        .value_kind:     by_value
      - .address_space:  global
        .offset:         24
        .size:           8
        .value_kind:     global_buffer
      - .offset:         32
        .size:           8
        .value_kind:     by_value
      - .offset:         40
        .size:           8
        .value_kind:     by_value
      - .address_space:  global
        .offset:         48
        .size:           8
        .value_kind:     global_buffer
      - .offset:         56
        .size:           8
        .value_kind:     by_value
      - .offset:         64
        .size:           8
        .value_kind:     by_value
      - .offset:         72
        .size:           8
        .value_kind:     by_value
      - .address_space:  global
        .offset:         80
        .size:           8
        .value_kind:     global_buffer
      - .offset:         88
        .size:           8
        .value_kind:     by_value
      - .offset:         96
        .size:           8
        .value_kind:     by_value
      - .offset:         104
        .size:           4
        .value_kind:     by_value
    .group_segment_fixed_size: 4096
    .kernarg_segment_align: 8
    .kernarg_segment_size: 108
    .language:       OpenCL C
    .language_version:
      - 2
      - 0
    .max_flat_workgroup_size: 256
    .name:           _ZL29rocblas_internal_gemmt_kernelIlLi16ELi32ELi8ELc84ELc78ELc85ELb0ELb0E19rocblas_complex_numIfES1_PKPKS1_PKPS1_EviT_T9_T10_S9_lSB_S9_lSA_T11_S9_li
    .private_segment_fixed_size: 0
    .sgpr_count:     39
    .sgpr_spill_count: 0
    .symbol:         _ZL29rocblas_internal_gemmt_kernelIlLi16ELi32ELi8ELc84ELc78ELc85ELb0ELb0E19rocblas_complex_numIfES1_PKPKS1_PKPS1_EviT_T9_T10_S9_lSB_S9_lSA_T11_S9_li.kd
    .uniform_work_group_size: 1
    .uses_dynamic_stack: false
    .vgpr_count:     73
    .vgpr_spill_count: 0
    .wavefront_size: 32
    .workgroup_processor_mode: 1
  - .args:
      - .offset:         0
        .size:           4
        .value_kind:     by_value
      - .offset:         8
        .size:           8
        .value_kind:     by_value
      - .offset:         16
        .size:           8
        .value_kind:     by_value
      - .address_space:  global
        .offset:         24
        .size:           8
        .value_kind:     global_buffer
      - .offset:         32
        .size:           8
        .value_kind:     by_value
      - .offset:         40
        .size:           8
        .value_kind:     by_value
      - .address_space:  global
        .offset:         48
        .size:           8
        .value_kind:     global_buffer
      - .offset:         56
        .size:           8
        .value_kind:     by_value
      - .offset:         64
        .size:           8
        .value_kind:     by_value
      - .offset:         72
        .size:           8
        .value_kind:     by_value
      - .address_space:  global
        .offset:         80
        .size:           8
        .value_kind:     global_buffer
      - .offset:         88
        .size:           8
        .value_kind:     by_value
      - .offset:         96
        .size:           8
        .value_kind:     by_value
      - .offset:         104
        .size:           4
        .value_kind:     by_value
    .group_segment_fixed_size: 4096
    .kernarg_segment_align: 8
    .kernarg_segment_size: 108
    .language:       OpenCL C
    .language_version:
      - 2
      - 0
    .max_flat_workgroup_size: 256
    .name:           _ZL29rocblas_internal_gemmt_kernelIlLi16ELi32ELi8ELc84ELc84ELc85ELb0ELb0E19rocblas_complex_numIfES1_PKPKS1_PKPS1_EviT_T9_T10_S9_lSB_S9_lSA_T11_S9_li
    .private_segment_fixed_size: 0
    .sgpr_count:     41
    .sgpr_spill_count: 0
    .symbol:         _ZL29rocblas_internal_gemmt_kernelIlLi16ELi32ELi8ELc84ELc84ELc85ELb0ELb0E19rocblas_complex_numIfES1_PKPKS1_PKPS1_EviT_T9_T10_S9_lSB_S9_lSA_T11_S9_li.kd
    .uniform_work_group_size: 1
    .uses_dynamic_stack: false
    .vgpr_count:     72
    .vgpr_spill_count: 0
    .wavefront_size: 32
    .workgroup_processor_mode: 1
  - .args:
      - .offset:         0
        .size:           4
        .value_kind:     by_value
      - .offset:         8
        .size:           8
        .value_kind:     by_value
      - .offset:         16
        .size:           8
        .value_kind:     by_value
      - .address_space:  global
        .offset:         24
        .size:           8
        .value_kind:     global_buffer
      - .offset:         32
        .size:           8
        .value_kind:     by_value
      - .offset:         40
        .size:           8
        .value_kind:     by_value
      - .address_space:  global
        .offset:         48
        .size:           8
        .value_kind:     global_buffer
      - .offset:         56
        .size:           8
        .value_kind:     by_value
      - .offset:         64
        .size:           8
        .value_kind:     by_value
      - .offset:         72
        .size:           8
        .value_kind:     by_value
      - .address_space:  global
        .offset:         80
        .size:           8
        .value_kind:     global_buffer
      - .offset:         88
        .size:           8
        .value_kind:     by_value
      - .offset:         96
        .size:           8
        .value_kind:     by_value
      - .offset:         104
        .size:           4
        .value_kind:     by_value
    .group_segment_fixed_size: 4096
    .kernarg_segment_align: 8
    .kernarg_segment_size: 108
    .language:       OpenCL C
    .language_version:
      - 2
      - 0
    .max_flat_workgroup_size: 256
    .name:           _ZL29rocblas_internal_gemmt_kernelIlLi16ELi32ELi8ELc84ELc67ELc85ELb0ELb1E19rocblas_complex_numIfES1_PKPKS1_PKPS1_EviT_T9_T10_S9_lSB_S9_lSA_T11_S9_li
    .private_segment_fixed_size: 0
    .sgpr_count:     41
    .sgpr_spill_count: 0
    .symbol:         _ZL29rocblas_internal_gemmt_kernelIlLi16ELi32ELi8ELc84ELc67ELc85ELb0ELb1E19rocblas_complex_numIfES1_PKPKS1_PKPS1_EviT_T9_T10_S9_lSB_S9_lSA_T11_S9_li.kd
    .uniform_work_group_size: 1
    .uses_dynamic_stack: false
    .vgpr_count:     72
    .vgpr_spill_count: 0
    .wavefront_size: 32
    .workgroup_processor_mode: 1
  - .args:
      - .offset:         0
        .size:           4
        .value_kind:     by_value
      - .offset:         8
        .size:           8
        .value_kind:     by_value
      - .offset:         16
        .size:           8
        .value_kind:     by_value
      - .address_space:  global
        .offset:         24
        .size:           8
        .value_kind:     global_buffer
      - .offset:         32
        .size:           8
        .value_kind:     by_value
      - .offset:         40
        .size:           8
        .value_kind:     by_value
      - .address_space:  global
        .offset:         48
        .size:           8
        .value_kind:     global_buffer
      - .offset:         56
        .size:           8
        .value_kind:     by_value
      - .offset:         64
        .size:           8
        .value_kind:     by_value
      - .offset:         72
        .size:           8
        .value_kind:     by_value
      - .address_space:  global
        .offset:         80
        .size:           8
        .value_kind:     global_buffer
      - .offset:         88
        .size:           8
        .value_kind:     by_value
      - .offset:         96
        .size:           8
        .value_kind:     by_value
      - .offset:         104
        .size:           4
        .value_kind:     by_value
    .group_segment_fixed_size: 4096
    .kernarg_segment_align: 8
    .kernarg_segment_size: 108
    .language:       OpenCL C
    .language_version:
      - 2
      - 0
    .max_flat_workgroup_size: 256
    .name:           _ZL29rocblas_internal_gemmt_kernelIlLi16ELi32ELi8ELc67ELc78ELc85ELb1ELb0E19rocblas_complex_numIfES1_PKPKS1_PKPS1_EviT_T9_T10_S9_lSB_S9_lSA_T11_S9_li
    .private_segment_fixed_size: 0
    .sgpr_count:     39
    .sgpr_spill_count: 0
    .symbol:         _ZL29rocblas_internal_gemmt_kernelIlLi16ELi32ELi8ELc67ELc78ELc85ELb1ELb0E19rocblas_complex_numIfES1_PKPKS1_PKPS1_EviT_T9_T10_S9_lSB_S9_lSA_T11_S9_li.kd
    .uniform_work_group_size: 1
    .uses_dynamic_stack: false
    .vgpr_count:     73
    .vgpr_spill_count: 0
    .wavefront_size: 32
    .workgroup_processor_mode: 1
  - .args:
      - .offset:         0
        .size:           4
        .value_kind:     by_value
      - .offset:         8
        .size:           8
        .value_kind:     by_value
      - .offset:         16
        .size:           8
        .value_kind:     by_value
      - .address_space:  global
        .offset:         24
        .size:           8
        .value_kind:     global_buffer
      - .offset:         32
        .size:           8
        .value_kind:     by_value
      - .offset:         40
        .size:           8
        .value_kind:     by_value
      - .address_space:  global
        .offset:         48
        .size:           8
        .value_kind:     global_buffer
      - .offset:         56
        .size:           8
        .value_kind:     by_value
      - .offset:         64
        .size:           8
        .value_kind:     by_value
      - .offset:         72
        .size:           8
        .value_kind:     by_value
      - .address_space:  global
        .offset:         80
        .size:           8
        .value_kind:     global_buffer
      - .offset:         88
        .size:           8
        .value_kind:     by_value
      - .offset:         96
        .size:           8
        .value_kind:     by_value
      - .offset:         104
        .size:           4
        .value_kind:     by_value
    .group_segment_fixed_size: 4096
    .kernarg_segment_align: 8
    .kernarg_segment_size: 108
    .language:       OpenCL C
    .language_version:
      - 2
      - 0
    .max_flat_workgroup_size: 256
    .name:           _ZL29rocblas_internal_gemmt_kernelIlLi16ELi32ELi8ELc67ELc84ELc85ELb1ELb0E19rocblas_complex_numIfES1_PKPKS1_PKPS1_EviT_T9_T10_S9_lSB_S9_lSA_T11_S9_li
    .private_segment_fixed_size: 0
    .sgpr_count:     41
    .sgpr_spill_count: 0
    .symbol:         _ZL29rocblas_internal_gemmt_kernelIlLi16ELi32ELi8ELc67ELc84ELc85ELb1ELb0E19rocblas_complex_numIfES1_PKPKS1_PKPS1_EviT_T9_T10_S9_lSB_S9_lSA_T11_S9_li.kd
    .uniform_work_group_size: 1
    .uses_dynamic_stack: false
    .vgpr_count:     72
    .vgpr_spill_count: 0
    .wavefront_size: 32
    .workgroup_processor_mode: 1
  - .args:
      - .offset:         0
        .size:           4
        .value_kind:     by_value
      - .offset:         8
        .size:           8
        .value_kind:     by_value
      - .offset:         16
        .size:           8
        .value_kind:     by_value
      - .address_space:  global
        .offset:         24
        .size:           8
        .value_kind:     global_buffer
      - .offset:         32
        .size:           8
        .value_kind:     by_value
      - .offset:         40
        .size:           8
        .value_kind:     by_value
      - .address_space:  global
        .offset:         48
        .size:           8
        .value_kind:     global_buffer
      - .offset:         56
        .size:           8
        .value_kind:     by_value
      - .offset:         64
        .size:           8
        .value_kind:     by_value
      - .offset:         72
        .size:           8
        .value_kind:     by_value
      - .address_space:  global
        .offset:         80
        .size:           8
        .value_kind:     global_buffer
      - .offset:         88
        .size:           8
        .value_kind:     by_value
      - .offset:         96
        .size:           8
        .value_kind:     by_value
      - .offset:         104
        .size:           4
        .value_kind:     by_value
    .group_segment_fixed_size: 4096
    .kernarg_segment_align: 8
    .kernarg_segment_size: 108
    .language:       OpenCL C
    .language_version:
      - 2
      - 0
    .max_flat_workgroup_size: 256
    .name:           _ZL29rocblas_internal_gemmt_kernelIlLi16ELi32ELi8ELc67ELc67ELc85ELb1ELb1E19rocblas_complex_numIfES1_PKPKS1_PKPS1_EviT_T9_T10_S9_lSB_S9_lSA_T11_S9_li
    .private_segment_fixed_size: 0
    .sgpr_count:     41
    .sgpr_spill_count: 0
    .symbol:         _ZL29rocblas_internal_gemmt_kernelIlLi16ELi32ELi8ELc67ELc67ELc85ELb1ELb1E19rocblas_complex_numIfES1_PKPKS1_PKPS1_EviT_T9_T10_S9_lSB_S9_lSA_T11_S9_li.kd
    .uniform_work_group_size: 1
    .uses_dynamic_stack: false
    .vgpr_count:     72
    .vgpr_spill_count: 0
    .wavefront_size: 32
    .workgroup_processor_mode: 1
  - .args:
      - .offset:         0
        .size:           4
        .value_kind:     by_value
      - .offset:         8
        .size:           8
        .value_kind:     by_value
      - .offset:         16
        .size:           8
        .value_kind:     by_value
      - .address_space:  global
        .offset:         24
        .size:           8
        .value_kind:     global_buffer
      - .offset:         32
        .size:           8
        .value_kind:     by_value
      - .offset:         40
        .size:           8
        .value_kind:     by_value
      - .address_space:  global
        .offset:         48
        .size:           8
        .value_kind:     global_buffer
      - .offset:         56
        .size:           8
        .value_kind:     by_value
      - .offset:         64
        .size:           8
        .value_kind:     by_value
      - .offset:         72
        .size:           8
        .value_kind:     by_value
      - .address_space:  global
        .offset:         80
        .size:           8
        .value_kind:     global_buffer
      - .offset:         88
        .size:           8
        .value_kind:     by_value
      - .offset:         96
        .size:           8
        .value_kind:     by_value
      - .offset:         104
        .size:           4
        .value_kind:     by_value
    .group_segment_fixed_size: 4096
    .kernarg_segment_align: 8
    .kernarg_segment_size: 108
    .language:       OpenCL C
    .language_version:
      - 2
      - 0
    .max_flat_workgroup_size: 256
    .name:           _ZL29rocblas_internal_gemmt_kernelIlLi16ELi32ELi8ELc78ELc78ELc76ELb0ELb0E19rocblas_complex_numIfES1_PKPKS1_PKPS1_EviT_T9_T10_S9_lSB_S9_lSA_T11_S9_li
    .private_segment_fixed_size: 0
    .sgpr_count:     41
    .sgpr_spill_count: 0
    .symbol:         _ZL29rocblas_internal_gemmt_kernelIlLi16ELi32ELi8ELc78ELc78ELc76ELb0ELb0E19rocblas_complex_numIfES1_PKPKS1_PKPS1_EviT_T9_T10_S9_lSB_S9_lSA_T11_S9_li.kd
    .uniform_work_group_size: 1
    .uses_dynamic_stack: false
    .vgpr_count:     73
    .vgpr_spill_count: 0
    .wavefront_size: 32
    .workgroup_processor_mode: 1
  - .args:
      - .offset:         0
        .size:           4
        .value_kind:     by_value
      - .offset:         8
        .size:           8
        .value_kind:     by_value
      - .offset:         16
        .size:           8
        .value_kind:     by_value
      - .address_space:  global
        .offset:         24
        .size:           8
        .value_kind:     global_buffer
      - .offset:         32
        .size:           8
        .value_kind:     by_value
      - .offset:         40
        .size:           8
        .value_kind:     by_value
      - .address_space:  global
        .offset:         48
        .size:           8
        .value_kind:     global_buffer
      - .offset:         56
        .size:           8
        .value_kind:     by_value
      - .offset:         64
        .size:           8
        .value_kind:     by_value
      - .offset:         72
        .size:           8
        .value_kind:     by_value
      - .address_space:  global
        .offset:         80
        .size:           8
        .value_kind:     global_buffer
      - .offset:         88
        .size:           8
        .value_kind:     by_value
      - .offset:         96
        .size:           8
        .value_kind:     by_value
      - .offset:         104
        .size:           4
        .value_kind:     by_value
    .group_segment_fixed_size: 4096
    .kernarg_segment_align: 8
    .kernarg_segment_size: 108
    .language:       OpenCL C
    .language_version:
      - 2
      - 0
    .max_flat_workgroup_size: 256
    .name:           _ZL29rocblas_internal_gemmt_kernelIlLi16ELi32ELi8ELc78ELc84ELc76ELb0ELb0E19rocblas_complex_numIfES1_PKPKS1_PKPS1_EviT_T9_T10_S9_lSB_S9_lSA_T11_S9_li
    .private_segment_fixed_size: 0
    .sgpr_count:     43
    .sgpr_spill_count: 0
    .symbol:         _ZL29rocblas_internal_gemmt_kernelIlLi16ELi32ELi8ELc78ELc84ELc76ELb0ELb0E19rocblas_complex_numIfES1_PKPKS1_PKPS1_EviT_T9_T10_S9_lSB_S9_lSA_T11_S9_li.kd
    .uniform_work_group_size: 1
    .uses_dynamic_stack: false
    .vgpr_count:     72
    .vgpr_spill_count: 0
    .wavefront_size: 32
    .workgroup_processor_mode: 1
  - .args:
      - .offset:         0
        .size:           4
        .value_kind:     by_value
      - .offset:         8
        .size:           8
        .value_kind:     by_value
      - .offset:         16
        .size:           8
        .value_kind:     by_value
      - .address_space:  global
        .offset:         24
        .size:           8
        .value_kind:     global_buffer
      - .offset:         32
        .size:           8
        .value_kind:     by_value
      - .offset:         40
        .size:           8
        .value_kind:     by_value
      - .address_space:  global
        .offset:         48
        .size:           8
        .value_kind:     global_buffer
      - .offset:         56
        .size:           8
        .value_kind:     by_value
      - .offset:         64
        .size:           8
        .value_kind:     by_value
      - .offset:         72
        .size:           8
        .value_kind:     by_value
      - .address_space:  global
        .offset:         80
        .size:           8
        .value_kind:     global_buffer
      - .offset:         88
        .size:           8
        .value_kind:     by_value
      - .offset:         96
        .size:           8
        .value_kind:     by_value
      - .offset:         104
        .size:           4
        .value_kind:     by_value
    .group_segment_fixed_size: 4096
    .kernarg_segment_align: 8
    .kernarg_segment_size: 108
    .language:       OpenCL C
    .language_version:
      - 2
      - 0
    .max_flat_workgroup_size: 256
    .name:           _ZL29rocblas_internal_gemmt_kernelIlLi16ELi32ELi8ELc78ELc67ELc76ELb0ELb1E19rocblas_complex_numIfES1_PKPKS1_PKPS1_EviT_T9_T10_S9_lSB_S9_lSA_T11_S9_li
    .private_segment_fixed_size: 0
    .sgpr_count:     43
    .sgpr_spill_count: 0
    .symbol:         _ZL29rocblas_internal_gemmt_kernelIlLi16ELi32ELi8ELc78ELc67ELc76ELb0ELb1E19rocblas_complex_numIfES1_PKPKS1_PKPS1_EviT_T9_T10_S9_lSB_S9_lSA_T11_S9_li.kd
    .uniform_work_group_size: 1
    .uses_dynamic_stack: false
    .vgpr_count:     72
    .vgpr_spill_count: 0
    .wavefront_size: 32
    .workgroup_processor_mode: 1
  - .args:
      - .offset:         0
        .size:           4
        .value_kind:     by_value
      - .offset:         8
        .size:           8
        .value_kind:     by_value
      - .offset:         16
        .size:           8
        .value_kind:     by_value
      - .address_space:  global
        .offset:         24
        .size:           8
        .value_kind:     global_buffer
      - .offset:         32
        .size:           8
        .value_kind:     by_value
      - .offset:         40
        .size:           8
        .value_kind:     by_value
      - .address_space:  global
        .offset:         48
        .size:           8
        .value_kind:     global_buffer
      - .offset:         56
        .size:           8
        .value_kind:     by_value
      - .offset:         64
        .size:           8
        .value_kind:     by_value
      - .offset:         72
        .size:           8
        .value_kind:     by_value
      - .address_space:  global
        .offset:         80
        .size:           8
        .value_kind:     global_buffer
      - .offset:         88
        .size:           8
        .value_kind:     by_value
      - .offset:         96
        .size:           8
        .value_kind:     by_value
      - .offset:         104
        .size:           4
        .value_kind:     by_value
    .group_segment_fixed_size: 4096
    .kernarg_segment_align: 8
    .kernarg_segment_size: 108
    .language:       OpenCL C
    .language_version:
      - 2
      - 0
    .max_flat_workgroup_size: 256
    .name:           _ZL29rocblas_internal_gemmt_kernelIlLi16ELi32ELi8ELc84ELc78ELc76ELb0ELb0E19rocblas_complex_numIfES1_PKPKS1_PKPS1_EviT_T9_T10_S9_lSB_S9_lSA_T11_S9_li
    .private_segment_fixed_size: 0
    .sgpr_count:     39
    .sgpr_spill_count: 0
    .symbol:         _ZL29rocblas_internal_gemmt_kernelIlLi16ELi32ELi8ELc84ELc78ELc76ELb0ELb0E19rocblas_complex_numIfES1_PKPKS1_PKPS1_EviT_T9_T10_S9_lSB_S9_lSA_T11_S9_li.kd
    .uniform_work_group_size: 1
    .uses_dynamic_stack: false
    .vgpr_count:     73
    .vgpr_spill_count: 0
    .wavefront_size: 32
    .workgroup_processor_mode: 1
  - .args:
      - .offset:         0
        .size:           4
        .value_kind:     by_value
      - .offset:         8
        .size:           8
        .value_kind:     by_value
      - .offset:         16
        .size:           8
        .value_kind:     by_value
      - .address_space:  global
        .offset:         24
        .size:           8
        .value_kind:     global_buffer
      - .offset:         32
        .size:           8
        .value_kind:     by_value
      - .offset:         40
        .size:           8
        .value_kind:     by_value
      - .address_space:  global
        .offset:         48
        .size:           8
        .value_kind:     global_buffer
      - .offset:         56
        .size:           8
        .value_kind:     by_value
      - .offset:         64
        .size:           8
        .value_kind:     by_value
      - .offset:         72
        .size:           8
        .value_kind:     by_value
      - .address_space:  global
        .offset:         80
        .size:           8
        .value_kind:     global_buffer
      - .offset:         88
        .size:           8
        .value_kind:     by_value
      - .offset:         96
        .size:           8
        .value_kind:     by_value
      - .offset:         104
        .size:           4
        .value_kind:     by_value
    .group_segment_fixed_size: 4096
    .kernarg_segment_align: 8
    .kernarg_segment_size: 108
    .language:       OpenCL C
    .language_version:
      - 2
      - 0
    .max_flat_workgroup_size: 256
    .name:           _ZL29rocblas_internal_gemmt_kernelIlLi16ELi32ELi8ELc84ELc84ELc76ELb0ELb0E19rocblas_complex_numIfES1_PKPKS1_PKPS1_EviT_T9_T10_S9_lSB_S9_lSA_T11_S9_li
    .private_segment_fixed_size: 0
    .sgpr_count:     41
    .sgpr_spill_count: 0
    .symbol:         _ZL29rocblas_internal_gemmt_kernelIlLi16ELi32ELi8ELc84ELc84ELc76ELb0ELb0E19rocblas_complex_numIfES1_PKPKS1_PKPS1_EviT_T9_T10_S9_lSB_S9_lSA_T11_S9_li.kd
    .uniform_work_group_size: 1
    .uses_dynamic_stack: false
    .vgpr_count:     72
    .vgpr_spill_count: 0
    .wavefront_size: 32
    .workgroup_processor_mode: 1
  - .args:
      - .offset:         0
        .size:           4
        .value_kind:     by_value
      - .offset:         8
        .size:           8
        .value_kind:     by_value
      - .offset:         16
        .size:           8
        .value_kind:     by_value
      - .address_space:  global
        .offset:         24
        .size:           8
        .value_kind:     global_buffer
      - .offset:         32
        .size:           8
        .value_kind:     by_value
      - .offset:         40
        .size:           8
        .value_kind:     by_value
      - .address_space:  global
        .offset:         48
        .size:           8
        .value_kind:     global_buffer
      - .offset:         56
        .size:           8
        .value_kind:     by_value
      - .offset:         64
        .size:           8
        .value_kind:     by_value
      - .offset:         72
        .size:           8
        .value_kind:     by_value
      - .address_space:  global
        .offset:         80
        .size:           8
        .value_kind:     global_buffer
      - .offset:         88
        .size:           8
        .value_kind:     by_value
      - .offset:         96
        .size:           8
        .value_kind:     by_value
      - .offset:         104
        .size:           4
        .value_kind:     by_value
    .group_segment_fixed_size: 4096
    .kernarg_segment_align: 8
    .kernarg_segment_size: 108
    .language:       OpenCL C
    .language_version:
      - 2
      - 0
    .max_flat_workgroup_size: 256
    .name:           _ZL29rocblas_internal_gemmt_kernelIlLi16ELi32ELi8ELc84ELc67ELc76ELb0ELb1E19rocblas_complex_numIfES1_PKPKS1_PKPS1_EviT_T9_T10_S9_lSB_S9_lSA_T11_S9_li
    .private_segment_fixed_size: 0
    .sgpr_count:     41
    .sgpr_spill_count: 0
    .symbol:         _ZL29rocblas_internal_gemmt_kernelIlLi16ELi32ELi8ELc84ELc67ELc76ELb0ELb1E19rocblas_complex_numIfES1_PKPKS1_PKPS1_EviT_T9_T10_S9_lSB_S9_lSA_T11_S9_li.kd
    .uniform_work_group_size: 1
    .uses_dynamic_stack: false
    .vgpr_count:     72
    .vgpr_spill_count: 0
    .wavefront_size: 32
    .workgroup_processor_mode: 1
  - .args:
      - .offset:         0
        .size:           4
        .value_kind:     by_value
      - .offset:         8
        .size:           8
        .value_kind:     by_value
      - .offset:         16
        .size:           8
        .value_kind:     by_value
      - .address_space:  global
        .offset:         24
        .size:           8
        .value_kind:     global_buffer
      - .offset:         32
        .size:           8
        .value_kind:     by_value
      - .offset:         40
        .size:           8
        .value_kind:     by_value
      - .address_space:  global
        .offset:         48
        .size:           8
        .value_kind:     global_buffer
      - .offset:         56
        .size:           8
        .value_kind:     by_value
      - .offset:         64
        .size:           8
        .value_kind:     by_value
      - .offset:         72
        .size:           8
        .value_kind:     by_value
      - .address_space:  global
        .offset:         80
        .size:           8
        .value_kind:     global_buffer
      - .offset:         88
        .size:           8
        .value_kind:     by_value
      - .offset:         96
        .size:           8
        .value_kind:     by_value
      - .offset:         104
        .size:           4
        .value_kind:     by_value
    .group_segment_fixed_size: 4096
    .kernarg_segment_align: 8
    .kernarg_segment_size: 108
    .language:       OpenCL C
    .language_version:
      - 2
      - 0
    .max_flat_workgroup_size: 256
    .name:           _ZL29rocblas_internal_gemmt_kernelIlLi16ELi32ELi8ELc67ELc78ELc76ELb1ELb0E19rocblas_complex_numIfES1_PKPKS1_PKPS1_EviT_T9_T10_S9_lSB_S9_lSA_T11_S9_li
    .private_segment_fixed_size: 0
    .sgpr_count:     39
    .sgpr_spill_count: 0
    .symbol:         _ZL29rocblas_internal_gemmt_kernelIlLi16ELi32ELi8ELc67ELc78ELc76ELb1ELb0E19rocblas_complex_numIfES1_PKPKS1_PKPS1_EviT_T9_T10_S9_lSB_S9_lSA_T11_S9_li.kd
    .uniform_work_group_size: 1
    .uses_dynamic_stack: false
    .vgpr_count:     73
    .vgpr_spill_count: 0
    .wavefront_size: 32
    .workgroup_processor_mode: 1
  - .args:
      - .offset:         0
        .size:           4
        .value_kind:     by_value
      - .offset:         8
        .size:           8
        .value_kind:     by_value
      - .offset:         16
        .size:           8
        .value_kind:     by_value
      - .address_space:  global
        .offset:         24
        .size:           8
        .value_kind:     global_buffer
      - .offset:         32
        .size:           8
        .value_kind:     by_value
      - .offset:         40
        .size:           8
        .value_kind:     by_value
      - .address_space:  global
        .offset:         48
        .size:           8
        .value_kind:     global_buffer
      - .offset:         56
        .size:           8
        .value_kind:     by_value
      - .offset:         64
        .size:           8
        .value_kind:     by_value
      - .offset:         72
        .size:           8
        .value_kind:     by_value
      - .address_space:  global
        .offset:         80
        .size:           8
        .value_kind:     global_buffer
      - .offset:         88
        .size:           8
        .value_kind:     by_value
      - .offset:         96
        .size:           8
        .value_kind:     by_value
      - .offset:         104
        .size:           4
        .value_kind:     by_value
    .group_segment_fixed_size: 4096
    .kernarg_segment_align: 8
    .kernarg_segment_size: 108
    .language:       OpenCL C
    .language_version:
      - 2
      - 0
    .max_flat_workgroup_size: 256
    .name:           _ZL29rocblas_internal_gemmt_kernelIlLi16ELi32ELi8ELc67ELc84ELc76ELb1ELb0E19rocblas_complex_numIfES1_PKPKS1_PKPS1_EviT_T9_T10_S9_lSB_S9_lSA_T11_S9_li
    .private_segment_fixed_size: 0
    .sgpr_count:     41
    .sgpr_spill_count: 0
    .symbol:         _ZL29rocblas_internal_gemmt_kernelIlLi16ELi32ELi8ELc67ELc84ELc76ELb1ELb0E19rocblas_complex_numIfES1_PKPKS1_PKPS1_EviT_T9_T10_S9_lSB_S9_lSA_T11_S9_li.kd
    .uniform_work_group_size: 1
    .uses_dynamic_stack: false
    .vgpr_count:     72
    .vgpr_spill_count: 0
    .wavefront_size: 32
    .workgroup_processor_mode: 1
  - .args:
      - .offset:         0
        .size:           4
        .value_kind:     by_value
      - .offset:         8
        .size:           8
        .value_kind:     by_value
      - .offset:         16
        .size:           8
        .value_kind:     by_value
      - .address_space:  global
        .offset:         24
        .size:           8
        .value_kind:     global_buffer
      - .offset:         32
        .size:           8
        .value_kind:     by_value
      - .offset:         40
        .size:           8
        .value_kind:     by_value
      - .address_space:  global
        .offset:         48
        .size:           8
        .value_kind:     global_buffer
      - .offset:         56
        .size:           8
        .value_kind:     by_value
      - .offset:         64
        .size:           8
        .value_kind:     by_value
      - .offset:         72
        .size:           8
        .value_kind:     by_value
      - .address_space:  global
        .offset:         80
        .size:           8
        .value_kind:     global_buffer
      - .offset:         88
        .size:           8
        .value_kind:     by_value
      - .offset:         96
        .size:           8
        .value_kind:     by_value
      - .offset:         104
        .size:           4
        .value_kind:     by_value
    .group_segment_fixed_size: 4096
    .kernarg_segment_align: 8
    .kernarg_segment_size: 108
    .language:       OpenCL C
    .language_version:
      - 2
      - 0
    .max_flat_workgroup_size: 256
    .name:           _ZL29rocblas_internal_gemmt_kernelIlLi16ELi32ELi8ELc67ELc67ELc76ELb1ELb1E19rocblas_complex_numIfES1_PKPKS1_PKPS1_EviT_T9_T10_S9_lSB_S9_lSA_T11_S9_li
    .private_segment_fixed_size: 0
    .sgpr_count:     41
    .sgpr_spill_count: 0
    .symbol:         _ZL29rocblas_internal_gemmt_kernelIlLi16ELi32ELi8ELc67ELc67ELc76ELb1ELb1E19rocblas_complex_numIfES1_PKPKS1_PKPS1_EviT_T9_T10_S9_lSB_S9_lSA_T11_S9_li.kd
    .uniform_work_group_size: 1
    .uses_dynamic_stack: false
    .vgpr_count:     72
    .vgpr_spill_count: 0
    .wavefront_size: 32
    .workgroup_processor_mode: 1
  - .args:
      - .offset:         0
        .size:           4
        .value_kind:     by_value
      - .offset:         8
        .size:           8
        .value_kind:     by_value
      - .address_space:  global
        .offset:         16
        .size:           8
        .value_kind:     global_buffer
      - .address_space:  global
        .offset:         24
        .size:           8
        .value_kind:     global_buffer
      - .offset:         32
        .size:           8
        .value_kind:     by_value
      - .offset:         40
        .size:           8
        .value_kind:     by_value
      - .address_space:  global
        .offset:         48
        .size:           8
        .value_kind:     global_buffer
      - .offset:         56
        .size:           8
        .value_kind:     by_value
      - .offset:         64
        .size:           8
        .value_kind:     by_value
      - .address_space:  global
        .offset:         72
        .size:           8
        .value_kind:     global_buffer
      - .address_space:  global
        .offset:         80
        .size:           8
        .value_kind:     global_buffer
      - .offset:         88
        .size:           8
        .value_kind:     by_value
      - .offset:         96
        .size:           8
        .value_kind:     by_value
      - .offset:         104
        .size:           4
        .value_kind:     by_value
    .group_segment_fixed_size: 8192
    .kernarg_segment_align: 8
    .kernarg_segment_size: 108
    .language:       OpenCL C
    .language_version:
      - 2
      - 0
    .max_flat_workgroup_size: 256
    .name:           _ZL29rocblas_internal_gemmt_kernelIlLi16ELi32ELi8ELc78ELc78ELc85ELb0ELb0E19rocblas_complex_numIdEPKS1_PKS3_PKPS1_EviT_T9_T10_S9_lSB_S9_lSA_T11_S9_li
    .private_segment_fixed_size: 0
    .sgpr_count:     46
    .sgpr_spill_count: 0
    .symbol:         _ZL29rocblas_internal_gemmt_kernelIlLi16ELi32ELi8ELc78ELc78ELc85ELb0ELb0E19rocblas_complex_numIdEPKS1_PKS3_PKPS1_EviT_T9_T10_S9_lSB_S9_lSA_T11_S9_li.kd
    .uniform_work_group_size: 1
    .uses_dynamic_stack: false
    .vgpr_count:     136
    .vgpr_spill_count: 0
    .wavefront_size: 32
    .workgroup_processor_mode: 1
  - .args:
      - .offset:         0
        .size:           4
        .value_kind:     by_value
      - .offset:         8
        .size:           8
        .value_kind:     by_value
      - .address_space:  global
        .offset:         16
        .size:           8
        .value_kind:     global_buffer
      - .address_space:  global
        .offset:         24
        .size:           8
        .value_kind:     global_buffer
      - .offset:         32
        .size:           8
        .value_kind:     by_value
      - .offset:         40
        .size:           8
        .value_kind:     by_value
      - .address_space:  global
        .offset:         48
        .size:           8
        .value_kind:     global_buffer
      - .offset:         56
        .size:           8
        .value_kind:     by_value
      - .offset:         64
        .size:           8
        .value_kind:     by_value
      - .address_space:  global
        .offset:         72
        .size:           8
        .value_kind:     global_buffer
      - .address_space:  global
        .offset:         80
        .size:           8
        .value_kind:     global_buffer
      - .offset:         88
        .size:           8
        .value_kind:     by_value
      - .offset:         96
        .size:           8
        .value_kind:     by_value
      - .offset:         104
        .size:           4
        .value_kind:     by_value
    .group_segment_fixed_size: 8192
    .kernarg_segment_align: 8
    .kernarg_segment_size: 108
    .language:       OpenCL C
    .language_version:
      - 2
      - 0
    .max_flat_workgroup_size: 256
    .name:           _ZL29rocblas_internal_gemmt_kernelIlLi16ELi32ELi8ELc78ELc84ELc85ELb0ELb0E19rocblas_complex_numIdEPKS1_PKS3_PKPS1_EviT_T9_T10_S9_lSB_S9_lSA_T11_S9_li
    .private_segment_fixed_size: 0
    .sgpr_count:     47
    .sgpr_spill_count: 0
    .symbol:         _ZL29rocblas_internal_gemmt_kernelIlLi16ELi32ELi8ELc78ELc84ELc85ELb0ELb0E19rocblas_complex_numIdEPKS1_PKS3_PKPS1_EviT_T9_T10_S9_lSB_S9_lSA_T11_S9_li.kd
    .uniform_work_group_size: 1
    .uses_dynamic_stack: false
    .vgpr_count:     135
    .vgpr_spill_count: 0
    .wavefront_size: 32
    .workgroup_processor_mode: 1
  - .args:
      - .offset:         0
        .size:           4
        .value_kind:     by_value
      - .offset:         8
        .size:           8
        .value_kind:     by_value
      - .address_space:  global
        .offset:         16
        .size:           8
        .value_kind:     global_buffer
      - .address_space:  global
        .offset:         24
        .size:           8
        .value_kind:     global_buffer
      - .offset:         32
        .size:           8
        .value_kind:     by_value
      - .offset:         40
        .size:           8
        .value_kind:     by_value
      - .address_space:  global
        .offset:         48
        .size:           8
        .value_kind:     global_buffer
      - .offset:         56
        .size:           8
        .value_kind:     by_value
      - .offset:         64
        .size:           8
        .value_kind:     by_value
      - .address_space:  global
        .offset:         72
        .size:           8
        .value_kind:     global_buffer
      - .address_space:  global
        .offset:         80
        .size:           8
        .value_kind:     global_buffer
      - .offset:         88
        .size:           8
        .value_kind:     by_value
      - .offset:         96
        .size:           8
        .value_kind:     by_value
      - .offset:         104
        .size:           4
        .value_kind:     by_value
    .group_segment_fixed_size: 8192
    .kernarg_segment_align: 8
    .kernarg_segment_size: 108
    .language:       OpenCL C
    .language_version:
      - 2
      - 0
    .max_flat_workgroup_size: 256
    .name:           _ZL29rocblas_internal_gemmt_kernelIlLi16ELi32ELi8ELc78ELc67ELc85ELb0ELb1E19rocblas_complex_numIdEPKS1_PKS3_PKPS1_EviT_T9_T10_S9_lSB_S9_lSA_T11_S9_li
    .private_segment_fixed_size: 0
    .sgpr_count:     47
    .sgpr_spill_count: 0
    .symbol:         _ZL29rocblas_internal_gemmt_kernelIlLi16ELi32ELi8ELc78ELc67ELc85ELb0ELb1E19rocblas_complex_numIdEPKS1_PKS3_PKPS1_EviT_T9_T10_S9_lSB_S9_lSA_T11_S9_li.kd
    .uniform_work_group_size: 1
    .uses_dynamic_stack: false
    .vgpr_count:     135
    .vgpr_spill_count: 0
    .wavefront_size: 32
    .workgroup_processor_mode: 1
  - .args:
      - .offset:         0
        .size:           4
        .value_kind:     by_value
      - .offset:         8
        .size:           8
        .value_kind:     by_value
      - .address_space:  global
        .offset:         16
        .size:           8
        .value_kind:     global_buffer
      - .address_space:  global
        .offset:         24
        .size:           8
        .value_kind:     global_buffer
      - .offset:         32
        .size:           8
        .value_kind:     by_value
      - .offset:         40
        .size:           8
        .value_kind:     by_value
      - .address_space:  global
        .offset:         48
        .size:           8
        .value_kind:     global_buffer
      - .offset:         56
        .size:           8
        .value_kind:     by_value
      - .offset:         64
        .size:           8
        .value_kind:     by_value
      - .address_space:  global
        .offset:         72
        .size:           8
        .value_kind:     global_buffer
      - .address_space:  global
        .offset:         80
        .size:           8
        .value_kind:     global_buffer
      - .offset:         88
        .size:           8
        .value_kind:     by_value
      - .offset:         96
        .size:           8
        .value_kind:     by_value
      - .offset:         104
        .size:           4
        .value_kind:     by_value
    .group_segment_fixed_size: 8192
    .kernarg_segment_align: 8
    .kernarg_segment_size: 108
    .language:       OpenCL C
    .language_version:
      - 2
      - 0
    .max_flat_workgroup_size: 256
    .name:           _ZL29rocblas_internal_gemmt_kernelIlLi16ELi32ELi8ELc84ELc78ELc85ELb0ELb0E19rocblas_complex_numIdEPKS1_PKS3_PKPS1_EviT_T9_T10_S9_lSB_S9_lSA_T11_S9_li
    .private_segment_fixed_size: 0
    .sgpr_count:     46
    .sgpr_spill_count: 0
    .symbol:         _ZL29rocblas_internal_gemmt_kernelIlLi16ELi32ELi8ELc84ELc78ELc85ELb0ELb0E19rocblas_complex_numIdEPKS1_PKS3_PKPS1_EviT_T9_T10_S9_lSB_S9_lSA_T11_S9_li.kd
    .uniform_work_group_size: 1
    .uses_dynamic_stack: false
    .vgpr_count:     136
    .vgpr_spill_count: 0
    .wavefront_size: 32
    .workgroup_processor_mode: 1
  - .args:
      - .offset:         0
        .size:           4
        .value_kind:     by_value
      - .offset:         8
        .size:           8
        .value_kind:     by_value
      - .address_space:  global
        .offset:         16
        .size:           8
        .value_kind:     global_buffer
      - .address_space:  global
        .offset:         24
        .size:           8
        .value_kind:     global_buffer
      - .offset:         32
        .size:           8
        .value_kind:     by_value
      - .offset:         40
        .size:           8
        .value_kind:     by_value
      - .address_space:  global
        .offset:         48
        .size:           8
        .value_kind:     global_buffer
      - .offset:         56
        .size:           8
        .value_kind:     by_value
      - .offset:         64
        .size:           8
        .value_kind:     by_value
      - .address_space:  global
        .offset:         72
        .size:           8
        .value_kind:     global_buffer
      - .address_space:  global
        .offset:         80
        .size:           8
        .value_kind:     global_buffer
      - .offset:         88
        .size:           8
        .value_kind:     by_value
      - .offset:         96
        .size:           8
        .value_kind:     by_value
      - .offset:         104
        .size:           4
        .value_kind:     by_value
    .group_segment_fixed_size: 8192
    .kernarg_segment_align: 8
    .kernarg_segment_size: 108
    .language:       OpenCL C
    .language_version:
      - 2
      - 0
    .max_flat_workgroup_size: 256
    .name:           _ZL29rocblas_internal_gemmt_kernelIlLi16ELi32ELi8ELc84ELc84ELc85ELb0ELb0E19rocblas_complex_numIdEPKS1_PKS3_PKPS1_EviT_T9_T10_S9_lSB_S9_lSA_T11_S9_li
    .private_segment_fixed_size: 0
    .sgpr_count:     46
    .sgpr_spill_count: 0
    .symbol:         _ZL29rocblas_internal_gemmt_kernelIlLi16ELi32ELi8ELc84ELc84ELc85ELb0ELb0E19rocblas_complex_numIdEPKS1_PKS3_PKPS1_EviT_T9_T10_S9_lSB_S9_lSA_T11_S9_li.kd
    .uniform_work_group_size: 1
    .uses_dynamic_stack: false
    .vgpr_count:     135
    .vgpr_spill_count: 0
    .wavefront_size: 32
    .workgroup_processor_mode: 1
  - .args:
      - .offset:         0
        .size:           4
        .value_kind:     by_value
      - .offset:         8
        .size:           8
        .value_kind:     by_value
      - .address_space:  global
        .offset:         16
        .size:           8
        .value_kind:     global_buffer
      - .address_space:  global
        .offset:         24
        .size:           8
        .value_kind:     global_buffer
      - .offset:         32
        .size:           8
        .value_kind:     by_value
      - .offset:         40
        .size:           8
        .value_kind:     by_value
      - .address_space:  global
        .offset:         48
        .size:           8
        .value_kind:     global_buffer
      - .offset:         56
        .size:           8
        .value_kind:     by_value
      - .offset:         64
        .size:           8
        .value_kind:     by_value
      - .address_space:  global
        .offset:         72
        .size:           8
        .value_kind:     global_buffer
      - .address_space:  global
        .offset:         80
        .size:           8
        .value_kind:     global_buffer
      - .offset:         88
        .size:           8
        .value_kind:     by_value
      - .offset:         96
        .size:           8
        .value_kind:     by_value
      - .offset:         104
        .size:           4
        .value_kind:     by_value
    .group_segment_fixed_size: 8192
    .kernarg_segment_align: 8
    .kernarg_segment_size: 108
    .language:       OpenCL C
    .language_version:
      - 2
      - 0
    .max_flat_workgroup_size: 256
    .name:           _ZL29rocblas_internal_gemmt_kernelIlLi16ELi32ELi8ELc84ELc67ELc85ELb0ELb1E19rocblas_complex_numIdEPKS1_PKS3_PKPS1_EviT_T9_T10_S9_lSB_S9_lSA_T11_S9_li
    .private_segment_fixed_size: 0
    .sgpr_count:     47
    .sgpr_spill_count: 0
    .symbol:         _ZL29rocblas_internal_gemmt_kernelIlLi16ELi32ELi8ELc84ELc67ELc85ELb0ELb1E19rocblas_complex_numIdEPKS1_PKS3_PKPS1_EviT_T9_T10_S9_lSB_S9_lSA_T11_S9_li.kd
    .uniform_work_group_size: 1
    .uses_dynamic_stack: false
    .vgpr_count:     135
    .vgpr_spill_count: 0
    .wavefront_size: 32
    .workgroup_processor_mode: 1
  - .args:
      - .offset:         0
        .size:           4
        .value_kind:     by_value
      - .offset:         8
        .size:           8
        .value_kind:     by_value
      - .address_space:  global
        .offset:         16
        .size:           8
        .value_kind:     global_buffer
      - .address_space:  global
        .offset:         24
        .size:           8
        .value_kind:     global_buffer
      - .offset:         32
        .size:           8
        .value_kind:     by_value
      - .offset:         40
        .size:           8
        .value_kind:     by_value
      - .address_space:  global
        .offset:         48
        .size:           8
        .value_kind:     global_buffer
      - .offset:         56
        .size:           8
        .value_kind:     by_value
      - .offset:         64
        .size:           8
        .value_kind:     by_value
      - .address_space:  global
        .offset:         72
        .size:           8
        .value_kind:     global_buffer
      - .address_space:  global
        .offset:         80
        .size:           8
        .value_kind:     global_buffer
      - .offset:         88
        .size:           8
        .value_kind:     by_value
      - .offset:         96
        .size:           8
        .value_kind:     by_value
      - .offset:         104
        .size:           4
        .value_kind:     by_value
    .group_segment_fixed_size: 8192
    .kernarg_segment_align: 8
    .kernarg_segment_size: 108
    .language:       OpenCL C
    .language_version:
      - 2
      - 0
    .max_flat_workgroup_size: 256
    .name:           _ZL29rocblas_internal_gemmt_kernelIlLi16ELi32ELi8ELc67ELc78ELc85ELb1ELb0E19rocblas_complex_numIdEPKS1_PKS3_PKPS1_EviT_T9_T10_S9_lSB_S9_lSA_T11_S9_li
    .private_segment_fixed_size: 0
    .sgpr_count:     46
    .sgpr_spill_count: 0
    .symbol:         _ZL29rocblas_internal_gemmt_kernelIlLi16ELi32ELi8ELc67ELc78ELc85ELb1ELb0E19rocblas_complex_numIdEPKS1_PKS3_PKPS1_EviT_T9_T10_S9_lSB_S9_lSA_T11_S9_li.kd
    .uniform_work_group_size: 1
    .uses_dynamic_stack: false
    .vgpr_count:     134
    .vgpr_spill_count: 0
    .wavefront_size: 32
    .workgroup_processor_mode: 1
  - .args:
      - .offset:         0
        .size:           4
        .value_kind:     by_value
      - .offset:         8
        .size:           8
        .value_kind:     by_value
      - .address_space:  global
        .offset:         16
        .size:           8
        .value_kind:     global_buffer
      - .address_space:  global
        .offset:         24
        .size:           8
        .value_kind:     global_buffer
      - .offset:         32
        .size:           8
        .value_kind:     by_value
      - .offset:         40
        .size:           8
        .value_kind:     by_value
      - .address_space:  global
        .offset:         48
        .size:           8
        .value_kind:     global_buffer
      - .offset:         56
        .size:           8
        .value_kind:     by_value
      - .offset:         64
        .size:           8
        .value_kind:     by_value
      - .address_space:  global
        .offset:         72
        .size:           8
        .value_kind:     global_buffer
      - .address_space:  global
        .offset:         80
        .size:           8
        .value_kind:     global_buffer
      - .offset:         88
        .size:           8
        .value_kind:     by_value
      - .offset:         96
        .size:           8
        .value_kind:     by_value
      - .offset:         104
        .size:           4
        .value_kind:     by_value
    .group_segment_fixed_size: 8192
    .kernarg_segment_align: 8
    .kernarg_segment_size: 108
    .language:       OpenCL C
    .language_version:
      - 2
      - 0
    .max_flat_workgroup_size: 256
    .name:           _ZL29rocblas_internal_gemmt_kernelIlLi16ELi32ELi8ELc67ELc84ELc85ELb1ELb0E19rocblas_complex_numIdEPKS1_PKS3_PKPS1_EviT_T9_T10_S9_lSB_S9_lSA_T11_S9_li
    .private_segment_fixed_size: 0
    .sgpr_count:     46
    .sgpr_spill_count: 0
    .symbol:         _ZL29rocblas_internal_gemmt_kernelIlLi16ELi32ELi8ELc67ELc84ELc85ELb1ELb0E19rocblas_complex_numIdEPKS1_PKS3_PKPS1_EviT_T9_T10_S9_lSB_S9_lSA_T11_S9_li.kd
    .uniform_work_group_size: 1
    .uses_dynamic_stack: false
    .vgpr_count:     133
    .vgpr_spill_count: 0
    .wavefront_size: 32
    .workgroup_processor_mode: 1
  - .args:
      - .offset:         0
        .size:           4
        .value_kind:     by_value
      - .offset:         8
        .size:           8
        .value_kind:     by_value
      - .address_space:  global
        .offset:         16
        .size:           8
        .value_kind:     global_buffer
      - .address_space:  global
        .offset:         24
        .size:           8
        .value_kind:     global_buffer
      - .offset:         32
        .size:           8
        .value_kind:     by_value
      - .offset:         40
        .size:           8
        .value_kind:     by_value
      - .address_space:  global
        .offset:         48
        .size:           8
        .value_kind:     global_buffer
      - .offset:         56
        .size:           8
        .value_kind:     by_value
      - .offset:         64
        .size:           8
        .value_kind:     by_value
      - .address_space:  global
        .offset:         72
        .size:           8
        .value_kind:     global_buffer
      - .address_space:  global
        .offset:         80
        .size:           8
        .value_kind:     global_buffer
      - .offset:         88
        .size:           8
        .value_kind:     by_value
      - .offset:         96
        .size:           8
        .value_kind:     by_value
      - .offset:         104
        .size:           4
        .value_kind:     by_value
    .group_segment_fixed_size: 8192
    .kernarg_segment_align: 8
    .kernarg_segment_size: 108
    .language:       OpenCL C
    .language_version:
      - 2
      - 0
    .max_flat_workgroup_size: 256
    .name:           _ZL29rocblas_internal_gemmt_kernelIlLi16ELi32ELi8ELc67ELc67ELc85ELb1ELb1E19rocblas_complex_numIdEPKS1_PKS3_PKPS1_EviT_T9_T10_S9_lSB_S9_lSA_T11_S9_li
    .private_segment_fixed_size: 0
    .sgpr_count:     46
    .sgpr_spill_count: 0
    .symbol:         _ZL29rocblas_internal_gemmt_kernelIlLi16ELi32ELi8ELc67ELc67ELc85ELb1ELb1E19rocblas_complex_numIdEPKS1_PKS3_PKPS1_EviT_T9_T10_S9_lSB_S9_lSA_T11_S9_li.kd
    .uniform_work_group_size: 1
    .uses_dynamic_stack: false
    .vgpr_count:     133
    .vgpr_spill_count: 0
    .wavefront_size: 32
    .workgroup_processor_mode: 1
  - .args:
      - .offset:         0
        .size:           4
        .value_kind:     by_value
      - .offset:         8
        .size:           8
        .value_kind:     by_value
      - .address_space:  global
        .offset:         16
        .size:           8
        .value_kind:     global_buffer
      - .address_space:  global
        .offset:         24
        .size:           8
        .value_kind:     global_buffer
      - .offset:         32
        .size:           8
        .value_kind:     by_value
      - .offset:         40
        .size:           8
        .value_kind:     by_value
      - .address_space:  global
        .offset:         48
        .size:           8
        .value_kind:     global_buffer
      - .offset:         56
        .size:           8
        .value_kind:     by_value
      - .offset:         64
        .size:           8
        .value_kind:     by_value
      - .address_space:  global
        .offset:         72
        .size:           8
        .value_kind:     global_buffer
      - .address_space:  global
        .offset:         80
        .size:           8
        .value_kind:     global_buffer
      - .offset:         88
        .size:           8
        .value_kind:     by_value
      - .offset:         96
        .size:           8
        .value_kind:     by_value
      - .offset:         104
        .size:           4
        .value_kind:     by_value
    .group_segment_fixed_size: 8192
    .kernarg_segment_align: 8
    .kernarg_segment_size: 108
    .language:       OpenCL C
    .language_version:
      - 2
      - 0
    .max_flat_workgroup_size: 256
    .name:           _ZL29rocblas_internal_gemmt_kernelIlLi16ELi32ELi8ELc78ELc78ELc76ELb0ELb0E19rocblas_complex_numIdEPKS1_PKS3_PKPS1_EviT_T9_T10_S9_lSB_S9_lSA_T11_S9_li
    .private_segment_fixed_size: 0
    .sgpr_count:     46
    .sgpr_spill_count: 0
    .symbol:         _ZL29rocblas_internal_gemmt_kernelIlLi16ELi32ELi8ELc78ELc78ELc76ELb0ELb0E19rocblas_complex_numIdEPKS1_PKS3_PKPS1_EviT_T9_T10_S9_lSB_S9_lSA_T11_S9_li.kd
    .uniform_work_group_size: 1
    .uses_dynamic_stack: false
    .vgpr_count:     136
    .vgpr_spill_count: 0
    .wavefront_size: 32
    .workgroup_processor_mode: 1
  - .args:
      - .offset:         0
        .size:           4
        .value_kind:     by_value
      - .offset:         8
        .size:           8
        .value_kind:     by_value
      - .address_space:  global
        .offset:         16
        .size:           8
        .value_kind:     global_buffer
      - .address_space:  global
        .offset:         24
        .size:           8
        .value_kind:     global_buffer
      - .offset:         32
        .size:           8
        .value_kind:     by_value
      - .offset:         40
        .size:           8
        .value_kind:     by_value
      - .address_space:  global
        .offset:         48
        .size:           8
        .value_kind:     global_buffer
      - .offset:         56
        .size:           8
        .value_kind:     by_value
      - .offset:         64
        .size:           8
        .value_kind:     by_value
      - .address_space:  global
        .offset:         72
        .size:           8
        .value_kind:     global_buffer
      - .address_space:  global
        .offset:         80
        .size:           8
        .value_kind:     global_buffer
      - .offset:         88
        .size:           8
        .value_kind:     by_value
      - .offset:         96
        .size:           8
        .value_kind:     by_value
      - .offset:         104
        .size:           4
        .value_kind:     by_value
    .group_segment_fixed_size: 8192
    .kernarg_segment_align: 8
    .kernarg_segment_size: 108
    .language:       OpenCL C
    .language_version:
      - 2
      - 0
    .max_flat_workgroup_size: 256
    .name:           _ZL29rocblas_internal_gemmt_kernelIlLi16ELi32ELi8ELc78ELc84ELc76ELb0ELb0E19rocblas_complex_numIdEPKS1_PKS3_PKPS1_EviT_T9_T10_S9_lSB_S9_lSA_T11_S9_li
    .private_segment_fixed_size: 0
    .sgpr_count:     47
    .sgpr_spill_count: 0
    .symbol:         _ZL29rocblas_internal_gemmt_kernelIlLi16ELi32ELi8ELc78ELc84ELc76ELb0ELb0E19rocblas_complex_numIdEPKS1_PKS3_PKPS1_EviT_T9_T10_S9_lSB_S9_lSA_T11_S9_li.kd
    .uniform_work_group_size: 1
    .uses_dynamic_stack: false
    .vgpr_count:     135
    .vgpr_spill_count: 0
    .wavefront_size: 32
    .workgroup_processor_mode: 1
  - .args:
      - .offset:         0
        .size:           4
        .value_kind:     by_value
      - .offset:         8
        .size:           8
        .value_kind:     by_value
      - .address_space:  global
        .offset:         16
        .size:           8
        .value_kind:     global_buffer
      - .address_space:  global
        .offset:         24
        .size:           8
        .value_kind:     global_buffer
      - .offset:         32
        .size:           8
        .value_kind:     by_value
      - .offset:         40
        .size:           8
        .value_kind:     by_value
      - .address_space:  global
        .offset:         48
        .size:           8
        .value_kind:     global_buffer
      - .offset:         56
        .size:           8
        .value_kind:     by_value
      - .offset:         64
        .size:           8
        .value_kind:     by_value
      - .address_space:  global
        .offset:         72
        .size:           8
        .value_kind:     global_buffer
      - .address_space:  global
        .offset:         80
        .size:           8
        .value_kind:     global_buffer
      - .offset:         88
        .size:           8
        .value_kind:     by_value
      - .offset:         96
        .size:           8
        .value_kind:     by_value
      - .offset:         104
        .size:           4
        .value_kind:     by_value
    .group_segment_fixed_size: 8192
    .kernarg_segment_align: 8
    .kernarg_segment_size: 108
    .language:       OpenCL C
    .language_version:
      - 2
      - 0
    .max_flat_workgroup_size: 256
    .name:           _ZL29rocblas_internal_gemmt_kernelIlLi16ELi32ELi8ELc78ELc67ELc76ELb0ELb1E19rocblas_complex_numIdEPKS1_PKS3_PKPS1_EviT_T9_T10_S9_lSB_S9_lSA_T11_S9_li
    .private_segment_fixed_size: 0
    .sgpr_count:     47
    .sgpr_spill_count: 0
    .symbol:         _ZL29rocblas_internal_gemmt_kernelIlLi16ELi32ELi8ELc78ELc67ELc76ELb0ELb1E19rocblas_complex_numIdEPKS1_PKS3_PKPS1_EviT_T9_T10_S9_lSB_S9_lSA_T11_S9_li.kd
    .uniform_work_group_size: 1
    .uses_dynamic_stack: false
    .vgpr_count:     135
    .vgpr_spill_count: 0
    .wavefront_size: 32
    .workgroup_processor_mode: 1
  - .args:
      - .offset:         0
        .size:           4
        .value_kind:     by_value
      - .offset:         8
        .size:           8
        .value_kind:     by_value
      - .address_space:  global
        .offset:         16
        .size:           8
        .value_kind:     global_buffer
      - .address_space:  global
        .offset:         24
        .size:           8
        .value_kind:     global_buffer
      - .offset:         32
        .size:           8
        .value_kind:     by_value
      - .offset:         40
        .size:           8
        .value_kind:     by_value
      - .address_space:  global
        .offset:         48
        .size:           8
        .value_kind:     global_buffer
      - .offset:         56
        .size:           8
        .value_kind:     by_value
      - .offset:         64
        .size:           8
        .value_kind:     by_value
      - .address_space:  global
        .offset:         72
        .size:           8
        .value_kind:     global_buffer
      - .address_space:  global
        .offset:         80
        .size:           8
        .value_kind:     global_buffer
      - .offset:         88
        .size:           8
        .value_kind:     by_value
      - .offset:         96
        .size:           8
        .value_kind:     by_value
      - .offset:         104
        .size:           4
        .value_kind:     by_value
    .group_segment_fixed_size: 8192
    .kernarg_segment_align: 8
    .kernarg_segment_size: 108
    .language:       OpenCL C
    .language_version:
      - 2
      - 0
    .max_flat_workgroup_size: 256
    .name:           _ZL29rocblas_internal_gemmt_kernelIlLi16ELi32ELi8ELc84ELc78ELc76ELb0ELb0E19rocblas_complex_numIdEPKS1_PKS3_PKPS1_EviT_T9_T10_S9_lSB_S9_lSA_T11_S9_li
    .private_segment_fixed_size: 0
    .sgpr_count:     46
    .sgpr_spill_count: 0
    .symbol:         _ZL29rocblas_internal_gemmt_kernelIlLi16ELi32ELi8ELc84ELc78ELc76ELb0ELb0E19rocblas_complex_numIdEPKS1_PKS3_PKPS1_EviT_T9_T10_S9_lSB_S9_lSA_T11_S9_li.kd
    .uniform_work_group_size: 1
    .uses_dynamic_stack: false
    .vgpr_count:     136
    .vgpr_spill_count: 0
    .wavefront_size: 32
    .workgroup_processor_mode: 1
  - .args:
      - .offset:         0
        .size:           4
        .value_kind:     by_value
      - .offset:         8
        .size:           8
        .value_kind:     by_value
      - .address_space:  global
        .offset:         16
        .size:           8
        .value_kind:     global_buffer
      - .address_space:  global
        .offset:         24
        .size:           8
        .value_kind:     global_buffer
      - .offset:         32
        .size:           8
        .value_kind:     by_value
      - .offset:         40
        .size:           8
        .value_kind:     by_value
      - .address_space:  global
        .offset:         48
        .size:           8
        .value_kind:     global_buffer
      - .offset:         56
        .size:           8
        .value_kind:     by_value
      - .offset:         64
        .size:           8
        .value_kind:     by_value
      - .address_space:  global
        .offset:         72
        .size:           8
        .value_kind:     global_buffer
      - .address_space:  global
        .offset:         80
        .size:           8
        .value_kind:     global_buffer
      - .offset:         88
        .size:           8
        .value_kind:     by_value
      - .offset:         96
        .size:           8
        .value_kind:     by_value
      - .offset:         104
        .size:           4
        .value_kind:     by_value
    .group_segment_fixed_size: 8192
    .kernarg_segment_align: 8
    .kernarg_segment_size: 108
    .language:       OpenCL C
    .language_version:
      - 2
      - 0
    .max_flat_workgroup_size: 256
    .name:           _ZL29rocblas_internal_gemmt_kernelIlLi16ELi32ELi8ELc84ELc84ELc76ELb0ELb0E19rocblas_complex_numIdEPKS1_PKS3_PKPS1_EviT_T9_T10_S9_lSB_S9_lSA_T11_S9_li
    .private_segment_fixed_size: 0
    .sgpr_count:     46
    .sgpr_spill_count: 0
    .symbol:         _ZL29rocblas_internal_gemmt_kernelIlLi16ELi32ELi8ELc84ELc84ELc76ELb0ELb0E19rocblas_complex_numIdEPKS1_PKS3_PKPS1_EviT_T9_T10_S9_lSB_S9_lSA_T11_S9_li.kd
    .uniform_work_group_size: 1
    .uses_dynamic_stack: false
    .vgpr_count:     135
    .vgpr_spill_count: 0
    .wavefront_size: 32
    .workgroup_processor_mode: 1
  - .args:
      - .offset:         0
        .size:           4
        .value_kind:     by_value
      - .offset:         8
        .size:           8
        .value_kind:     by_value
      - .address_space:  global
        .offset:         16
        .size:           8
        .value_kind:     global_buffer
      - .address_space:  global
        .offset:         24
        .size:           8
        .value_kind:     global_buffer
      - .offset:         32
        .size:           8
        .value_kind:     by_value
      - .offset:         40
        .size:           8
        .value_kind:     by_value
      - .address_space:  global
        .offset:         48
        .size:           8
        .value_kind:     global_buffer
      - .offset:         56
        .size:           8
        .value_kind:     by_value
      - .offset:         64
        .size:           8
        .value_kind:     by_value
      - .address_space:  global
        .offset:         72
        .size:           8
        .value_kind:     global_buffer
      - .address_space:  global
        .offset:         80
        .size:           8
        .value_kind:     global_buffer
      - .offset:         88
        .size:           8
        .value_kind:     by_value
      - .offset:         96
        .size:           8
        .value_kind:     by_value
      - .offset:         104
        .size:           4
        .value_kind:     by_value
    .group_segment_fixed_size: 8192
    .kernarg_segment_align: 8
    .kernarg_segment_size: 108
    .language:       OpenCL C
    .language_version:
      - 2
      - 0
    .max_flat_workgroup_size: 256
    .name:           _ZL29rocblas_internal_gemmt_kernelIlLi16ELi32ELi8ELc84ELc67ELc76ELb0ELb1E19rocblas_complex_numIdEPKS1_PKS3_PKPS1_EviT_T9_T10_S9_lSB_S9_lSA_T11_S9_li
    .private_segment_fixed_size: 0
    .sgpr_count:     47
    .sgpr_spill_count: 0
    .symbol:         _ZL29rocblas_internal_gemmt_kernelIlLi16ELi32ELi8ELc84ELc67ELc76ELb0ELb1E19rocblas_complex_numIdEPKS1_PKS3_PKPS1_EviT_T9_T10_S9_lSB_S9_lSA_T11_S9_li.kd
    .uniform_work_group_size: 1
    .uses_dynamic_stack: false
    .vgpr_count:     135
    .vgpr_spill_count: 0
    .wavefront_size: 32
    .workgroup_processor_mode: 1
  - .args:
      - .offset:         0
        .size:           4
        .value_kind:     by_value
      - .offset:         8
        .size:           8
        .value_kind:     by_value
      - .address_space:  global
        .offset:         16
        .size:           8
        .value_kind:     global_buffer
      - .address_space:  global
        .offset:         24
        .size:           8
        .value_kind:     global_buffer
      - .offset:         32
        .size:           8
        .value_kind:     by_value
      - .offset:         40
        .size:           8
        .value_kind:     by_value
      - .address_space:  global
        .offset:         48
        .size:           8
        .value_kind:     global_buffer
      - .offset:         56
        .size:           8
        .value_kind:     by_value
      - .offset:         64
        .size:           8
        .value_kind:     by_value
      - .address_space:  global
        .offset:         72
        .size:           8
        .value_kind:     global_buffer
      - .address_space:  global
        .offset:         80
        .size:           8
        .value_kind:     global_buffer
      - .offset:         88
        .size:           8
        .value_kind:     by_value
      - .offset:         96
        .size:           8
        .value_kind:     by_value
      - .offset:         104
        .size:           4
        .value_kind:     by_value
    .group_segment_fixed_size: 8192
    .kernarg_segment_align: 8
    .kernarg_segment_size: 108
    .language:       OpenCL C
    .language_version:
      - 2
      - 0
    .max_flat_workgroup_size: 256
    .name:           _ZL29rocblas_internal_gemmt_kernelIlLi16ELi32ELi8ELc67ELc78ELc76ELb1ELb0E19rocblas_complex_numIdEPKS1_PKS3_PKPS1_EviT_T9_T10_S9_lSB_S9_lSA_T11_S9_li
    .private_segment_fixed_size: 0
    .sgpr_count:     46
    .sgpr_spill_count: 0
    .symbol:         _ZL29rocblas_internal_gemmt_kernelIlLi16ELi32ELi8ELc67ELc78ELc76ELb1ELb0E19rocblas_complex_numIdEPKS1_PKS3_PKPS1_EviT_T9_T10_S9_lSB_S9_lSA_T11_S9_li.kd
    .uniform_work_group_size: 1
    .uses_dynamic_stack: false
    .vgpr_count:     134
    .vgpr_spill_count: 0
    .wavefront_size: 32
    .workgroup_processor_mode: 1
  - .args:
      - .offset:         0
        .size:           4
        .value_kind:     by_value
      - .offset:         8
        .size:           8
        .value_kind:     by_value
      - .address_space:  global
        .offset:         16
        .size:           8
        .value_kind:     global_buffer
      - .address_space:  global
        .offset:         24
        .size:           8
        .value_kind:     global_buffer
      - .offset:         32
        .size:           8
        .value_kind:     by_value
      - .offset:         40
        .size:           8
        .value_kind:     by_value
      - .address_space:  global
        .offset:         48
        .size:           8
        .value_kind:     global_buffer
      - .offset:         56
        .size:           8
        .value_kind:     by_value
      - .offset:         64
        .size:           8
        .value_kind:     by_value
      - .address_space:  global
        .offset:         72
        .size:           8
        .value_kind:     global_buffer
      - .address_space:  global
        .offset:         80
        .size:           8
        .value_kind:     global_buffer
      - .offset:         88
        .size:           8
        .value_kind:     by_value
      - .offset:         96
        .size:           8
        .value_kind:     by_value
      - .offset:         104
        .size:           4
        .value_kind:     by_value
    .group_segment_fixed_size: 8192
    .kernarg_segment_align: 8
    .kernarg_segment_size: 108
    .language:       OpenCL C
    .language_version:
      - 2
      - 0
    .max_flat_workgroup_size: 256
    .name:           _ZL29rocblas_internal_gemmt_kernelIlLi16ELi32ELi8ELc67ELc84ELc76ELb1ELb0E19rocblas_complex_numIdEPKS1_PKS3_PKPS1_EviT_T9_T10_S9_lSB_S9_lSA_T11_S9_li
    .private_segment_fixed_size: 0
    .sgpr_count:     46
    .sgpr_spill_count: 0
    .symbol:         _ZL29rocblas_internal_gemmt_kernelIlLi16ELi32ELi8ELc67ELc84ELc76ELb1ELb0E19rocblas_complex_numIdEPKS1_PKS3_PKPS1_EviT_T9_T10_S9_lSB_S9_lSA_T11_S9_li.kd
    .uniform_work_group_size: 1
    .uses_dynamic_stack: false
    .vgpr_count:     133
    .vgpr_spill_count: 0
    .wavefront_size: 32
    .workgroup_processor_mode: 1
  - .args:
      - .offset:         0
        .size:           4
        .value_kind:     by_value
      - .offset:         8
        .size:           8
        .value_kind:     by_value
      - .address_space:  global
        .offset:         16
        .size:           8
        .value_kind:     global_buffer
      - .address_space:  global
        .offset:         24
        .size:           8
        .value_kind:     global_buffer
      - .offset:         32
        .size:           8
        .value_kind:     by_value
      - .offset:         40
        .size:           8
        .value_kind:     by_value
      - .address_space:  global
        .offset:         48
        .size:           8
        .value_kind:     global_buffer
      - .offset:         56
        .size:           8
        .value_kind:     by_value
      - .offset:         64
        .size:           8
        .value_kind:     by_value
      - .address_space:  global
        .offset:         72
        .size:           8
        .value_kind:     global_buffer
      - .address_space:  global
        .offset:         80
        .size:           8
        .value_kind:     global_buffer
      - .offset:         88
        .size:           8
        .value_kind:     by_value
      - .offset:         96
        .size:           8
        .value_kind:     by_value
      - .offset:         104
        .size:           4
        .value_kind:     by_value
    .group_segment_fixed_size: 8192
    .kernarg_segment_align: 8
    .kernarg_segment_size: 108
    .language:       OpenCL C
    .language_version:
      - 2
      - 0
    .max_flat_workgroup_size: 256
    .name:           _ZL29rocblas_internal_gemmt_kernelIlLi16ELi32ELi8ELc67ELc67ELc76ELb1ELb1E19rocblas_complex_numIdEPKS1_PKS3_PKPS1_EviT_T9_T10_S9_lSB_S9_lSA_T11_S9_li
    .private_segment_fixed_size: 0
    .sgpr_count:     46
    .sgpr_spill_count: 0
    .symbol:         _ZL29rocblas_internal_gemmt_kernelIlLi16ELi32ELi8ELc67ELc67ELc76ELb1ELb1E19rocblas_complex_numIdEPKS1_PKS3_PKPS1_EviT_T9_T10_S9_lSB_S9_lSA_T11_S9_li.kd
    .uniform_work_group_size: 1
    .uses_dynamic_stack: false
    .vgpr_count:     133
    .vgpr_spill_count: 0
    .wavefront_size: 32
    .workgroup_processor_mode: 1
  - .args:
      - .offset:         0
        .size:           4
        .value_kind:     by_value
      - .offset:         8
        .size:           8
        .value_kind:     by_value
      - .offset:         16
        .size:           16
        .value_kind:     by_value
      - .address_space:  global
        .offset:         32
        .size:           8
        .value_kind:     global_buffer
      - .offset:         40
        .size:           8
        .value_kind:     by_value
      - .offset:         48
        .size:           8
        .value_kind:     by_value
      - .address_space:  global
        .offset:         56
        .size:           8
        .value_kind:     global_buffer
      - .offset:         64
        .size:           8
        .value_kind:     by_value
      - .offset:         72
        .size:           8
        .value_kind:     by_value
      - .offset:         80
        .size:           16
        .value_kind:     by_value
      - .address_space:  global
        .offset:         96
        .size:           8
        .value_kind:     global_buffer
      - .offset:         104
        .size:           8
        .value_kind:     by_value
      - .offset:         112
        .size:           8
        .value_kind:     by_value
      - .offset:         120
        .size:           4
        .value_kind:     by_value
    .group_segment_fixed_size: 8192
    .kernarg_segment_align: 8
    .kernarg_segment_size: 124
    .language:       OpenCL C
    .language_version:
      - 2
      - 0
    .max_flat_workgroup_size: 256
    .name:           _ZL29rocblas_internal_gemmt_kernelIlLi16ELi32ELi8ELc78ELc78ELc85ELb0ELb0E19rocblas_complex_numIdES1_PKPKS1_PKPS1_EviT_T9_T10_S9_lSB_S9_lSA_T11_S9_li
    .private_segment_fixed_size: 0
    .sgpr_count:     45
    .sgpr_spill_count: 0
    .symbol:         _ZL29rocblas_internal_gemmt_kernelIlLi16ELi32ELi8ELc78ELc78ELc85ELb0ELb0E19rocblas_complex_numIdES1_PKPKS1_PKPS1_EviT_T9_T10_S9_lSB_S9_lSA_T11_S9_li.kd
    .uniform_work_group_size: 1
    .uses_dynamic_stack: false
    .vgpr_count:     136
    .vgpr_spill_count: 0
    .wavefront_size: 32
    .workgroup_processor_mode: 1
  - .args:
      - .offset:         0
        .size:           4
        .value_kind:     by_value
      - .offset:         8
        .size:           8
        .value_kind:     by_value
      - .offset:         16
        .size:           16
        .value_kind:     by_value
      - .address_space:  global
        .offset:         32
        .size:           8
        .value_kind:     global_buffer
      - .offset:         40
        .size:           8
        .value_kind:     by_value
      - .offset:         48
        .size:           8
        .value_kind:     by_value
      - .address_space:  global
        .offset:         56
        .size:           8
        .value_kind:     global_buffer
      - .offset:         64
        .size:           8
        .value_kind:     by_value
      - .offset:         72
        .size:           8
        .value_kind:     by_value
      - .offset:         80
        .size:           16
        .value_kind:     by_value
      - .address_space:  global
        .offset:         96
        .size:           8
        .value_kind:     global_buffer
      - .offset:         104
        .size:           8
        .value_kind:     by_value
      - .offset:         112
        .size:           8
        .value_kind:     by_value
      - .offset:         120
        .size:           4
        .value_kind:     by_value
    .group_segment_fixed_size: 8192
    .kernarg_segment_align: 8
    .kernarg_segment_size: 124
    .language:       OpenCL C
    .language_version:
      - 2
      - 0
    .max_flat_workgroup_size: 256
    .name:           _ZL29rocblas_internal_gemmt_kernelIlLi16ELi32ELi8ELc78ELc84ELc85ELb0ELb0E19rocblas_complex_numIdES1_PKPKS1_PKPS1_EviT_T9_T10_S9_lSB_S9_lSA_T11_S9_li
    .private_segment_fixed_size: 0
    .sgpr_count:     47
    .sgpr_spill_count: 0
    .symbol:         _ZL29rocblas_internal_gemmt_kernelIlLi16ELi32ELi8ELc78ELc84ELc85ELb0ELb0E19rocblas_complex_numIdES1_PKPKS1_PKPS1_EviT_T9_T10_S9_lSB_S9_lSA_T11_S9_li.kd
    .uniform_work_group_size: 1
    .uses_dynamic_stack: false
    .vgpr_count:     135
    .vgpr_spill_count: 0
    .wavefront_size: 32
    .workgroup_processor_mode: 1
  - .args:
      - .offset:         0
        .size:           4
        .value_kind:     by_value
      - .offset:         8
        .size:           8
        .value_kind:     by_value
      - .offset:         16
        .size:           16
        .value_kind:     by_value
      - .address_space:  global
        .offset:         32
        .size:           8
        .value_kind:     global_buffer
      - .offset:         40
        .size:           8
        .value_kind:     by_value
      - .offset:         48
        .size:           8
        .value_kind:     by_value
      - .address_space:  global
        .offset:         56
        .size:           8
        .value_kind:     global_buffer
      - .offset:         64
        .size:           8
        .value_kind:     by_value
      - .offset:         72
        .size:           8
        .value_kind:     by_value
      - .offset:         80
        .size:           16
        .value_kind:     by_value
      - .address_space:  global
        .offset:         96
        .size:           8
        .value_kind:     global_buffer
      - .offset:         104
        .size:           8
        .value_kind:     by_value
      - .offset:         112
        .size:           8
        .value_kind:     by_value
      - .offset:         120
        .size:           4
        .value_kind:     by_value
    .group_segment_fixed_size: 8192
    .kernarg_segment_align: 8
    .kernarg_segment_size: 124
    .language:       OpenCL C
    .language_version:
      - 2
      - 0
    .max_flat_workgroup_size: 256
    .name:           _ZL29rocblas_internal_gemmt_kernelIlLi16ELi32ELi8ELc78ELc67ELc85ELb0ELb1E19rocblas_complex_numIdES1_PKPKS1_PKPS1_EviT_T9_T10_S9_lSB_S9_lSA_T11_S9_li
    .private_segment_fixed_size: 0
    .sgpr_count:     47
    .sgpr_spill_count: 0
    .symbol:         _ZL29rocblas_internal_gemmt_kernelIlLi16ELi32ELi8ELc78ELc67ELc85ELb0ELb1E19rocblas_complex_numIdES1_PKPKS1_PKPS1_EviT_T9_T10_S9_lSB_S9_lSA_T11_S9_li.kd
    .uniform_work_group_size: 1
    .uses_dynamic_stack: false
    .vgpr_count:     135
    .vgpr_spill_count: 0
    .wavefront_size: 32
    .workgroup_processor_mode: 1
  - .args:
      - .offset:         0
        .size:           4
        .value_kind:     by_value
      - .offset:         8
        .size:           8
        .value_kind:     by_value
      - .offset:         16
        .size:           16
        .value_kind:     by_value
      - .address_space:  global
        .offset:         32
        .size:           8
        .value_kind:     global_buffer
      - .offset:         40
        .size:           8
        .value_kind:     by_value
      - .offset:         48
        .size:           8
        .value_kind:     by_value
      - .address_space:  global
        .offset:         56
        .size:           8
        .value_kind:     global_buffer
      - .offset:         64
        .size:           8
        .value_kind:     by_value
      - .offset:         72
        .size:           8
        .value_kind:     by_value
      - .offset:         80
        .size:           16
        .value_kind:     by_value
      - .address_space:  global
        .offset:         96
        .size:           8
        .value_kind:     global_buffer
      - .offset:         104
        .size:           8
        .value_kind:     by_value
      - .offset:         112
        .size:           8
        .value_kind:     by_value
      - .offset:         120
        .size:           4
        .value_kind:     by_value
    .group_segment_fixed_size: 8192
    .kernarg_segment_align: 8
    .kernarg_segment_size: 124
    .language:       OpenCL C
    .language_version:
      - 2
      - 0
    .max_flat_workgroup_size: 256
    .name:           _ZL29rocblas_internal_gemmt_kernelIlLi16ELi32ELi8ELc84ELc78ELc85ELb0ELb0E19rocblas_complex_numIdES1_PKPKS1_PKPS1_EviT_T9_T10_S9_lSB_S9_lSA_T11_S9_li
    .private_segment_fixed_size: 0
    .sgpr_count:     43
    .sgpr_spill_count: 0
    .symbol:         _ZL29rocblas_internal_gemmt_kernelIlLi16ELi32ELi8ELc84ELc78ELc85ELb0ELb0E19rocblas_complex_numIdES1_PKPKS1_PKPS1_EviT_T9_T10_S9_lSB_S9_lSA_T11_S9_li.kd
    .uniform_work_group_size: 1
    .uses_dynamic_stack: false
    .vgpr_count:     136
    .vgpr_spill_count: 0
    .wavefront_size: 32
    .workgroup_processor_mode: 1
  - .args:
      - .offset:         0
        .size:           4
        .value_kind:     by_value
      - .offset:         8
        .size:           8
        .value_kind:     by_value
      - .offset:         16
        .size:           16
        .value_kind:     by_value
      - .address_space:  global
        .offset:         32
        .size:           8
        .value_kind:     global_buffer
      - .offset:         40
        .size:           8
        .value_kind:     by_value
      - .offset:         48
        .size:           8
        .value_kind:     by_value
      - .address_space:  global
        .offset:         56
        .size:           8
        .value_kind:     global_buffer
      - .offset:         64
        .size:           8
        .value_kind:     by_value
      - .offset:         72
        .size:           8
        .value_kind:     by_value
      - .offset:         80
        .size:           16
        .value_kind:     by_value
      - .address_space:  global
        .offset:         96
        .size:           8
        .value_kind:     global_buffer
      - .offset:         104
        .size:           8
        .value_kind:     by_value
      - .offset:         112
        .size:           8
        .value_kind:     by_value
      - .offset:         120
        .size:           4
        .value_kind:     by_value
    .group_segment_fixed_size: 8192
    .kernarg_segment_align: 8
    .kernarg_segment_size: 124
    .language:       OpenCL C
    .language_version:
      - 2
      - 0
    .max_flat_workgroup_size: 256
    .name:           _ZL29rocblas_internal_gemmt_kernelIlLi16ELi32ELi8ELc84ELc84ELc85ELb0ELb0E19rocblas_complex_numIdES1_PKPKS1_PKPS1_EviT_T9_T10_S9_lSB_S9_lSA_T11_S9_li
    .private_segment_fixed_size: 0
    .sgpr_count:     45
    .sgpr_spill_count: 0
    .symbol:         _ZL29rocblas_internal_gemmt_kernelIlLi16ELi32ELi8ELc84ELc84ELc85ELb0ELb0E19rocblas_complex_numIdES1_PKPKS1_PKPS1_EviT_T9_T10_S9_lSB_S9_lSA_T11_S9_li.kd
    .uniform_work_group_size: 1
    .uses_dynamic_stack: false
    .vgpr_count:     135
    .vgpr_spill_count: 0
    .wavefront_size: 32
    .workgroup_processor_mode: 1
  - .args:
      - .offset:         0
        .size:           4
        .value_kind:     by_value
      - .offset:         8
        .size:           8
        .value_kind:     by_value
      - .offset:         16
        .size:           16
        .value_kind:     by_value
      - .address_space:  global
        .offset:         32
        .size:           8
        .value_kind:     global_buffer
      - .offset:         40
        .size:           8
        .value_kind:     by_value
      - .offset:         48
        .size:           8
        .value_kind:     by_value
      - .address_space:  global
        .offset:         56
        .size:           8
        .value_kind:     global_buffer
      - .offset:         64
        .size:           8
        .value_kind:     by_value
      - .offset:         72
        .size:           8
        .value_kind:     by_value
      - .offset:         80
        .size:           16
        .value_kind:     by_value
      - .address_space:  global
        .offset:         96
        .size:           8
        .value_kind:     global_buffer
      - .offset:         104
        .size:           8
        .value_kind:     by_value
      - .offset:         112
        .size:           8
        .value_kind:     by_value
      - .offset:         120
        .size:           4
        .value_kind:     by_value
    .group_segment_fixed_size: 8192
    .kernarg_segment_align: 8
    .kernarg_segment_size: 124
    .language:       OpenCL C
    .language_version:
      - 2
      - 0
    .max_flat_workgroup_size: 256
    .name:           _ZL29rocblas_internal_gemmt_kernelIlLi16ELi32ELi8ELc84ELc67ELc85ELb0ELb1E19rocblas_complex_numIdES1_PKPKS1_PKPS1_EviT_T9_T10_S9_lSB_S9_lSA_T11_S9_li
    .private_segment_fixed_size: 0
    .sgpr_count:     45
    .sgpr_spill_count: 0
    .symbol:         _ZL29rocblas_internal_gemmt_kernelIlLi16ELi32ELi8ELc84ELc67ELc85ELb0ELb1E19rocblas_complex_numIdES1_PKPKS1_PKPS1_EviT_T9_T10_S9_lSB_S9_lSA_T11_S9_li.kd
    .uniform_work_group_size: 1
    .uses_dynamic_stack: false
    .vgpr_count:     135
    .vgpr_spill_count: 0
    .wavefront_size: 32
    .workgroup_processor_mode: 1
  - .args:
      - .offset:         0
        .size:           4
        .value_kind:     by_value
      - .offset:         8
        .size:           8
        .value_kind:     by_value
      - .offset:         16
        .size:           16
        .value_kind:     by_value
      - .address_space:  global
        .offset:         32
        .size:           8
        .value_kind:     global_buffer
      - .offset:         40
        .size:           8
        .value_kind:     by_value
      - .offset:         48
        .size:           8
        .value_kind:     by_value
      - .address_space:  global
        .offset:         56
        .size:           8
        .value_kind:     global_buffer
      - .offset:         64
        .size:           8
        .value_kind:     by_value
      - .offset:         72
        .size:           8
        .value_kind:     by_value
      - .offset:         80
        .size:           16
        .value_kind:     by_value
      - .address_space:  global
        .offset:         96
        .size:           8
        .value_kind:     global_buffer
      - .offset:         104
        .size:           8
        .value_kind:     by_value
      - .offset:         112
        .size:           8
        .value_kind:     by_value
      - .offset:         120
        .size:           4
        .value_kind:     by_value
    .group_segment_fixed_size: 8192
    .kernarg_segment_align: 8
    .kernarg_segment_size: 124
    .language:       OpenCL C
    .language_version:
      - 2
      - 0
    .max_flat_workgroup_size: 256
    .name:           _ZL29rocblas_internal_gemmt_kernelIlLi16ELi32ELi8ELc67ELc78ELc85ELb1ELb0E19rocblas_complex_numIdES1_PKPKS1_PKPS1_EviT_T9_T10_S9_lSB_S9_lSA_T11_S9_li
    .private_segment_fixed_size: 0
    .sgpr_count:     42
    .sgpr_spill_count: 0
    .symbol:         _ZL29rocblas_internal_gemmt_kernelIlLi16ELi32ELi8ELc67ELc78ELc85ELb1ELb0E19rocblas_complex_numIdES1_PKPKS1_PKPS1_EviT_T9_T10_S9_lSB_S9_lSA_T11_S9_li.kd
    .uniform_work_group_size: 1
    .uses_dynamic_stack: false
    .vgpr_count:     134
    .vgpr_spill_count: 0
    .wavefront_size: 32
    .workgroup_processor_mode: 1
  - .args:
      - .offset:         0
        .size:           4
        .value_kind:     by_value
      - .offset:         8
        .size:           8
        .value_kind:     by_value
      - .offset:         16
        .size:           16
        .value_kind:     by_value
      - .address_space:  global
        .offset:         32
        .size:           8
        .value_kind:     global_buffer
      - .offset:         40
        .size:           8
        .value_kind:     by_value
      - .offset:         48
        .size:           8
        .value_kind:     by_value
      - .address_space:  global
        .offset:         56
        .size:           8
        .value_kind:     global_buffer
      - .offset:         64
        .size:           8
        .value_kind:     by_value
      - .offset:         72
        .size:           8
        .value_kind:     by_value
      - .offset:         80
        .size:           16
        .value_kind:     by_value
      - .address_space:  global
        .offset:         96
        .size:           8
        .value_kind:     global_buffer
      - .offset:         104
        .size:           8
        .value_kind:     by_value
      - .offset:         112
        .size:           8
        .value_kind:     by_value
      - .offset:         120
        .size:           4
        .value_kind:     by_value
    .group_segment_fixed_size: 8192
    .kernarg_segment_align: 8
    .kernarg_segment_size: 124
    .language:       OpenCL C
    .language_version:
      - 2
      - 0
    .max_flat_workgroup_size: 256
    .name:           _ZL29rocblas_internal_gemmt_kernelIlLi16ELi32ELi8ELc67ELc84ELc85ELb1ELb0E19rocblas_complex_numIdES1_PKPKS1_PKPS1_EviT_T9_T10_S9_lSB_S9_lSA_T11_S9_li
    .private_segment_fixed_size: 0
    .sgpr_count:     43
    .sgpr_spill_count: 0
    .symbol:         _ZL29rocblas_internal_gemmt_kernelIlLi16ELi32ELi8ELc67ELc84ELc85ELb1ELb0E19rocblas_complex_numIdES1_PKPKS1_PKPS1_EviT_T9_T10_S9_lSB_S9_lSA_T11_S9_li.kd
    .uniform_work_group_size: 1
    .uses_dynamic_stack: false
    .vgpr_count:     133
    .vgpr_spill_count: 0
    .wavefront_size: 32
    .workgroup_processor_mode: 1
  - .args:
      - .offset:         0
        .size:           4
        .value_kind:     by_value
      - .offset:         8
        .size:           8
        .value_kind:     by_value
      - .offset:         16
        .size:           16
        .value_kind:     by_value
      - .address_space:  global
        .offset:         32
        .size:           8
        .value_kind:     global_buffer
      - .offset:         40
        .size:           8
        .value_kind:     by_value
      - .offset:         48
        .size:           8
        .value_kind:     by_value
      - .address_space:  global
        .offset:         56
        .size:           8
        .value_kind:     global_buffer
      - .offset:         64
        .size:           8
        .value_kind:     by_value
      - .offset:         72
        .size:           8
        .value_kind:     by_value
      - .offset:         80
        .size:           16
        .value_kind:     by_value
      - .address_space:  global
        .offset:         96
        .size:           8
        .value_kind:     global_buffer
      - .offset:         104
        .size:           8
        .value_kind:     by_value
      - .offset:         112
        .size:           8
        .value_kind:     by_value
      - .offset:         120
        .size:           4
        .value_kind:     by_value
    .group_segment_fixed_size: 8192
    .kernarg_segment_align: 8
    .kernarg_segment_size: 124
    .language:       OpenCL C
    .language_version:
      - 2
      - 0
    .max_flat_workgroup_size: 256
    .name:           _ZL29rocblas_internal_gemmt_kernelIlLi16ELi32ELi8ELc67ELc67ELc85ELb1ELb1E19rocblas_complex_numIdES1_PKPKS1_PKPS1_EviT_T9_T10_S9_lSB_S9_lSA_T11_S9_li
    .private_segment_fixed_size: 0
    .sgpr_count:     44
    .sgpr_spill_count: 0
    .symbol:         _ZL29rocblas_internal_gemmt_kernelIlLi16ELi32ELi8ELc67ELc67ELc85ELb1ELb1E19rocblas_complex_numIdES1_PKPKS1_PKPS1_EviT_T9_T10_S9_lSB_S9_lSA_T11_S9_li.kd
    .uniform_work_group_size: 1
    .uses_dynamic_stack: false
    .vgpr_count:     133
    .vgpr_spill_count: 0
    .wavefront_size: 32
    .workgroup_processor_mode: 1
  - .args:
      - .offset:         0
        .size:           4
        .value_kind:     by_value
      - .offset:         8
        .size:           8
        .value_kind:     by_value
      - .offset:         16
        .size:           16
        .value_kind:     by_value
      - .address_space:  global
        .offset:         32
        .size:           8
        .value_kind:     global_buffer
      - .offset:         40
        .size:           8
        .value_kind:     by_value
      - .offset:         48
        .size:           8
        .value_kind:     by_value
      - .address_space:  global
        .offset:         56
        .size:           8
        .value_kind:     global_buffer
      - .offset:         64
        .size:           8
        .value_kind:     by_value
      - .offset:         72
        .size:           8
        .value_kind:     by_value
      - .offset:         80
        .size:           16
        .value_kind:     by_value
      - .address_space:  global
        .offset:         96
        .size:           8
        .value_kind:     global_buffer
      - .offset:         104
        .size:           8
        .value_kind:     by_value
      - .offset:         112
        .size:           8
        .value_kind:     by_value
      - .offset:         120
        .size:           4
        .value_kind:     by_value
    .group_segment_fixed_size: 8192
    .kernarg_segment_align: 8
    .kernarg_segment_size: 124
    .language:       OpenCL C
    .language_version:
      - 2
      - 0
    .max_flat_workgroup_size: 256
    .name:           _ZL29rocblas_internal_gemmt_kernelIlLi16ELi32ELi8ELc78ELc78ELc76ELb0ELb0E19rocblas_complex_numIdES1_PKPKS1_PKPS1_EviT_T9_T10_S9_lSB_S9_lSA_T11_S9_li
    .private_segment_fixed_size: 0
    .sgpr_count:     45
    .sgpr_spill_count: 0
    .symbol:         _ZL29rocblas_internal_gemmt_kernelIlLi16ELi32ELi8ELc78ELc78ELc76ELb0ELb0E19rocblas_complex_numIdES1_PKPKS1_PKPS1_EviT_T9_T10_S9_lSB_S9_lSA_T11_S9_li.kd
    .uniform_work_group_size: 1
    .uses_dynamic_stack: false
    .vgpr_count:     136
    .vgpr_spill_count: 0
    .wavefront_size: 32
    .workgroup_processor_mode: 1
  - .args:
      - .offset:         0
        .size:           4
        .value_kind:     by_value
      - .offset:         8
        .size:           8
        .value_kind:     by_value
      - .offset:         16
        .size:           16
        .value_kind:     by_value
      - .address_space:  global
        .offset:         32
        .size:           8
        .value_kind:     global_buffer
      - .offset:         40
        .size:           8
        .value_kind:     by_value
      - .offset:         48
        .size:           8
        .value_kind:     by_value
      - .address_space:  global
        .offset:         56
        .size:           8
        .value_kind:     global_buffer
      - .offset:         64
        .size:           8
        .value_kind:     by_value
      - .offset:         72
        .size:           8
        .value_kind:     by_value
      - .offset:         80
        .size:           16
        .value_kind:     by_value
      - .address_space:  global
        .offset:         96
        .size:           8
        .value_kind:     global_buffer
      - .offset:         104
        .size:           8
        .value_kind:     by_value
      - .offset:         112
        .size:           8
        .value_kind:     by_value
      - .offset:         120
        .size:           4
        .value_kind:     by_value
    .group_segment_fixed_size: 8192
    .kernarg_segment_align: 8
    .kernarg_segment_size: 124
    .language:       OpenCL C
    .language_version:
      - 2
      - 0
    .max_flat_workgroup_size: 256
    .name:           _ZL29rocblas_internal_gemmt_kernelIlLi16ELi32ELi8ELc78ELc84ELc76ELb0ELb0E19rocblas_complex_numIdES1_PKPKS1_PKPS1_EviT_T9_T10_S9_lSB_S9_lSA_T11_S9_li
    .private_segment_fixed_size: 0
    .sgpr_count:     47
    .sgpr_spill_count: 0
    .symbol:         _ZL29rocblas_internal_gemmt_kernelIlLi16ELi32ELi8ELc78ELc84ELc76ELb0ELb0E19rocblas_complex_numIdES1_PKPKS1_PKPS1_EviT_T9_T10_S9_lSB_S9_lSA_T11_S9_li.kd
    .uniform_work_group_size: 1
    .uses_dynamic_stack: false
    .vgpr_count:     135
    .vgpr_spill_count: 0
    .wavefront_size: 32
    .workgroup_processor_mode: 1
  - .args:
      - .offset:         0
        .size:           4
        .value_kind:     by_value
      - .offset:         8
        .size:           8
        .value_kind:     by_value
      - .offset:         16
        .size:           16
        .value_kind:     by_value
      - .address_space:  global
        .offset:         32
        .size:           8
        .value_kind:     global_buffer
      - .offset:         40
        .size:           8
        .value_kind:     by_value
      - .offset:         48
        .size:           8
        .value_kind:     by_value
      - .address_space:  global
        .offset:         56
        .size:           8
        .value_kind:     global_buffer
      - .offset:         64
        .size:           8
        .value_kind:     by_value
      - .offset:         72
        .size:           8
        .value_kind:     by_value
      - .offset:         80
        .size:           16
        .value_kind:     by_value
      - .address_space:  global
        .offset:         96
        .size:           8
        .value_kind:     global_buffer
      - .offset:         104
        .size:           8
        .value_kind:     by_value
      - .offset:         112
        .size:           8
        .value_kind:     by_value
      - .offset:         120
        .size:           4
        .value_kind:     by_value
    .group_segment_fixed_size: 8192
    .kernarg_segment_align: 8
    .kernarg_segment_size: 124
    .language:       OpenCL C
    .language_version:
      - 2
      - 0
    .max_flat_workgroup_size: 256
    .name:           _ZL29rocblas_internal_gemmt_kernelIlLi16ELi32ELi8ELc78ELc67ELc76ELb0ELb1E19rocblas_complex_numIdES1_PKPKS1_PKPS1_EviT_T9_T10_S9_lSB_S9_lSA_T11_S9_li
    .private_segment_fixed_size: 0
    .sgpr_count:     47
    .sgpr_spill_count: 0
    .symbol:         _ZL29rocblas_internal_gemmt_kernelIlLi16ELi32ELi8ELc78ELc67ELc76ELb0ELb1E19rocblas_complex_numIdES1_PKPKS1_PKPS1_EviT_T9_T10_S9_lSB_S9_lSA_T11_S9_li.kd
    .uniform_work_group_size: 1
    .uses_dynamic_stack: false
    .vgpr_count:     135
    .vgpr_spill_count: 0
    .wavefront_size: 32
    .workgroup_processor_mode: 1
  - .args:
      - .offset:         0
        .size:           4
        .value_kind:     by_value
      - .offset:         8
        .size:           8
        .value_kind:     by_value
      - .offset:         16
        .size:           16
        .value_kind:     by_value
      - .address_space:  global
        .offset:         32
        .size:           8
        .value_kind:     global_buffer
      - .offset:         40
        .size:           8
        .value_kind:     by_value
      - .offset:         48
        .size:           8
        .value_kind:     by_value
      - .address_space:  global
        .offset:         56
        .size:           8
        .value_kind:     global_buffer
      - .offset:         64
        .size:           8
        .value_kind:     by_value
      - .offset:         72
        .size:           8
        .value_kind:     by_value
      - .offset:         80
        .size:           16
        .value_kind:     by_value
      - .address_space:  global
        .offset:         96
        .size:           8
        .value_kind:     global_buffer
      - .offset:         104
        .size:           8
        .value_kind:     by_value
      - .offset:         112
        .size:           8
        .value_kind:     by_value
      - .offset:         120
        .size:           4
        .value_kind:     by_value
    .group_segment_fixed_size: 8192
    .kernarg_segment_align: 8
    .kernarg_segment_size: 124
    .language:       OpenCL C
    .language_version:
      - 2
      - 0
    .max_flat_workgroup_size: 256
    .name:           _ZL29rocblas_internal_gemmt_kernelIlLi16ELi32ELi8ELc84ELc78ELc76ELb0ELb0E19rocblas_complex_numIdES1_PKPKS1_PKPS1_EviT_T9_T10_S9_lSB_S9_lSA_T11_S9_li
    .private_segment_fixed_size: 0
    .sgpr_count:     43
    .sgpr_spill_count: 0
    .symbol:         _ZL29rocblas_internal_gemmt_kernelIlLi16ELi32ELi8ELc84ELc78ELc76ELb0ELb0E19rocblas_complex_numIdES1_PKPKS1_PKPS1_EviT_T9_T10_S9_lSB_S9_lSA_T11_S9_li.kd
    .uniform_work_group_size: 1
    .uses_dynamic_stack: false
    .vgpr_count:     136
    .vgpr_spill_count: 0
    .wavefront_size: 32
    .workgroup_processor_mode: 1
  - .args:
      - .offset:         0
        .size:           4
        .value_kind:     by_value
      - .offset:         8
        .size:           8
        .value_kind:     by_value
      - .offset:         16
        .size:           16
        .value_kind:     by_value
      - .address_space:  global
        .offset:         32
        .size:           8
        .value_kind:     global_buffer
      - .offset:         40
        .size:           8
        .value_kind:     by_value
      - .offset:         48
        .size:           8
        .value_kind:     by_value
      - .address_space:  global
        .offset:         56
        .size:           8
        .value_kind:     global_buffer
      - .offset:         64
        .size:           8
        .value_kind:     by_value
      - .offset:         72
        .size:           8
        .value_kind:     by_value
      - .offset:         80
        .size:           16
        .value_kind:     by_value
      - .address_space:  global
        .offset:         96
        .size:           8
        .value_kind:     global_buffer
      - .offset:         104
        .size:           8
        .value_kind:     by_value
      - .offset:         112
        .size:           8
        .value_kind:     by_value
      - .offset:         120
        .size:           4
        .value_kind:     by_value
    .group_segment_fixed_size: 8192
    .kernarg_segment_align: 8
    .kernarg_segment_size: 124
    .language:       OpenCL C
    .language_version:
      - 2
      - 0
    .max_flat_workgroup_size: 256
    .name:           _ZL29rocblas_internal_gemmt_kernelIlLi16ELi32ELi8ELc84ELc84ELc76ELb0ELb0E19rocblas_complex_numIdES1_PKPKS1_PKPS1_EviT_T9_T10_S9_lSB_S9_lSA_T11_S9_li
    .private_segment_fixed_size: 0
    .sgpr_count:     45
    .sgpr_spill_count: 0
    .symbol:         _ZL29rocblas_internal_gemmt_kernelIlLi16ELi32ELi8ELc84ELc84ELc76ELb0ELb0E19rocblas_complex_numIdES1_PKPKS1_PKPS1_EviT_T9_T10_S9_lSB_S9_lSA_T11_S9_li.kd
    .uniform_work_group_size: 1
    .uses_dynamic_stack: false
    .vgpr_count:     135
    .vgpr_spill_count: 0
    .wavefront_size: 32
    .workgroup_processor_mode: 1
  - .args:
      - .offset:         0
        .size:           4
        .value_kind:     by_value
      - .offset:         8
        .size:           8
        .value_kind:     by_value
      - .offset:         16
        .size:           16
        .value_kind:     by_value
      - .address_space:  global
        .offset:         32
        .size:           8
        .value_kind:     global_buffer
      - .offset:         40
        .size:           8
        .value_kind:     by_value
      - .offset:         48
        .size:           8
        .value_kind:     by_value
      - .address_space:  global
        .offset:         56
        .size:           8
        .value_kind:     global_buffer
      - .offset:         64
        .size:           8
        .value_kind:     by_value
      - .offset:         72
        .size:           8
        .value_kind:     by_value
      - .offset:         80
        .size:           16
        .value_kind:     by_value
      - .address_space:  global
        .offset:         96
        .size:           8
        .value_kind:     global_buffer
      - .offset:         104
        .size:           8
        .value_kind:     by_value
      - .offset:         112
        .size:           8
        .value_kind:     by_value
      - .offset:         120
        .size:           4
        .value_kind:     by_value
    .group_segment_fixed_size: 8192
    .kernarg_segment_align: 8
    .kernarg_segment_size: 124
    .language:       OpenCL C
    .language_version:
      - 2
      - 0
    .max_flat_workgroup_size: 256
    .name:           _ZL29rocblas_internal_gemmt_kernelIlLi16ELi32ELi8ELc84ELc67ELc76ELb0ELb1E19rocblas_complex_numIdES1_PKPKS1_PKPS1_EviT_T9_T10_S9_lSB_S9_lSA_T11_S9_li
    .private_segment_fixed_size: 0
    .sgpr_count:     45
    .sgpr_spill_count: 0
    .symbol:         _ZL29rocblas_internal_gemmt_kernelIlLi16ELi32ELi8ELc84ELc67ELc76ELb0ELb1E19rocblas_complex_numIdES1_PKPKS1_PKPS1_EviT_T9_T10_S9_lSB_S9_lSA_T11_S9_li.kd
    .uniform_work_group_size: 1
    .uses_dynamic_stack: false
    .vgpr_count:     135
    .vgpr_spill_count: 0
    .wavefront_size: 32
    .workgroup_processor_mode: 1
  - .args:
      - .offset:         0
        .size:           4
        .value_kind:     by_value
      - .offset:         8
        .size:           8
        .value_kind:     by_value
      - .offset:         16
        .size:           16
        .value_kind:     by_value
      - .address_space:  global
        .offset:         32
        .size:           8
        .value_kind:     global_buffer
      - .offset:         40
        .size:           8
        .value_kind:     by_value
      - .offset:         48
        .size:           8
        .value_kind:     by_value
      - .address_space:  global
        .offset:         56
        .size:           8
        .value_kind:     global_buffer
      - .offset:         64
        .size:           8
        .value_kind:     by_value
      - .offset:         72
        .size:           8
        .value_kind:     by_value
      - .offset:         80
        .size:           16
        .value_kind:     by_value
      - .address_space:  global
        .offset:         96
        .size:           8
        .value_kind:     global_buffer
      - .offset:         104
        .size:           8
        .value_kind:     by_value
      - .offset:         112
        .size:           8
        .value_kind:     by_value
      - .offset:         120
        .size:           4
        .value_kind:     by_value
    .group_segment_fixed_size: 8192
    .kernarg_segment_align: 8
    .kernarg_segment_size: 124
    .language:       OpenCL C
    .language_version:
      - 2
      - 0
    .max_flat_workgroup_size: 256
    .name:           _ZL29rocblas_internal_gemmt_kernelIlLi16ELi32ELi8ELc67ELc78ELc76ELb1ELb0E19rocblas_complex_numIdES1_PKPKS1_PKPS1_EviT_T9_T10_S9_lSB_S9_lSA_T11_S9_li
    .private_segment_fixed_size: 0
    .sgpr_count:     42
    .sgpr_spill_count: 0
    .symbol:         _ZL29rocblas_internal_gemmt_kernelIlLi16ELi32ELi8ELc67ELc78ELc76ELb1ELb0E19rocblas_complex_numIdES1_PKPKS1_PKPS1_EviT_T9_T10_S9_lSB_S9_lSA_T11_S9_li.kd
    .uniform_work_group_size: 1
    .uses_dynamic_stack: false
    .vgpr_count:     134
    .vgpr_spill_count: 0
    .wavefront_size: 32
    .workgroup_processor_mode: 1
  - .args:
      - .offset:         0
        .size:           4
        .value_kind:     by_value
      - .offset:         8
        .size:           8
        .value_kind:     by_value
      - .offset:         16
        .size:           16
        .value_kind:     by_value
      - .address_space:  global
        .offset:         32
        .size:           8
        .value_kind:     global_buffer
      - .offset:         40
        .size:           8
        .value_kind:     by_value
      - .offset:         48
        .size:           8
        .value_kind:     by_value
      - .address_space:  global
        .offset:         56
        .size:           8
        .value_kind:     global_buffer
      - .offset:         64
        .size:           8
        .value_kind:     by_value
      - .offset:         72
        .size:           8
        .value_kind:     by_value
      - .offset:         80
        .size:           16
        .value_kind:     by_value
      - .address_space:  global
        .offset:         96
        .size:           8
        .value_kind:     global_buffer
      - .offset:         104
        .size:           8
        .value_kind:     by_value
      - .offset:         112
        .size:           8
        .value_kind:     by_value
      - .offset:         120
        .size:           4
        .value_kind:     by_value
    .group_segment_fixed_size: 8192
    .kernarg_segment_align: 8
    .kernarg_segment_size: 124
    .language:       OpenCL C
    .language_version:
      - 2
      - 0
    .max_flat_workgroup_size: 256
    .name:           _ZL29rocblas_internal_gemmt_kernelIlLi16ELi32ELi8ELc67ELc84ELc76ELb1ELb0E19rocblas_complex_numIdES1_PKPKS1_PKPS1_EviT_T9_T10_S9_lSB_S9_lSA_T11_S9_li
    .private_segment_fixed_size: 0
    .sgpr_count:     43
    .sgpr_spill_count: 0
    .symbol:         _ZL29rocblas_internal_gemmt_kernelIlLi16ELi32ELi8ELc67ELc84ELc76ELb1ELb0E19rocblas_complex_numIdES1_PKPKS1_PKPS1_EviT_T9_T10_S9_lSB_S9_lSA_T11_S9_li.kd
    .uniform_work_group_size: 1
    .uses_dynamic_stack: false
    .vgpr_count:     133
    .vgpr_spill_count: 0
    .wavefront_size: 32
    .workgroup_processor_mode: 1
  - .args:
      - .offset:         0
        .size:           4
        .value_kind:     by_value
      - .offset:         8
        .size:           8
        .value_kind:     by_value
      - .offset:         16
        .size:           16
        .value_kind:     by_value
      - .address_space:  global
        .offset:         32
        .size:           8
        .value_kind:     global_buffer
      - .offset:         40
        .size:           8
        .value_kind:     by_value
      - .offset:         48
        .size:           8
        .value_kind:     by_value
      - .address_space:  global
        .offset:         56
        .size:           8
        .value_kind:     global_buffer
      - .offset:         64
        .size:           8
        .value_kind:     by_value
      - .offset:         72
        .size:           8
        .value_kind:     by_value
      - .offset:         80
        .size:           16
        .value_kind:     by_value
      - .address_space:  global
        .offset:         96
        .size:           8
        .value_kind:     global_buffer
      - .offset:         104
        .size:           8
        .value_kind:     by_value
      - .offset:         112
        .size:           8
        .value_kind:     by_value
      - .offset:         120
        .size:           4
        .value_kind:     by_value
    .group_segment_fixed_size: 8192
    .kernarg_segment_align: 8
    .kernarg_segment_size: 124
    .language:       OpenCL C
    .language_version:
      - 2
      - 0
    .max_flat_workgroup_size: 256
    .name:           _ZL29rocblas_internal_gemmt_kernelIlLi16ELi32ELi8ELc67ELc67ELc76ELb1ELb1E19rocblas_complex_numIdES1_PKPKS1_PKPS1_EviT_T9_T10_S9_lSB_S9_lSA_T11_S9_li
    .private_segment_fixed_size: 0
    .sgpr_count:     44
    .sgpr_spill_count: 0
    .symbol:         _ZL29rocblas_internal_gemmt_kernelIlLi16ELi32ELi8ELc67ELc67ELc76ELb1ELb1E19rocblas_complex_numIdES1_PKPKS1_PKPS1_EviT_T9_T10_S9_lSB_S9_lSA_T11_S9_li.kd
    .uniform_work_group_size: 1
    .uses_dynamic_stack: false
    .vgpr_count:     133
    .vgpr_spill_count: 0
    .wavefront_size: 32
    .workgroup_processor_mode: 1
amdhsa.target:   amdgcn-amd-amdhsa--gfx1201
amdhsa.version:
  - 1
  - 2
...

	.end_amdgpu_metadata
